;; amdgpu-corpus repo=ROCm/rocSOLVER kind=compiled arch=gfx906 opt=O3
	.amdgcn_target "amdgcn-amd-amdhsa--gfx906"
	.amdhsa_code_object_version 6
	.section	.text._ZN9rocsolver6v33100L18getri_kernel_smallILi1EdPdEEvT1_iilPiilS4_bb,"axG",@progbits,_ZN9rocsolver6v33100L18getri_kernel_smallILi1EdPdEEvT1_iilPiilS4_bb,comdat
	.globl	_ZN9rocsolver6v33100L18getri_kernel_smallILi1EdPdEEvT1_iilPiilS4_bb ; -- Begin function _ZN9rocsolver6v33100L18getri_kernel_smallILi1EdPdEEvT1_iilPiilS4_bb
	.p2align	8
	.type	_ZN9rocsolver6v33100L18getri_kernel_smallILi1EdPdEEvT1_iilPiilS4_bb,@function
_ZN9rocsolver6v33100L18getri_kernel_smallILi1EdPdEEvT1_iilPiilS4_bb: ; @_ZN9rocsolver6v33100L18getri_kernel_smallILi1EdPdEEvT1_iilPiilS4_bb
; %bb.0:
	v_cmp_eq_u32_e32 vcc, 0, v0
	s_and_saveexec_b64 s[0:1], vcc
	s_cbranch_execz .LBB0_4
; %bb.1:
	s_load_dword s0, s[4:5], 0x8
	s_load_dword s7, s[4:5], 0x38
	s_load_dwordx2 s[2:3], s[4:5], 0x0
	s_load_dwordx2 s[10:11], s[4:5], 0x10
	;; [unrolled: 1-line block ×3, first 2 shown]
	s_waitcnt lgkmcnt(0)
	s_ashr_i32 s1, s0, 31
	s_bitcmp1_b32 s7, 0
	s_cselect_b64 s[12:13], -1, 0
	s_ashr_i32 s7, s6, 31
	s_mul_hi_u32 s4, s10, s6
	s_mul_i32 s5, s10, s7
	s_add_i32 s4, s4, s5
	s_mul_i32 s5, s11, s6
	s_add_i32 s5, s4, s5
	s_mul_i32 s4, s10, s6
	s_lshl_b64 s[4:5], s[4:5], 3
	s_add_u32 s2, s2, s4
	s_addc_u32 s3, s3, s5
	s_lshl_b64 s[0:1], s[0:1], 3
	s_add_u32 s2, s2, s0
	s_addc_u32 s3, s3, s1
	s_load_dwordx2 s[4:5], s[2:3], 0x0
	s_and_b64 vcc, exec, s[12:13]
	s_cbranch_vccnz .LBB0_5
; %bb.2:
	s_lshl_b64 s[0:1], s[6:7], 2
	s_add_u32 s0, s8, s0
	s_addc_u32 s1, s9, s1
	s_load_dword s0, s[0:1], 0x0
	s_mov_b64 s[10:11], -1
	s_waitcnt lgkmcnt(0)
	s_cmp_eq_u32 s0, 0
	s_cselect_b64 s[0:1], -1, 0
	s_cbranch_execz .LBB0_6
; %bb.3:
	s_waitcnt lgkmcnt(0)
	v_mov_b32_e32 v0, s4
	v_mov_b32_e32 v1, s5
	s_and_b64 vcc, exec, s[10:11]
	s_cbranch_vccnz .LBB0_14
.LBB0_4:
	s_endpgm
.LBB0_5:
	s_mov_b64 s[10:11], 0
                                        ; implicit-def: $sgpr0_sgpr1
.LBB0_6:
	s_waitcnt lgkmcnt(0)
	v_cmp_neq_f64_e64 s[0:1], s[4:5], 0
	v_mov_b32_e32 v0, 0
	ds_write_b32 v0, v0
	s_waitcnt lgkmcnt(0)
	; wave barrier
	s_and_b64 vcc, exec, s[0:1]
	s_cbranch_vccnz .LBB0_11
; %bb.7:
	ds_read_b32 v1, v0
	s_waitcnt lgkmcnt(0)
	v_cmp_ne_u32_e32 vcc, 0, v1
	v_cmp_gt_i32_e64 s[0:1], 2, v1
	s_and_b64 s[0:1], vcc, s[0:1]
	s_and_b64 vcc, exec, s[0:1]
	s_cbranch_vccnz .LBB0_11
; %bb.8:
	s_mov_b64 s[12:13], 0
	v_mov_b32_e32 v2, 1
	v_mov_b32_e32 v3, 0
.LBB0_9:                                ; =>This Inner Loop Header: Depth=1
	ds_cmpst_rtn_b32 v1, v3, v1, v2
	s_waitcnt lgkmcnt(0)
	v_cmp_ne_u32_e32 vcc, 0, v1
	v_cmp_gt_i32_e64 s[0:1], 2, v1
	s_and_b64 s[0:1], vcc, s[0:1]
	s_and_b64 s[0:1], exec, s[0:1]
	s_or_b64 s[12:13], s[0:1], s[12:13]
	s_andn2_b64 exec, exec, s[12:13]
	s_cbranch_execnz .LBB0_9
; %bb.10:
	s_or_b64 exec, exec, s[12:13]
.LBB0_11:
	; wave barrier
	ds_read_b32 v1, v0
	s_lshl_b64 s[0:1], s[6:7], 2
	s_add_u32 s0, s8, s0
	s_addc_u32 s1, s9, s1
	s_waitcnt lgkmcnt(0)
	v_cmp_ne_u32_e32 vcc, 0, v1
	global_store_dword v0, v1, s[0:1]
	s_cbranch_vccz .LBB0_13
; %bb.12:
                                        ; implicit-def: $vgpr0_vgpr1
	s_mov_b64 s[0:1], -1
	s_and_b64 vcc, exec, s[10:11]
	s_cbranch_vccz .LBB0_4
	s_branch .LBB0_14
.LBB0_13:
	v_div_scale_f64 v[0:1], s[0:1], s[4:5], s[4:5], 1.0
	v_div_scale_f64 v[6:7], vcc, 1.0, s[4:5], 1.0
	v_rcp_f64_e32 v[2:3], v[0:1]
	v_fma_f64 v[4:5], -v[0:1], v[2:3], 1.0
	v_fma_f64 v[2:3], v[2:3], v[4:5], v[2:3]
	v_fma_f64 v[4:5], -v[0:1], v[2:3], 1.0
	v_fma_f64 v[2:3], v[2:3], v[4:5], v[2:3]
	v_mul_f64 v[4:5], v[6:7], v[2:3]
	v_fma_f64 v[0:1], -v[0:1], v[4:5], v[6:7]
	v_div_fmas_f64 v[0:1], v[0:1], v[2:3], v[4:5]
	v_div_fixup_f64 v[0:1], v[0:1], s[4:5], 1.0
	s_mov_b64 s[0:1], -1
	s_cbranch_execz .LBB0_4
.LBB0_14:
	s_andn2_b64 vcc, exec, s[0:1]
	s_cbranch_vccnz .LBB0_4
; %bb.15:
	v_mov_b32_e32 v2, 0
	global_store_dwordx2 v2, v[0:1], s[2:3]
	s_endpgm
	.section	.rodata,"a",@progbits
	.p2align	6, 0x0
	.amdhsa_kernel _ZN9rocsolver6v33100L18getri_kernel_smallILi1EdPdEEvT1_iilPiilS4_bb
		.amdhsa_group_segment_fixed_size 4
		.amdhsa_private_segment_fixed_size 0
		.amdhsa_kernarg_size 60
		.amdhsa_user_sgpr_count 6
		.amdhsa_user_sgpr_private_segment_buffer 1
		.amdhsa_user_sgpr_dispatch_ptr 0
		.amdhsa_user_sgpr_queue_ptr 0
		.amdhsa_user_sgpr_kernarg_segment_ptr 1
		.amdhsa_user_sgpr_dispatch_id 0
		.amdhsa_user_sgpr_flat_scratch_init 0
		.amdhsa_user_sgpr_private_segment_size 0
		.amdhsa_uses_dynamic_stack 0
		.amdhsa_system_sgpr_private_segment_wavefront_offset 0
		.amdhsa_system_sgpr_workgroup_id_x 1
		.amdhsa_system_sgpr_workgroup_id_y 0
		.amdhsa_system_sgpr_workgroup_id_z 0
		.amdhsa_system_sgpr_workgroup_info 0
		.amdhsa_system_vgpr_workitem_id 0
		.amdhsa_next_free_vgpr 8
		.amdhsa_next_free_sgpr 14
		.amdhsa_reserve_vcc 1
		.amdhsa_reserve_flat_scratch 0
		.amdhsa_float_round_mode_32 0
		.amdhsa_float_round_mode_16_64 0
		.amdhsa_float_denorm_mode_32 3
		.amdhsa_float_denorm_mode_16_64 3
		.amdhsa_dx10_clamp 1
		.amdhsa_ieee_mode 1
		.amdhsa_fp16_overflow 0
		.amdhsa_exception_fp_ieee_invalid_op 0
		.amdhsa_exception_fp_denorm_src 0
		.amdhsa_exception_fp_ieee_div_zero 0
		.amdhsa_exception_fp_ieee_overflow 0
		.amdhsa_exception_fp_ieee_underflow 0
		.amdhsa_exception_fp_ieee_inexact 0
		.amdhsa_exception_int_div_zero 0
	.end_amdhsa_kernel
	.section	.text._ZN9rocsolver6v33100L18getri_kernel_smallILi1EdPdEEvT1_iilPiilS4_bb,"axG",@progbits,_ZN9rocsolver6v33100L18getri_kernel_smallILi1EdPdEEvT1_iilPiilS4_bb,comdat
.Lfunc_end0:
	.size	_ZN9rocsolver6v33100L18getri_kernel_smallILi1EdPdEEvT1_iilPiilS4_bb, .Lfunc_end0-_ZN9rocsolver6v33100L18getri_kernel_smallILi1EdPdEEvT1_iilPiilS4_bb
                                        ; -- End function
	.set _ZN9rocsolver6v33100L18getri_kernel_smallILi1EdPdEEvT1_iilPiilS4_bb.num_vgpr, 8
	.set _ZN9rocsolver6v33100L18getri_kernel_smallILi1EdPdEEvT1_iilPiilS4_bb.num_agpr, 0
	.set _ZN9rocsolver6v33100L18getri_kernel_smallILi1EdPdEEvT1_iilPiilS4_bb.numbered_sgpr, 14
	.set _ZN9rocsolver6v33100L18getri_kernel_smallILi1EdPdEEvT1_iilPiilS4_bb.num_named_barrier, 0
	.set _ZN9rocsolver6v33100L18getri_kernel_smallILi1EdPdEEvT1_iilPiilS4_bb.private_seg_size, 0
	.set _ZN9rocsolver6v33100L18getri_kernel_smallILi1EdPdEEvT1_iilPiilS4_bb.uses_vcc, 1
	.set _ZN9rocsolver6v33100L18getri_kernel_smallILi1EdPdEEvT1_iilPiilS4_bb.uses_flat_scratch, 0
	.set _ZN9rocsolver6v33100L18getri_kernel_smallILi1EdPdEEvT1_iilPiilS4_bb.has_dyn_sized_stack, 0
	.set _ZN9rocsolver6v33100L18getri_kernel_smallILi1EdPdEEvT1_iilPiilS4_bb.has_recursion, 0
	.set _ZN9rocsolver6v33100L18getri_kernel_smallILi1EdPdEEvT1_iilPiilS4_bb.has_indirect_call, 0
	.section	.AMDGPU.csdata,"",@progbits
; Kernel info:
; codeLenInByte = 508
; TotalNumSgprs: 18
; NumVgprs: 8
; ScratchSize: 0
; MemoryBound: 0
; FloatMode: 240
; IeeeMode: 1
; LDSByteSize: 4 bytes/workgroup (compile time only)
; SGPRBlocks: 2
; VGPRBlocks: 1
; NumSGPRsForWavesPerEU: 18
; NumVGPRsForWavesPerEU: 8
; Occupancy: 10
; WaveLimiterHint : 0
; COMPUTE_PGM_RSRC2:SCRATCH_EN: 0
; COMPUTE_PGM_RSRC2:USER_SGPR: 6
; COMPUTE_PGM_RSRC2:TRAP_HANDLER: 0
; COMPUTE_PGM_RSRC2:TGID_X_EN: 1
; COMPUTE_PGM_RSRC2:TGID_Y_EN: 0
; COMPUTE_PGM_RSRC2:TGID_Z_EN: 0
; COMPUTE_PGM_RSRC2:TIDIG_COMP_CNT: 0
	.section	.text._ZN9rocsolver6v33100L18getri_kernel_smallILi2EdPdEEvT1_iilPiilS4_bb,"axG",@progbits,_ZN9rocsolver6v33100L18getri_kernel_smallILi2EdPdEEvT1_iilPiilS4_bb,comdat
	.globl	_ZN9rocsolver6v33100L18getri_kernel_smallILi2EdPdEEvT1_iilPiilS4_bb ; -- Begin function _ZN9rocsolver6v33100L18getri_kernel_smallILi2EdPdEEvT1_iilPiilS4_bb
	.p2align	8
	.type	_ZN9rocsolver6v33100L18getri_kernel_smallILi2EdPdEEvT1_iilPiilS4_bb,@function
_ZN9rocsolver6v33100L18getri_kernel_smallILi2EdPdEEvT1_iilPiilS4_bb: ; @_ZN9rocsolver6v33100L18getri_kernel_smallILi2EdPdEEvT1_iilPiilS4_bb
; %bb.0:
	v_cmp_gt_u32_e32 vcc, 2, v0
	s_and_saveexec_b64 s[0:1], vcc
	s_cbranch_execz .LBB1_16
; %bb.1:
	s_load_dword s14, s[4:5], 0x38
	s_load_dwordx4 s[0:3], s[4:5], 0x10
	s_load_dwordx4 s[8:11], s[4:5], 0x28
	s_waitcnt lgkmcnt(0)
	s_bitcmp1_b32 s14, 8
	s_cselect_b64 s[12:13], -1, 0
	s_ashr_i32 s7, s6, 31
	s_bfe_u32 s14, s14, 0x10008
	s_cmp_eq_u32 s14, 0
                                        ; implicit-def: $sgpr14_sgpr15
	s_cbranch_scc1 .LBB1_3
; %bb.2:
	s_load_dword s14, s[4:5], 0x20
	s_mul_i32 s15, s8, s7
	s_mul_hi_u32 s16, s8, s6
	s_mul_i32 s9, s9, s6
	s_add_i32 s16, s16, s15
	s_add_i32 s9, s16, s9
	s_mul_i32 s8, s8, s6
	s_waitcnt lgkmcnt(0)
	s_ashr_i32 s15, s14, 31
	s_lshl_b64 s[8:9], s[8:9], 2
	s_add_u32 s8, s2, s8
	s_addc_u32 s9, s3, s9
	s_lshl_b64 s[2:3], s[14:15], 2
	s_add_u32 s14, s8, s2
	s_addc_u32 s15, s9, s3
.LBB1_3:
	s_load_dwordx4 s[16:19], s[4:5], 0x0
	s_load_dword s8, s[4:5], 0x38
	s_mul_i32 s4, s0, s7
	s_mul_hi_u32 s5, s0, s6
	s_add_i32 s4, s5, s4
	s_mul_i32 s1, s1, s6
	s_add_i32 s1, s4, s1
	s_mul_i32 s0, s0, s6
	s_waitcnt lgkmcnt(0)
	s_ashr_i32 s3, s18, 31
	s_lshl_b64 s[0:1], s[0:1], 3
	s_mov_b32 s2, s18
	s_add_u32 s4, s16, s0
	s_addc_u32 s5, s17, s1
	s_lshl_b64 s[0:1], s[2:3], 3
	s_add_u32 s0, s4, s0
	s_addc_u32 s1, s5, s1
	v_lshlrev_b32_e32 v11, 3, v0
	v_mov_b32_e32 v1, s1
	v_add_co_u32_e32 v5, vcc, s0, v11
	v_addc_co_u32_e32 v6, vcc, 0, v1, vcc
	global_load_dwordx2 v[1:2], v11, s[0:1]
	s_ashr_i32 s1, s19, 31
	s_mov_b32 s0, s19
	s_lshl_b64 s[0:1], s[0:1], 3
	v_mov_b32_e32 v3, s1
	v_add_co_u32_e32 v7, vcc, s0, v5
	v_addc_co_u32_e32 v8, vcc, v6, v3, vcc
	global_load_dwordx2 v[3:4], v[7:8], off
	s_bitcmp0_b32 s8, 0
	s_mov_b64 s[0:1], -1
	s_cbranch_scc1 .LBB1_14
; %bb.4:
	v_cmp_eq_u32_e64 s[0:1], 0, v0
	s_and_saveexec_b64 s[2:3], s[0:1]
; %bb.5:
	v_mov_b32_e32 v9, 0
	ds_write_b32 v9, v9 offset:32
; %bb.6:
	s_or_b64 exec, exec, s[2:3]
	v_cmp_eq_u32_e32 vcc, 1, v0
	s_waitcnt vmcnt(0)
	v_cndmask_b32_e32 v10, v2, v4, vcc
	v_cndmask_b32_e32 v9, v1, v3, vcc
	v_cmp_eq_f64_e32 vcc, 0, v[9:10]
	s_waitcnt lgkmcnt(0)
	; wave barrier
	s_and_saveexec_b64 s[4:5], vcc
	s_cbranch_execz .LBB1_10
; %bb.7:
	v_mov_b32_e32 v12, 0
	ds_read_b32 v14, v12 offset:32
	v_add_u32_e32 v13, 1, v0
	s_waitcnt lgkmcnt(0)
	v_readfirstlane_b32 s2, v14
	s_cmp_eq_u32 s2, 0
	s_cselect_b64 s[8:9], -1, 0
	v_cmp_gt_i32_e32 vcc, s2, v13
	s_or_b64 s[8:9], s[8:9], vcc
	s_and_b64 exec, exec, s[8:9]
	s_cbranch_execz .LBB1_10
; %bb.8:
	s_mov_b64 s[8:9], 0
	v_mov_b32_e32 v14, s2
.LBB1_9:                                ; =>This Inner Loop Header: Depth=1
	ds_cmpst_rtn_b32 v14, v12, v14, v13 offset:32
	s_waitcnt lgkmcnt(0)
	v_cmp_ne_u32_e32 vcc, 0, v14
	v_cmp_le_i32_e64 s[2:3], v14, v13
	s_and_b64 s[2:3], vcc, s[2:3]
	s_and_b64 s[2:3], exec, s[2:3]
	s_or_b64 s[8:9], s[2:3], s[8:9]
	s_andn2_b64 exec, exec, s[8:9]
	s_cbranch_execnz .LBB1_9
.LBB1_10:
	s_or_b64 exec, exec, s[4:5]
	v_mov_b32_e32 v13, 0
	; wave barrier
	ds_read_b32 v12, v13 offset:32
	s_and_saveexec_b64 s[2:3], s[0:1]
	s_cbranch_execz .LBB1_12
; %bb.11:
	s_lshl_b64 s[4:5], s[6:7], 2
	s_add_u32 s4, s10, s4
	s_addc_u32 s5, s11, s5
	s_waitcnt lgkmcnt(0)
	global_store_dword v13, v12, s[4:5]
.LBB1_12:
	s_or_b64 exec, exec, s[2:3]
	s_waitcnt lgkmcnt(0)
	v_cmp_ne_u32_e32 vcc, 0, v12
	s_cbranch_vccz .LBB1_17
; %bb.13:
	s_mov_b64 s[0:1], 0
                                        ; implicit-def: $vgpr1_vgpr2_vgpr3_vgpr4
.LBB1_14:
	s_and_b64 vcc, exec, s[0:1]
	s_cbranch_vccz .LBB1_16
.LBB1_15:
	s_lshl_b64 s[0:1], s[6:7], 2
	s_add_u32 s0, s10, s0
	s_addc_u32 s1, s11, s1
	v_mov_b32_e32 v9, 0
	global_load_dword v9, v9, s[0:1]
	s_waitcnt vmcnt(0)
	v_cmp_ne_u32_e32 vcc, 0, v9
	s_cbranch_vccz .LBB1_20
.LBB1_16:
	s_endpgm
.LBB1_17:
	v_div_scale_f64 v[12:13], s[2:3], v[9:10], v[9:10], 1.0
	v_rcp_f64_e32 v[14:15], v[12:13]
	v_fma_f64 v[16:17], -v[12:13], v[14:15], 1.0
	v_fma_f64 v[14:15], v[14:15], v[16:17], v[14:15]
	v_div_scale_f64 v[16:17], vcc, 1.0, v[9:10], 1.0
	v_fma_f64 v[18:19], -v[12:13], v[14:15], 1.0
	v_fma_f64 v[14:15], v[14:15], v[18:19], v[14:15]
	v_mul_f64 v[18:19], v[16:17], v[14:15]
	v_fma_f64 v[12:13], -v[12:13], v[18:19], v[16:17]
	v_div_fmas_f64 v[12:13], v[12:13], v[14:15], v[18:19]
	v_cmp_eq_u32_e32 vcc, 1, v0
	v_div_fixup_f64 v[9:10], v[12:13], v[9:10], 1.0
	v_cndmask_b32_e32 v4, v4, v10, vcc
	v_cndmask_b32_e32 v3, v3, v9, vcc
	v_cmp_eq_u32_e32 vcc, 0, v0
	v_cndmask_b32_e32 v2, v2, v10, vcc
	v_cndmask_b32_e32 v1, v1, v9, vcc
	v_xor_b32_e32 v10, 0x80000000, v10
	ds_write2_b64 v11, v[9:10], v[3:4] offset1:2
	s_waitcnt lgkmcnt(0)
	; wave barrier
	s_and_saveexec_b64 s[2:3], s[0:1]
	s_cbranch_execz .LBB1_19
; %bb.18:
	v_mov_b32_e32 v3, 0
	ds_read2_b64 v[9:12], v3 offset0:1 offset1:2
	s_waitcnt lgkmcnt(0)
	v_fma_f64 v[3:4], v[1:2], v[11:12], 0
	v_mul_f64 v[3:4], v[3:4], v[9:10]
.LBB1_19:
	s_or_b64 exec, exec, s[2:3]
	; wave barrier
	s_cbranch_execnz .LBB1_15
	s_branch .LBB1_16
.LBB1_20:
	v_cmp_eq_u32_e32 vcc, 1, v0
	s_and_saveexec_b64 s[0:1], vcc
	s_cbranch_execz .LBB1_22
; %bb.21:
	v_mov_b32_e32 v12, v4
	s_mov_b32 s2, 0
	v_mov_b32_e32 v9, v1
	v_mov_b32_e32 v10, v2
	;; [unrolled: 1-line block ×6, first 2 shown]
	ds_write_b64 v0, v[1:2] offset:24
	v_mov_b32_e32 v1, v9
	v_mov_b32_e32 v2, v10
	;; [unrolled: 1-line block ×4, first 2 shown]
.LBB1_22:
	s_or_b64 exec, exec, s[0:1]
	v_mov_b32_e32 v0, 0
	s_waitcnt lgkmcnt(0)
	; wave barrier
	ds_read_b64 v[9:10], v0 offset:24
	s_and_b64 vcc, exec, s[12:13]
	s_waitcnt lgkmcnt(0)
	v_fma_f64 v[9:10], v[3:4], v[9:10], 0
	v_add_f64 v[1:2], v[1:2], -v[9:10]
	s_cbranch_vccz .LBB1_24
; %bb.23:
	global_load_dword v0, v0, s[14:15]
	s_waitcnt vmcnt(0)
	v_add_u32_e32 v0, -1, v0
	v_cmp_eq_u32_e32 vcc, 1, v0
	v_cndmask_b32_e32 v9, v2, v4, vcc
	v_cndmask_b32_e32 v10, v1, v3, vcc
	;; [unrolled: 1-line block ×4, first 2 shown]
	v_cmp_eq_u32_e32 vcc, 0, v0
	v_cndmask_b32_e32 v0, v10, v1, vcc
	v_cndmask_b32_e32 v9, v9, v2, vcc
	;; [unrolled: 1-line block ×6, first 2 shown]
.LBB1_24:
	global_store_dwordx2 v[5:6], v[1:2], off
	global_store_dwordx2 v[7:8], v[3:4], off
	s_endpgm
	.section	.rodata,"a",@progbits
	.p2align	6, 0x0
	.amdhsa_kernel _ZN9rocsolver6v33100L18getri_kernel_smallILi2EdPdEEvT1_iilPiilS4_bb
		.amdhsa_group_segment_fixed_size 40
		.amdhsa_private_segment_fixed_size 0
		.amdhsa_kernarg_size 60
		.amdhsa_user_sgpr_count 6
		.amdhsa_user_sgpr_private_segment_buffer 1
		.amdhsa_user_sgpr_dispatch_ptr 0
		.amdhsa_user_sgpr_queue_ptr 0
		.amdhsa_user_sgpr_kernarg_segment_ptr 1
		.amdhsa_user_sgpr_dispatch_id 0
		.amdhsa_user_sgpr_flat_scratch_init 0
		.amdhsa_user_sgpr_private_segment_size 0
		.amdhsa_uses_dynamic_stack 0
		.amdhsa_system_sgpr_private_segment_wavefront_offset 0
		.amdhsa_system_sgpr_workgroup_id_x 1
		.amdhsa_system_sgpr_workgroup_id_y 0
		.amdhsa_system_sgpr_workgroup_id_z 0
		.amdhsa_system_sgpr_workgroup_info 0
		.amdhsa_system_vgpr_workitem_id 0
		.amdhsa_next_free_vgpr 20
		.amdhsa_next_free_sgpr 20
		.amdhsa_reserve_vcc 1
		.amdhsa_reserve_flat_scratch 0
		.amdhsa_float_round_mode_32 0
		.amdhsa_float_round_mode_16_64 0
		.amdhsa_float_denorm_mode_32 3
		.amdhsa_float_denorm_mode_16_64 3
		.amdhsa_dx10_clamp 1
		.amdhsa_ieee_mode 1
		.amdhsa_fp16_overflow 0
		.amdhsa_exception_fp_ieee_invalid_op 0
		.amdhsa_exception_fp_denorm_src 0
		.amdhsa_exception_fp_ieee_div_zero 0
		.amdhsa_exception_fp_ieee_overflow 0
		.amdhsa_exception_fp_ieee_underflow 0
		.amdhsa_exception_fp_ieee_inexact 0
		.amdhsa_exception_int_div_zero 0
	.end_amdhsa_kernel
	.section	.text._ZN9rocsolver6v33100L18getri_kernel_smallILi2EdPdEEvT1_iilPiilS4_bb,"axG",@progbits,_ZN9rocsolver6v33100L18getri_kernel_smallILi2EdPdEEvT1_iilPiilS4_bb,comdat
.Lfunc_end1:
	.size	_ZN9rocsolver6v33100L18getri_kernel_smallILi2EdPdEEvT1_iilPiilS4_bb, .Lfunc_end1-_ZN9rocsolver6v33100L18getri_kernel_smallILi2EdPdEEvT1_iilPiilS4_bb
                                        ; -- End function
	.set _ZN9rocsolver6v33100L18getri_kernel_smallILi2EdPdEEvT1_iilPiilS4_bb.num_vgpr, 20
	.set _ZN9rocsolver6v33100L18getri_kernel_smallILi2EdPdEEvT1_iilPiilS4_bb.num_agpr, 0
	.set _ZN9rocsolver6v33100L18getri_kernel_smallILi2EdPdEEvT1_iilPiilS4_bb.numbered_sgpr, 20
	.set _ZN9rocsolver6v33100L18getri_kernel_smallILi2EdPdEEvT1_iilPiilS4_bb.num_named_barrier, 0
	.set _ZN9rocsolver6v33100L18getri_kernel_smallILi2EdPdEEvT1_iilPiilS4_bb.private_seg_size, 0
	.set _ZN9rocsolver6v33100L18getri_kernel_smallILi2EdPdEEvT1_iilPiilS4_bb.uses_vcc, 1
	.set _ZN9rocsolver6v33100L18getri_kernel_smallILi2EdPdEEvT1_iilPiilS4_bb.uses_flat_scratch, 0
	.set _ZN9rocsolver6v33100L18getri_kernel_smallILi2EdPdEEvT1_iilPiilS4_bb.has_dyn_sized_stack, 0
	.set _ZN9rocsolver6v33100L18getri_kernel_smallILi2EdPdEEvT1_iilPiilS4_bb.has_recursion, 0
	.set _ZN9rocsolver6v33100L18getri_kernel_smallILi2EdPdEEvT1_iilPiilS4_bb.has_indirect_call, 0
	.section	.AMDGPU.csdata,"",@progbits
; Kernel info:
; codeLenInByte = 932
; TotalNumSgprs: 24
; NumVgprs: 20
; ScratchSize: 0
; MemoryBound: 0
; FloatMode: 240
; IeeeMode: 1
; LDSByteSize: 40 bytes/workgroup (compile time only)
; SGPRBlocks: 2
; VGPRBlocks: 4
; NumSGPRsForWavesPerEU: 24
; NumVGPRsForWavesPerEU: 20
; Occupancy: 10
; WaveLimiterHint : 0
; COMPUTE_PGM_RSRC2:SCRATCH_EN: 0
; COMPUTE_PGM_RSRC2:USER_SGPR: 6
; COMPUTE_PGM_RSRC2:TRAP_HANDLER: 0
; COMPUTE_PGM_RSRC2:TGID_X_EN: 1
; COMPUTE_PGM_RSRC2:TGID_Y_EN: 0
; COMPUTE_PGM_RSRC2:TGID_Z_EN: 0
; COMPUTE_PGM_RSRC2:TIDIG_COMP_CNT: 0
	.section	.text._ZN9rocsolver6v33100L18getri_kernel_smallILi3EdPdEEvT1_iilPiilS4_bb,"axG",@progbits,_ZN9rocsolver6v33100L18getri_kernel_smallILi3EdPdEEvT1_iilPiilS4_bb,comdat
	.globl	_ZN9rocsolver6v33100L18getri_kernel_smallILi3EdPdEEvT1_iilPiilS4_bb ; -- Begin function _ZN9rocsolver6v33100L18getri_kernel_smallILi3EdPdEEvT1_iilPiilS4_bb
	.p2align	8
	.type	_ZN9rocsolver6v33100L18getri_kernel_smallILi3EdPdEEvT1_iilPiilS4_bb,@function
_ZN9rocsolver6v33100L18getri_kernel_smallILi3EdPdEEvT1_iilPiilS4_bb: ; @_ZN9rocsolver6v33100L18getri_kernel_smallILi3EdPdEEvT1_iilPiilS4_bb
; %bb.0:
	v_cmp_gt_u32_e32 vcc, 3, v0
	s_and_saveexec_b64 s[0:1], vcc
	s_cbranch_execz .LBB2_16
; %bb.1:
	s_load_dword s12, s[4:5], 0x38
	s_load_dwordx4 s[0:3], s[4:5], 0x10
	s_load_dwordx4 s[8:11], s[4:5], 0x28
	s_waitcnt lgkmcnt(0)
	s_bitcmp1_b32 s12, 8
	s_cselect_b64 s[14:15], -1, 0
	s_ashr_i32 s7, s6, 31
	s_bfe_u32 s12, s12, 0x10008
	s_cmp_eq_u32 s12, 0
                                        ; implicit-def: $sgpr12_sgpr13
	s_cbranch_scc1 .LBB2_3
; %bb.2:
	s_load_dword s12, s[4:5], 0x20
	s_mul_i32 s13, s8, s7
	s_mul_hi_u32 s16, s8, s6
	s_mul_i32 s9, s9, s6
	s_add_i32 s16, s16, s13
	s_add_i32 s9, s16, s9
	s_mul_i32 s8, s8, s6
	s_waitcnt lgkmcnt(0)
	s_ashr_i32 s13, s12, 31
	s_lshl_b64 s[8:9], s[8:9], 2
	s_add_u32 s8, s2, s8
	s_addc_u32 s9, s3, s9
	s_lshl_b64 s[2:3], s[12:13], 2
	s_add_u32 s12, s8, s2
	s_addc_u32 s13, s9, s3
.LBB2_3:
	s_load_dwordx4 s[16:19], s[4:5], 0x0
	s_load_dword s8, s[4:5], 0x38
	s_mul_i32 s4, s0, s7
	s_mul_hi_u32 s5, s0, s6
	s_add_i32 s4, s5, s4
	s_mul_i32 s1, s1, s6
	s_add_i32 s1, s4, s1
	s_mul_i32 s0, s0, s6
	s_waitcnt lgkmcnt(0)
	s_ashr_i32 s3, s18, 31
	s_lshl_b64 s[0:1], s[0:1], 3
	s_mov_b32 s2, s18
	s_add_u32 s4, s16, s0
	s_addc_u32 s5, s17, s1
	s_lshl_b64 s[0:1], s[2:3], 3
	s_add_u32 s0, s4, s0
	s_addc_u32 s1, s5, s1
	v_lshlrev_b32_e32 v15, 3, v0
	v_mov_b32_e32 v1, s1
	v_add_co_u32_e32 v7, vcc, s0, v15
	s_ashr_i32 s3, s19, 31
	s_mov_b32 s2, s19
	v_addc_co_u32_e32 v8, vcc, 0, v1, vcc
	s_lshl_b64 s[2:3], s[2:3], 3
	v_mov_b32_e32 v3, s3
	v_add_co_u32_e32 v9, vcc, s2, v7
	s_add_i32 s2, s19, s19
	v_addc_co_u32_e32 v10, vcc, v8, v3, vcc
	v_add_u32_e32 v3, s2, v0
	v_ashrrev_i32_e32 v4, 31, v3
	v_lshlrev_b64 v[3:4], 3, v[3:4]
	v_mov_b32_e32 v5, s1
	v_add_co_u32_e32 v11, vcc, s0, v3
	global_load_dwordx2 v[1:2], v15, s[0:1]
	v_addc_co_u32_e32 v12, vcc, v5, v4, vcc
	global_load_dwordx2 v[3:4], v[9:10], off
	global_load_dwordx2 v[5:6], v[11:12], off
	s_bitcmp0_b32 s8, 0
	s_mov_b64 s[0:1], -1
	s_cbranch_scc1 .LBB2_14
; %bb.4:
	v_cmp_eq_u32_e64 s[0:1], 0, v0
	s_and_saveexec_b64 s[2:3], s[0:1]
; %bb.5:
	v_mov_b32_e32 v13, 0
	ds_write_b32 v13, v13 offset:24
; %bb.6:
	s_or_b64 exec, exec, s[2:3]
	v_cmp_eq_u32_e32 vcc, 1, v0
	s_waitcnt vmcnt(1)
	v_cndmask_b32_e32 v13, v2, v4, vcc
	v_cmp_eq_u32_e64 s[2:3], 2, v0
	s_waitcnt vmcnt(0)
	v_cndmask_b32_e64 v14, v13, v6, s[2:3]
	v_cndmask_b32_e32 v13, v1, v3, vcc
	v_cndmask_b32_e64 v13, v13, v5, s[2:3]
	v_cmp_eq_f64_e32 vcc, 0, v[13:14]
	s_waitcnt lgkmcnt(0)
	; wave barrier
	s_and_saveexec_b64 s[4:5], vcc
	s_cbranch_execz .LBB2_10
; %bb.7:
	v_mov_b32_e32 v16, 0
	ds_read_b32 v18, v16 offset:24
	v_add_u32_e32 v17, 1, v0
	s_waitcnt lgkmcnt(0)
	v_readfirstlane_b32 s2, v18
	s_cmp_eq_u32 s2, 0
	s_cselect_b64 s[8:9], -1, 0
	v_cmp_gt_i32_e32 vcc, s2, v17
	s_or_b64 s[8:9], s[8:9], vcc
	s_and_b64 exec, exec, s[8:9]
	s_cbranch_execz .LBB2_10
; %bb.8:
	s_mov_b64 s[8:9], 0
	v_mov_b32_e32 v18, s2
.LBB2_9:                                ; =>This Inner Loop Header: Depth=1
	ds_cmpst_rtn_b32 v18, v16, v18, v17 offset:24
	s_waitcnt lgkmcnt(0)
	v_cmp_ne_u32_e32 vcc, 0, v18
	v_cmp_le_i32_e64 s[2:3], v18, v17
	s_and_b64 s[2:3], vcc, s[2:3]
	s_and_b64 s[2:3], exec, s[2:3]
	s_or_b64 s[8:9], s[2:3], s[8:9]
	s_andn2_b64 exec, exec, s[8:9]
	s_cbranch_execnz .LBB2_9
.LBB2_10:
	s_or_b64 exec, exec, s[4:5]
	v_mov_b32_e32 v17, 0
	; wave barrier
	ds_read_b32 v16, v17 offset:24
	s_and_saveexec_b64 s[2:3], s[0:1]
	s_cbranch_execz .LBB2_12
; %bb.11:
	s_lshl_b64 s[4:5], s[6:7], 2
	s_add_u32 s4, s10, s4
	s_addc_u32 s5, s11, s5
	s_waitcnt lgkmcnt(0)
	global_store_dword v17, v16, s[4:5]
.LBB2_12:
	s_or_b64 exec, exec, s[2:3]
	s_waitcnt lgkmcnt(0)
	v_cmp_ne_u32_e32 vcc, 0, v16
	s_cbranch_vccz .LBB2_17
; %bb.13:
	s_mov_b64 s[0:1], 0
                                        ; implicit-def: $vgpr1_vgpr2_vgpr3_vgpr4_vgpr5_vgpr6
.LBB2_14:
	s_and_b64 vcc, exec, s[0:1]
	s_cbranch_vccz .LBB2_16
.LBB2_15:
	s_lshl_b64 s[0:1], s[6:7], 2
	s_add_u32 s0, s10, s0
	s_addc_u32 s1, s11, s1
	v_mov_b32_e32 v13, 0
	global_load_dword v13, v13, s[0:1]
	s_waitcnt vmcnt(0)
	v_cmp_ne_u32_e32 vcc, 0, v13
	s_cbranch_vccz .LBB2_22
.LBB2_16:
	s_endpgm
.LBB2_17:
	v_div_scale_f64 v[16:17], s[2:3], v[13:14], v[13:14], 1.0
	v_rcp_f64_e32 v[18:19], v[16:17]
	v_fma_f64 v[20:21], -v[16:17], v[18:19], 1.0
	v_fma_f64 v[18:19], v[18:19], v[20:21], v[18:19]
	v_div_scale_f64 v[20:21], vcc, 1.0, v[13:14], 1.0
	v_fma_f64 v[22:23], -v[16:17], v[18:19], 1.0
	v_fma_f64 v[18:19], v[18:19], v[22:23], v[18:19]
	v_mul_f64 v[22:23], v[20:21], v[18:19]
	v_fma_f64 v[16:17], -v[16:17], v[22:23], v[20:21]
	v_div_fmas_f64 v[16:17], v[16:17], v[18:19], v[22:23]
	v_cmp_eq_u32_e32 vcc, 2, v0
	v_div_fixup_f64 v[13:14], v[16:17], v[13:14], 1.0
	v_add_u32_e32 v16, 32, v15
	v_cndmask_b32_e32 v6, v6, v14, vcc
	v_cndmask_b32_e32 v5, v5, v13, vcc
	v_cmp_eq_u32_e32 vcc, 1, v0
	v_cndmask_b32_e32 v4, v4, v14, vcc
	v_cndmask_b32_e32 v3, v3, v13, vcc
	v_cmp_eq_u32_e32 vcc, 0, v0
	v_cndmask_b32_e32 v2, v2, v14, vcc
	v_cndmask_b32_e32 v1, v1, v13, vcc
	v_xor_b32_e32 v18, 0x80000000, v14
	v_mov_b32_e32 v17, v13
	ds_write2_b64 v15, v[17:18], v[3:4] offset1:4
	s_waitcnt lgkmcnt(0)
	; wave barrier
	s_and_saveexec_b64 s[2:3], s[0:1]
	s_cbranch_execz .LBB2_19
; %bb.18:
	ds_read_b64 v[3:4], v16
	v_mov_b32_e32 v15, 0
	ds_read_b64 v[17:18], v15 offset:8
	s_waitcnt lgkmcnt(1)
	v_fma_f64 v[3:4], v[13:14], v[3:4], 0
	s_waitcnt lgkmcnt(0)
	v_mul_f64 v[3:4], v[3:4], v[17:18]
.LBB2_19:
	s_or_b64 exec, exec, s[2:3]
	v_cmp_ne_u32_e32 vcc, 2, v0
	; wave barrier
	ds_write_b64 v16, v[5:6]
	s_waitcnt lgkmcnt(0)
	; wave barrier
	s_and_saveexec_b64 s[4:5], vcc
	s_cbranch_execz .LBB2_21
; %bb.20:
	ds_read_b64 v[13:14], v16
	v_cmp_eq_u32_e32 vcc, 1, v0
	v_cndmask_b32_e32 v15, v2, v4, vcc
	v_cmp_eq_u32_e64 s[2:3], 2, v0
	v_cndmask_b32_e64 v6, v15, v6, s[2:3]
	v_cndmask_b32_e32 v15, v1, v3, vcc
	v_cndmask_b32_e64 v5, v15, v5, s[2:3]
	s_waitcnt lgkmcnt(0)
	v_fma_f64 v[5:6], v[5:6], v[13:14], 0
	v_mov_b32_e32 v13, 0
	ds_read2_b64 v[13:16], v13 offset0:2 offset1:5
	s_waitcnt lgkmcnt(0)
	v_fma_f64 v[15:16], v[3:4], v[15:16], v[5:6]
	v_cndmask_b32_e64 v6, v6, v16, s[0:1]
	v_cndmask_b32_e64 v5, v5, v15, s[0:1]
	v_mul_f64 v[5:6], v[5:6], v[13:14]
.LBB2_21:
	s_or_b64 exec, exec, s[4:5]
	; wave barrier
	s_cbranch_execnz .LBB2_15
	s_branch .LBB2_16
.LBB2_22:
	v_lshl_add_u32 v13, v0, 3, 32
	v_cmp_eq_u32_e32 vcc, 2, v0
	s_and_saveexec_b64 s[0:1], vcc
	s_cbranch_execz .LBB2_24
; %bb.23:
	v_mov_b32_e32 v19, v6
	s_mov_b32 s2, 0
	v_mov_b32_e32 v17, v4
	v_mov_b32_e32 v16, v3
	;; [unrolled: 1-line block ×7, first 2 shown]
	ds_write_b64 v13, v[3:4]
	v_mov_b32_e32 v1, v14
	v_mov_b32_e32 v2, v15
	;; [unrolled: 1-line block ×6, first 2 shown]
.LBB2_24:
	s_or_b64 exec, exec, s[0:1]
	v_mov_b32_e32 v14, 0
	s_waitcnt lgkmcnt(0)
	; wave barrier
	ds_read_b64 v[15:16], v14 offset:48
	s_mov_b32 s2, 0
	v_cmp_ne_u32_e32 vcc, 0, v0
	s_waitcnt lgkmcnt(0)
	v_fma_f64 v[15:16], v[5:6], v[15:16], 0
	v_add_f64 v[3:4], v[3:4], -v[15:16]
	s_and_saveexec_b64 s[0:1], vcc
	s_cbranch_execz .LBB2_26
; %bb.25:
	v_mov_b32_e32 v20, v6
	v_mov_b32_e32 v15, v1
	;; [unrolled: 1-line block ×8, first 2 shown]
	ds_write_b64 v13, v[1:2]
	v_mov_b32_e32 v1, v15
	v_mov_b32_e32 v2, v16
	;; [unrolled: 1-line block ×6, first 2 shown]
.LBB2_26:
	s_or_b64 exec, exec, s[0:1]
	s_waitcnt lgkmcnt(0)
	; wave barrier
	ds_read2_b64 v[13:16], v14 offset0:5 offset1:6
	s_and_b64 vcc, exec, s[14:15]
	s_waitcnt lgkmcnt(0)
	v_fma_f64 v[13:14], v[3:4], v[13:14], 0
	v_fma_f64 v[13:14], v[5:6], v[15:16], v[13:14]
	v_add_f64 v[1:2], v[1:2], -v[13:14]
	s_cbranch_vccz .LBB2_31
; %bb.27:
	v_mov_b32_e32 v0, 0
	global_load_dword v13, v0, s[12:13] offset:4
	s_waitcnt vmcnt(0)
	v_readfirstlane_b32 s2, v13
	s_add_i32 s2, s2, -1
	s_cmp_lg_u32 s2, 1
	s_cbranch_scc0 .LBB2_29
; %bb.28:
	s_cmp_eq_u32 s2, 1
	s_cselect_b64 vcc, -1, 0
	s_cmp_eq_u32 s2, 2
	v_cndmask_b32_e32 v13, v1, v3, vcc
	s_cselect_b64 s[0:1], -1, 0
	v_cndmask_b32_e32 v14, v2, v4, vcc
	v_cndmask_b32_e64 v13, v13, v5, s[0:1]
	v_cndmask_b32_e64 v14, v14, v6, s[0:1]
	s_cmp_eq_u32 s2, 0
	v_cndmask_b32_e32 v16, v14, v4, vcc
	v_cndmask_b32_e32 v15, v13, v3, vcc
	s_cselect_b64 vcc, -1, 0
	v_cndmask_b32_e32 v13, v1, v3, vcc
	v_cndmask_b32_e64 v18, v6, v4, s[0:1]
	v_cndmask_b32_e64 v17, v5, v3, s[0:1]
	v_cndmask_b32_e32 v14, v2, v4, vcc
	v_mov_b32_e32 v1, v13
	v_mov_b32_e32 v2, v14
	;; [unrolled: 1-line block ×6, first 2 shown]
.LBB2_29:
	global_load_dword v0, v0, s[12:13]
	s_waitcnt vmcnt(0)
	v_readfirstlane_b32 s2, v0
	s_add_i32 s2, s2, -1
	s_cmp_eq_u32 s2, 0
	s_cbranch_scc1 .LBB2_31
; %bb.30:
	s_cmp_eq_u32 s2, 1
	s_cselect_b64 vcc, -1, 0
	s_cmp_eq_u32 s2, 2
	v_cndmask_b32_e32 v0, v1, v3, vcc
	s_cselect_b64 s[0:1], -1, 0
	v_cndmask_b32_e32 v13, v2, v4, vcc
	s_cmp_eq_u32 s2, 0
	v_cndmask_b32_e64 v0, v0, v5, s[0:1]
	v_cndmask_b32_e64 v13, v13, v6, s[0:1]
	s_cselect_b64 s[2:3], -1, 0
	v_cndmask_b32_e64 v14, v13, v2, s[2:3]
	v_cndmask_b32_e64 v13, v0, v1, s[2:3]
	;; [unrolled: 1-line block ×4, first 2 shown]
	v_cndmask_b32_e32 v16, v4, v2, vcc
	v_cndmask_b32_e32 v15, v3, v1, vcc
	v_mov_b32_e32 v1, v13
	v_mov_b32_e32 v2, v14
	;; [unrolled: 1-line block ×6, first 2 shown]
.LBB2_31:
	global_store_dwordx2 v[7:8], v[1:2], off
	global_store_dwordx2 v[9:10], v[3:4], off
	;; [unrolled: 1-line block ×3, first 2 shown]
	s_endpgm
	.section	.rodata,"a",@progbits
	.p2align	6, 0x0
	.amdhsa_kernel _ZN9rocsolver6v33100L18getri_kernel_smallILi3EdPdEEvT1_iilPiilS4_bb
		.amdhsa_group_segment_fixed_size 56
		.amdhsa_private_segment_fixed_size 0
		.amdhsa_kernarg_size 60
		.amdhsa_user_sgpr_count 6
		.amdhsa_user_sgpr_private_segment_buffer 1
		.amdhsa_user_sgpr_dispatch_ptr 0
		.amdhsa_user_sgpr_queue_ptr 0
		.amdhsa_user_sgpr_kernarg_segment_ptr 1
		.amdhsa_user_sgpr_dispatch_id 0
		.amdhsa_user_sgpr_flat_scratch_init 0
		.amdhsa_user_sgpr_private_segment_size 0
		.amdhsa_uses_dynamic_stack 0
		.amdhsa_system_sgpr_private_segment_wavefront_offset 0
		.amdhsa_system_sgpr_workgroup_id_x 1
		.amdhsa_system_sgpr_workgroup_id_y 0
		.amdhsa_system_sgpr_workgroup_id_z 0
		.amdhsa_system_sgpr_workgroup_info 0
		.amdhsa_system_vgpr_workitem_id 0
		.amdhsa_next_free_vgpr 24
		.amdhsa_next_free_sgpr 20
		.amdhsa_reserve_vcc 1
		.amdhsa_reserve_flat_scratch 0
		.amdhsa_float_round_mode_32 0
		.amdhsa_float_round_mode_16_64 0
		.amdhsa_float_denorm_mode_32 3
		.amdhsa_float_denorm_mode_16_64 3
		.amdhsa_dx10_clamp 1
		.amdhsa_ieee_mode 1
		.amdhsa_fp16_overflow 0
		.amdhsa_exception_fp_ieee_invalid_op 0
		.amdhsa_exception_fp_denorm_src 0
		.amdhsa_exception_fp_ieee_div_zero 0
		.amdhsa_exception_fp_ieee_overflow 0
		.amdhsa_exception_fp_ieee_underflow 0
		.amdhsa_exception_fp_ieee_inexact 0
		.amdhsa_exception_int_div_zero 0
	.end_amdhsa_kernel
	.section	.text._ZN9rocsolver6v33100L18getri_kernel_smallILi3EdPdEEvT1_iilPiilS4_bb,"axG",@progbits,_ZN9rocsolver6v33100L18getri_kernel_smallILi3EdPdEEvT1_iilPiilS4_bb,comdat
.Lfunc_end2:
	.size	_ZN9rocsolver6v33100L18getri_kernel_smallILi3EdPdEEvT1_iilPiilS4_bb, .Lfunc_end2-_ZN9rocsolver6v33100L18getri_kernel_smallILi3EdPdEEvT1_iilPiilS4_bb
                                        ; -- End function
	.set _ZN9rocsolver6v33100L18getri_kernel_smallILi3EdPdEEvT1_iilPiilS4_bb.num_vgpr, 24
	.set _ZN9rocsolver6v33100L18getri_kernel_smallILi3EdPdEEvT1_iilPiilS4_bb.num_agpr, 0
	.set _ZN9rocsolver6v33100L18getri_kernel_smallILi3EdPdEEvT1_iilPiilS4_bb.numbered_sgpr, 20
	.set _ZN9rocsolver6v33100L18getri_kernel_smallILi3EdPdEEvT1_iilPiilS4_bb.num_named_barrier, 0
	.set _ZN9rocsolver6v33100L18getri_kernel_smallILi3EdPdEEvT1_iilPiilS4_bb.private_seg_size, 0
	.set _ZN9rocsolver6v33100L18getri_kernel_smallILi3EdPdEEvT1_iilPiilS4_bb.uses_vcc, 1
	.set _ZN9rocsolver6v33100L18getri_kernel_smallILi3EdPdEEvT1_iilPiilS4_bb.uses_flat_scratch, 0
	.set _ZN9rocsolver6v33100L18getri_kernel_smallILi3EdPdEEvT1_iilPiilS4_bb.has_dyn_sized_stack, 0
	.set _ZN9rocsolver6v33100L18getri_kernel_smallILi3EdPdEEvT1_iilPiilS4_bb.has_recursion, 0
	.set _ZN9rocsolver6v33100L18getri_kernel_smallILi3EdPdEEvT1_iilPiilS4_bb.has_indirect_call, 0
	.section	.AMDGPU.csdata,"",@progbits
; Kernel info:
; codeLenInByte = 1528
; TotalNumSgprs: 24
; NumVgprs: 24
; ScratchSize: 0
; MemoryBound: 0
; FloatMode: 240
; IeeeMode: 1
; LDSByteSize: 56 bytes/workgroup (compile time only)
; SGPRBlocks: 2
; VGPRBlocks: 5
; NumSGPRsForWavesPerEU: 24
; NumVGPRsForWavesPerEU: 24
; Occupancy: 10
; WaveLimiterHint : 0
; COMPUTE_PGM_RSRC2:SCRATCH_EN: 0
; COMPUTE_PGM_RSRC2:USER_SGPR: 6
; COMPUTE_PGM_RSRC2:TRAP_HANDLER: 0
; COMPUTE_PGM_RSRC2:TGID_X_EN: 1
; COMPUTE_PGM_RSRC2:TGID_Y_EN: 0
; COMPUTE_PGM_RSRC2:TGID_Z_EN: 0
; COMPUTE_PGM_RSRC2:TIDIG_COMP_CNT: 0
	.section	.text._ZN9rocsolver6v33100L18getri_kernel_smallILi4EdPdEEvT1_iilPiilS4_bb,"axG",@progbits,_ZN9rocsolver6v33100L18getri_kernel_smallILi4EdPdEEvT1_iilPiilS4_bb,comdat
	.globl	_ZN9rocsolver6v33100L18getri_kernel_smallILi4EdPdEEvT1_iilPiilS4_bb ; -- Begin function _ZN9rocsolver6v33100L18getri_kernel_smallILi4EdPdEEvT1_iilPiilS4_bb
	.p2align	8
	.type	_ZN9rocsolver6v33100L18getri_kernel_smallILi4EdPdEEvT1_iilPiilS4_bb,@function
_ZN9rocsolver6v33100L18getri_kernel_smallILi4EdPdEEvT1_iilPiilS4_bb: ; @_ZN9rocsolver6v33100L18getri_kernel_smallILi4EdPdEEvT1_iilPiilS4_bb
; %bb.0:
	v_cmp_gt_u32_e32 vcc, 4, v0
	s_and_saveexec_b64 s[0:1], vcc
	s_cbranch_execz .LBB3_16
; %bb.1:
	s_load_dword s0, s[4:5], 0x38
	s_load_dwordx4 s[12:15], s[4:5], 0x10
	s_load_dwordx4 s[8:11], s[4:5], 0x28
                                        ; implicit-def: $sgpr16_sgpr17
	s_waitcnt lgkmcnt(0)
	s_bitcmp1_b32 s0, 8
	s_cselect_b64 s[18:19], -1, 0
	s_ashr_i32 s7, s6, 31
	s_bfe_u32 s0, s0, 0x10008
	s_cmp_eq_u32 s0, 0
	s_cbranch_scc1 .LBB3_3
; %bb.2:
	s_load_dword s0, s[4:5], 0x20
	s_mul_i32 s1, s8, s7
	s_mul_hi_u32 s2, s8, s6
	s_mul_i32 s3, s9, s6
	s_add_i32 s2, s2, s1
	s_add_i32 s3, s2, s3
	s_mul_i32 s2, s8, s6
	s_waitcnt lgkmcnt(0)
	s_ashr_i32 s1, s0, 31
	s_lshl_b64 s[2:3], s[2:3], 2
	s_add_u32 s2, s14, s2
	s_addc_u32 s3, s15, s3
	s_lshl_b64 s[0:1], s[0:1], 2
	s_add_u32 s16, s2, s0
	s_addc_u32 s17, s3, s1
.LBB3_3:
	s_load_dwordx4 s[0:3], s[4:5], 0x0
	s_load_dword s14, s[4:5], 0x38
	s_mul_i32 s8, s12, s7
	s_mul_hi_u32 s9, s12, s6
	v_lshlrev_b32_e32 v20, 3, v0
	s_waitcnt lgkmcnt(0)
	s_ashr_i32 s5, s2, 31
	s_mov_b32 s4, s2
	s_add_i32 s2, s9, s8
	s_mul_i32 s8, s13, s6
	s_add_i32 s9, s2, s8
	s_mul_i32 s8, s12, s6
	s_lshl_b64 s[8:9], s[8:9], 3
	s_add_u32 s2, s0, s8
	s_addc_u32 s8, s1, s9
	s_lshl_b64 s[0:1], s[4:5], 3
	s_add_u32 s0, s2, s0
	s_addc_u32 s1, s8, s1
	s_add_i32 s2, s3, s3
	v_add_u32_e32 v4, s2, v0
	v_ashrrev_i32_e32 v5, 31, v4
	v_mov_b32_e32 v1, s1
	v_add_co_u32_e32 v10, vcc, s0, v20
	v_lshlrev_b64 v[5:6], 3, v[4:5]
	v_addc_co_u32_e32 v11, vcc, 0, v1, vcc
	v_add_u32_e32 v4, s3, v4
	v_add_co_u32_e32 v12, vcc, s0, v5
	v_ashrrev_i32_e32 v5, 31, v4
	v_lshlrev_b64 v[4:5], 3, v[4:5]
	v_addc_co_u32_e32 v13, vcc, v1, v6, vcc
	s_ashr_i32 s5, s3, 31
	s_mov_b32 s4, s3
	v_add_co_u32_e32 v14, vcc, s0, v4
	s_lshl_b64 s[4:5], s[4:5], 3
	v_addc_co_u32_e32 v15, vcc, v1, v5, vcc
	v_mov_b32_e32 v1, s5
	v_add_co_u32_e32 v16, vcc, s4, v10
	v_addc_co_u32_e32 v17, vcc, v11, v1, vcc
	global_load_dwordx2 v[2:3], v20, s[0:1]
	global_load_dwordx2 v[4:5], v[16:17], off
	global_load_dwordx2 v[6:7], v[12:13], off
	;; [unrolled: 1-line block ×3, first 2 shown]
	v_mov_b32_e32 v1, 0
	s_bitcmp0_b32 s14, 0
	s_mov_b64 s[0:1], -1
	s_cbranch_scc1 .LBB3_14
; %bb.4:
	v_cmp_eq_u32_e64 s[0:1], 0, v0
	s_and_saveexec_b64 s[2:3], s[0:1]
; %bb.5:
	v_mov_b32_e32 v18, 0
	ds_write_b32 v18, v18 offset:64
; %bb.6:
	s_or_b64 exec, exec, s[2:3]
	v_cmp_eq_u32_e32 vcc, 1, v0
	s_waitcnt vmcnt(2)
	v_cndmask_b32_e32 v18, v3, v5, vcc
	v_cmp_eq_u32_e64 s[2:3], 2, v0
	s_waitcnt vmcnt(1)
	v_cndmask_b32_e64 v18, v18, v7, s[2:3]
	v_cmp_eq_u32_e64 s[4:5], 3, v0
	s_waitcnt vmcnt(0)
	v_cndmask_b32_e64 v19, v18, v9, s[4:5]
	v_cndmask_b32_e32 v18, v2, v4, vcc
	v_cndmask_b32_e64 v18, v18, v6, s[2:3]
	v_cndmask_b32_e64 v18, v18, v8, s[4:5]
	v_cmp_eq_f64_e32 vcc, 0, v[18:19]
	s_waitcnt lgkmcnt(0)
	; wave barrier
	s_and_saveexec_b64 s[4:5], vcc
	s_cbranch_execz .LBB3_10
; %bb.7:
	v_mov_b32_e32 v21, 0
	ds_read_b32 v23, v21 offset:64
	v_add_u32_e32 v22, 1, v0
	s_waitcnt lgkmcnt(0)
	v_readfirstlane_b32 s2, v23
	s_cmp_eq_u32 s2, 0
	s_cselect_b64 s[8:9], -1, 0
	v_cmp_gt_i32_e32 vcc, s2, v22
	s_or_b64 s[8:9], s[8:9], vcc
	s_and_b64 exec, exec, s[8:9]
	s_cbranch_execz .LBB3_10
; %bb.8:
	s_mov_b64 s[8:9], 0
	v_mov_b32_e32 v23, s2
.LBB3_9:                                ; =>This Inner Loop Header: Depth=1
	ds_cmpst_rtn_b32 v23, v21, v23, v22 offset:64
	s_waitcnt lgkmcnt(0)
	v_cmp_ne_u32_e32 vcc, 0, v23
	v_cmp_le_i32_e64 s[2:3], v23, v22
	s_and_b64 s[2:3], vcc, s[2:3]
	s_and_b64 s[2:3], exec, s[2:3]
	s_or_b64 s[8:9], s[2:3], s[8:9]
	s_andn2_b64 exec, exec, s[8:9]
	s_cbranch_execnz .LBB3_9
.LBB3_10:
	s_or_b64 exec, exec, s[4:5]
	v_mov_b32_e32 v22, 0
	; wave barrier
	ds_read_b32 v21, v22 offset:64
	s_and_saveexec_b64 s[2:3], s[0:1]
	s_cbranch_execz .LBB3_12
; %bb.11:
	s_lshl_b64 s[4:5], s[6:7], 2
	s_add_u32 s4, s10, s4
	s_addc_u32 s5, s11, s5
	s_waitcnt lgkmcnt(0)
	global_store_dword v22, v21, s[4:5]
.LBB3_12:
	s_or_b64 exec, exec, s[2:3]
	s_waitcnt lgkmcnt(0)
	v_cmp_ne_u32_e32 vcc, 0, v21
	s_cbranch_vccz .LBB3_17
; %bb.13:
	s_mov_b64 s[0:1], 0
                                        ; implicit-def: $vgpr2_vgpr3_vgpr4_vgpr5_vgpr6_vgpr7_vgpr8_vgpr9
.LBB3_14:
	s_and_b64 vcc, exec, s[0:1]
	s_cbranch_vccz .LBB3_16
.LBB3_15:
	s_lshl_b64 s[0:1], s[6:7], 2
	s_add_u32 s0, s10, s0
	s_addc_u32 s1, s11, s1
	v_mov_b32_e32 v1, 0
	global_load_dword v1, v1, s[0:1]
	s_waitcnt vmcnt(0)
	v_cmp_ne_u32_e32 vcc, 0, v1
	s_cbranch_vccz .LBB3_26
.LBB3_16:
	s_endpgm
.LBB3_17:
	v_div_scale_f64 v[21:22], s[2:3], v[18:19], v[18:19], 1.0
	v_rcp_f64_e32 v[23:24], v[21:22]
	v_fma_f64 v[25:26], -v[21:22], v[23:24], 1.0
	v_fma_f64 v[23:24], v[23:24], v[25:26], v[23:24]
	v_div_scale_f64 v[25:26], vcc, 1.0, v[18:19], 1.0
	v_fma_f64 v[27:28], -v[21:22], v[23:24], 1.0
	v_fma_f64 v[23:24], v[23:24], v[27:28], v[23:24]
	v_mul_f64 v[27:28], v[25:26], v[23:24]
	v_fma_f64 v[21:22], -v[21:22], v[27:28], v[25:26]
	v_div_fmas_f64 v[21:22], v[21:22], v[23:24], v[27:28]
	v_cmp_eq_u32_e32 vcc, 3, v0
	v_div_fixup_f64 v[18:19], v[21:22], v[18:19], 1.0
	v_add_u32_e32 v21, 32, v20
	v_cndmask_b32_e32 v9, v9, v19, vcc
	v_cndmask_b32_e32 v8, v8, v18, vcc
	v_cmp_eq_u32_e32 vcc, 2, v0
	v_cndmask_b32_e32 v7, v7, v19, vcc
	v_cndmask_b32_e32 v6, v6, v18, vcc
	v_cmp_eq_u32_e32 vcc, 1, v0
	v_cndmask_b32_e32 v5, v5, v19, vcc
	v_cndmask_b32_e32 v4, v4, v18, vcc
	v_cmp_eq_u32_e32 vcc, 0, v0
	v_cndmask_b32_e32 v3, v3, v19, vcc
	v_cndmask_b32_e32 v2, v2, v18, vcc
	v_xor_b32_e32 v23, 0x80000000, v19
	v_mov_b32_e32 v22, v18
	ds_write2_b64 v20, v[22:23], v[4:5] offset1:4
	s_waitcnt lgkmcnt(0)
	; wave barrier
	s_and_saveexec_b64 s[2:3], s[0:1]
	s_cbranch_execz .LBB3_19
; %bb.18:
	ds_read_b64 v[4:5], v21
	v_mov_b32_e32 v20, 0
	ds_read_b64 v[22:23], v20 offset:8
	s_waitcnt lgkmcnt(1)
	v_fma_f64 v[4:5], v[18:19], v[4:5], 0
	s_waitcnt lgkmcnt(0)
	v_mul_f64 v[4:5], v[4:5], v[22:23]
.LBB3_19:
	s_or_b64 exec, exec, s[2:3]
	v_cmp_gt_u32_e32 vcc, 2, v0
	; wave barrier
	ds_write_b64 v21, v[6:7]
	s_waitcnt lgkmcnt(0)
	; wave barrier
	s_and_saveexec_b64 s[8:9], vcc
	s_cbranch_execz .LBB3_21
; %bb.20:
	v_cmp_eq_u32_e32 vcc, 1, v0
	v_cndmask_b32_e32 v18, v3, v5, vcc
	v_cmp_eq_u32_e64 s[2:3], 2, v0
	v_cndmask_b32_e64 v7, v18, v7, s[2:3]
	ds_read_b64 v[18:19], v21
	v_cndmask_b32_e32 v20, v2, v4, vcc
	v_cmp_eq_u32_e64 s[4:5], 3, v0
	v_cndmask_b32_e64 v6, v20, v6, s[2:3]
	v_cndmask_b32_e64 v7, v7, v9, s[4:5]
	v_cndmask_b32_e64 v6, v6, v8, s[4:5]
	s_waitcnt lgkmcnt(0)
	v_fma_f64 v[6:7], v[6:7], v[18:19], 0
	v_mov_b32_e32 v18, 0
	ds_read2_b64 v[22:25], v18 offset0:2 offset1:5
	s_waitcnt lgkmcnt(0)
	v_fma_f64 v[18:19], v[4:5], v[24:25], v[6:7]
	v_cndmask_b32_e64 v7, v7, v19, s[0:1]
	v_cndmask_b32_e64 v6, v6, v18, s[0:1]
	v_mul_f64 v[6:7], v[6:7], v[22:23]
.LBB3_21:
	s_or_b64 exec, exec, s[8:9]
	v_cmp_ne_u32_e32 vcc, 3, v0
	; wave barrier
	ds_write_b64 v21, v[8:9]
	s_waitcnt lgkmcnt(0)
	; wave barrier
	s_and_saveexec_b64 s[2:3], vcc
	s_cbranch_execz .LBB3_25
; %bb.22:
	v_mov_b32_e32 v18, 0
	v_mov_b32_e32 v21, v1
	v_lshl_add_u32 v22, v0, 3, 32
	v_mov_b32_e32 v19, 0
	s_mov_b64 s[4:5], 0
	v_mov_b32_e32 v20, v0
.LBB3_23:                               ; =>This Inner Loop Header: Depth=1
	v_cmp_eq_u32_e32 vcc, 1, v20
	ds_read_b64 v[23:24], v22
	v_cndmask_b32_e32 v1, v3, v5, vcc
	v_cmp_eq_u32_e64 s[0:1], 2, v20
	v_cndmask_b32_e64 v1, v1, v7, s[0:1]
	v_cndmask_b32_e32 v25, v2, v4, vcc
	v_cmp_eq_u32_e32 vcc, 3, v20
	v_cndmask_b32_e32 v26, v1, v9, vcc
	v_cndmask_b32_e64 v1, v25, v6, s[0:1]
	v_cndmask_b32_e32 v25, v1, v8, vcc
	s_waitcnt lgkmcnt(0)
	v_fma_f64 v[18:19], v[25:26], v[23:24], v[18:19]
	v_add_co_u32_e32 v20, vcc, 1, v20
	v_addc_co_u32_e32 v21, vcc, 0, v21, vcc
	v_add_u32_e32 v1, -1, v20
	v_cmp_lt_u32_e32 vcc, 1, v1
	s_or_b64 s[4:5], vcc, s[4:5]
	v_add_u32_e32 v22, 8, v22
	s_andn2_b64 exec, exec, s[4:5]
	s_cbranch_execnz .LBB3_23
; %bb.24:
	s_or_b64 exec, exec, s[4:5]
	v_mov_b32_e32 v1, 0
	ds_read_b64 v[8:9], v1 offset:24
	s_waitcnt lgkmcnt(0)
	v_mul_f64 v[8:9], v[18:19], v[8:9]
.LBB3_25:
	s_or_b64 exec, exec, s[2:3]
	; wave barrier
	s_cbranch_execnz .LBB3_15
	s_branch .LBB3_16
.LBB3_26:
	v_lshl_add_u32 v1, v0, 3, 32
	v_cmp_eq_u32_e32 vcc, 3, v0
	s_and_saveexec_b64 s[0:1], vcc
	s_cbranch_execz .LBB3_28
; %bb.27:
	v_mov_b32_e32 v25, v9
	s_mov_b32 s2, 0
	v_mov_b32_e32 v23, v7
	v_mov_b32_e32 v22, v6
	;; [unrolled: 1-line block ×9, first 2 shown]
	ds_write_b64 v1, v[6:7]
	v_mov_b32_e32 v2, v18
	v_mov_b32_e32 v3, v19
	v_mov_b32_e32 v4, v20
	v_mov_b32_e32 v5, v21
	v_mov_b32_e32 v6, v22
	v_mov_b32_e32 v7, v23
	v_mov_b32_e32 v8, v24
	v_mov_b32_e32 v9, v25
.LBB3_28:
	s_or_b64 exec, exec, s[0:1]
	v_mov_b32_e32 v18, 0
	s_waitcnt lgkmcnt(0)
	; wave barrier
	ds_read_b64 v[19:20], v18 offset:56
	v_cmp_lt_u32_e32 vcc, 1, v0
	s_waitcnt lgkmcnt(0)
	v_fma_f64 v[19:20], v[8:9], v[19:20], 0
	v_add_f64 v[6:7], v[6:7], -v[19:20]
	s_and_saveexec_b64 s[0:1], vcc
	s_cbranch_execz .LBB3_30
; %bb.29:
	v_mov_b32_e32 v26, v9
	s_mov_b32 s2, 0
	v_mov_b32_e32 v22, v5
	v_mov_b32_e32 v21, v4
	;; [unrolled: 1-line block ×9, first 2 shown]
	ds_write_b64 v1, v[4:5]
	v_mov_b32_e32 v2, v19
	v_mov_b32_e32 v3, v20
	;; [unrolled: 1-line block ×8, first 2 shown]
.LBB3_30:
	s_or_b64 exec, exec, s[0:1]
	s_waitcnt lgkmcnt(0)
	; wave barrier
	ds_read_b128 v[18:21], v18 offset:48
	s_mov_b32 s2, 0
	v_cmp_ne_u32_e32 vcc, 0, v0
	s_waitcnt lgkmcnt(0)
	v_fma_f64 v[18:19], v[6:7], v[18:19], 0
	v_fma_f64 v[18:19], v[8:9], v[20:21], v[18:19]
	v_add_f64 v[4:5], v[4:5], -v[18:19]
	s_and_saveexec_b64 s[0:1], vcc
	s_cbranch_execz .LBB3_32
; %bb.31:
	v_mov_b32_e32 v25, v9
	v_mov_b32_e32 v18, v2
	;; [unrolled: 1-line block ×10, first 2 shown]
	ds_write_b64 v1, v[2:3]
	v_mov_b32_e32 v2, v18
	v_mov_b32_e32 v3, v19
	;; [unrolled: 1-line block ×8, first 2 shown]
.LBB3_32:
	s_or_b64 exec, exec, s[0:1]
	v_mov_b32_e32 v0, 0
	s_waitcnt lgkmcnt(0)
	; wave barrier
	ds_read2_b64 v[18:21], v0 offset0:5 offset1:6
	ds_read_b64 v[22:23], v0 offset:56
	s_and_b64 vcc, exec, s[18:19]
	s_waitcnt lgkmcnt(1)
	v_fma_f64 v[18:19], v[4:5], v[18:19], 0
	v_fma_f64 v[18:19], v[6:7], v[20:21], v[18:19]
	s_waitcnt lgkmcnt(0)
	v_fma_f64 v[18:19], v[8:9], v[22:23], v[18:19]
	v_add_f64 v[2:3], v[2:3], -v[18:19]
	s_cbranch_vccz .LBB3_39
; %bb.33:
	global_load_dword v0, v0, s[16:17] offset:8
	s_waitcnt vmcnt(0)
	v_readfirstlane_b32 s4, v0
	s_add_i32 s4, s4, -1
	s_cmp_lg_u32 s4, 2
	s_cbranch_scc0 .LBB3_35
; %bb.34:
	s_cmp_eq_u32 s4, 1
	s_cselect_b64 vcc, -1, 0
	s_cmp_eq_u32 s4, 2
	s_cselect_b64 s[0:1], -1, 0
	s_cmp_eq_u32 s4, 3
	v_cndmask_b32_e32 v0, v2, v4, vcc
	s_cselect_b64 s[2:3], -1, 0
	v_cndmask_b32_e32 v1, v3, v5, vcc
	s_cmp_eq_u32 s4, 0
	v_cndmask_b32_e64 v0, v0, v6, s[0:1]
	v_cndmask_b32_e64 v1, v1, v7, s[0:1]
	v_cndmask_b32_e32 v21, v5, v7, vcc
	v_cndmask_b32_e32 v20, v4, v6, vcc
	s_cselect_b64 vcc, -1, 0
	v_cndmask_b32_e64 v0, v0, v8, s[2:3]
	v_cndmask_b32_e64 v1, v1, v9, s[2:3]
	v_cndmask_b32_e32 v18, v2, v6, vcc
	v_cndmask_b32_e64 v23, v1, v7, s[0:1]
	v_cndmask_b32_e64 v22, v0, v6, s[0:1]
	;; [unrolled: 1-line block ×4, first 2 shown]
	v_cndmask_b32_e32 v19, v3, v7, vcc
	v_mov_b32_e32 v2, v18
	v_mov_b32_e32 v3, v19
	;; [unrolled: 1-line block ×8, first 2 shown]
.LBB3_35:
	v_mov_b32_e32 v0, 0
	global_load_dword v1, v0, s[16:17] offset:4
	s_waitcnt vmcnt(0)
	v_readfirstlane_b32 s4, v1
	s_add_i32 s4, s4, -1
	s_cmp_eq_u32 s4, 1
	s_cbranch_scc1 .LBB3_37
; %bb.36:
	s_cselect_b64 vcc, -1, 0
	s_cmp_eq_u32 s4, 2
	v_cndmask_b32_e32 v1, v2, v4, vcc
	s_cselect_b64 s[0:1], -1, 0
	s_cmp_eq_u32 s4, 3
	v_cndmask_b32_e32 v18, v3, v5, vcc
	v_cndmask_b32_e64 v1, v1, v6, s[0:1]
	s_cselect_b64 s[2:3], -1, 0
	v_cndmask_b32_e64 v18, v18, v7, s[0:1]
	v_cndmask_b32_e64 v1, v1, v8, s[2:3]
	v_cndmask_b32_e64 v18, v18, v9, s[2:3]
	s_cmp_eq_u32 s4, 0
	v_cndmask_b32_e32 v21, v18, v5, vcc
	v_cndmask_b32_e32 v20, v1, v4, vcc
	s_cselect_b64 vcc, -1, 0
	v_cndmask_b32_e32 v18, v2, v4, vcc
	v_cndmask_b32_e64 v25, v9, v5, s[2:3]
	v_cndmask_b32_e64 v24, v8, v4, s[2:3]
	;; [unrolled: 1-line block ×4, first 2 shown]
	v_cndmask_b32_e32 v19, v3, v5, vcc
	v_mov_b32_e32 v2, v18
	v_mov_b32_e32 v3, v19
	;; [unrolled: 1-line block ×8, first 2 shown]
.LBB3_37:
	global_load_dword v0, v0, s[16:17]
	s_waitcnt vmcnt(0)
	v_readfirstlane_b32 s4, v0
	s_add_i32 s4, s4, -1
	s_cmp_eq_u32 s4, 0
	s_cbranch_scc1 .LBB3_39
; %bb.38:
	s_cmp_eq_u32 s4, 1
	s_cselect_b64 vcc, -1, 0
	s_cmp_eq_u32 s4, 2
	v_cndmask_b32_e32 v0, v2, v4, vcc
	s_cselect_b64 s[0:1], -1, 0
	s_cmp_eq_u32 s4, 3
	v_cndmask_b32_e64 v0, v0, v6, s[0:1]
	s_cselect_b64 s[2:3], -1, 0
	v_cndmask_b32_e32 v1, v3, v5, vcc
	s_cmp_eq_u32 s4, 0
	v_cndmask_b32_e64 v0, v0, v8, s[2:3]
	v_cndmask_b32_e64 v1, v1, v7, s[0:1]
	s_cselect_b64 s[4:5], -1, 0
	v_cndmask_b32_e64 v1, v1, v9, s[2:3]
	v_cndmask_b32_e64 v18, v0, v2, s[4:5]
	;; [unrolled: 1-line block ×7, first 2 shown]
	v_cndmask_b32_e32 v21, v5, v3, vcc
	v_cndmask_b32_e32 v20, v4, v2, vcc
	v_mov_b32_e32 v2, v18
	v_mov_b32_e32 v3, v19
	;; [unrolled: 1-line block ×8, first 2 shown]
.LBB3_39:
	global_store_dwordx2 v[10:11], v[2:3], off
	global_store_dwordx2 v[16:17], v[4:5], off
	;; [unrolled: 1-line block ×4, first 2 shown]
	s_endpgm
	.section	.rodata,"a",@progbits
	.p2align	6, 0x0
	.amdhsa_kernel _ZN9rocsolver6v33100L18getri_kernel_smallILi4EdPdEEvT1_iilPiilS4_bb
		.amdhsa_group_segment_fixed_size 72
		.amdhsa_private_segment_fixed_size 0
		.amdhsa_kernarg_size 60
		.amdhsa_user_sgpr_count 6
		.amdhsa_user_sgpr_private_segment_buffer 1
		.amdhsa_user_sgpr_dispatch_ptr 0
		.amdhsa_user_sgpr_queue_ptr 0
		.amdhsa_user_sgpr_kernarg_segment_ptr 1
		.amdhsa_user_sgpr_dispatch_id 0
		.amdhsa_user_sgpr_flat_scratch_init 0
		.amdhsa_user_sgpr_private_segment_size 0
		.amdhsa_uses_dynamic_stack 0
		.amdhsa_system_sgpr_private_segment_wavefront_offset 0
		.amdhsa_system_sgpr_workgroup_id_x 1
		.amdhsa_system_sgpr_workgroup_id_y 0
		.amdhsa_system_sgpr_workgroup_id_z 0
		.amdhsa_system_sgpr_workgroup_info 0
		.amdhsa_system_vgpr_workitem_id 0
		.amdhsa_next_free_vgpr 29
		.amdhsa_next_free_sgpr 20
		.amdhsa_reserve_vcc 1
		.amdhsa_reserve_flat_scratch 0
		.amdhsa_float_round_mode_32 0
		.amdhsa_float_round_mode_16_64 0
		.amdhsa_float_denorm_mode_32 3
		.amdhsa_float_denorm_mode_16_64 3
		.amdhsa_dx10_clamp 1
		.amdhsa_ieee_mode 1
		.amdhsa_fp16_overflow 0
		.amdhsa_exception_fp_ieee_invalid_op 0
		.amdhsa_exception_fp_denorm_src 0
		.amdhsa_exception_fp_ieee_div_zero 0
		.amdhsa_exception_fp_ieee_overflow 0
		.amdhsa_exception_fp_ieee_underflow 0
		.amdhsa_exception_fp_ieee_inexact 0
		.amdhsa_exception_int_div_zero 0
	.end_amdhsa_kernel
	.section	.text._ZN9rocsolver6v33100L18getri_kernel_smallILi4EdPdEEvT1_iilPiilS4_bb,"axG",@progbits,_ZN9rocsolver6v33100L18getri_kernel_smallILi4EdPdEEvT1_iilPiilS4_bb,comdat
.Lfunc_end3:
	.size	_ZN9rocsolver6v33100L18getri_kernel_smallILi4EdPdEEvT1_iilPiilS4_bb, .Lfunc_end3-_ZN9rocsolver6v33100L18getri_kernel_smallILi4EdPdEEvT1_iilPiilS4_bb
                                        ; -- End function
	.set _ZN9rocsolver6v33100L18getri_kernel_smallILi4EdPdEEvT1_iilPiilS4_bb.num_vgpr, 29
	.set _ZN9rocsolver6v33100L18getri_kernel_smallILi4EdPdEEvT1_iilPiilS4_bb.num_agpr, 0
	.set _ZN9rocsolver6v33100L18getri_kernel_smallILi4EdPdEEvT1_iilPiilS4_bb.numbered_sgpr, 20
	.set _ZN9rocsolver6v33100L18getri_kernel_smallILi4EdPdEEvT1_iilPiilS4_bb.num_named_barrier, 0
	.set _ZN9rocsolver6v33100L18getri_kernel_smallILi4EdPdEEvT1_iilPiilS4_bb.private_seg_size, 0
	.set _ZN9rocsolver6v33100L18getri_kernel_smallILi4EdPdEEvT1_iilPiilS4_bb.uses_vcc, 1
	.set _ZN9rocsolver6v33100L18getri_kernel_smallILi4EdPdEEvT1_iilPiilS4_bb.uses_flat_scratch, 0
	.set _ZN9rocsolver6v33100L18getri_kernel_smallILi4EdPdEEvT1_iilPiilS4_bb.has_dyn_sized_stack, 0
	.set _ZN9rocsolver6v33100L18getri_kernel_smallILi4EdPdEEvT1_iilPiilS4_bb.has_recursion, 0
	.set _ZN9rocsolver6v33100L18getri_kernel_smallILi4EdPdEEvT1_iilPiilS4_bb.has_indirect_call, 0
	.section	.AMDGPU.csdata,"",@progbits
; Kernel info:
; codeLenInByte = 2284
; TotalNumSgprs: 24
; NumVgprs: 29
; ScratchSize: 0
; MemoryBound: 0
; FloatMode: 240
; IeeeMode: 1
; LDSByteSize: 72 bytes/workgroup (compile time only)
; SGPRBlocks: 2
; VGPRBlocks: 7
; NumSGPRsForWavesPerEU: 24
; NumVGPRsForWavesPerEU: 29
; Occupancy: 8
; WaveLimiterHint : 0
; COMPUTE_PGM_RSRC2:SCRATCH_EN: 0
; COMPUTE_PGM_RSRC2:USER_SGPR: 6
; COMPUTE_PGM_RSRC2:TRAP_HANDLER: 0
; COMPUTE_PGM_RSRC2:TGID_X_EN: 1
; COMPUTE_PGM_RSRC2:TGID_Y_EN: 0
; COMPUTE_PGM_RSRC2:TGID_Z_EN: 0
; COMPUTE_PGM_RSRC2:TIDIG_COMP_CNT: 0
	.section	.text._ZN9rocsolver6v33100L18getri_kernel_smallILi5EdPdEEvT1_iilPiilS4_bb,"axG",@progbits,_ZN9rocsolver6v33100L18getri_kernel_smallILi5EdPdEEvT1_iilPiilS4_bb,comdat
	.globl	_ZN9rocsolver6v33100L18getri_kernel_smallILi5EdPdEEvT1_iilPiilS4_bb ; -- Begin function _ZN9rocsolver6v33100L18getri_kernel_smallILi5EdPdEEvT1_iilPiilS4_bb
	.p2align	8
	.type	_ZN9rocsolver6v33100L18getri_kernel_smallILi5EdPdEEvT1_iilPiilS4_bb,@function
_ZN9rocsolver6v33100L18getri_kernel_smallILi5EdPdEEvT1_iilPiilS4_bb: ; @_ZN9rocsolver6v33100L18getri_kernel_smallILi5EdPdEEvT1_iilPiilS4_bb
; %bb.0:
	v_cmp_gt_u32_e32 vcc, 5, v0
	s_and_saveexec_b64 s[0:1], vcc
	s_cbranch_execz .LBB4_16
; %bb.1:
	s_load_dword s0, s[4:5], 0x38
	s_load_dwordx4 s[12:15], s[4:5], 0x10
	s_load_dwordx4 s[8:11], s[4:5], 0x28
                                        ; implicit-def: $sgpr16_sgpr17
	s_waitcnt lgkmcnt(0)
	s_bitcmp1_b32 s0, 8
	s_cselect_b64 s[18:19], -1, 0
	s_ashr_i32 s7, s6, 31
	s_bfe_u32 s0, s0, 0x10008
	s_cmp_eq_u32 s0, 0
	s_cbranch_scc1 .LBB4_3
; %bb.2:
	s_load_dword s0, s[4:5], 0x20
	s_mul_i32 s1, s8, s7
	s_mul_hi_u32 s2, s8, s6
	s_mul_i32 s3, s9, s6
	s_add_i32 s2, s2, s1
	s_add_i32 s3, s2, s3
	s_mul_i32 s2, s8, s6
	s_waitcnt lgkmcnt(0)
	s_ashr_i32 s1, s0, 31
	s_lshl_b64 s[2:3], s[2:3], 2
	s_add_u32 s2, s14, s2
	s_addc_u32 s3, s15, s3
	s_lshl_b64 s[0:1], s[0:1], 2
	s_add_u32 s16, s2, s0
	s_addc_u32 s17, s3, s1
.LBB4_3:
	s_load_dwordx4 s[0:3], s[4:5], 0x0
	s_load_dword s14, s[4:5], 0x38
	s_mul_i32 s8, s12, s7
	s_mul_hi_u32 s9, s12, s6
	v_lshlrev_b32_e32 v14, 3, v0
	s_waitcnt lgkmcnt(0)
	s_ashr_i32 s5, s2, 31
	s_mov_b32 s4, s2
	s_add_i32 s2, s9, s8
	s_mul_i32 s8, s13, s6
	s_add_i32 s9, s2, s8
	s_mul_i32 s8, s12, s6
	s_lshl_b64 s[8:9], s[8:9], 3
	s_add_u32 s2, s0, s8
	s_addc_u32 s8, s1, s9
	s_lshl_b64 s[0:1], s[4:5], 3
	s_add_u32 s0, s2, s0
	s_addc_u32 s1, s8, s1
	v_mov_b32_e32 v1, s1
	v_add_co_u32_e32 v28, vcc, s0, v14
	s_ashr_i32 s5, s3, 31
	s_mov_b32 s4, s3
	v_addc_co_u32_e32 v29, vcc, 0, v1, vcc
	s_lshl_b64 s[4:5], s[4:5], 3
	v_mov_b32_e32 v1, s5
	v_add_co_u32_e32 v30, vcc, s4, v28
	s_add_i32 s2, s3, s3
	v_addc_co_u32_e32 v31, vcc, v29, v1, vcc
	v_add_u32_e32 v1, s2, v0
	v_ashrrev_i32_e32 v2, 31, v1
	v_lshlrev_b64 v[2:3], 3, v[1:2]
	v_add_u32_e32 v1, s3, v1
	v_mov_b32_e32 v4, s1
	v_add_co_u32_e32 v32, vcc, s0, v2
	v_ashrrev_i32_e32 v2, 31, v1
	v_addc_co_u32_e32 v33, vcc, v4, v3, vcc
	v_lshlrev_b64 v[2:3], 3, v[1:2]
	v_add_u32_e32 v1, s3, v1
	v_add_co_u32_e32 v34, vcc, s0, v2
	v_ashrrev_i32_e32 v2, 31, v1
	v_lshlrev_b64 v[1:2], 3, v[1:2]
	v_addc_co_u32_e32 v35, vcc, v4, v3, vcc
	v_mov_b32_e32 v3, s1
	v_add_co_u32_e32 v36, vcc, s0, v1
	v_addc_co_u32_e32 v37, vcc, v3, v2, vcc
	global_load_dwordx2 v[2:3], v14, s[0:1]
	global_load_dwordx2 v[4:5], v[30:31], off
	global_load_dwordx2 v[6:7], v[32:33], off
	;; [unrolled: 1-line block ×4, first 2 shown]
	v_mov_b32_e32 v1, 0
	s_bitcmp0_b32 s14, 0
	s_mov_b64 s[0:1], -1
	s_cbranch_scc1 .LBB4_14
; %bb.4:
	v_cmp_eq_u32_e64 s[0:1], 0, v0
	s_and_saveexec_b64 s[2:3], s[0:1]
; %bb.5:
	v_mov_b32_e32 v12, 0
	ds_write_b32 v12, v12 offset:40
; %bb.6:
	s_or_b64 exec, exec, s[2:3]
	v_cmp_eq_u32_e32 vcc, 1, v0
	s_waitcnt vmcnt(3)
	v_cndmask_b32_e32 v12, v3, v5, vcc
	v_cmp_eq_u32_e64 s[2:3], 2, v0
	v_cndmask_b32_e32 v13, v2, v4, vcc
	s_waitcnt vmcnt(2)
	v_cndmask_b32_e64 v12, v12, v7, s[2:3]
	v_cmp_eq_u32_e64 s[4:5], 3, v0
	v_cndmask_b32_e64 v13, v13, v6, s[2:3]
	s_waitcnt vmcnt(1)
	v_cndmask_b32_e64 v12, v12, v9, s[4:5]
	v_cndmask_b32_e64 v15, v13, v8, s[4:5]
	v_cmp_eq_u32_e32 vcc, 4, v0
	s_waitcnt vmcnt(0)
	v_cndmask_b32_e32 v13, v12, v11, vcc
	v_cndmask_b32_e32 v12, v15, v10, vcc
	v_cmp_eq_f64_e32 vcc, 0, v[12:13]
	s_waitcnt lgkmcnt(0)
	; wave barrier
	s_and_saveexec_b64 s[4:5], vcc
	s_cbranch_execz .LBB4_10
; %bb.7:
	v_mov_b32_e32 v15, 0
	ds_read_b32 v17, v15 offset:40
	v_add_u32_e32 v16, 1, v0
	s_waitcnt lgkmcnt(0)
	v_readfirstlane_b32 s2, v17
	s_cmp_eq_u32 s2, 0
	s_cselect_b64 s[8:9], -1, 0
	v_cmp_gt_i32_e32 vcc, s2, v16
	s_or_b64 s[8:9], s[8:9], vcc
	s_and_b64 exec, exec, s[8:9]
	s_cbranch_execz .LBB4_10
; %bb.8:
	s_mov_b64 s[8:9], 0
	v_mov_b32_e32 v17, s2
.LBB4_9:                                ; =>This Inner Loop Header: Depth=1
	ds_cmpst_rtn_b32 v17, v15, v17, v16 offset:40
	s_waitcnt lgkmcnt(0)
	v_cmp_ne_u32_e32 vcc, 0, v17
	v_cmp_le_i32_e64 s[2:3], v17, v16
	s_and_b64 s[2:3], vcc, s[2:3]
	s_and_b64 s[2:3], exec, s[2:3]
	s_or_b64 s[8:9], s[2:3], s[8:9]
	s_andn2_b64 exec, exec, s[8:9]
	s_cbranch_execnz .LBB4_9
.LBB4_10:
	s_or_b64 exec, exec, s[4:5]
	v_mov_b32_e32 v16, 0
	; wave barrier
	ds_read_b32 v15, v16 offset:40
	s_and_saveexec_b64 s[2:3], s[0:1]
	s_cbranch_execz .LBB4_12
; %bb.11:
	s_lshl_b64 s[4:5], s[6:7], 2
	s_add_u32 s4, s10, s4
	s_addc_u32 s5, s11, s5
	s_waitcnt lgkmcnt(0)
	global_store_dword v16, v15, s[4:5]
.LBB4_12:
	s_or_b64 exec, exec, s[2:3]
	s_waitcnt lgkmcnt(0)
	v_cmp_ne_u32_e32 vcc, 0, v15
	s_cbranch_vccz .LBB4_17
; %bb.13:
	s_mov_b64 s[0:1], 0
                                        ; implicit-def: $vgpr2_vgpr3_vgpr4_vgpr5_vgpr6_vgpr7_vgpr8_vgpr9_vgpr10_vgpr11_vgpr12_vgpr13_vgpr14_vgpr15_vgpr16_vgpr17
.LBB4_14:
	s_and_b64 vcc, exec, s[0:1]
	s_cbranch_vccz .LBB4_16
.LBB4_15:
	s_lshl_b64 s[0:1], s[6:7], 2
	s_add_u32 s0, s10, s0
	s_addc_u32 s1, s11, s1
	v_mov_b32_e32 v1, 0
	global_load_dword v1, v1, s[0:1]
	s_waitcnt vmcnt(0)
	v_cmp_ne_u32_e32 vcc, 0, v1
	s_cbranch_vccz .LBB4_30
.LBB4_16:
	s_endpgm
.LBB4_17:
	v_div_scale_f64 v[15:16], s[2:3], v[12:13], v[12:13], 1.0
	v_rcp_f64_e32 v[17:18], v[15:16]
	v_fma_f64 v[19:20], -v[15:16], v[17:18], 1.0
	v_fma_f64 v[17:18], v[17:18], v[19:20], v[17:18]
	v_div_scale_f64 v[19:20], vcc, 1.0, v[12:13], 1.0
	v_fma_f64 v[21:22], -v[15:16], v[17:18], 1.0
	v_fma_f64 v[17:18], v[17:18], v[21:22], v[17:18]
	v_mul_f64 v[21:22], v[19:20], v[17:18]
	v_fma_f64 v[15:16], -v[15:16], v[21:22], v[19:20]
	v_div_fmas_f64 v[15:16], v[15:16], v[17:18], v[21:22]
	v_cmp_eq_u32_e32 vcc, 4, v0
	v_div_fixup_f64 v[12:13], v[15:16], v[12:13], 1.0
	v_add_u32_e32 v16, 48, v14
	v_cndmask_b32_e32 v11, v11, v13, vcc
	v_cndmask_b32_e32 v10, v10, v12, vcc
	v_cmp_eq_u32_e32 vcc, 3, v0
	v_cndmask_b32_e32 v9, v9, v13, vcc
	v_cndmask_b32_e32 v8, v8, v12, vcc
	v_cmp_eq_u32_e32 vcc, 2, v0
	;; [unrolled: 3-line block ×4, first 2 shown]
	v_cndmask_b32_e32 v3, v3, v13, vcc
	v_cndmask_b32_e32 v2, v2, v12, vcc
	v_xor_b32_e32 v18, 0x80000000, v13
	v_mov_b32_e32 v17, v12
	ds_write2_b64 v14, v[17:18], v[4:5] offset1:6
	s_waitcnt lgkmcnt(0)
	; wave barrier
	s_and_saveexec_b64 s[2:3], s[0:1]
	s_cbranch_execz .LBB4_19
; %bb.18:
	ds_read_b64 v[4:5], v16
	v_mov_b32_e32 v14, 0
	ds_read_b64 v[14:15], v14 offset:8
	s_waitcnt lgkmcnt(1)
	v_fma_f64 v[4:5], v[12:13], v[4:5], 0
	s_waitcnt lgkmcnt(0)
	v_mul_f64 v[4:5], v[4:5], v[14:15]
.LBB4_19:
	s_or_b64 exec, exec, s[2:3]
	v_cmp_gt_u32_e32 vcc, 2, v0
	; wave barrier
	ds_write_b64 v16, v[6:7]
	s_waitcnt lgkmcnt(0)
	; wave barrier
	s_and_saveexec_b64 s[12:13], vcc
	s_cbranch_execz .LBB4_21
; %bb.20:
	v_cmp_eq_u32_e32 vcc, 1, v0
	v_cndmask_b32_e32 v12, v3, v5, vcc
	v_cmp_eq_u32_e64 s[2:3], 2, v0
	v_cndmask_b32_e64 v7, v12, v7, s[2:3]
	ds_read_b64 v[12:13], v16
	v_cndmask_b32_e32 v14, v2, v4, vcc
	v_cmp_eq_u32_e64 s[4:5], 3, v0
	v_cndmask_b32_e64 v6, v14, v6, s[2:3]
	v_cndmask_b32_e64 v7, v7, v9, s[4:5]
	v_cmp_eq_u32_e64 s[8:9], 4, v0
	v_cndmask_b32_e64 v6, v6, v8, s[4:5]
	v_cndmask_b32_e64 v7, v7, v11, s[8:9]
	v_cndmask_b32_e64 v6, v6, v10, s[8:9]
	s_waitcnt lgkmcnt(0)
	v_fma_f64 v[6:7], v[6:7], v[12:13], 0
	v_mov_b32_e32 v12, 0
	ds_read2_b64 v[12:15], v12 offset0:2 offset1:7
	s_waitcnt lgkmcnt(0)
	v_fma_f64 v[14:15], v[4:5], v[14:15], v[6:7]
	v_cndmask_b32_e64 v7, v7, v15, s[0:1]
	v_cndmask_b32_e64 v6, v6, v14, s[0:1]
	v_mul_f64 v[6:7], v[6:7], v[12:13]
.LBB4_21:
	s_or_b64 exec, exec, s[12:13]
	v_cmp_gt_u32_e32 vcc, 3, v0
	; wave barrier
	ds_write_b64 v16, v[8:9]
	s_waitcnt lgkmcnt(0)
	; wave barrier
	s_and_saveexec_b64 s[2:3], vcc
	s_cbranch_execz .LBB4_25
; %bb.22:
	v_mov_b32_e32 v12, 0
	v_mov_b32_e32 v15, v1
	v_lshl_add_u32 v17, v0, 3, 48
	v_mov_b32_e32 v13, 0
	s_mov_b64 s[4:5], 0
	v_mov_b32_e32 v14, v0
.LBB4_23:                               ; =>This Inner Loop Header: Depth=1
	v_cmp_eq_u32_e32 vcc, 1, v14
	v_cndmask_b32_e32 v20, v3, v5, vcc
	ds_read_b64 v[18:19], v17
	v_cmp_eq_u32_e64 s[0:1], 2, v14
	v_cndmask_b32_e64 v20, v20, v7, s[0:1]
	v_cndmask_b32_e32 v21, v2, v4, vcc
	v_cmp_eq_u32_e32 vcc, 3, v14
	v_cndmask_b32_e32 v20, v20, v9, vcc
	v_cndmask_b32_e64 v22, v21, v6, s[0:1]
	v_cmp_eq_u32_e64 s[0:1], 4, v14
	v_cndmask_b32_e64 v21, v20, v11, s[0:1]
	v_cndmask_b32_e32 v20, v22, v8, vcc
	v_cndmask_b32_e64 v20, v20, v10, s[0:1]
	s_waitcnt lgkmcnt(0)
	v_fma_f64 v[12:13], v[20:21], v[18:19], v[12:13]
	v_add_co_u32_e32 v14, vcc, 1, v14
	v_addc_co_u32_e32 v15, vcc, 0, v15, vcc
	v_add_u32_e32 v18, -1, v14
	v_cmp_lt_u32_e32 vcc, 1, v18
	s_or_b64 s[4:5], vcc, s[4:5]
	v_add_u32_e32 v17, 8, v17
	s_andn2_b64 exec, exec, s[4:5]
	s_cbranch_execnz .LBB4_23
; %bb.24:
	s_or_b64 exec, exec, s[4:5]
	v_mov_b32_e32 v8, 0
	ds_read_b64 v[8:9], v8 offset:24
	s_waitcnt lgkmcnt(0)
	v_mul_f64 v[8:9], v[12:13], v[8:9]
.LBB4_25:
	s_or_b64 exec, exec, s[2:3]
	v_cmp_ne_u32_e32 vcc, 4, v0
	; wave barrier
	ds_write_b64 v16, v[10:11]
	s_waitcnt lgkmcnt(0)
	; wave barrier
	s_and_saveexec_b64 s[2:3], vcc
	s_cbranch_execz .LBB4_29
; %bb.26:
	v_mov_b32_e32 v12, 0
	v_mov_b32_e32 v15, v1
	v_lshl_add_u32 v16, v0, 3, 48
	v_mov_b32_e32 v13, 0
	s_mov_b64 s[4:5], 0
	v_mov_b32_e32 v14, v0
.LBB4_27:                               ; =>This Inner Loop Header: Depth=1
	v_cmp_eq_u32_e32 vcc, 1, v14
	v_cndmask_b32_e32 v1, v3, v5, vcc
	ds_read_b64 v[17:18], v16
	v_cmp_eq_u32_e64 s[0:1], 2, v14
	v_cndmask_b32_e64 v1, v1, v7, s[0:1]
	v_cndmask_b32_e32 v19, v2, v4, vcc
	v_cmp_eq_u32_e32 vcc, 3, v14
	v_cndmask_b32_e32 v1, v1, v9, vcc
	v_cndmask_b32_e64 v19, v19, v6, s[0:1]
	v_cmp_eq_u32_e64 s[0:1], 4, v14
	v_cndmask_b32_e64 v20, v1, v11, s[0:1]
	v_cndmask_b32_e32 v1, v19, v8, vcc
	v_cndmask_b32_e64 v19, v1, v10, s[0:1]
	s_waitcnt lgkmcnt(0)
	v_fma_f64 v[12:13], v[19:20], v[17:18], v[12:13]
	v_add_co_u32_e32 v14, vcc, 1, v14
	v_addc_co_u32_e32 v15, vcc, 0, v15, vcc
	v_add_u32_e32 v1, -1, v14
	v_cmp_lt_u32_e32 vcc, 2, v1
	s_or_b64 s[4:5], vcc, s[4:5]
	v_add_u32_e32 v16, 8, v16
	s_andn2_b64 exec, exec, s[4:5]
	s_cbranch_execnz .LBB4_27
; %bb.28:
	s_or_b64 exec, exec, s[4:5]
	v_mov_b32_e32 v1, 0
	ds_read_b64 v[10:11], v1 offset:32
	s_waitcnt lgkmcnt(0)
	v_mul_f64 v[10:11], v[12:13], v[10:11]
.LBB4_29:
	s_or_b64 exec, exec, s[2:3]
	; wave barrier
	s_cbranch_execnz .LBB4_15
	s_branch .LBB4_16
.LBB4_30:
	v_lshl_add_u32 v1, v0, 3, 48
	v_cmp_eq_u32_e32 vcc, 4, v0
	s_and_saveexec_b64 s[0:1], vcc
; %bb.31:
	ds_write_b64 v1, v[8:9]
	v_mov_b32_e32 v8, 0
	v_mov_b32_e32 v9, v8
; %bb.32:
	s_or_b64 exec, exec, s[0:1]
	v_mov_b32_e32 v18, 0
	s_waitcnt lgkmcnt(0)
	; wave barrier
	ds_read_b64 v[12:13], v18 offset:80
	v_cmp_lt_u32_e32 vcc, 2, v0
	s_waitcnt lgkmcnt(0)
	v_fma_f64 v[12:13], v[10:11], v[12:13], 0
	v_add_f64 v[8:9], v[8:9], -v[12:13]
	s_and_saveexec_b64 s[0:1], vcc
	s_cbranch_execz .LBB4_34
; %bb.33:
	v_mov_b32_e32 v14, v2
	v_mov_b32_e32 v15, v3
	;; [unrolled: 1-line block ×9, first 2 shown]
	ds_write_b64 v1, v[6:7]
	v_mov_b32_e32 v2, v14
	v_mov_b32_e32 v3, v15
	;; [unrolled: 1-line block ×16, first 2 shown]
.LBB4_34:
	s_or_b64 exec, exec, s[0:1]
	s_waitcnt lgkmcnt(0)
	; wave barrier
	ds_read2_b64 v[12:15], v18 offset0:9 offset1:10
	v_cmp_lt_u32_e32 vcc, 1, v0
	s_waitcnt lgkmcnt(0)
	v_fma_f64 v[12:13], v[8:9], v[12:13], 0
	v_fma_f64 v[12:13], v[10:11], v[14:15], v[12:13]
	v_add_f64 v[6:7], v[6:7], -v[12:13]
	s_and_saveexec_b64 s[0:1], vcc
	s_cbranch_execz .LBB4_36
; %bb.35:
	v_mov_b32_e32 v14, 0
	v_mov_b32_e32 v12, v2
	;; [unrolled: 1-line block ×10, first 2 shown]
	ds_write_b64 v1, v[4:5]
	v_mov_b32_e32 v2, v12
	v_mov_b32_e32 v3, v13
	;; [unrolled: 1-line block ×16, first 2 shown]
.LBB4_36:
	s_or_b64 exec, exec, s[0:1]
	v_mov_b32_e32 v18, 0
	s_waitcnt lgkmcnt(0)
	; wave barrier
	ds_read_b128 v[12:15], v18 offset:64
	v_cmp_ne_u32_e32 vcc, 0, v0
	s_waitcnt lgkmcnt(0)
	v_fma_f64 v[12:13], v[6:7], v[12:13], 0
	v_fma_f64 v[12:13], v[8:9], v[14:15], v[12:13]
	ds_read_b64 v[14:15], v18 offset:80
	s_waitcnt lgkmcnt(0)
	v_fma_f64 v[12:13], v[10:11], v[14:15], v[12:13]
	v_add_f64 v[4:5], v[4:5], -v[12:13]
	s_and_saveexec_b64 s[0:1], vcc
	s_cbranch_execz .LBB4_38
; %bb.37:
	v_mov_b32_e32 v19, v18
	v_mov_b32_e32 v20, v4
	;; [unrolled: 1-line block ×9, first 2 shown]
	ds_write_b64 v1, v[2:3]
	v_mov_b32_e32 v2, v18
	v_mov_b32_e32 v3, v19
	;; [unrolled: 1-line block ×16, first 2 shown]
.LBB4_38:
	s_or_b64 exec, exec, s[0:1]
	s_waitcnt lgkmcnt(0)
	; wave barrier
	ds_read2_b64 v[12:15], v18 offset0:7 offset1:8
	ds_read2_b64 v[16:19], v18 offset0:9 offset1:10
	s_and_b64 vcc, exec, s[18:19]
	s_waitcnt lgkmcnt(1)
	v_fma_f64 v[0:1], v[4:5], v[12:13], 0
	v_fma_f64 v[0:1], v[6:7], v[14:15], v[0:1]
	s_waitcnt lgkmcnt(0)
	v_fma_f64 v[0:1], v[8:9], v[16:17], v[0:1]
	v_fma_f64 v[0:1], v[10:11], v[18:19], v[0:1]
	v_add_f64 v[2:3], v[2:3], -v[0:1]
	s_cbranch_vccz .LBB4_47
; %bb.39:
	v_mov_b32_e32 v0, 0
	global_load_dword v1, v0, s[16:17] offset:12
	s_waitcnt vmcnt(0)
	v_readfirstlane_b32 s6, v1
	s_add_i32 s6, s6, -1
	s_cmp_lg_u32 s6, 3
	s_cbranch_scc0 .LBB4_41
; %bb.40:
	s_cmp_eq_u32 s6, 1
	s_cselect_b64 vcc, -1, 0
	s_cmp_eq_u32 s6, 2
	v_cndmask_b32_e32 v1, v2, v4, vcc
	s_cselect_b64 s[0:1], -1, 0
	s_cmp_eq_u32 s6, 3
	v_cndmask_b32_e32 v12, v3, v5, vcc
	v_cndmask_b32_e64 v1, v1, v6, s[0:1]
	s_cselect_b64 s[2:3], -1, 0
	s_cmp_eq_u32 s6, 4
	v_cndmask_b32_e64 v12, v12, v7, s[0:1]
	v_cndmask_b32_e64 v1, v1, v8, s[2:3]
	s_cselect_b64 s[4:5], -1, 0
	v_cndmask_b32_e64 v12, v12, v9, s[2:3]
	s_cmp_eq_u32 s6, 0
	v_cndmask_b32_e64 v1, v1, v10, s[4:5]
	v_cndmask_b32_e64 v12, v12, v11, s[4:5]
	v_cndmask_b32_e64 v17, v11, v9, s[4:5]
	v_cndmask_b32_e64 v16, v10, v8, s[4:5]
	v_cndmask_b32_e32 v11, v5, v9, vcc
	v_cndmask_b32_e32 v10, v4, v8, vcc
	s_cselect_b64 vcc, -1, 0
	v_cndmask_b32_e64 v15, v12, v9, s[2:3]
	v_cndmask_b32_e64 v14, v1, v8, s[2:3]
	v_cndmask_b32_e64 v13, v7, v9, s[0:1]
	v_cndmask_b32_e64 v12, v6, v8, s[0:1]
	v_cndmask_b32_e32 v9, v3, v9, vcc
	v_cndmask_b32_e32 v8, v2, v8, vcc
	v_mov_b32_e32 v2, v8
	v_mov_b32_e32 v3, v9
	;; [unrolled: 1-line block ×16, first 2 shown]
.LBB4_41:
	global_load_dword v0, v0, s[16:17] offset:8
	s_waitcnt vmcnt(0)
	v_readfirstlane_b32 s6, v0
	s_add_i32 s6, s6, -1
	s_cmp_eq_u32 s6, 2
	s_cbranch_scc1 .LBB4_43
; %bb.42:
	s_cmp_eq_u32 s6, 1
	s_cselect_b64 vcc, -1, 0
	s_cmp_eq_u32 s6, 2
	v_cndmask_b32_e32 v0, v2, v4, vcc
	s_cselect_b64 s[0:1], -1, 0
	s_cmp_eq_u32 s6, 3
	v_cndmask_b32_e32 v1, v3, v5, vcc
	v_cndmask_b32_e64 v0, v0, v6, s[0:1]
	s_cselect_b64 s[2:3], -1, 0
	s_cmp_eq_u32 s6, 4
	v_cndmask_b32_e64 v1, v1, v7, s[0:1]
	v_cndmask_b32_e64 v0, v0, v8, s[2:3]
	s_cselect_b64 s[4:5], -1, 0
	v_cndmask_b32_e64 v1, v1, v9, s[2:3]
	s_cmp_eq_u32 s6, 0
	v_cndmask_b32_e64 v0, v0, v10, s[4:5]
	v_cndmask_b32_e64 v1, v1, v11, s[4:5]
	;; [unrolled: 1-line block ×4, first 2 shown]
	v_cndmask_b32_e32 v11, v5, v7, vcc
	v_cndmask_b32_e32 v10, v4, v6, vcc
	s_cselect_b64 vcc, -1, 0
	v_cndmask_b32_e64 v13, v1, v7, s[0:1]
	v_cndmask_b32_e64 v12, v0, v6, s[0:1]
	;; [unrolled: 1-line block ×4, first 2 shown]
	v_cndmask_b32_e32 v9, v3, v7, vcc
	v_cndmask_b32_e32 v8, v2, v6, vcc
	v_mov_b32_e32 v2, v8
	v_mov_b32_e32 v3, v9
	v_mov_b32_e32 v4, v10
	v_mov_b32_e32 v5, v11
	v_mov_b32_e32 v6, v12
	v_mov_b32_e32 v7, v13
	v_mov_b32_e32 v8, v14
	v_mov_b32_e32 v9, v15
	v_mov_b32_e32 v10, v16
	v_mov_b32_e32 v11, v17
	v_mov_b32_e32 v12, v18
	v_mov_b32_e32 v13, v19
	v_mov_b32_e32 v14, v20
	v_mov_b32_e32 v15, v21
	v_mov_b32_e32 v16, v22
	v_mov_b32_e32 v17, v23
.LBB4_43:
	v_mov_b32_e32 v0, 0
	global_load_dword v1, v0, s[16:17] offset:4
	s_waitcnt vmcnt(0)
	v_readfirstlane_b32 s6, v1
	s_add_i32 s6, s6, -1
	s_cmp_eq_u32 s6, 1
	s_cbranch_scc1 .LBB4_45
; %bb.44:
	s_cselect_b64 vcc, -1, 0
	s_cmp_eq_u32 s6, 2
	v_cndmask_b32_e32 v1, v2, v4, vcc
	s_cselect_b64 s[0:1], -1, 0
	s_cmp_eq_u32 s6, 3
	v_cndmask_b32_e32 v12, v3, v5, vcc
	v_cndmask_b32_e64 v1, v1, v6, s[0:1]
	s_cselect_b64 s[2:3], -1, 0
	s_cmp_eq_u32 s6, 4
	v_cndmask_b32_e64 v12, v12, v7, s[0:1]
	v_cndmask_b32_e64 v1, v1, v8, s[2:3]
	s_cselect_b64 s[4:5], -1, 0
	v_cndmask_b32_e64 v12, v12, v9, s[2:3]
	v_cndmask_b32_e64 v1, v1, v10, s[4:5]
	;; [unrolled: 1-line block ×3, first 2 shown]
	s_cmp_eq_u32 s6, 0
	v_cndmask_b32_e32 v13, v12, v5, vcc
	v_cndmask_b32_e32 v12, v1, v4, vcc
	s_cselect_b64 vcc, -1, 0
	v_cndmask_b32_e64 v19, v11, v5, s[4:5]
	v_cndmask_b32_e64 v18, v10, v4, s[4:5]
	;; [unrolled: 1-line block ×6, first 2 shown]
	v_cndmask_b32_e32 v11, v3, v5, vcc
	v_cndmask_b32_e32 v10, v2, v4, vcc
	v_mov_b32_e32 v2, v10
	v_mov_b32_e32 v3, v11
	;; [unrolled: 1-line block ×16, first 2 shown]
.LBB4_45:
	global_load_dword v0, v0, s[16:17]
	s_waitcnt vmcnt(0)
	v_readfirstlane_b32 s6, v0
	s_add_i32 s6, s6, -1
	s_cmp_eq_u32 s6, 0
	s_cbranch_scc1 .LBB4_47
; %bb.46:
	s_cmp_eq_u32 s6, 1
	s_cselect_b64 vcc, -1, 0
	s_cmp_eq_u32 s6, 2
	v_cndmask_b32_e32 v0, v2, v4, vcc
	s_cselect_b64 s[0:1], -1, 0
	s_cmp_eq_u32 s6, 3
	v_cndmask_b32_e32 v1, v3, v5, vcc
	v_cndmask_b32_e64 v0, v0, v6, s[0:1]
	s_cselect_b64 s[2:3], -1, 0
	s_cmp_eq_u32 s6, 4
	v_cndmask_b32_e64 v1, v1, v7, s[0:1]
	v_cndmask_b32_e64 v0, v0, v8, s[2:3]
	s_cselect_b64 s[4:5], -1, 0
	v_cndmask_b32_e64 v1, v1, v9, s[2:3]
	s_cmp_eq_u32 s6, 0
	v_cndmask_b32_e64 v0, v0, v10, s[4:5]
	v_cndmask_b32_e64 v1, v1, v11, s[4:5]
	s_cselect_b64 s[6:7], -1, 0
	v_cndmask_b32_e64 v13, v1, v3, s[6:7]
	v_cndmask_b32_e64 v12, v0, v2, s[6:7]
	;; [unrolled: 1-line block ×4, first 2 shown]
	v_cndmask_b32_e32 v15, v5, v3, vcc
	v_cndmask_b32_e32 v14, v4, v2, vcc
	v_cndmask_b32_e64 v21, v11, v3, s[4:5]
	v_cndmask_b32_e64 v20, v10, v2, s[4:5]
	;; [unrolled: 1-line block ×4, first 2 shown]
	v_mov_b32_e32 v2, v12
	v_mov_b32_e32 v3, v13
	;; [unrolled: 1-line block ×16, first 2 shown]
.LBB4_47:
	global_store_dwordx2 v[28:29], v[2:3], off
	global_store_dwordx2 v[30:31], v[4:5], off
	;; [unrolled: 1-line block ×5, first 2 shown]
	s_endpgm
	.section	.rodata,"a",@progbits
	.p2align	6, 0x0
	.amdhsa_kernel _ZN9rocsolver6v33100L18getri_kernel_smallILi5EdPdEEvT1_iilPiilS4_bb
		.amdhsa_group_segment_fixed_size 88
		.amdhsa_private_segment_fixed_size 0
		.amdhsa_kernarg_size 60
		.amdhsa_user_sgpr_count 6
		.amdhsa_user_sgpr_private_segment_buffer 1
		.amdhsa_user_sgpr_dispatch_ptr 0
		.amdhsa_user_sgpr_queue_ptr 0
		.amdhsa_user_sgpr_kernarg_segment_ptr 1
		.amdhsa_user_sgpr_dispatch_id 0
		.amdhsa_user_sgpr_flat_scratch_init 0
		.amdhsa_user_sgpr_private_segment_size 0
		.amdhsa_uses_dynamic_stack 0
		.amdhsa_system_sgpr_private_segment_wavefront_offset 0
		.amdhsa_system_sgpr_workgroup_id_x 1
		.amdhsa_system_sgpr_workgroup_id_y 0
		.amdhsa_system_sgpr_workgroup_id_z 0
		.amdhsa_system_sgpr_workgroup_info 0
		.amdhsa_system_vgpr_workitem_id 0
		.amdhsa_next_free_vgpr 38
		.amdhsa_next_free_sgpr 20
		.amdhsa_reserve_vcc 1
		.amdhsa_reserve_flat_scratch 0
		.amdhsa_float_round_mode_32 0
		.amdhsa_float_round_mode_16_64 0
		.amdhsa_float_denorm_mode_32 3
		.amdhsa_float_denorm_mode_16_64 3
		.amdhsa_dx10_clamp 1
		.amdhsa_ieee_mode 1
		.amdhsa_fp16_overflow 0
		.amdhsa_exception_fp_ieee_invalid_op 0
		.amdhsa_exception_fp_denorm_src 0
		.amdhsa_exception_fp_ieee_div_zero 0
		.amdhsa_exception_fp_ieee_overflow 0
		.amdhsa_exception_fp_ieee_underflow 0
		.amdhsa_exception_fp_ieee_inexact 0
		.amdhsa_exception_int_div_zero 0
	.end_amdhsa_kernel
	.section	.text._ZN9rocsolver6v33100L18getri_kernel_smallILi5EdPdEEvT1_iilPiilS4_bb,"axG",@progbits,_ZN9rocsolver6v33100L18getri_kernel_smallILi5EdPdEEvT1_iilPiilS4_bb,comdat
.Lfunc_end4:
	.size	_ZN9rocsolver6v33100L18getri_kernel_smallILi5EdPdEEvT1_iilPiilS4_bb, .Lfunc_end4-_ZN9rocsolver6v33100L18getri_kernel_smallILi5EdPdEEvT1_iilPiilS4_bb
                                        ; -- End function
	.set _ZN9rocsolver6v33100L18getri_kernel_smallILi5EdPdEEvT1_iilPiilS4_bb.num_vgpr, 38
	.set _ZN9rocsolver6v33100L18getri_kernel_smallILi5EdPdEEvT1_iilPiilS4_bb.num_agpr, 0
	.set _ZN9rocsolver6v33100L18getri_kernel_smallILi5EdPdEEvT1_iilPiilS4_bb.numbered_sgpr, 20
	.set _ZN9rocsolver6v33100L18getri_kernel_smallILi5EdPdEEvT1_iilPiilS4_bb.num_named_barrier, 0
	.set _ZN9rocsolver6v33100L18getri_kernel_smallILi5EdPdEEvT1_iilPiilS4_bb.private_seg_size, 0
	.set _ZN9rocsolver6v33100L18getri_kernel_smallILi5EdPdEEvT1_iilPiilS4_bb.uses_vcc, 1
	.set _ZN9rocsolver6v33100L18getri_kernel_smallILi5EdPdEEvT1_iilPiilS4_bb.uses_flat_scratch, 0
	.set _ZN9rocsolver6v33100L18getri_kernel_smallILi5EdPdEEvT1_iilPiilS4_bb.has_dyn_sized_stack, 0
	.set _ZN9rocsolver6v33100L18getri_kernel_smallILi5EdPdEEvT1_iilPiilS4_bb.has_recursion, 0
	.set _ZN9rocsolver6v33100L18getri_kernel_smallILi5EdPdEEvT1_iilPiilS4_bb.has_indirect_call, 0
	.section	.AMDGPU.csdata,"",@progbits
; Kernel info:
; codeLenInByte = 3260
; TotalNumSgprs: 24
; NumVgprs: 38
; ScratchSize: 0
; MemoryBound: 0
; FloatMode: 240
; IeeeMode: 1
; LDSByteSize: 88 bytes/workgroup (compile time only)
; SGPRBlocks: 2
; VGPRBlocks: 9
; NumSGPRsForWavesPerEU: 24
; NumVGPRsForWavesPerEU: 38
; Occupancy: 6
; WaveLimiterHint : 0
; COMPUTE_PGM_RSRC2:SCRATCH_EN: 0
; COMPUTE_PGM_RSRC2:USER_SGPR: 6
; COMPUTE_PGM_RSRC2:TRAP_HANDLER: 0
; COMPUTE_PGM_RSRC2:TGID_X_EN: 1
; COMPUTE_PGM_RSRC2:TGID_Y_EN: 0
; COMPUTE_PGM_RSRC2:TGID_Z_EN: 0
; COMPUTE_PGM_RSRC2:TIDIG_COMP_CNT: 0
	.section	.text._ZN9rocsolver6v33100L18getri_kernel_smallILi6EdPdEEvT1_iilPiilS4_bb,"axG",@progbits,_ZN9rocsolver6v33100L18getri_kernel_smallILi6EdPdEEvT1_iilPiilS4_bb,comdat
	.globl	_ZN9rocsolver6v33100L18getri_kernel_smallILi6EdPdEEvT1_iilPiilS4_bb ; -- Begin function _ZN9rocsolver6v33100L18getri_kernel_smallILi6EdPdEEvT1_iilPiilS4_bb
	.p2align	8
	.type	_ZN9rocsolver6v33100L18getri_kernel_smallILi6EdPdEEvT1_iilPiilS4_bb,@function
_ZN9rocsolver6v33100L18getri_kernel_smallILi6EdPdEEvT1_iilPiilS4_bb: ; @_ZN9rocsolver6v33100L18getri_kernel_smallILi6EdPdEEvT1_iilPiilS4_bb
; %bb.0:
	v_cmp_gt_u32_e32 vcc, 6, v0
	s_and_saveexec_b64 s[0:1], vcc
	s_cbranch_execz .LBB5_16
; %bb.1:
	s_load_dword s0, s[4:5], 0x38
	s_load_dwordx4 s[8:11], s[4:5], 0x10
	s_load_dwordx4 s[12:15], s[4:5], 0x28
                                        ; implicit-def: $sgpr16_sgpr17
	s_waitcnt lgkmcnt(0)
	s_bitcmp1_b32 s0, 8
	s_cselect_b64 s[18:19], -1, 0
	s_ashr_i32 s7, s6, 31
	s_bfe_u32 s0, s0, 0x10008
	s_cmp_eq_u32 s0, 0
	s_cbranch_scc1 .LBB5_3
; %bb.2:
	s_load_dword s0, s[4:5], 0x20
	s_mul_i32 s1, s12, s7
	s_mul_hi_u32 s2, s12, s6
	s_mul_i32 s3, s13, s6
	s_add_i32 s2, s2, s1
	s_add_i32 s3, s2, s3
	s_mul_i32 s2, s12, s6
	s_waitcnt lgkmcnt(0)
	s_ashr_i32 s1, s0, 31
	s_lshl_b64 s[2:3], s[2:3], 2
	s_add_u32 s2, s10, s2
	s_addc_u32 s3, s11, s3
	s_lshl_b64 s[0:1], s[0:1], 2
	s_add_u32 s16, s2, s0
	s_addc_u32 s17, s3, s1
.LBB5_3:
	s_load_dwordx4 s[0:3], s[4:5], 0x0
	s_load_dword s10, s[4:5], 0x38
	s_mul_i32 s11, s8, s7
	s_mul_hi_u32 s12, s8, s6
	s_mul_i32 s9, s9, s6
	s_waitcnt lgkmcnt(0)
	s_ashr_i32 s5, s2, 31
	s_mov_b32 s4, s2
	s_add_i32 s2, s12, s11
	s_add_i32 s9, s2, s9
	s_mul_i32 s8, s8, s6
	s_lshl_b64 s[8:9], s[8:9], 3
	s_add_u32 s2, s0, s8
	s_addc_u32 s8, s1, s9
	s_lshl_b64 s[0:1], s[4:5], 3
	s_add_u32 s0, s2, s0
	s_addc_u32 s1, s8, s1
	v_lshlrev_b32_e32 v16, 3, v0
	v_mov_b32_e32 v1, s1
	v_add_co_u32_e32 v28, vcc, s0, v16
	s_ashr_i32 s5, s3, 31
	s_mov_b32 s4, s3
	v_addc_co_u32_e32 v29, vcc, 0, v1, vcc
	s_lshl_b64 s[4:5], s[4:5], 3
	v_mov_b32_e32 v1, s5
	v_add_co_u32_e32 v30, vcc, s4, v28
	s_add_i32 s2, s3, s3
	v_addc_co_u32_e32 v31, vcc, v29, v1, vcc
	v_add_u32_e32 v1, s2, v0
	v_ashrrev_i32_e32 v2, 31, v1
	v_lshlrev_b64 v[2:3], 3, v[1:2]
	v_add_u32_e32 v1, s3, v1
	v_mov_b32_e32 v4, s1
	v_add_co_u32_e32 v32, vcc, s0, v2
	v_ashrrev_i32_e32 v2, 31, v1
	v_addc_co_u32_e32 v33, vcc, v4, v3, vcc
	v_lshlrev_b64 v[2:3], 3, v[1:2]
	v_add_u32_e32 v1, s3, v1
	v_add_co_u32_e32 v34, vcc, s0, v2
	v_ashrrev_i32_e32 v2, 31, v1
	v_addc_co_u32_e32 v35, vcc, v4, v3, vcc
	v_lshlrev_b64 v[2:3], 3, v[1:2]
	v_add_u32_e32 v1, s3, v1
	v_add_co_u32_e32 v36, vcc, s0, v2
	v_ashrrev_i32_e32 v2, 31, v1
	v_lshlrev_b64 v[1:2], 3, v[1:2]
	v_addc_co_u32_e32 v37, vcc, v4, v3, vcc
	v_mov_b32_e32 v3, s1
	v_add_co_u32_e32 v38, vcc, s0, v1
	v_addc_co_u32_e32 v39, vcc, v3, v2, vcc
	global_load_dwordx2 v[2:3], v16, s[0:1]
	global_load_dwordx2 v[4:5], v[30:31], off
	global_load_dwordx2 v[6:7], v[32:33], off
	;; [unrolled: 1-line block ×5, first 2 shown]
	v_mov_b32_e32 v1, 0
	s_bitcmp0_b32 s10, 0
	s_mov_b64 s[0:1], -1
	s_cbranch_scc1 .LBB5_14
; %bb.4:
	v_cmp_eq_u32_e64 s[0:1], 0, v0
	s_and_saveexec_b64 s[2:3], s[0:1]
; %bb.5:
	v_mov_b32_e32 v14, 0
	ds_write_b32 v14, v14 offset:96
; %bb.6:
	s_or_b64 exec, exec, s[2:3]
	v_cmp_eq_u32_e32 vcc, 1, v0
	s_waitcnt vmcnt(4)
	v_cndmask_b32_e32 v14, v3, v5, vcc
	v_cmp_eq_u32_e64 s[2:3], 2, v0
	s_waitcnt vmcnt(3)
	v_cndmask_b32_e64 v14, v14, v7, s[2:3]
	v_cmp_eq_u32_e64 s[4:5], 3, v0
	s_waitcnt vmcnt(2)
	v_cndmask_b32_e64 v14, v14, v9, s[4:5]
	;; [unrolled: 3-line block ×4, first 2 shown]
	v_cndmask_b32_e32 v14, v2, v4, vcc
	v_cndmask_b32_e64 v14, v14, v6, s[2:3]
	v_cndmask_b32_e64 v14, v14, v8, s[4:5]
	;; [unrolled: 1-line block ×4, first 2 shown]
	v_cmp_eq_f64_e32 vcc, 0, v[14:15]
	s_waitcnt lgkmcnt(0)
	; wave barrier
	s_and_saveexec_b64 s[4:5], vcc
	s_cbranch_execz .LBB5_10
; %bb.7:
	v_mov_b32_e32 v17, 0
	ds_read_b32 v19, v17 offset:96
	v_add_u32_e32 v18, 1, v0
	s_waitcnt lgkmcnt(0)
	v_readfirstlane_b32 s2, v19
	s_cmp_eq_u32 s2, 0
	s_cselect_b64 s[8:9], -1, 0
	v_cmp_gt_i32_e32 vcc, s2, v18
	s_or_b64 s[8:9], s[8:9], vcc
	s_and_b64 exec, exec, s[8:9]
	s_cbranch_execz .LBB5_10
; %bb.8:
	s_mov_b64 s[8:9], 0
	v_mov_b32_e32 v19, s2
.LBB5_9:                                ; =>This Inner Loop Header: Depth=1
	ds_cmpst_rtn_b32 v19, v17, v19, v18 offset:96
	s_waitcnt lgkmcnt(0)
	v_cmp_ne_u32_e32 vcc, 0, v19
	v_cmp_le_i32_e64 s[2:3], v19, v18
	s_and_b64 s[2:3], vcc, s[2:3]
	s_and_b64 s[2:3], exec, s[2:3]
	s_or_b64 s[8:9], s[2:3], s[8:9]
	s_andn2_b64 exec, exec, s[8:9]
	s_cbranch_execnz .LBB5_9
.LBB5_10:
	s_or_b64 exec, exec, s[4:5]
	v_mov_b32_e32 v18, 0
	; wave barrier
	ds_read_b32 v17, v18 offset:96
	s_and_saveexec_b64 s[2:3], s[0:1]
	s_cbranch_execz .LBB5_12
; %bb.11:
	s_lshl_b64 s[4:5], s[6:7], 2
	s_add_u32 s4, s14, s4
	s_addc_u32 s5, s15, s5
	s_waitcnt lgkmcnt(0)
	global_store_dword v18, v17, s[4:5]
.LBB5_12:
	s_or_b64 exec, exec, s[2:3]
	s_waitcnt lgkmcnt(0)
	v_cmp_ne_u32_e32 vcc, 0, v17
	s_cbranch_vccz .LBB5_17
; %bb.13:
	s_mov_b64 s[0:1], 0
                                        ; implicit-def: $vgpr2_vgpr3_vgpr4_vgpr5_vgpr6_vgpr7_vgpr8_vgpr9_vgpr10_vgpr11_vgpr12_vgpr13_vgpr14_vgpr15_vgpr16_vgpr17
.LBB5_14:
	s_and_b64 vcc, exec, s[0:1]
	s_cbranch_vccz .LBB5_16
.LBB5_15:
	s_lshl_b64 s[0:1], s[6:7], 2
	s_add_u32 s0, s14, s0
	s_addc_u32 s1, s15, s1
	v_mov_b32_e32 v1, 0
	global_load_dword v1, v1, s[0:1]
	s_waitcnt vmcnt(0)
	v_cmp_ne_u32_e32 vcc, 0, v1
	s_cbranch_vccz .LBB5_34
.LBB5_16:
	s_endpgm
.LBB5_17:
	v_div_scale_f64 v[17:18], s[2:3], v[14:15], v[14:15], 1.0
	v_rcp_f64_e32 v[19:20], v[17:18]
	v_fma_f64 v[21:22], -v[17:18], v[19:20], 1.0
	v_fma_f64 v[19:20], v[19:20], v[21:22], v[19:20]
	v_div_scale_f64 v[21:22], vcc, 1.0, v[14:15], 1.0
	v_fma_f64 v[23:24], -v[17:18], v[19:20], 1.0
	v_fma_f64 v[19:20], v[19:20], v[23:24], v[19:20]
	v_mul_f64 v[23:24], v[21:22], v[19:20]
	v_fma_f64 v[17:18], -v[17:18], v[23:24], v[21:22]
	v_div_fmas_f64 v[17:18], v[17:18], v[19:20], v[23:24]
	v_cmp_eq_u32_e32 vcc, 5, v0
	v_div_fixup_f64 v[14:15], v[17:18], v[14:15], 1.0
	v_add_u32_e32 v18, 48, v16
	v_cndmask_b32_e32 v13, v13, v15, vcc
	v_cndmask_b32_e32 v12, v12, v14, vcc
	v_cmp_eq_u32_e32 vcc, 4, v0
	v_cndmask_b32_e32 v11, v11, v15, vcc
	v_cndmask_b32_e32 v10, v10, v14, vcc
	v_cmp_eq_u32_e32 vcc, 3, v0
	;; [unrolled: 3-line block ×5, first 2 shown]
	v_cndmask_b32_e32 v3, v3, v15, vcc
	v_cndmask_b32_e32 v2, v2, v14, vcc
	v_xor_b32_e32 v20, 0x80000000, v15
	v_mov_b32_e32 v19, v14
	ds_write2_b64 v16, v[19:20], v[4:5] offset1:6
	s_waitcnt lgkmcnt(0)
	; wave barrier
	s_and_saveexec_b64 s[2:3], s[0:1]
	s_cbranch_execz .LBB5_19
; %bb.18:
	ds_read_b64 v[4:5], v18
	v_mov_b32_e32 v16, 0
	ds_read_b64 v[16:17], v16 offset:8
	s_waitcnt lgkmcnt(1)
	v_fma_f64 v[4:5], v[14:15], v[4:5], 0
	s_waitcnt lgkmcnt(0)
	v_mul_f64 v[4:5], v[4:5], v[16:17]
.LBB5_19:
	s_or_b64 exec, exec, s[2:3]
	v_cmp_gt_u32_e32 vcc, 2, v0
	; wave barrier
	ds_write_b64 v18, v[6:7]
	s_waitcnt lgkmcnt(0)
	; wave barrier
	s_and_saveexec_b64 s[12:13], vcc
	s_cbranch_execz .LBB5_21
; %bb.20:
	v_cmp_eq_u32_e32 vcc, 1, v0
	v_cndmask_b32_e32 v14, v3, v5, vcc
	v_cmp_eq_u32_e64 s[2:3], 2, v0
	v_cndmask_b32_e64 v7, v14, v7, s[2:3]
	v_cndmask_b32_e32 v16, v2, v4, vcc
	ds_read_b64 v[14:15], v18
	v_cmp_eq_u32_e64 s[4:5], 3, v0
	v_cndmask_b32_e64 v6, v16, v6, s[2:3]
	v_cndmask_b32_e64 v7, v7, v9, s[4:5]
	v_cmp_eq_u32_e64 s[8:9], 4, v0
	v_cndmask_b32_e64 v6, v6, v8, s[4:5]
	v_cndmask_b32_e64 v7, v7, v11, s[8:9]
	;; [unrolled: 3-line block ×3, first 2 shown]
	v_cndmask_b32_e64 v6, v6, v12, s[10:11]
	s_waitcnt lgkmcnt(0)
	v_fma_f64 v[6:7], v[6:7], v[14:15], 0
	v_mov_b32_e32 v14, 0
	ds_read2_b64 v[14:17], v14 offset0:2 offset1:7
	s_waitcnt lgkmcnt(0)
	v_fma_f64 v[16:17], v[4:5], v[16:17], v[6:7]
	v_cndmask_b32_e64 v7, v7, v17, s[0:1]
	v_cndmask_b32_e64 v6, v6, v16, s[0:1]
	v_mul_f64 v[6:7], v[6:7], v[14:15]
.LBB5_21:
	s_or_b64 exec, exec, s[12:13]
	v_cmp_gt_u32_e32 vcc, 3, v0
	; wave barrier
	ds_write_b64 v18, v[8:9]
	s_waitcnt lgkmcnt(0)
	; wave barrier
	s_and_saveexec_b64 s[2:3], vcc
	s_cbranch_execz .LBB5_25
; %bb.22:
	v_mov_b32_e32 v14, 0
	v_mov_b32_e32 v17, v1
	v_lshl_add_u32 v19, v0, 3, 48
	v_mov_b32_e32 v15, 0
	s_mov_b64 s[4:5], 0
	v_mov_b32_e32 v16, v0
.LBB5_23:                               ; =>This Inner Loop Header: Depth=1
	v_cmp_eq_u32_e32 vcc, 1, v16
	v_cndmask_b32_e32 v22, v3, v5, vcc
	v_cmp_eq_u32_e64 s[0:1], 2, v16
	ds_read_b64 v[20:21], v19
	v_cndmask_b32_e64 v22, v22, v7, s[0:1]
	v_cndmask_b32_e32 v23, v2, v4, vcc
	v_cmp_eq_u32_e32 vcc, 3, v16
	v_cndmask_b32_e32 v22, v22, v9, vcc
	v_cndmask_b32_e64 v23, v23, v6, s[0:1]
	v_cmp_eq_u32_e64 s[0:1], 4, v16
	v_cndmask_b32_e64 v22, v22, v11, s[0:1]
	v_cndmask_b32_e32 v24, v23, v8, vcc
	v_cmp_eq_u32_e32 vcc, 5, v16
	v_cndmask_b32_e32 v23, v22, v13, vcc
	v_cndmask_b32_e64 v22, v24, v10, s[0:1]
	v_cndmask_b32_e32 v22, v22, v12, vcc
	s_waitcnt lgkmcnt(0)
	v_fma_f64 v[14:15], v[22:23], v[20:21], v[14:15]
	v_add_co_u32_e32 v16, vcc, 1, v16
	v_addc_co_u32_e32 v17, vcc, 0, v17, vcc
	v_add_u32_e32 v20, -1, v16
	v_cmp_lt_u32_e32 vcc, 1, v20
	s_or_b64 s[4:5], vcc, s[4:5]
	v_add_u32_e32 v19, 8, v19
	s_andn2_b64 exec, exec, s[4:5]
	s_cbranch_execnz .LBB5_23
; %bb.24:
	s_or_b64 exec, exec, s[4:5]
	v_mov_b32_e32 v8, 0
	ds_read_b64 v[8:9], v8 offset:24
	s_waitcnt lgkmcnt(0)
	v_mul_f64 v[8:9], v[14:15], v[8:9]
.LBB5_25:
	s_or_b64 exec, exec, s[2:3]
	v_cmp_gt_u32_e32 vcc, 4, v0
	; wave barrier
	ds_write_b64 v18, v[10:11]
	s_waitcnt lgkmcnt(0)
	; wave barrier
	s_and_saveexec_b64 s[2:3], vcc
	s_cbranch_execz .LBB5_29
; %bb.26:
	v_mov_b32_e32 v14, 0
	v_mov_b32_e32 v17, v1
	v_lshl_add_u32 v19, v0, 3, 48
	v_mov_b32_e32 v15, 0
	s_mov_b64 s[4:5], 0
	v_mov_b32_e32 v16, v0
.LBB5_27:                               ; =>This Inner Loop Header: Depth=1
	v_cmp_eq_u32_e32 vcc, 1, v16
	v_cndmask_b32_e32 v22, v3, v5, vcc
	v_cmp_eq_u32_e64 s[0:1], 2, v16
	ds_read_b64 v[20:21], v19
	v_cndmask_b32_e64 v22, v22, v7, s[0:1]
	v_cndmask_b32_e32 v23, v2, v4, vcc
	v_cmp_eq_u32_e32 vcc, 3, v16
	v_cndmask_b32_e32 v22, v22, v9, vcc
	v_cndmask_b32_e64 v23, v23, v6, s[0:1]
	v_cmp_eq_u32_e64 s[0:1], 4, v16
	v_cndmask_b32_e64 v22, v22, v11, s[0:1]
	v_cndmask_b32_e32 v24, v23, v8, vcc
	v_cmp_eq_u32_e32 vcc, 5, v16
	v_cndmask_b32_e32 v23, v22, v13, vcc
	v_cndmask_b32_e64 v22, v24, v10, s[0:1]
	v_cndmask_b32_e32 v22, v22, v12, vcc
	s_waitcnt lgkmcnt(0)
	v_fma_f64 v[14:15], v[22:23], v[20:21], v[14:15]
	v_add_co_u32_e32 v16, vcc, 1, v16
	v_addc_co_u32_e32 v17, vcc, 0, v17, vcc
	v_add_u32_e32 v20, -1, v16
	v_cmp_lt_u32_e32 vcc, 2, v20
	s_or_b64 s[4:5], vcc, s[4:5]
	v_add_u32_e32 v19, 8, v19
	s_andn2_b64 exec, exec, s[4:5]
	s_cbranch_execnz .LBB5_27
; %bb.28:
	s_or_b64 exec, exec, s[4:5]
	v_mov_b32_e32 v10, 0
	ds_read_b64 v[10:11], v10 offset:32
	s_waitcnt lgkmcnt(0)
	v_mul_f64 v[10:11], v[14:15], v[10:11]
.LBB5_29:
	s_or_b64 exec, exec, s[2:3]
	v_cmp_ne_u32_e32 vcc, 5, v0
	; wave barrier
	ds_write_b64 v18, v[12:13]
	s_waitcnt lgkmcnt(0)
	; wave barrier
	s_and_saveexec_b64 s[2:3], vcc
	s_cbranch_execz .LBB5_33
; %bb.30:
	v_mov_b32_e32 v14, 0
	v_mov_b32_e32 v17, v1
	v_lshl_add_u32 v18, v0, 3, 48
	v_mov_b32_e32 v15, 0
	s_mov_b64 s[4:5], 0
	v_mov_b32_e32 v16, v0
.LBB5_31:                               ; =>This Inner Loop Header: Depth=1
	v_cmp_eq_u32_e32 vcc, 1, v16
	v_cndmask_b32_e32 v1, v3, v5, vcc
	v_cmp_eq_u32_e64 s[0:1], 2, v16
	ds_read_b64 v[19:20], v18
	v_cndmask_b32_e64 v1, v1, v7, s[0:1]
	v_cndmask_b32_e32 v21, v2, v4, vcc
	v_cmp_eq_u32_e32 vcc, 3, v16
	v_cndmask_b32_e32 v1, v1, v9, vcc
	v_cndmask_b32_e64 v21, v21, v6, s[0:1]
	v_cmp_eq_u32_e64 s[0:1], 4, v16
	v_cndmask_b32_e64 v1, v1, v11, s[0:1]
	v_cndmask_b32_e32 v21, v21, v8, vcc
	v_cmp_eq_u32_e32 vcc, 5, v16
	v_cndmask_b32_e32 v22, v1, v13, vcc
	v_cndmask_b32_e64 v1, v21, v10, s[0:1]
	v_cndmask_b32_e32 v21, v1, v12, vcc
	s_waitcnt lgkmcnt(0)
	v_fma_f64 v[14:15], v[21:22], v[19:20], v[14:15]
	v_add_co_u32_e32 v16, vcc, 1, v16
	v_addc_co_u32_e32 v17, vcc, 0, v17, vcc
	v_add_u32_e32 v1, -1, v16
	v_cmp_lt_u32_e32 vcc, 3, v1
	s_or_b64 s[4:5], vcc, s[4:5]
	v_add_u32_e32 v18, 8, v18
	s_andn2_b64 exec, exec, s[4:5]
	s_cbranch_execnz .LBB5_31
; %bb.32:
	s_or_b64 exec, exec, s[4:5]
	v_mov_b32_e32 v1, 0
	ds_read_b64 v[12:13], v1 offset:40
	s_waitcnt lgkmcnt(0)
	v_mul_f64 v[12:13], v[14:15], v[12:13]
.LBB5_33:
	s_or_b64 exec, exec, s[2:3]
	; wave barrier
	s_cbranch_execnz .LBB5_15
	s_branch .LBB5_16
.LBB5_34:
	v_lshl_add_u32 v1, v0, 3, 48
	v_cmp_eq_u32_e32 vcc, 5, v0
	s_and_saveexec_b64 s[0:1], vcc
; %bb.35:
	ds_write_b64 v1, v[10:11]
	v_mov_b32_e32 v10, 0
	v_mov_b32_e32 v11, v10
; %bb.36:
	s_or_b64 exec, exec, s[0:1]
	v_mov_b32_e32 v20, 0
	s_waitcnt lgkmcnt(0)
	; wave barrier
	ds_read_b64 v[18:19], v20 offset:88
	v_cmp_lt_u32_e32 vcc, 3, v0
	s_waitcnt lgkmcnt(0)
	v_fma_f64 v[18:19], v[12:13], v[18:19], 0
	v_add_f64 v[10:11], v[10:11], -v[18:19]
	s_and_saveexec_b64 s[0:1], vcc
	s_cbranch_execz .LBB5_38
; %bb.37:
	v_mov_b32_e32 v14, v2
	v_mov_b32_e32 v15, v3
	;; [unrolled: 1-line block ×11, first 2 shown]
	ds_write_b64 v1, v[8:9]
	v_mov_b32_e32 v2, v14
	v_mov_b32_e32 v3, v15
	v_mov_b32_e32 v4, v16
	v_mov_b32_e32 v5, v17
	v_mov_b32_e32 v6, v18
	v_mov_b32_e32 v7, v19
	v_mov_b32_e32 v8, v20
	v_mov_b32_e32 v9, v21
	v_mov_b32_e32 v10, v22
	v_mov_b32_e32 v11, v23
	v_mov_b32_e32 v12, v24
	v_mov_b32_e32 v13, v25
	v_mov_b32_e32 v14, v26
	v_mov_b32_e32 v15, v27
	v_mov_b32_e32 v16, v28
	v_mov_b32_e32 v17, v29
.LBB5_38:
	s_or_b64 exec, exec, s[0:1]
	s_waitcnt lgkmcnt(0)
	; wave barrier
	ds_read_b128 v[18:21], v20 offset:80
	v_cmp_lt_u32_e32 vcc, 2, v0
	s_waitcnt lgkmcnt(0)
	v_fma_f64 v[18:19], v[10:11], v[18:19], 0
	v_fma_f64 v[18:19], v[12:13], v[20:21], v[18:19]
	v_add_f64 v[8:9], v[8:9], -v[18:19]
	s_and_saveexec_b64 s[0:1], vcc
	s_cbranch_execz .LBB5_40
; %bb.39:
	v_mov_b32_e32 v18, 0
	v_mov_b32_e32 v14, v2
	;; [unrolled: 1-line block ×12, first 2 shown]
	ds_write_b64 v1, v[6:7]
	v_mov_b32_e32 v2, v14
	v_mov_b32_e32 v3, v15
	;; [unrolled: 1-line block ×16, first 2 shown]
.LBB5_40:
	s_or_b64 exec, exec, s[0:1]
	v_mov_b32_e32 v18, 0
	s_waitcnt lgkmcnt(0)
	; wave barrier
	ds_read2_b64 v[19:22], v18 offset0:9 offset1:10
	ds_read_b64 v[23:24], v18 offset:88
	v_cmp_lt_u32_e32 vcc, 1, v0
	s_waitcnt lgkmcnt(1)
	v_fma_f64 v[19:20], v[8:9], v[19:20], 0
	v_fma_f64 v[19:20], v[10:11], v[21:22], v[19:20]
	s_waitcnt lgkmcnt(0)
	v_fma_f64 v[19:20], v[12:13], v[23:24], v[19:20]
	v_add_f64 v[6:7], v[6:7], -v[19:20]
	s_and_saveexec_b64 s[0:1], vcc
	s_cbranch_execz .LBB5_42
; %bb.41:
	v_mov_b32_e32 v16, v2
	v_mov_b32_e32 v17, v3
	;; [unrolled: 1-line block ×11, first 2 shown]
	ds_write_b64 v1, v[4:5]
	v_mov_b32_e32 v2, v16
	v_mov_b32_e32 v3, v17
	;; [unrolled: 1-line block ×16, first 2 shown]
.LBB5_42:
	s_or_b64 exec, exec, s[0:1]
	s_waitcnt lgkmcnt(0)
	; wave barrier
	ds_read_b128 v[19:22], v18 offset:64
	ds_read_b128 v[23:26], v18 offset:80
	v_cmp_ne_u32_e32 vcc, 0, v0
	s_waitcnt lgkmcnt(1)
	v_fma_f64 v[18:19], v[6:7], v[19:20], 0
	v_fma_f64 v[18:19], v[8:9], v[21:22], v[18:19]
	s_waitcnt lgkmcnt(0)
	v_fma_f64 v[18:19], v[10:11], v[23:24], v[18:19]
	v_fma_f64 v[18:19], v[12:13], v[25:26], v[18:19]
	v_add_f64 v[4:5], v[4:5], -v[18:19]
	s_and_saveexec_b64 s[0:1], vcc
	s_cbranch_execz .LBB5_44
; %bb.43:
	v_mov_b32_e32 v14, 0
	v_mov_b32_e32 v15, v14
	;; [unrolled: 1-line block ×12, first 2 shown]
	ds_write_b64 v1, v[2:3]
	v_mov_b32_e32 v2, v14
	v_mov_b32_e32 v3, v15
	;; [unrolled: 1-line block ×16, first 2 shown]
.LBB5_44:
	s_or_b64 exec, exec, s[0:1]
	v_mov_b32_e32 v0, 0
	s_waitcnt lgkmcnt(0)
	; wave barrier
	ds_read2_b64 v[18:21], v0 offset0:7 offset1:8
	ds_read2_b64 v[22:25], v0 offset0:9 offset1:10
	s_and_b64 vcc, exec, s[18:19]
	s_waitcnt lgkmcnt(1)
	v_fma_f64 v[18:19], v[4:5], v[18:19], 0
	v_fma_f64 v[18:19], v[6:7], v[20:21], v[18:19]
	ds_read_b64 v[20:21], v0 offset:88
	s_waitcnt lgkmcnt(1)
	v_fma_f64 v[18:19], v[8:9], v[22:23], v[18:19]
	v_fma_f64 v[18:19], v[10:11], v[24:25], v[18:19]
	s_waitcnt lgkmcnt(0)
	v_fma_f64 v[18:19], v[12:13], v[20:21], v[18:19]
	v_add_f64 v[2:3], v[2:3], -v[18:19]
	s_cbranch_vccz .LBB5_55
; %bb.45:
	global_load_dword v0, v0, s[16:17] offset:16
	s_waitcnt vmcnt(0)
	v_readfirstlane_b32 s0, v0
	s_add_i32 s0, s0, -1
	s_cmp_lg_u32 s0, 4
	s_cbranch_scc0 .LBB5_47
; %bb.46:
	s_lshl_b32 s0, s0, 1
	s_set_gpr_idx_on s0, gpr_idx(SRC0)
	v_mov_b32_e32 v0, v3
	v_mov_b32_e32 v1, v2
	s_set_gpr_idx_off
	v_mov_b32_e32 v27, v17
	v_mov_b32_e32 v21, v11
	;; [unrolled: 1-line block ×18, first 2 shown]
	s_set_gpr_idx_on s0, gpr_idx(DST)
	v_mov_b32_e32 v12, v10
	v_mov_b32_e32 v13, v11
	s_set_gpr_idx_off
	v_mov_b32_e32 v2, v12
	v_mov_b32_e32 v3, v13
	;; [unrolled: 1-line block ×16, first 2 shown]
.LBB5_47:
	v_mov_b32_e32 v0, 0
	global_load_dword v1, v0, s[16:17] offset:12
	s_waitcnt vmcnt(0)
	v_readfirstlane_b32 s0, v1
	s_add_i32 s0, s0, -1
	s_cmp_eq_u32 s0, 3
	s_cbranch_scc1 .LBB5_49
; %bb.48:
	s_lshl_b32 s0, s0, 1
	s_set_gpr_idx_on s0, gpr_idx(SRC0)
	v_mov_b32_e32 v1, v3
	v_mov_b32_e32 v26, v2
	s_set_gpr_idx_off
	v_mov_b32_e32 v25, v17
	v_mov_b32_e32 v24, v16
	;; [unrolled: 1-line block ×18, first 2 shown]
	s_set_gpr_idx_on s0, gpr_idx(DST)
	v_mov_b32_e32 v10, v8
	v_mov_b32_e32 v11, v9
	s_set_gpr_idx_off
	v_mov_b32_e32 v2, v10
	v_mov_b32_e32 v3, v11
	;; [unrolled: 1-line block ×16, first 2 shown]
.LBB5_49:
	global_load_dword v0, v0, s[16:17] offset:8
	s_waitcnt vmcnt(0)
	v_readfirstlane_b32 s0, v0
	s_add_i32 s0, s0, -1
	s_cmp_eq_u32 s0, 2
	s_cbranch_scc1 .LBB5_51
; %bb.50:
	s_lshl_b32 s0, s0, 1
	s_set_gpr_idx_on s0, gpr_idx(SRC0)
	v_mov_b32_e32 v0, v3
	v_mov_b32_e32 v1, v2
	s_set_gpr_idx_off
	v_mov_b32_e32 v23, v17
	v_mov_b32_e32 v22, v16
	;; [unrolled: 1-line block ×18, first 2 shown]
	s_set_gpr_idx_on s0, gpr_idx(DST)
	v_mov_b32_e32 v8, v6
	v_mov_b32_e32 v9, v7
	s_set_gpr_idx_off
	v_mov_b32_e32 v2, v8
	v_mov_b32_e32 v3, v9
	;; [unrolled: 1-line block ×16, first 2 shown]
.LBB5_51:
	v_mov_b32_e32 v0, 0
	global_load_dword v1, v0, s[16:17] offset:4
	s_waitcnt vmcnt(0)
	v_readfirstlane_b32 s0, v1
	s_add_i32 s0, s0, -1
	s_cmp_eq_u32 s0, 1
	s_cbranch_scc1 .LBB5_53
; %bb.52:
	s_lshl_b32 s0, s0, 1
	s_set_gpr_idx_on s0, gpr_idx(SRC0)
	v_mov_b32_e32 v1, v3
	v_mov_b32_e32 v22, v2
	s_set_gpr_idx_off
	v_mov_b32_e32 v21, v17
	v_mov_b32_e32 v20, v16
	;; [unrolled: 1-line block ×18, first 2 shown]
	s_set_gpr_idx_on s0, gpr_idx(DST)
	v_mov_b32_e32 v6, v4
	v_mov_b32_e32 v7, v5
	s_set_gpr_idx_off
	v_mov_b32_e32 v2, v6
	v_mov_b32_e32 v3, v7
	;; [unrolled: 1-line block ×16, first 2 shown]
.LBB5_53:
	global_load_dword v0, v0, s[16:17]
	s_waitcnt vmcnt(0)
	v_readfirstlane_b32 s0, v0
	s_add_i32 s0, s0, -1
	s_cmp_eq_u32 s0, 0
	s_cbranch_scc1 .LBB5_55
; %bb.54:
	s_lshl_b32 s0, s0, 1
	s_set_gpr_idx_on s0, gpr_idx(SRC0)
	v_mov_b32_e32 v0, v3
	v_mov_b32_e32 v1, v2
	s_set_gpr_idx_off
	v_mov_b32_e32 v19, v17
	v_mov_b32_e32 v18, v16
	;; [unrolled: 1-line block ×18, first 2 shown]
	s_set_gpr_idx_on s0, gpr_idx(DST)
	v_mov_b32_e32 v4, v2
	v_mov_b32_e32 v5, v3
	s_set_gpr_idx_off
	v_mov_b32_e32 v2, v4
	v_mov_b32_e32 v3, v5
	v_mov_b32_e32 v4, v6
	v_mov_b32_e32 v5, v7
	v_mov_b32_e32 v6, v8
	v_mov_b32_e32 v7, v9
	v_mov_b32_e32 v8, v10
	v_mov_b32_e32 v9, v11
	v_mov_b32_e32 v10, v12
	v_mov_b32_e32 v11, v13
	v_mov_b32_e32 v12, v14
	v_mov_b32_e32 v13, v15
	v_mov_b32_e32 v14, v16
	v_mov_b32_e32 v15, v17
	v_mov_b32_e32 v16, v18
	v_mov_b32_e32 v17, v19
.LBB5_55:
	global_store_dwordx2 v[28:29], v[2:3], off
	global_store_dwordx2 v[30:31], v[4:5], off
	;; [unrolled: 1-line block ×6, first 2 shown]
	s_endpgm
	.section	.rodata,"a",@progbits
	.p2align	6, 0x0
	.amdhsa_kernel _ZN9rocsolver6v33100L18getri_kernel_smallILi6EdPdEEvT1_iilPiilS4_bb
		.amdhsa_group_segment_fixed_size 104
		.amdhsa_private_segment_fixed_size 0
		.amdhsa_kernarg_size 60
		.amdhsa_user_sgpr_count 6
		.amdhsa_user_sgpr_private_segment_buffer 1
		.amdhsa_user_sgpr_dispatch_ptr 0
		.amdhsa_user_sgpr_queue_ptr 0
		.amdhsa_user_sgpr_kernarg_segment_ptr 1
		.amdhsa_user_sgpr_dispatch_id 0
		.amdhsa_user_sgpr_flat_scratch_init 0
		.amdhsa_user_sgpr_private_segment_size 0
		.amdhsa_uses_dynamic_stack 0
		.amdhsa_system_sgpr_private_segment_wavefront_offset 0
		.amdhsa_system_sgpr_workgroup_id_x 1
		.amdhsa_system_sgpr_workgroup_id_y 0
		.amdhsa_system_sgpr_workgroup_id_z 0
		.amdhsa_system_sgpr_workgroup_info 0
		.amdhsa_system_vgpr_workitem_id 0
		.amdhsa_next_free_vgpr 40
		.amdhsa_next_free_sgpr 20
		.amdhsa_reserve_vcc 1
		.amdhsa_reserve_flat_scratch 0
		.amdhsa_float_round_mode_32 0
		.amdhsa_float_round_mode_16_64 0
		.amdhsa_float_denorm_mode_32 3
		.amdhsa_float_denorm_mode_16_64 3
		.amdhsa_dx10_clamp 1
		.amdhsa_ieee_mode 1
		.amdhsa_fp16_overflow 0
		.amdhsa_exception_fp_ieee_invalid_op 0
		.amdhsa_exception_fp_denorm_src 0
		.amdhsa_exception_fp_ieee_div_zero 0
		.amdhsa_exception_fp_ieee_overflow 0
		.amdhsa_exception_fp_ieee_underflow 0
		.amdhsa_exception_fp_ieee_inexact 0
		.amdhsa_exception_int_div_zero 0
	.end_amdhsa_kernel
	.section	.text._ZN9rocsolver6v33100L18getri_kernel_smallILi6EdPdEEvT1_iilPiilS4_bb,"axG",@progbits,_ZN9rocsolver6v33100L18getri_kernel_smallILi6EdPdEEvT1_iilPiilS4_bb,comdat
.Lfunc_end5:
	.size	_ZN9rocsolver6v33100L18getri_kernel_smallILi6EdPdEEvT1_iilPiilS4_bb, .Lfunc_end5-_ZN9rocsolver6v33100L18getri_kernel_smallILi6EdPdEEvT1_iilPiilS4_bb
                                        ; -- End function
	.set _ZN9rocsolver6v33100L18getri_kernel_smallILi6EdPdEEvT1_iilPiilS4_bb.num_vgpr, 40
	.set _ZN9rocsolver6v33100L18getri_kernel_smallILi6EdPdEEvT1_iilPiilS4_bb.num_agpr, 0
	.set _ZN9rocsolver6v33100L18getri_kernel_smallILi6EdPdEEvT1_iilPiilS4_bb.numbered_sgpr, 20
	.set _ZN9rocsolver6v33100L18getri_kernel_smallILi6EdPdEEvT1_iilPiilS4_bb.num_named_barrier, 0
	.set _ZN9rocsolver6v33100L18getri_kernel_smallILi6EdPdEEvT1_iilPiilS4_bb.private_seg_size, 0
	.set _ZN9rocsolver6v33100L18getri_kernel_smallILi6EdPdEEvT1_iilPiilS4_bb.uses_vcc, 1
	.set _ZN9rocsolver6v33100L18getri_kernel_smallILi6EdPdEEvT1_iilPiilS4_bb.uses_flat_scratch, 0
	.set _ZN9rocsolver6v33100L18getri_kernel_smallILi6EdPdEEvT1_iilPiilS4_bb.has_dyn_sized_stack, 0
	.set _ZN9rocsolver6v33100L18getri_kernel_smallILi6EdPdEEvT1_iilPiilS4_bb.has_recursion, 0
	.set _ZN9rocsolver6v33100L18getri_kernel_smallILi6EdPdEEvT1_iilPiilS4_bb.has_indirect_call, 0
	.section	.AMDGPU.csdata,"",@progbits
; Kernel info:
; codeLenInByte = 3860
; TotalNumSgprs: 24
; NumVgprs: 40
; ScratchSize: 0
; MemoryBound: 0
; FloatMode: 240
; IeeeMode: 1
; LDSByteSize: 104 bytes/workgroup (compile time only)
; SGPRBlocks: 2
; VGPRBlocks: 9
; NumSGPRsForWavesPerEU: 24
; NumVGPRsForWavesPerEU: 40
; Occupancy: 6
; WaveLimiterHint : 0
; COMPUTE_PGM_RSRC2:SCRATCH_EN: 0
; COMPUTE_PGM_RSRC2:USER_SGPR: 6
; COMPUTE_PGM_RSRC2:TRAP_HANDLER: 0
; COMPUTE_PGM_RSRC2:TGID_X_EN: 1
; COMPUTE_PGM_RSRC2:TGID_Y_EN: 0
; COMPUTE_PGM_RSRC2:TGID_Z_EN: 0
; COMPUTE_PGM_RSRC2:TIDIG_COMP_CNT: 0
	.section	.text._ZN9rocsolver6v33100L18getri_kernel_smallILi7EdPdEEvT1_iilPiilS4_bb,"axG",@progbits,_ZN9rocsolver6v33100L18getri_kernel_smallILi7EdPdEEvT1_iilPiilS4_bb,comdat
	.globl	_ZN9rocsolver6v33100L18getri_kernel_smallILi7EdPdEEvT1_iilPiilS4_bb ; -- Begin function _ZN9rocsolver6v33100L18getri_kernel_smallILi7EdPdEEvT1_iilPiilS4_bb
	.p2align	8
	.type	_ZN9rocsolver6v33100L18getri_kernel_smallILi7EdPdEEvT1_iilPiilS4_bb,@function
_ZN9rocsolver6v33100L18getri_kernel_smallILi7EdPdEEvT1_iilPiilS4_bb: ; @_ZN9rocsolver6v33100L18getri_kernel_smallILi7EdPdEEvT1_iilPiilS4_bb
; %bb.0:
	v_cmp_gt_u32_e32 vcc, 7, v0
	s_and_saveexec_b64 s[0:1], vcc
	s_cbranch_execz .LBB6_16
; %bb.1:
	s_load_dword s0, s[4:5], 0x38
	s_load_dwordx4 s[8:11], s[4:5], 0x10
	s_load_dwordx4 s[12:15], s[4:5], 0x28
                                        ; implicit-def: $sgpr16_sgpr17
	s_waitcnt lgkmcnt(0)
	s_bitcmp1_b32 s0, 8
	s_cselect_b64 s[18:19], -1, 0
	s_ashr_i32 s7, s6, 31
	s_bfe_u32 s0, s0, 0x10008
	s_cmp_eq_u32 s0, 0
	s_cbranch_scc1 .LBB6_3
; %bb.2:
	s_load_dword s0, s[4:5], 0x20
	s_mul_i32 s1, s12, s7
	s_mul_hi_u32 s2, s12, s6
	s_mul_i32 s3, s13, s6
	s_add_i32 s2, s2, s1
	s_add_i32 s3, s2, s3
	s_mul_i32 s2, s12, s6
	s_waitcnt lgkmcnt(0)
	s_ashr_i32 s1, s0, 31
	s_lshl_b64 s[2:3], s[2:3], 2
	s_add_u32 s2, s10, s2
	s_addc_u32 s3, s11, s3
	s_lshl_b64 s[0:1], s[0:1], 2
	s_add_u32 s16, s2, s0
	s_addc_u32 s17, s3, s1
.LBB6_3:
	s_load_dwordx4 s[0:3], s[4:5], 0x0
	s_load_dword s10, s[4:5], 0x38
	s_mul_i32 s11, s8, s7
	s_mul_hi_u32 s12, s8, s6
	s_mul_i32 s9, s9, s6
	s_waitcnt lgkmcnt(0)
	s_ashr_i32 s5, s2, 31
	s_mov_b32 s4, s2
	s_add_i32 s2, s12, s11
	s_add_i32 s9, s2, s9
	s_mul_i32 s8, s8, s6
	s_lshl_b64 s[8:9], s[8:9], 3
	s_add_u32 s2, s0, s8
	s_addc_u32 s8, s1, s9
	s_lshl_b64 s[0:1], s[4:5], 3
	s_add_u32 s0, s2, s0
	s_addc_u32 s1, s8, s1
	v_lshlrev_b32_e32 v18, 3, v0
	v_mov_b32_e32 v1, s1
	v_add_co_u32_e32 v32, vcc, s0, v18
	s_ashr_i32 s5, s3, 31
	s_mov_b32 s4, s3
	v_addc_co_u32_e32 v33, vcc, 0, v1, vcc
	s_lshl_b64 s[4:5], s[4:5], 3
	v_mov_b32_e32 v1, s5
	v_add_co_u32_e32 v34, vcc, s4, v32
	s_add_i32 s2, s3, s3
	v_addc_co_u32_e32 v35, vcc, v33, v1, vcc
	v_add_u32_e32 v1, s2, v0
	v_ashrrev_i32_e32 v2, 31, v1
	v_lshlrev_b64 v[2:3], 3, v[1:2]
	v_add_u32_e32 v1, s3, v1
	v_mov_b32_e32 v4, s1
	v_add_co_u32_e32 v36, vcc, s0, v2
	v_ashrrev_i32_e32 v2, 31, v1
	v_addc_co_u32_e32 v37, vcc, v4, v3, vcc
	v_lshlrev_b64 v[2:3], 3, v[1:2]
	v_add_u32_e32 v1, s3, v1
	v_add_co_u32_e32 v38, vcc, s0, v2
	v_ashrrev_i32_e32 v2, 31, v1
	v_addc_co_u32_e32 v39, vcc, v4, v3, vcc
	v_lshlrev_b64 v[2:3], 3, v[1:2]
	v_add_u32_e32 v1, s3, v1
	;; [unrolled: 5-line block ×3, first 2 shown]
	v_add_co_u32_e32 v42, vcc, s0, v2
	v_ashrrev_i32_e32 v2, 31, v1
	v_lshlrev_b64 v[1:2], 3, v[1:2]
	v_addc_co_u32_e32 v43, vcc, v4, v3, vcc
	v_mov_b32_e32 v3, s1
	v_add_co_u32_e32 v44, vcc, s0, v1
	v_addc_co_u32_e32 v45, vcc, v3, v2, vcc
	global_load_dwordx2 v[2:3], v18, s[0:1]
	global_load_dwordx2 v[4:5], v[34:35], off
	global_load_dwordx2 v[6:7], v[36:37], off
	;; [unrolled: 1-line block ×6, first 2 shown]
	v_mov_b32_e32 v1, 0
	s_bitcmp0_b32 s10, 0
	s_mov_b64 s[0:1], -1
	s_cbranch_scc1 .LBB6_14
; %bb.4:
	v_cmp_eq_u32_e64 s[0:1], 0, v0
	s_and_saveexec_b64 s[2:3], s[0:1]
; %bb.5:
	v_mov_b32_e32 v16, 0
	ds_write_b32 v16, v16 offset:56
; %bb.6:
	s_or_b64 exec, exec, s[2:3]
	v_cmp_eq_u32_e32 vcc, 1, v0
	s_waitcnt vmcnt(5)
	v_cndmask_b32_e32 v16, v3, v5, vcc
	v_cmp_eq_u32_e64 s[2:3], 2, v0
	s_waitcnt vmcnt(4)
	v_cndmask_b32_e64 v16, v16, v7, s[2:3]
	v_cmp_eq_u32_e64 s[4:5], 3, v0
	s_waitcnt vmcnt(3)
	v_cndmask_b32_e64 v16, v16, v9, s[4:5]
	;; [unrolled: 3-line block ×5, first 2 shown]
	v_cndmask_b32_e32 v16, v2, v4, vcc
	v_cndmask_b32_e64 v16, v16, v6, s[2:3]
	v_cndmask_b32_e64 v16, v16, v8, s[4:5]
	;; [unrolled: 1-line block ×5, first 2 shown]
	v_cmp_eq_f64_e32 vcc, 0, v[16:17]
	s_waitcnt lgkmcnt(0)
	; wave barrier
	s_and_saveexec_b64 s[4:5], vcc
	s_cbranch_execz .LBB6_10
; %bb.7:
	v_mov_b32_e32 v19, 0
	ds_read_b32 v21, v19 offset:56
	v_add_u32_e32 v20, 1, v0
	s_waitcnt lgkmcnt(0)
	v_readfirstlane_b32 s2, v21
	s_cmp_eq_u32 s2, 0
	s_cselect_b64 s[8:9], -1, 0
	v_cmp_gt_i32_e32 vcc, s2, v20
	s_or_b64 s[8:9], s[8:9], vcc
	s_and_b64 exec, exec, s[8:9]
	s_cbranch_execz .LBB6_10
; %bb.8:
	s_mov_b64 s[8:9], 0
	v_mov_b32_e32 v21, s2
.LBB6_9:                                ; =>This Inner Loop Header: Depth=1
	ds_cmpst_rtn_b32 v21, v19, v21, v20 offset:56
	s_waitcnt lgkmcnt(0)
	v_cmp_ne_u32_e32 vcc, 0, v21
	v_cmp_le_i32_e64 s[2:3], v21, v20
	s_and_b64 s[2:3], vcc, s[2:3]
	s_and_b64 s[2:3], exec, s[2:3]
	s_or_b64 s[8:9], s[2:3], s[8:9]
	s_andn2_b64 exec, exec, s[8:9]
	s_cbranch_execnz .LBB6_9
.LBB6_10:
	s_or_b64 exec, exec, s[4:5]
	v_mov_b32_e32 v20, 0
	; wave barrier
	ds_read_b32 v19, v20 offset:56
	s_and_saveexec_b64 s[2:3], s[0:1]
	s_cbranch_execz .LBB6_12
; %bb.11:
	s_lshl_b64 s[4:5], s[6:7], 2
	s_add_u32 s4, s14, s4
	s_addc_u32 s5, s15, s5
	s_waitcnt lgkmcnt(0)
	global_store_dword v20, v19, s[4:5]
.LBB6_12:
	s_or_b64 exec, exec, s[2:3]
	s_waitcnt lgkmcnt(0)
	v_cmp_ne_u32_e32 vcc, 0, v19
	s_cbranch_vccz .LBB6_17
; %bb.13:
	s_mov_b64 s[0:1], 0
                                        ; implicit-def: $vgpr2_vgpr3_vgpr4_vgpr5_vgpr6_vgpr7_vgpr8_vgpr9_vgpr10_vgpr11_vgpr12_vgpr13_vgpr14_vgpr15_vgpr16_vgpr17
.LBB6_14:
	s_and_b64 vcc, exec, s[0:1]
	s_cbranch_vccz .LBB6_16
.LBB6_15:
	s_lshl_b64 s[0:1], s[6:7], 2
	s_add_u32 s0, s14, s0
	s_addc_u32 s1, s15, s1
	v_mov_b32_e32 v1, 0
	global_load_dword v1, v1, s[0:1]
	s_waitcnt vmcnt(0)
	v_cmp_ne_u32_e32 vcc, 0, v1
	s_cbranch_vccz .LBB6_38
.LBB6_16:
	s_endpgm
.LBB6_17:
	v_div_scale_f64 v[19:20], s[2:3], v[16:17], v[16:17], 1.0
	v_rcp_f64_e32 v[21:22], v[19:20]
	v_fma_f64 v[23:24], -v[19:20], v[21:22], 1.0
	v_fma_f64 v[21:22], v[21:22], v[23:24], v[21:22]
	v_div_scale_f64 v[23:24], vcc, 1.0, v[16:17], 1.0
	v_fma_f64 v[25:26], -v[19:20], v[21:22], 1.0
	v_fma_f64 v[21:22], v[21:22], v[25:26], v[21:22]
	v_mul_f64 v[25:26], v[23:24], v[21:22]
	v_fma_f64 v[19:20], -v[19:20], v[25:26], v[23:24]
	v_div_fmas_f64 v[19:20], v[19:20], v[21:22], v[25:26]
	v_cmp_eq_u32_e32 vcc, 6, v0
	v_div_fixup_f64 v[16:17], v[19:20], v[16:17], 1.0
	v_add_u32_e32 v20, 64, v18
	v_cndmask_b32_e32 v15, v15, v17, vcc
	v_cndmask_b32_e32 v14, v14, v16, vcc
	v_cmp_eq_u32_e32 vcc, 5, v0
	v_cndmask_b32_e32 v13, v13, v17, vcc
	v_cndmask_b32_e32 v12, v12, v16, vcc
	v_cmp_eq_u32_e32 vcc, 4, v0
	;; [unrolled: 3-line block ×6, first 2 shown]
	v_cndmask_b32_e32 v3, v3, v17, vcc
	v_cndmask_b32_e32 v2, v2, v16, vcc
	v_xor_b32_e32 v22, 0x80000000, v17
	v_mov_b32_e32 v21, v16
	ds_write2_b64 v18, v[21:22], v[4:5] offset1:8
	s_waitcnt lgkmcnt(0)
	; wave barrier
	s_and_saveexec_b64 s[2:3], s[0:1]
	s_cbranch_execz .LBB6_19
; %bb.18:
	ds_read_b64 v[4:5], v20
	v_mov_b32_e32 v18, 0
	ds_read_b64 v[18:19], v18 offset:8
	s_waitcnt lgkmcnt(1)
	v_fma_f64 v[4:5], v[16:17], v[4:5], 0
	s_waitcnt lgkmcnt(0)
	v_mul_f64 v[4:5], v[4:5], v[18:19]
.LBB6_19:
	s_or_b64 exec, exec, s[2:3]
	v_cmp_gt_u32_e32 vcc, 2, v0
	; wave barrier
	ds_write_b64 v20, v[6:7]
	s_waitcnt lgkmcnt(0)
	; wave barrier
	s_and_saveexec_b64 s[20:21], vcc
	s_cbranch_execz .LBB6_21
; %bb.20:
	v_cmp_eq_u32_e32 vcc, 1, v0
	v_cndmask_b32_e32 v16, v3, v5, vcc
	v_cmp_eq_u32_e64 s[2:3], 2, v0
	v_cndmask_b32_e64 v7, v16, v7, s[2:3]
	v_cndmask_b32_e32 v16, v2, v4, vcc
	v_cmp_eq_u32_e64 s[4:5], 3, v0
	v_cndmask_b32_e64 v6, v16, v6, s[2:3]
	ds_read_b64 v[16:17], v20
	v_cndmask_b32_e64 v7, v7, v9, s[4:5]
	v_cmp_eq_u32_e64 s[8:9], 4, v0
	v_cndmask_b32_e64 v6, v6, v8, s[4:5]
	v_cndmask_b32_e64 v7, v7, v11, s[8:9]
	v_cmp_eq_u32_e64 s[10:11], 5, v0
	v_cndmask_b32_e64 v6, v6, v10, s[8:9]
	;; [unrolled: 3-line block ×3, first 2 shown]
	v_cndmask_b32_e64 v7, v7, v15, s[12:13]
	v_cndmask_b32_e64 v6, v6, v14, s[12:13]
	s_waitcnt lgkmcnt(0)
	v_fma_f64 v[6:7], v[6:7], v[16:17], 0
	v_mov_b32_e32 v16, 0
	ds_read2_b64 v[16:19], v16 offset0:2 offset1:9
	s_waitcnt lgkmcnt(0)
	v_fma_f64 v[18:19], v[4:5], v[18:19], v[6:7]
	v_cndmask_b32_e64 v7, v7, v19, s[0:1]
	v_cndmask_b32_e64 v6, v6, v18, s[0:1]
	v_mul_f64 v[6:7], v[6:7], v[16:17]
.LBB6_21:
	s_or_b64 exec, exec, s[20:21]
	v_cmp_gt_u32_e32 vcc, 3, v0
	; wave barrier
	ds_write_b64 v20, v[8:9]
	s_waitcnt lgkmcnt(0)
	; wave barrier
	s_and_saveexec_b64 s[2:3], vcc
	s_cbranch_execz .LBB6_25
; %bb.22:
	v_mov_b32_e32 v16, 0
	v_mov_b32_e32 v19, v1
	v_lshl_add_u32 v21, v0, 3, 64
	v_mov_b32_e32 v17, 0
	s_mov_b64 s[4:5], 0
	v_mov_b32_e32 v18, v0
.LBB6_23:                               ; =>This Inner Loop Header: Depth=1
	v_cmp_eq_u32_e32 vcc, 1, v18
	v_cndmask_b32_e32 v24, v3, v5, vcc
	v_cmp_eq_u32_e64 s[0:1], 2, v18
	v_cndmask_b32_e64 v24, v24, v7, s[0:1]
	v_cndmask_b32_e32 v25, v2, v4, vcc
	v_cmp_eq_u32_e32 vcc, 3, v18
	ds_read_b64 v[22:23], v21
	v_cndmask_b32_e32 v24, v24, v9, vcc
	v_cndmask_b32_e64 v25, v25, v6, s[0:1]
	v_cmp_eq_u32_e64 s[0:1], 4, v18
	v_cndmask_b32_e64 v24, v24, v11, s[0:1]
	v_cndmask_b32_e32 v25, v25, v8, vcc
	v_cmp_eq_u32_e32 vcc, 5, v18
	v_cndmask_b32_e32 v24, v24, v13, vcc
	v_cndmask_b32_e64 v26, v25, v10, s[0:1]
	v_cmp_eq_u32_e64 s[0:1], 6, v18
	v_cndmask_b32_e64 v25, v24, v15, s[0:1]
	v_cndmask_b32_e32 v24, v26, v12, vcc
	v_cndmask_b32_e64 v24, v24, v14, s[0:1]
	s_waitcnt lgkmcnt(0)
	v_fma_f64 v[16:17], v[24:25], v[22:23], v[16:17]
	v_add_co_u32_e32 v18, vcc, 1, v18
	v_addc_co_u32_e32 v19, vcc, 0, v19, vcc
	v_add_u32_e32 v22, -1, v18
	v_cmp_lt_u32_e32 vcc, 1, v22
	s_or_b64 s[4:5], vcc, s[4:5]
	v_add_u32_e32 v21, 8, v21
	s_andn2_b64 exec, exec, s[4:5]
	s_cbranch_execnz .LBB6_23
; %bb.24:
	s_or_b64 exec, exec, s[4:5]
	v_mov_b32_e32 v8, 0
	ds_read_b64 v[8:9], v8 offset:24
	s_waitcnt lgkmcnt(0)
	v_mul_f64 v[8:9], v[16:17], v[8:9]
.LBB6_25:
	s_or_b64 exec, exec, s[2:3]
	v_cmp_gt_u32_e32 vcc, 4, v0
	; wave barrier
	ds_write_b64 v20, v[10:11]
	s_waitcnt lgkmcnt(0)
	; wave barrier
	s_and_saveexec_b64 s[2:3], vcc
	s_cbranch_execz .LBB6_29
; %bb.26:
	v_mov_b32_e32 v16, 0
	v_mov_b32_e32 v19, v1
	v_lshl_add_u32 v21, v0, 3, 64
	v_mov_b32_e32 v17, 0
	s_mov_b64 s[4:5], 0
	v_mov_b32_e32 v18, v0
.LBB6_27:                               ; =>This Inner Loop Header: Depth=1
	v_cmp_eq_u32_e32 vcc, 1, v18
	v_cndmask_b32_e32 v24, v3, v5, vcc
	v_cmp_eq_u32_e64 s[0:1], 2, v18
	v_cndmask_b32_e64 v24, v24, v7, s[0:1]
	v_cndmask_b32_e32 v25, v2, v4, vcc
	v_cmp_eq_u32_e32 vcc, 3, v18
	ds_read_b64 v[22:23], v21
	v_cndmask_b32_e32 v24, v24, v9, vcc
	v_cndmask_b32_e64 v25, v25, v6, s[0:1]
	v_cmp_eq_u32_e64 s[0:1], 4, v18
	v_cndmask_b32_e64 v24, v24, v11, s[0:1]
	v_cndmask_b32_e32 v25, v25, v8, vcc
	v_cmp_eq_u32_e32 vcc, 5, v18
	v_cndmask_b32_e32 v24, v24, v13, vcc
	v_cndmask_b32_e64 v26, v25, v10, s[0:1]
	v_cmp_eq_u32_e64 s[0:1], 6, v18
	v_cndmask_b32_e64 v25, v24, v15, s[0:1]
	v_cndmask_b32_e32 v24, v26, v12, vcc
	v_cndmask_b32_e64 v24, v24, v14, s[0:1]
	s_waitcnt lgkmcnt(0)
	v_fma_f64 v[16:17], v[24:25], v[22:23], v[16:17]
	v_add_co_u32_e32 v18, vcc, 1, v18
	v_addc_co_u32_e32 v19, vcc, 0, v19, vcc
	v_add_u32_e32 v22, -1, v18
	v_cmp_lt_u32_e32 vcc, 2, v22
	s_or_b64 s[4:5], vcc, s[4:5]
	v_add_u32_e32 v21, 8, v21
	s_andn2_b64 exec, exec, s[4:5]
	s_cbranch_execnz .LBB6_27
; %bb.28:
	s_or_b64 exec, exec, s[4:5]
	v_mov_b32_e32 v10, 0
	ds_read_b64 v[10:11], v10 offset:32
	s_waitcnt lgkmcnt(0)
	v_mul_f64 v[10:11], v[16:17], v[10:11]
.LBB6_29:
	;; [unrolled: 52-line block ×3, first 2 shown]
	s_or_b64 exec, exec, s[2:3]
	v_cmp_ne_u32_e32 vcc, 6, v0
	; wave barrier
	ds_write_b64 v20, v[14:15]
	s_waitcnt lgkmcnt(0)
	; wave barrier
	s_and_saveexec_b64 s[2:3], vcc
	s_cbranch_execz .LBB6_37
; %bb.34:
	v_mov_b32_e32 v16, 0
	v_mov_b32_e32 v19, v1
	v_lshl_add_u32 v20, v0, 3, 64
	v_mov_b32_e32 v17, 0
	s_mov_b64 s[4:5], 0
	v_mov_b32_e32 v18, v0
.LBB6_35:                               ; =>This Inner Loop Header: Depth=1
	v_cmp_eq_u32_e32 vcc, 1, v18
	v_cndmask_b32_e32 v1, v3, v5, vcc
	v_cmp_eq_u32_e64 s[0:1], 2, v18
	v_cndmask_b32_e64 v1, v1, v7, s[0:1]
	v_cndmask_b32_e32 v23, v2, v4, vcc
	v_cmp_eq_u32_e32 vcc, 3, v18
	ds_read_b64 v[21:22], v20
	v_cndmask_b32_e32 v1, v1, v9, vcc
	v_cndmask_b32_e64 v23, v23, v6, s[0:1]
	v_cmp_eq_u32_e64 s[0:1], 4, v18
	v_cndmask_b32_e64 v1, v1, v11, s[0:1]
	v_cndmask_b32_e32 v23, v23, v8, vcc
	v_cmp_eq_u32_e32 vcc, 5, v18
	v_cndmask_b32_e32 v1, v1, v13, vcc
	v_cndmask_b32_e64 v23, v23, v10, s[0:1]
	v_cmp_eq_u32_e64 s[0:1], 6, v18
	v_cndmask_b32_e64 v24, v1, v15, s[0:1]
	v_cndmask_b32_e32 v1, v23, v12, vcc
	v_cndmask_b32_e64 v23, v1, v14, s[0:1]
	s_waitcnt lgkmcnt(0)
	v_fma_f64 v[16:17], v[23:24], v[21:22], v[16:17]
	v_add_co_u32_e32 v18, vcc, 1, v18
	v_addc_co_u32_e32 v19, vcc, 0, v19, vcc
	v_add_u32_e32 v1, -1, v18
	v_cmp_lt_u32_e32 vcc, 4, v1
	s_or_b64 s[4:5], vcc, s[4:5]
	v_add_u32_e32 v20, 8, v20
	s_andn2_b64 exec, exec, s[4:5]
	s_cbranch_execnz .LBB6_35
; %bb.36:
	s_or_b64 exec, exec, s[4:5]
	v_mov_b32_e32 v1, 0
	ds_read_b64 v[14:15], v1 offset:48
	s_waitcnt lgkmcnt(0)
	v_mul_f64 v[14:15], v[16:17], v[14:15]
.LBB6_37:
	s_or_b64 exec, exec, s[2:3]
	; wave barrier
	s_cbranch_execnz .LBB6_15
	s_branch .LBB6_16
.LBB6_38:
	v_lshl_add_u32 v1, v0, 3, 64
	v_cmp_eq_u32_e32 vcc, 6, v0
	s_and_saveexec_b64 s[0:1], vcc
	s_cbranch_execz .LBB6_40
; %bb.39:
	v_mov_b32_e32 v26, 0
	v_mov_b32_e32 v16, v2
	;; [unrolled: 1-line block ×14, first 2 shown]
	ds_write_b64 v1, v[12:13]
	v_mov_b32_e32 v2, v16
	v_mov_b32_e32 v3, v17
	;; [unrolled: 1-line block ×16, first 2 shown]
.LBB6_40:
	s_or_b64 exec, exec, s[0:1]
	v_mov_b32_e32 v24, 0
	s_waitcnt lgkmcnt(0)
	; wave barrier
	ds_read_b64 v[18:19], v24 offset:112
	v_cmp_lt_u32_e32 vcc, 4, v0
	s_waitcnt lgkmcnt(0)
	v_fma_f64 v[18:19], v[14:15], v[18:19], 0
	v_add_f64 v[12:13], v[12:13], -v[18:19]
	s_and_saveexec_b64 s[0:1], vcc
	s_cbranch_execz .LBB6_42
; %bb.41:
	v_mov_b32_e32 v16, v2
	v_mov_b32_e32 v17, v3
	;; [unrolled: 1-line block ×13, first 2 shown]
	ds_write_b64 v1, v[10:11]
	v_mov_b32_e32 v2, v16
	v_mov_b32_e32 v3, v17
	;; [unrolled: 1-line block ×16, first 2 shown]
.LBB6_42:
	s_or_b64 exec, exec, s[0:1]
	s_waitcnt lgkmcnt(0)
	; wave barrier
	ds_read2_b64 v[18:21], v24 offset0:13 offset1:14
	v_cmp_lt_u32_e32 vcc, 3, v0
	s_waitcnt lgkmcnt(0)
	v_fma_f64 v[18:19], v[12:13], v[18:19], 0
	v_fma_f64 v[18:19], v[14:15], v[20:21], v[18:19]
	v_add_f64 v[10:11], v[10:11], -v[18:19]
	s_and_saveexec_b64 s[0:1], vcc
	s_cbranch_execz .LBB6_44
; %bb.43:
	v_mov_b32_e32 v22, 0
	v_mov_b32_e32 v16, v2
	;; [unrolled: 1-line block ×14, first 2 shown]
	ds_write_b64 v1, v[8:9]
	v_mov_b32_e32 v2, v16
	v_mov_b32_e32 v3, v17
	;; [unrolled: 1-line block ×16, first 2 shown]
.LBB6_44:
	s_or_b64 exec, exec, s[0:1]
	v_mov_b32_e32 v20, 0
	s_waitcnt lgkmcnt(0)
	; wave barrier
	ds_read_b128 v[21:24], v20 offset:96
	ds_read_b64 v[18:19], v20 offset:112
	v_cmp_lt_u32_e32 vcc, 2, v0
	s_waitcnt lgkmcnt(1)
	v_fma_f64 v[21:22], v[10:11], v[21:22], 0
	v_fma_f64 v[21:22], v[12:13], v[23:24], v[21:22]
	s_waitcnt lgkmcnt(0)
	v_fma_f64 v[18:19], v[14:15], v[18:19], v[21:22]
	v_add_f64 v[8:9], v[8:9], -v[18:19]
	s_and_saveexec_b64 s[0:1], vcc
	s_cbranch_execz .LBB6_46
; %bb.45:
	v_mov_b32_e32 v16, v2
	v_mov_b32_e32 v17, v3
	;; [unrolled: 1-line block ×13, first 2 shown]
	ds_write_b64 v1, v[6:7]
	v_mov_b32_e32 v2, v16
	v_mov_b32_e32 v3, v17
	;; [unrolled: 1-line block ×16, first 2 shown]
.LBB6_46:
	s_or_b64 exec, exec, s[0:1]
	s_waitcnt lgkmcnt(0)
	; wave barrier
	ds_read2_b64 v[21:24], v20 offset0:11 offset1:12
	ds_read2_b64 v[25:28], v20 offset0:13 offset1:14
	v_cmp_lt_u32_e32 vcc, 1, v0
	s_waitcnt lgkmcnt(1)
	v_fma_f64 v[18:19], v[8:9], v[21:22], 0
	v_fma_f64 v[18:19], v[10:11], v[23:24], v[18:19]
	s_waitcnt lgkmcnt(0)
	v_fma_f64 v[18:19], v[12:13], v[25:26], v[18:19]
	v_fma_f64 v[18:19], v[14:15], v[27:28], v[18:19]
	v_add_f64 v[6:7], v[6:7], -v[18:19]
	s_and_saveexec_b64 s[0:1], vcc
	s_cbranch_execz .LBB6_48
; %bb.47:
	v_mov_b32_e32 v18, 0
	v_mov_b32_e32 v16, v2
	;; [unrolled: 1-line block ×14, first 2 shown]
	ds_write_b64 v1, v[4:5]
	v_mov_b32_e32 v2, v16
	v_mov_b32_e32 v3, v17
	;; [unrolled: 1-line block ×16, first 2 shown]
.LBB6_48:
	s_or_b64 exec, exec, s[0:1]
	v_mov_b32_e32 v18, 0
	s_waitcnt lgkmcnt(0)
	; wave barrier
	ds_read_b128 v[19:22], v18 offset:80
	ds_read_b128 v[23:26], v18 offset:96
	v_cmp_ne_u32_e32 vcc, 0, v0
	s_waitcnt lgkmcnt(1)
	v_fma_f64 v[19:20], v[6:7], v[19:20], 0
	v_fma_f64 v[19:20], v[8:9], v[21:22], v[19:20]
	ds_read_b64 v[21:22], v18 offset:112
	s_waitcnt lgkmcnt(1)
	v_fma_f64 v[19:20], v[10:11], v[23:24], v[19:20]
	v_fma_f64 v[19:20], v[12:13], v[25:26], v[19:20]
	s_waitcnt lgkmcnt(0)
	v_fma_f64 v[19:20], v[14:15], v[21:22], v[19:20]
	v_add_f64 v[4:5], v[4:5], -v[19:20]
	s_and_saveexec_b64 s[0:1], vcc
	s_cbranch_execz .LBB6_50
; %bb.49:
	v_mov_b32_e32 v19, v18
	v_mov_b32_e32 v20, v4
	;; [unrolled: 1-line block ×13, first 2 shown]
	ds_write_b64 v1, v[2:3]
	v_mov_b32_e32 v2, v18
	v_mov_b32_e32 v3, v19
	;; [unrolled: 1-line block ×16, first 2 shown]
.LBB6_50:
	s_or_b64 exec, exec, s[0:1]
	s_waitcnt lgkmcnt(0)
	; wave barrier
	ds_read2_b64 v[19:22], v18 offset0:9 offset1:10
	ds_read2_b64 v[23:26], v18 offset0:11 offset1:12
	s_and_b64 vcc, exec, s[18:19]
	s_waitcnt lgkmcnt(1)
	v_fma_f64 v[0:1], v[4:5], v[19:20], 0
	v_fma_f64 v[0:1], v[6:7], v[21:22], v[0:1]
	ds_read2_b64 v[18:21], v18 offset0:13 offset1:14
	s_waitcnt lgkmcnt(1)
	v_fma_f64 v[0:1], v[8:9], v[23:24], v[0:1]
	v_fma_f64 v[0:1], v[10:11], v[25:26], v[0:1]
	s_waitcnt lgkmcnt(0)
	v_fma_f64 v[0:1], v[12:13], v[18:19], v[0:1]
	v_fma_f64 v[0:1], v[14:15], v[20:21], v[0:1]
	v_add_f64 v[2:3], v[2:3], -v[0:1]
	s_cbranch_vccz .LBB6_63
; %bb.51:
	v_mov_b32_e32 v0, 0
	global_load_dword v1, v0, s[16:17] offset:20
	s_waitcnt vmcnt(0)
	v_readfirstlane_b32 s0, v1
	s_add_i32 s0, s0, -1
	s_cmp_lg_u32 s0, 5
	s_cbranch_scc0 .LBB6_53
; %bb.52:
	s_lshl_b32 s0, s0, 1
	s_set_gpr_idx_on s0, gpr_idx(SRC0)
	v_mov_b32_e32 v1, v3
	v_mov_b32_e32 v30, v2
	s_set_gpr_idx_off
	v_mov_b32_e32 v29, v17
	v_mov_b32_e32 v25, v13
	;; [unrolled: 1-line block ×18, first 2 shown]
	s_set_gpr_idx_on s0, gpr_idx(DST)
	v_mov_b32_e32 v14, v12
	v_mov_b32_e32 v15, v13
	s_set_gpr_idx_off
	v_mov_b32_e32 v2, v14
	v_mov_b32_e32 v3, v15
	;; [unrolled: 1-line block ×16, first 2 shown]
.LBB6_53:
	global_load_dword v0, v0, s[16:17] offset:16
	s_waitcnt vmcnt(0)
	v_readfirstlane_b32 s0, v0
	s_add_i32 s0, s0, -1
	s_cmp_eq_u32 s0, 4
	s_cbranch_scc1 .LBB6_55
; %bb.54:
	s_lshl_b32 s0, s0, 1
	s_set_gpr_idx_on s0, gpr_idx(SRC0)
	v_mov_b32_e32 v0, v3
	v_mov_b32_e32 v1, v2
	s_set_gpr_idx_off
	v_mov_b32_e32 v27, v17
	v_mov_b32_e32 v21, v11
	;; [unrolled: 1-line block ×18, first 2 shown]
	s_set_gpr_idx_on s0, gpr_idx(DST)
	v_mov_b32_e32 v12, v10
	v_mov_b32_e32 v13, v11
	s_set_gpr_idx_off
	v_mov_b32_e32 v2, v12
	v_mov_b32_e32 v3, v13
	;; [unrolled: 1-line block ×16, first 2 shown]
.LBB6_55:
	v_mov_b32_e32 v0, 0
	global_load_dword v1, v0, s[16:17] offset:12
	s_waitcnt vmcnt(0)
	v_readfirstlane_b32 s0, v1
	s_add_i32 s0, s0, -1
	s_cmp_eq_u32 s0, 3
	s_cbranch_scc1 .LBB6_57
; %bb.56:
	s_lshl_b32 s0, s0, 1
	s_set_gpr_idx_on s0, gpr_idx(SRC0)
	v_mov_b32_e32 v1, v3
	v_mov_b32_e32 v26, v2
	s_set_gpr_idx_off
	v_mov_b32_e32 v25, v17
	v_mov_b32_e32 v24, v16
	;; [unrolled: 1-line block ×18, first 2 shown]
	s_set_gpr_idx_on s0, gpr_idx(DST)
	v_mov_b32_e32 v10, v8
	v_mov_b32_e32 v11, v9
	s_set_gpr_idx_off
	v_mov_b32_e32 v2, v10
	v_mov_b32_e32 v3, v11
	;; [unrolled: 1-line block ×16, first 2 shown]
.LBB6_57:
	global_load_dword v0, v0, s[16:17] offset:8
	s_waitcnt vmcnt(0)
	v_readfirstlane_b32 s0, v0
	s_add_i32 s0, s0, -1
	s_cmp_eq_u32 s0, 2
	s_cbranch_scc1 .LBB6_59
; %bb.58:
	s_lshl_b32 s0, s0, 1
	s_set_gpr_idx_on s0, gpr_idx(SRC0)
	v_mov_b32_e32 v0, v3
	v_mov_b32_e32 v1, v2
	s_set_gpr_idx_off
	v_mov_b32_e32 v23, v17
	v_mov_b32_e32 v22, v16
	;; [unrolled: 1-line block ×18, first 2 shown]
	s_set_gpr_idx_on s0, gpr_idx(DST)
	v_mov_b32_e32 v8, v6
	v_mov_b32_e32 v9, v7
	s_set_gpr_idx_off
	v_mov_b32_e32 v2, v8
	v_mov_b32_e32 v3, v9
	;; [unrolled: 1-line block ×16, first 2 shown]
.LBB6_59:
	v_mov_b32_e32 v0, 0
	global_load_dword v1, v0, s[16:17] offset:4
	s_waitcnt vmcnt(0)
	v_readfirstlane_b32 s0, v1
	s_add_i32 s0, s0, -1
	s_cmp_eq_u32 s0, 1
	s_cbranch_scc1 .LBB6_61
; %bb.60:
	s_lshl_b32 s0, s0, 1
	s_set_gpr_idx_on s0, gpr_idx(SRC0)
	v_mov_b32_e32 v1, v3
	v_mov_b32_e32 v22, v2
	s_set_gpr_idx_off
	v_mov_b32_e32 v21, v17
	v_mov_b32_e32 v20, v16
	;; [unrolled: 1-line block ×18, first 2 shown]
	s_set_gpr_idx_on s0, gpr_idx(DST)
	v_mov_b32_e32 v6, v4
	v_mov_b32_e32 v7, v5
	s_set_gpr_idx_off
	v_mov_b32_e32 v2, v6
	v_mov_b32_e32 v3, v7
	;; [unrolled: 1-line block ×16, first 2 shown]
.LBB6_61:
	global_load_dword v0, v0, s[16:17]
	s_waitcnt vmcnt(0)
	v_readfirstlane_b32 s0, v0
	s_add_i32 s0, s0, -1
	s_cmp_eq_u32 s0, 0
	s_cbranch_scc1 .LBB6_63
; %bb.62:
	s_lshl_b32 s0, s0, 1
	s_set_gpr_idx_on s0, gpr_idx(SRC0)
	v_mov_b32_e32 v0, v3
	v_mov_b32_e32 v1, v2
	s_set_gpr_idx_off
	v_mov_b32_e32 v19, v17
	v_mov_b32_e32 v18, v16
	v_mov_b32_e32 v17, v15
	v_mov_b32_e32 v16, v14
	v_mov_b32_e32 v15, v13
	v_mov_b32_e32 v14, v12
	v_mov_b32_e32 v13, v11
	v_mov_b32_e32 v12, v10
	v_mov_b32_e32 v11, v9
	v_mov_b32_e32 v10, v8
	v_mov_b32_e32 v9, v7
	v_mov_b32_e32 v8, v6
	v_mov_b32_e32 v7, v5
	v_mov_b32_e32 v6, v4
	v_mov_b32_e32 v5, v3
	v_mov_b32_e32 v4, v2
	v_mov_b32_e32 v4, v1
	v_mov_b32_e32 v5, v0
	s_set_gpr_idx_on s0, gpr_idx(DST)
	v_mov_b32_e32 v4, v2
	v_mov_b32_e32 v5, v3
	s_set_gpr_idx_off
	v_mov_b32_e32 v2, v4
	v_mov_b32_e32 v3, v5
	;; [unrolled: 1-line block ×16, first 2 shown]
.LBB6_63:
	global_store_dwordx2 v[32:33], v[2:3], off
	global_store_dwordx2 v[34:35], v[4:5], off
	;; [unrolled: 1-line block ×7, first 2 shown]
	s_endpgm
	.section	.rodata,"a",@progbits
	.p2align	6, 0x0
	.amdhsa_kernel _ZN9rocsolver6v33100L18getri_kernel_smallILi7EdPdEEvT1_iilPiilS4_bb
		.amdhsa_group_segment_fixed_size 120
		.amdhsa_private_segment_fixed_size 0
		.amdhsa_kernarg_size 60
		.amdhsa_user_sgpr_count 6
		.amdhsa_user_sgpr_private_segment_buffer 1
		.amdhsa_user_sgpr_dispatch_ptr 0
		.amdhsa_user_sgpr_queue_ptr 0
		.amdhsa_user_sgpr_kernarg_segment_ptr 1
		.amdhsa_user_sgpr_dispatch_id 0
		.amdhsa_user_sgpr_flat_scratch_init 0
		.amdhsa_user_sgpr_private_segment_size 0
		.amdhsa_uses_dynamic_stack 0
		.amdhsa_system_sgpr_private_segment_wavefront_offset 0
		.amdhsa_system_sgpr_workgroup_id_x 1
		.amdhsa_system_sgpr_workgroup_id_y 0
		.amdhsa_system_sgpr_workgroup_id_z 0
		.amdhsa_system_sgpr_workgroup_info 0
		.amdhsa_system_vgpr_workitem_id 0
		.amdhsa_next_free_vgpr 46
		.amdhsa_next_free_sgpr 22
		.amdhsa_reserve_vcc 1
		.amdhsa_reserve_flat_scratch 0
		.amdhsa_float_round_mode_32 0
		.amdhsa_float_round_mode_16_64 0
		.amdhsa_float_denorm_mode_32 3
		.amdhsa_float_denorm_mode_16_64 3
		.amdhsa_dx10_clamp 1
		.amdhsa_ieee_mode 1
		.amdhsa_fp16_overflow 0
		.amdhsa_exception_fp_ieee_invalid_op 0
		.amdhsa_exception_fp_denorm_src 0
		.amdhsa_exception_fp_ieee_div_zero 0
		.amdhsa_exception_fp_ieee_overflow 0
		.amdhsa_exception_fp_ieee_underflow 0
		.amdhsa_exception_fp_ieee_inexact 0
		.amdhsa_exception_int_div_zero 0
	.end_amdhsa_kernel
	.section	.text._ZN9rocsolver6v33100L18getri_kernel_smallILi7EdPdEEvT1_iilPiilS4_bb,"axG",@progbits,_ZN9rocsolver6v33100L18getri_kernel_smallILi7EdPdEEvT1_iilPiilS4_bb,comdat
.Lfunc_end6:
	.size	_ZN9rocsolver6v33100L18getri_kernel_smallILi7EdPdEEvT1_iilPiilS4_bb, .Lfunc_end6-_ZN9rocsolver6v33100L18getri_kernel_smallILi7EdPdEEvT1_iilPiilS4_bb
                                        ; -- End function
	.set _ZN9rocsolver6v33100L18getri_kernel_smallILi7EdPdEEvT1_iilPiilS4_bb.num_vgpr, 46
	.set _ZN9rocsolver6v33100L18getri_kernel_smallILi7EdPdEEvT1_iilPiilS4_bb.num_agpr, 0
	.set _ZN9rocsolver6v33100L18getri_kernel_smallILi7EdPdEEvT1_iilPiilS4_bb.numbered_sgpr, 22
	.set _ZN9rocsolver6v33100L18getri_kernel_smallILi7EdPdEEvT1_iilPiilS4_bb.num_named_barrier, 0
	.set _ZN9rocsolver6v33100L18getri_kernel_smallILi7EdPdEEvT1_iilPiilS4_bb.private_seg_size, 0
	.set _ZN9rocsolver6v33100L18getri_kernel_smallILi7EdPdEEvT1_iilPiilS4_bb.uses_vcc, 1
	.set _ZN9rocsolver6v33100L18getri_kernel_smallILi7EdPdEEvT1_iilPiilS4_bb.uses_flat_scratch, 0
	.set _ZN9rocsolver6v33100L18getri_kernel_smallILi7EdPdEEvT1_iilPiilS4_bb.has_dyn_sized_stack, 0
	.set _ZN9rocsolver6v33100L18getri_kernel_smallILi7EdPdEEvT1_iilPiilS4_bb.has_recursion, 0
	.set _ZN9rocsolver6v33100L18getri_kernel_smallILi7EdPdEEvT1_iilPiilS4_bb.has_indirect_call, 0
	.section	.AMDGPU.csdata,"",@progbits
; Kernel info:
; codeLenInByte = 4868
; TotalNumSgprs: 26
; NumVgprs: 46
; ScratchSize: 0
; MemoryBound: 0
; FloatMode: 240
; IeeeMode: 1
; LDSByteSize: 120 bytes/workgroup (compile time only)
; SGPRBlocks: 3
; VGPRBlocks: 11
; NumSGPRsForWavesPerEU: 26
; NumVGPRsForWavesPerEU: 46
; Occupancy: 5
; WaveLimiterHint : 0
; COMPUTE_PGM_RSRC2:SCRATCH_EN: 0
; COMPUTE_PGM_RSRC2:USER_SGPR: 6
; COMPUTE_PGM_RSRC2:TRAP_HANDLER: 0
; COMPUTE_PGM_RSRC2:TGID_X_EN: 1
; COMPUTE_PGM_RSRC2:TGID_Y_EN: 0
; COMPUTE_PGM_RSRC2:TGID_Z_EN: 0
; COMPUTE_PGM_RSRC2:TIDIG_COMP_CNT: 0
	.section	.text._ZN9rocsolver6v33100L18getri_kernel_smallILi8EdPdEEvT1_iilPiilS4_bb,"axG",@progbits,_ZN9rocsolver6v33100L18getri_kernel_smallILi8EdPdEEvT1_iilPiilS4_bb,comdat
	.globl	_ZN9rocsolver6v33100L18getri_kernel_smallILi8EdPdEEvT1_iilPiilS4_bb ; -- Begin function _ZN9rocsolver6v33100L18getri_kernel_smallILi8EdPdEEvT1_iilPiilS4_bb
	.p2align	8
	.type	_ZN9rocsolver6v33100L18getri_kernel_smallILi8EdPdEEvT1_iilPiilS4_bb,@function
_ZN9rocsolver6v33100L18getri_kernel_smallILi8EdPdEEvT1_iilPiilS4_bb: ; @_ZN9rocsolver6v33100L18getri_kernel_smallILi8EdPdEEvT1_iilPiilS4_bb
; %bb.0:
	v_cmp_gt_u32_e32 vcc, 8, v0
	s_and_saveexec_b64 s[0:1], vcc
	s_cbranch_execz .LBB7_16
; %bb.1:
	s_load_dword s0, s[4:5], 0x38
	s_load_dwordx4 s[8:11], s[4:5], 0x10
	s_load_dwordx4 s[16:19], s[4:5], 0x28
                                        ; implicit-def: $sgpr20_sgpr21
	s_waitcnt lgkmcnt(0)
	s_bitcmp1_b32 s0, 8
	s_cselect_b64 s[22:23], -1, 0
	s_ashr_i32 s7, s6, 31
	s_bfe_u32 s0, s0, 0x10008
	s_cmp_eq_u32 s0, 0
	s_cbranch_scc1 .LBB7_3
; %bb.2:
	s_load_dword s0, s[4:5], 0x20
	s_mul_i32 s1, s16, s7
	s_mul_hi_u32 s2, s16, s6
	s_mul_i32 s3, s17, s6
	s_add_i32 s2, s2, s1
	s_add_i32 s3, s2, s3
	s_mul_i32 s2, s16, s6
	s_waitcnt lgkmcnt(0)
	s_ashr_i32 s1, s0, 31
	s_lshl_b64 s[2:3], s[2:3], 2
	s_add_u32 s2, s10, s2
	s_addc_u32 s3, s11, s3
	s_lshl_b64 s[0:1], s[0:1], 2
	s_add_u32 s20, s2, s0
	s_addc_u32 s21, s3, s1
.LBB7_3:
	s_load_dwordx4 s[0:3], s[4:5], 0x0
	s_load_dword s10, s[4:5], 0x38
	s_mul_i32 s11, s8, s7
	s_mul_hi_u32 s12, s8, s6
	s_mul_i32 s9, s9, s6
	s_waitcnt lgkmcnt(0)
	s_ashr_i32 s5, s2, 31
	s_mov_b32 s4, s2
	s_add_i32 s2, s12, s11
	s_add_i32 s9, s2, s9
	s_mul_i32 s8, s8, s6
	s_lshl_b64 s[8:9], s[8:9], 3
	s_add_u32 s2, s0, s8
	s_addc_u32 s8, s1, s9
	s_lshl_b64 s[0:1], s[4:5], 3
	s_add_u32 s0, s2, s0
	s_addc_u32 s1, s8, s1
	v_lshlrev_b32_e32 v20, 3, v0
	v_mov_b32_e32 v1, s1
	v_add_co_u32_e32 v32, vcc, s0, v20
	s_add_i32 s2, s3, s3
	v_addc_co_u32_e32 v33, vcc, 0, v1, vcc
	v_add_u32_e32 v1, s2, v0
	v_ashrrev_i32_e32 v2, 31, v1
	v_lshlrev_b64 v[2:3], 3, v[1:2]
	v_add_u32_e32 v1, s3, v1
	v_mov_b32_e32 v4, s1
	v_add_co_u32_e32 v34, vcc, s0, v2
	v_ashrrev_i32_e32 v2, 31, v1
	v_addc_co_u32_e32 v35, vcc, v4, v3, vcc
	v_lshlrev_b64 v[2:3], 3, v[1:2]
	v_add_u32_e32 v1, s3, v1
	v_add_co_u32_e32 v36, vcc, s0, v2
	v_ashrrev_i32_e32 v2, 31, v1
	v_addc_co_u32_e32 v37, vcc, v4, v3, vcc
	v_lshlrev_b64 v[2:3], 3, v[1:2]
	v_add_u32_e32 v1, s3, v1
	;; [unrolled: 5-line block ×4, first 2 shown]
	v_add_co_u32_e32 v42, vcc, s0, v2
	v_ashrrev_i32_e32 v2, 31, v1
	v_lshlrev_b64 v[1:2], 3, v[1:2]
	v_addc_co_u32_e32 v43, vcc, v4, v3, vcc
	s_ashr_i32 s5, s3, 31
	s_mov_b32 s4, s3
	v_mov_b32_e32 v3, s1
	v_add_co_u32_e32 v44, vcc, s0, v1
	s_lshl_b64 s[4:5], s[4:5], 3
	v_addc_co_u32_e32 v45, vcc, v3, v2, vcc
	v_mov_b32_e32 v1, s5
	v_add_co_u32_e32 v46, vcc, s4, v32
	v_addc_co_u32_e32 v47, vcc, v33, v1, vcc
	global_load_dwordx2 v[2:3], v20, s[0:1]
	global_load_dwordx2 v[4:5], v[46:47], off
	global_load_dwordx2 v[6:7], v[34:35], off
	;; [unrolled: 1-line block ×7, first 2 shown]
	v_mov_b32_e32 v1, 0
	s_bitcmp0_b32 s10, 0
	s_mov_b64 s[0:1], -1
	s_cbranch_scc1 .LBB7_14
; %bb.4:
	v_cmp_eq_u32_e64 s[0:1], 0, v0
	s_and_saveexec_b64 s[2:3], s[0:1]
; %bb.5:
	v_mov_b32_e32 v18, 0
	ds_write_b32 v18, v18 offset:128
; %bb.6:
	s_or_b64 exec, exec, s[2:3]
	v_cmp_eq_u32_e32 vcc, 1, v0
	s_waitcnt vmcnt(6)
	v_cndmask_b32_e32 v18, v3, v5, vcc
	v_cmp_eq_u32_e64 s[2:3], 2, v0
	s_waitcnt vmcnt(5)
	v_cndmask_b32_e64 v18, v18, v7, s[2:3]
	v_cmp_eq_u32_e64 s[4:5], 3, v0
	s_waitcnt vmcnt(4)
	v_cndmask_b32_e64 v18, v18, v9, s[4:5]
	;; [unrolled: 3-line block ×6, first 2 shown]
	v_cndmask_b32_e32 v18, v2, v4, vcc
	v_cndmask_b32_e64 v18, v18, v6, s[2:3]
	v_cndmask_b32_e64 v18, v18, v8, s[4:5]
	;; [unrolled: 1-line block ×6, first 2 shown]
	v_cmp_eq_f64_e32 vcc, 0, v[18:19]
	s_waitcnt lgkmcnt(0)
	; wave barrier
	s_and_saveexec_b64 s[4:5], vcc
	s_cbranch_execz .LBB7_10
; %bb.7:
	v_mov_b32_e32 v21, 0
	ds_read_b32 v23, v21 offset:128
	v_add_u32_e32 v22, 1, v0
	s_waitcnt lgkmcnt(0)
	v_readfirstlane_b32 s2, v23
	s_cmp_eq_u32 s2, 0
	s_cselect_b64 s[8:9], -1, 0
	v_cmp_gt_i32_e32 vcc, s2, v22
	s_or_b64 s[8:9], s[8:9], vcc
	s_and_b64 exec, exec, s[8:9]
	s_cbranch_execz .LBB7_10
; %bb.8:
	s_mov_b64 s[8:9], 0
	v_mov_b32_e32 v23, s2
.LBB7_9:                                ; =>This Inner Loop Header: Depth=1
	ds_cmpst_rtn_b32 v23, v21, v23, v22 offset:128
	s_waitcnt lgkmcnt(0)
	v_cmp_ne_u32_e32 vcc, 0, v23
	v_cmp_le_i32_e64 s[2:3], v23, v22
	s_and_b64 s[2:3], vcc, s[2:3]
	s_and_b64 s[2:3], exec, s[2:3]
	s_or_b64 s[8:9], s[2:3], s[8:9]
	s_andn2_b64 exec, exec, s[8:9]
	s_cbranch_execnz .LBB7_9
.LBB7_10:
	s_or_b64 exec, exec, s[4:5]
	v_mov_b32_e32 v22, 0
	; wave barrier
	ds_read_b32 v21, v22 offset:128
	s_and_saveexec_b64 s[2:3], s[0:1]
	s_cbranch_execz .LBB7_12
; %bb.11:
	s_lshl_b64 s[4:5], s[6:7], 2
	s_add_u32 s4, s18, s4
	s_addc_u32 s5, s19, s5
	s_waitcnt lgkmcnt(0)
	global_store_dword v22, v21, s[4:5]
.LBB7_12:
	s_or_b64 exec, exec, s[2:3]
	s_waitcnt lgkmcnt(0)
	v_cmp_ne_u32_e32 vcc, 0, v21
	s_cbranch_vccz .LBB7_17
; %bb.13:
	s_mov_b64 s[0:1], 0
                                        ; implicit-def: $vgpr2_vgpr3_vgpr4_vgpr5_vgpr6_vgpr7_vgpr8_vgpr9_vgpr10_vgpr11_vgpr12_vgpr13_vgpr14_vgpr15_vgpr16_vgpr17
.LBB7_14:
	s_and_b64 vcc, exec, s[0:1]
	s_cbranch_vccz .LBB7_16
.LBB7_15:
	s_lshl_b64 s[0:1], s[6:7], 2
	s_add_u32 s0, s18, s0
	s_addc_u32 s1, s19, s1
	v_mov_b32_e32 v1, 0
	global_load_dword v1, v1, s[0:1]
	s_waitcnt vmcnt(0)
	v_cmp_ne_u32_e32 vcc, 0, v1
	s_cbranch_vccz .LBB7_42
.LBB7_16:
	s_endpgm
.LBB7_17:
	v_div_scale_f64 v[21:22], s[2:3], v[18:19], v[18:19], 1.0
	v_rcp_f64_e32 v[23:24], v[21:22]
	v_fma_f64 v[25:26], -v[21:22], v[23:24], 1.0
	v_fma_f64 v[23:24], v[23:24], v[25:26], v[23:24]
	v_div_scale_f64 v[25:26], vcc, 1.0, v[18:19], 1.0
	v_fma_f64 v[27:28], -v[21:22], v[23:24], 1.0
	v_fma_f64 v[23:24], v[23:24], v[27:28], v[23:24]
	v_mul_f64 v[27:28], v[25:26], v[23:24]
	v_fma_f64 v[21:22], -v[21:22], v[27:28], v[25:26]
	v_div_fmas_f64 v[21:22], v[21:22], v[23:24], v[27:28]
	v_cmp_eq_u32_e32 vcc, 7, v0
	v_div_fixup_f64 v[18:19], v[21:22], v[18:19], 1.0
	v_add_u32_e32 v22, 64, v20
	v_cndmask_b32_e32 v17, v17, v19, vcc
	v_cndmask_b32_e32 v16, v16, v18, vcc
	v_cmp_eq_u32_e32 vcc, 6, v0
	v_cndmask_b32_e32 v15, v15, v19, vcc
	v_cndmask_b32_e32 v14, v14, v18, vcc
	v_cmp_eq_u32_e32 vcc, 5, v0
	;; [unrolled: 3-line block ×7, first 2 shown]
	v_cndmask_b32_e32 v3, v3, v19, vcc
	v_cndmask_b32_e32 v2, v2, v18, vcc
	v_xor_b32_e32 v24, 0x80000000, v19
	v_mov_b32_e32 v23, v18
	ds_write2_b64 v20, v[23:24], v[4:5] offset1:8
	s_waitcnt lgkmcnt(0)
	; wave barrier
	s_and_saveexec_b64 s[2:3], s[0:1]
	s_cbranch_execz .LBB7_19
; %bb.18:
	ds_read_b64 v[4:5], v22
	v_mov_b32_e32 v20, 0
	ds_read_b64 v[20:21], v20 offset:8
	s_waitcnt lgkmcnt(1)
	v_fma_f64 v[4:5], v[18:19], v[4:5], 0
	s_waitcnt lgkmcnt(0)
	v_mul_f64 v[4:5], v[4:5], v[20:21]
.LBB7_19:
	s_or_b64 exec, exec, s[2:3]
	v_cmp_gt_u32_e32 vcc, 2, v0
	; wave barrier
	ds_write_b64 v22, v[6:7]
	s_waitcnt lgkmcnt(0)
	; wave barrier
	s_and_saveexec_b64 s[16:17], vcc
	s_cbranch_execz .LBB7_21
; %bb.20:
	v_cmp_eq_u32_e32 vcc, 1, v0
	v_cndmask_b32_e32 v18, v3, v5, vcc
	v_cmp_eq_u32_e64 s[2:3], 2, v0
	v_cndmask_b32_e64 v7, v18, v7, s[2:3]
	v_cndmask_b32_e32 v18, v2, v4, vcc
	v_cmp_eq_u32_e64 s[4:5], 3, v0
	v_cndmask_b32_e64 v6, v18, v6, s[2:3]
	v_cndmask_b32_e64 v7, v7, v9, s[4:5]
	v_cmp_eq_u32_e64 s[8:9], 4, v0
	v_cndmask_b32_e64 v6, v6, v8, s[4:5]
	ds_read_b64 v[18:19], v22
	v_cndmask_b32_e64 v7, v7, v11, s[8:9]
	v_cmp_eq_u32_e64 s[10:11], 5, v0
	v_cndmask_b32_e64 v6, v6, v10, s[8:9]
	v_cndmask_b32_e64 v7, v7, v13, s[10:11]
	v_cmp_eq_u32_e64 s[12:13], 6, v0
	v_cndmask_b32_e64 v6, v6, v12, s[10:11]
	;; [unrolled: 3-line block ×3, first 2 shown]
	v_cndmask_b32_e64 v7, v7, v17, s[14:15]
	v_cndmask_b32_e64 v6, v6, v16, s[14:15]
	s_waitcnt lgkmcnt(0)
	v_fma_f64 v[6:7], v[6:7], v[18:19], 0
	v_mov_b32_e32 v18, 0
	ds_read2_b64 v[18:21], v18 offset0:2 offset1:9
	s_waitcnt lgkmcnt(0)
	v_fma_f64 v[20:21], v[4:5], v[20:21], v[6:7]
	v_cndmask_b32_e64 v7, v7, v21, s[0:1]
	v_cndmask_b32_e64 v6, v6, v20, s[0:1]
	v_mul_f64 v[6:7], v[6:7], v[18:19]
.LBB7_21:
	s_or_b64 exec, exec, s[16:17]
	v_cmp_gt_u32_e32 vcc, 3, v0
	; wave barrier
	ds_write_b64 v22, v[8:9]
	s_waitcnt lgkmcnt(0)
	; wave barrier
	s_and_saveexec_b64 s[2:3], vcc
	s_cbranch_execz .LBB7_25
; %bb.22:
	v_mov_b32_e32 v18, 0
	v_mov_b32_e32 v21, v1
	v_lshl_add_u32 v23, v0, 3, 64
	v_mov_b32_e32 v19, 0
	s_mov_b64 s[4:5], 0
	v_mov_b32_e32 v20, v0
.LBB7_23:                               ; =>This Inner Loop Header: Depth=1
	v_cmp_eq_u32_e32 vcc, 1, v20
	v_cndmask_b32_e32 v26, v3, v5, vcc
	v_cmp_eq_u32_e64 s[0:1], 2, v20
	v_cndmask_b32_e64 v26, v26, v7, s[0:1]
	v_cndmask_b32_e32 v27, v2, v4, vcc
	v_cmp_eq_u32_e32 vcc, 3, v20
	v_cndmask_b32_e32 v26, v26, v9, vcc
	v_cndmask_b32_e64 v27, v27, v6, s[0:1]
	v_cmp_eq_u32_e64 s[0:1], 4, v20
	ds_read_b64 v[24:25], v23
	v_cndmask_b32_e64 v26, v26, v11, s[0:1]
	v_cndmask_b32_e32 v27, v27, v8, vcc
	v_cmp_eq_u32_e32 vcc, 5, v20
	v_cndmask_b32_e32 v26, v26, v13, vcc
	v_cndmask_b32_e64 v27, v27, v10, s[0:1]
	v_cmp_eq_u32_e64 s[0:1], 6, v20
	v_cndmask_b32_e64 v26, v26, v15, s[0:1]
	v_cndmask_b32_e32 v28, v27, v12, vcc
	v_cmp_eq_u32_e32 vcc, 7, v20
	v_cndmask_b32_e32 v27, v26, v17, vcc
	v_cndmask_b32_e64 v26, v28, v14, s[0:1]
	v_cndmask_b32_e32 v26, v26, v16, vcc
	s_waitcnt lgkmcnt(0)
	v_fma_f64 v[18:19], v[26:27], v[24:25], v[18:19]
	v_add_co_u32_e32 v20, vcc, 1, v20
	v_addc_co_u32_e32 v21, vcc, 0, v21, vcc
	v_add_u32_e32 v24, -1, v20
	v_cmp_lt_u32_e32 vcc, 1, v24
	s_or_b64 s[4:5], vcc, s[4:5]
	v_add_u32_e32 v23, 8, v23
	s_andn2_b64 exec, exec, s[4:5]
	s_cbranch_execnz .LBB7_23
; %bb.24:
	s_or_b64 exec, exec, s[4:5]
	v_mov_b32_e32 v8, 0
	ds_read_b64 v[8:9], v8 offset:24
	s_waitcnt lgkmcnt(0)
	v_mul_f64 v[8:9], v[18:19], v[8:9]
.LBB7_25:
	s_or_b64 exec, exec, s[2:3]
	v_cmp_gt_u32_e32 vcc, 4, v0
	; wave barrier
	ds_write_b64 v22, v[10:11]
	s_waitcnt lgkmcnt(0)
	; wave barrier
	s_and_saveexec_b64 s[2:3], vcc
	s_cbranch_execz .LBB7_29
; %bb.26:
	v_mov_b32_e32 v18, 0
	v_mov_b32_e32 v21, v1
	v_lshl_add_u32 v23, v0, 3, 64
	v_mov_b32_e32 v19, 0
	s_mov_b64 s[4:5], 0
	v_mov_b32_e32 v20, v0
.LBB7_27:                               ; =>This Inner Loop Header: Depth=1
	v_cmp_eq_u32_e32 vcc, 1, v20
	v_cndmask_b32_e32 v26, v3, v5, vcc
	v_cmp_eq_u32_e64 s[0:1], 2, v20
	v_cndmask_b32_e64 v26, v26, v7, s[0:1]
	v_cndmask_b32_e32 v27, v2, v4, vcc
	v_cmp_eq_u32_e32 vcc, 3, v20
	v_cndmask_b32_e32 v26, v26, v9, vcc
	v_cndmask_b32_e64 v27, v27, v6, s[0:1]
	v_cmp_eq_u32_e64 s[0:1], 4, v20
	ds_read_b64 v[24:25], v23
	v_cndmask_b32_e64 v26, v26, v11, s[0:1]
	v_cndmask_b32_e32 v27, v27, v8, vcc
	v_cmp_eq_u32_e32 vcc, 5, v20
	v_cndmask_b32_e32 v26, v26, v13, vcc
	v_cndmask_b32_e64 v27, v27, v10, s[0:1]
	v_cmp_eq_u32_e64 s[0:1], 6, v20
	v_cndmask_b32_e64 v26, v26, v15, s[0:1]
	v_cndmask_b32_e32 v28, v27, v12, vcc
	v_cmp_eq_u32_e32 vcc, 7, v20
	v_cndmask_b32_e32 v27, v26, v17, vcc
	v_cndmask_b32_e64 v26, v28, v14, s[0:1]
	v_cndmask_b32_e32 v26, v26, v16, vcc
	s_waitcnt lgkmcnt(0)
	v_fma_f64 v[18:19], v[26:27], v[24:25], v[18:19]
	v_add_co_u32_e32 v20, vcc, 1, v20
	v_addc_co_u32_e32 v21, vcc, 0, v21, vcc
	v_add_u32_e32 v24, -1, v20
	v_cmp_lt_u32_e32 vcc, 2, v24
	s_or_b64 s[4:5], vcc, s[4:5]
	v_add_u32_e32 v23, 8, v23
	s_andn2_b64 exec, exec, s[4:5]
	s_cbranch_execnz .LBB7_27
; %bb.28:
	s_or_b64 exec, exec, s[4:5]
	v_mov_b32_e32 v10, 0
	ds_read_b64 v[10:11], v10 offset:32
	s_waitcnt lgkmcnt(0)
	v_mul_f64 v[10:11], v[18:19], v[10:11]
.LBB7_29:
	;; [unrolled: 55-line block ×4, first 2 shown]
	s_or_b64 exec, exec, s[2:3]
	v_cmp_ne_u32_e32 vcc, 7, v0
	; wave barrier
	ds_write_b64 v22, v[16:17]
	s_waitcnt lgkmcnt(0)
	; wave barrier
	s_and_saveexec_b64 s[2:3], vcc
	s_cbranch_execz .LBB7_41
; %bb.38:
	v_mov_b32_e32 v18, 0
	v_mov_b32_e32 v21, v1
	v_lshl_add_u32 v22, v0, 3, 64
	v_mov_b32_e32 v19, 0
	s_mov_b64 s[4:5], 0
	v_mov_b32_e32 v20, v0
.LBB7_39:                               ; =>This Inner Loop Header: Depth=1
	v_cmp_eq_u32_e32 vcc, 1, v20
	v_cndmask_b32_e32 v1, v3, v5, vcc
	v_cmp_eq_u32_e64 s[0:1], 2, v20
	v_cndmask_b32_e64 v1, v1, v7, s[0:1]
	v_cndmask_b32_e32 v25, v2, v4, vcc
	v_cmp_eq_u32_e32 vcc, 3, v20
	v_cndmask_b32_e32 v1, v1, v9, vcc
	v_cndmask_b32_e64 v25, v25, v6, s[0:1]
	v_cmp_eq_u32_e64 s[0:1], 4, v20
	ds_read_b64 v[23:24], v22
	v_cndmask_b32_e64 v1, v1, v11, s[0:1]
	v_cndmask_b32_e32 v25, v25, v8, vcc
	v_cmp_eq_u32_e32 vcc, 5, v20
	v_cndmask_b32_e32 v1, v1, v13, vcc
	v_cndmask_b32_e64 v25, v25, v10, s[0:1]
	v_cmp_eq_u32_e64 s[0:1], 6, v20
	v_cndmask_b32_e64 v1, v1, v15, s[0:1]
	v_cndmask_b32_e32 v25, v25, v12, vcc
	v_cmp_eq_u32_e32 vcc, 7, v20
	v_cndmask_b32_e32 v26, v1, v17, vcc
	v_cndmask_b32_e64 v1, v25, v14, s[0:1]
	v_cndmask_b32_e32 v25, v1, v16, vcc
	s_waitcnt lgkmcnt(0)
	v_fma_f64 v[18:19], v[25:26], v[23:24], v[18:19]
	v_add_co_u32_e32 v20, vcc, 1, v20
	v_addc_co_u32_e32 v21, vcc, 0, v21, vcc
	v_add_u32_e32 v1, -1, v20
	v_cmp_lt_u32_e32 vcc, 5, v1
	s_or_b64 s[4:5], vcc, s[4:5]
	v_add_u32_e32 v22, 8, v22
	s_andn2_b64 exec, exec, s[4:5]
	s_cbranch_execnz .LBB7_39
; %bb.40:
	s_or_b64 exec, exec, s[4:5]
	v_mov_b32_e32 v1, 0
	ds_read_b64 v[16:17], v1 offset:56
	s_waitcnt lgkmcnt(0)
	v_mul_f64 v[16:17], v[18:19], v[16:17]
.LBB7_41:
	s_or_b64 exec, exec, s[2:3]
	; wave barrier
	s_cbranch_execnz .LBB7_15
	s_branch .LBB7_16
.LBB7_42:
	v_lshl_add_u32 v1, v0, 3, 64
	v_cmp_eq_u32_e32 vcc, 7, v0
	s_and_saveexec_b64 s[0:1], vcc
	s_cbranch_execz .LBB7_44
; %bb.43:
	v_mov_b32_e32 v31, v17
	s_mov_b32 s2, 0
	v_mov_b32_e32 v30, v16
	v_mov_b32_e32 v29, v15
	;; [unrolled: 1-line block ×17, first 2 shown]
	ds_write_b64 v1, v[14:15]
	v_mov_b32_e32 v2, v16
	v_mov_b32_e32 v3, v17
	;; [unrolled: 1-line block ×16, first 2 shown]
.LBB7_44:
	s_or_b64 exec, exec, s[0:1]
	v_mov_b32_e32 v30, 0
	s_waitcnt lgkmcnt(0)
	; wave barrier
	ds_read_b64 v[18:19], v30 offset:120
	v_cmp_lt_u32_e32 vcc, 5, v0
	s_waitcnt lgkmcnt(0)
	v_fma_f64 v[18:19], v[16:17], v[18:19], 0
	v_add_f64 v[14:15], v[14:15], -v[18:19]
	s_and_saveexec_b64 s[0:1], vcc
	s_cbranch_execz .LBB7_46
; %bb.45:
	v_mov_b32_e32 v29, v17
	s_mov_b32 s2, 0
	v_mov_b32_e32 v28, v16
	v_mov_b32_e32 v27, v15
	;; [unrolled: 1-line block ×17, first 2 shown]
	ds_write_b64 v1, v[12:13]
	v_mov_b32_e32 v2, v14
	v_mov_b32_e32 v3, v15
	v_mov_b32_e32 v4, v16
	v_mov_b32_e32 v5, v17
	v_mov_b32_e32 v6, v18
	v_mov_b32_e32 v7, v19
	v_mov_b32_e32 v8, v20
	v_mov_b32_e32 v9, v21
	v_mov_b32_e32 v10, v22
	v_mov_b32_e32 v11, v23
	v_mov_b32_e32 v12, v24
	v_mov_b32_e32 v13, v25
	v_mov_b32_e32 v14, v26
	v_mov_b32_e32 v15, v27
	v_mov_b32_e32 v16, v28
	v_mov_b32_e32 v17, v29
.LBB7_46:
	s_or_b64 exec, exec, s[0:1]
	s_waitcnt lgkmcnt(0)
	; wave barrier
	ds_read_b128 v[18:21], v30 offset:112
	v_cmp_lt_u32_e32 vcc, 4, v0
	s_waitcnt lgkmcnt(0)
	v_fma_f64 v[18:19], v[14:15], v[18:19], 0
	v_fma_f64 v[18:19], v[16:17], v[20:21], v[18:19]
	v_add_f64 v[12:13], v[12:13], -v[18:19]
	s_and_saveexec_b64 s[0:1], vcc
	s_cbranch_execz .LBB7_48
; %bb.47:
	v_mov_b32_e32 v27, v17
	s_mov_b32 s2, 0
	v_mov_b32_e32 v26, v16
	v_mov_b32_e32 v25, v15
	;; [unrolled: 1-line block ×17, first 2 shown]
	ds_write_b64 v1, v[10:11]
	v_mov_b32_e32 v2, v12
	v_mov_b32_e32 v3, v13
	;; [unrolled: 1-line block ×16, first 2 shown]
.LBB7_48:
	s_or_b64 exec, exec, s[0:1]
	v_mov_b32_e32 v26, 0
	s_waitcnt lgkmcnt(0)
	; wave barrier
	ds_read2_b64 v[18:21], v26 offset0:13 offset1:14
	ds_read_b64 v[22:23], v26 offset:120
	v_cmp_lt_u32_e32 vcc, 3, v0
	s_waitcnt lgkmcnt(1)
	v_fma_f64 v[18:19], v[12:13], v[18:19], 0
	v_fma_f64 v[18:19], v[14:15], v[20:21], v[18:19]
	s_waitcnt lgkmcnt(0)
	v_fma_f64 v[18:19], v[16:17], v[22:23], v[18:19]
	v_add_f64 v[10:11], v[10:11], -v[18:19]
	s_and_saveexec_b64 s[0:1], vcc
	s_cbranch_execz .LBB7_50
; %bb.49:
	v_mov_b32_e32 v25, v17
	s_mov_b32 s2, 0
	v_mov_b32_e32 v24, v16
	v_mov_b32_e32 v23, v15
	;; [unrolled: 1-line block ×17, first 2 shown]
	ds_write_b64 v1, v[8:9]
	v_mov_b32_e32 v2, v10
	v_mov_b32_e32 v3, v11
	;; [unrolled: 1-line block ×16, first 2 shown]
.LBB7_50:
	s_or_b64 exec, exec, s[0:1]
	s_waitcnt lgkmcnt(0)
	; wave barrier
	ds_read_b128 v[18:21], v26 offset:96
	ds_read_b128 v[22:25], v26 offset:112
	v_cmp_lt_u32_e32 vcc, 2, v0
	s_waitcnt lgkmcnt(1)
	v_fma_f64 v[18:19], v[10:11], v[18:19], 0
	v_fma_f64 v[18:19], v[12:13], v[20:21], v[18:19]
	s_waitcnt lgkmcnt(0)
	v_fma_f64 v[18:19], v[14:15], v[22:23], v[18:19]
	v_fma_f64 v[18:19], v[16:17], v[24:25], v[18:19]
	v_add_f64 v[8:9], v[8:9], -v[18:19]
	s_and_saveexec_b64 s[0:1], vcc
	s_cbranch_execz .LBB7_52
; %bb.51:
	v_mov_b32_e32 v23, v17
	s_mov_b32 s2, 0
	v_mov_b32_e32 v22, v16
	v_mov_b32_e32 v21, v15
	;; [unrolled: 1-line block ×17, first 2 shown]
	ds_write_b64 v1, v[6:7]
	v_mov_b32_e32 v2, v8
	v_mov_b32_e32 v3, v9
	;; [unrolled: 1-line block ×16, first 2 shown]
.LBB7_52:
	s_or_b64 exec, exec, s[0:1]
	v_mov_b32_e32 v22, 0
	s_waitcnt lgkmcnt(0)
	; wave barrier
	ds_read2_b64 v[18:21], v22 offset0:11 offset1:12
	ds_read2_b64 v[23:26], v22 offset0:13 offset1:14
	v_cmp_lt_u32_e32 vcc, 1, v0
	s_waitcnt lgkmcnt(1)
	v_fma_f64 v[18:19], v[8:9], v[18:19], 0
	v_fma_f64 v[18:19], v[10:11], v[20:21], v[18:19]
	ds_read_b64 v[20:21], v22 offset:120
	s_waitcnt lgkmcnt(1)
	v_fma_f64 v[18:19], v[12:13], v[23:24], v[18:19]
	v_fma_f64 v[18:19], v[14:15], v[25:26], v[18:19]
	s_waitcnt lgkmcnt(0)
	v_fma_f64 v[18:19], v[16:17], v[20:21], v[18:19]
	v_add_f64 v[6:7], v[6:7], -v[18:19]
	s_and_saveexec_b64 s[0:1], vcc
	s_cbranch_execz .LBB7_54
; %bb.53:
	v_mov_b32_e32 v21, v17
	s_mov_b32 s2, 0
	v_mov_b32_e32 v20, v16
	v_mov_b32_e32 v19, v15
	;; [unrolled: 1-line block ×17, first 2 shown]
	ds_write_b64 v1, v[4:5]
	v_mov_b32_e32 v2, v6
	v_mov_b32_e32 v3, v7
	;; [unrolled: 1-line block ×16, first 2 shown]
.LBB7_54:
	s_or_b64 exec, exec, s[0:1]
	s_waitcnt lgkmcnt(0)
	; wave barrier
	ds_read_b128 v[18:21], v22 offset:80
	ds_read_b128 v[23:26], v22 offset:96
	s_mov_b32 s2, 0
	v_cmp_ne_u32_e32 vcc, 0, v0
	s_waitcnt lgkmcnt(1)
	v_fma_f64 v[18:19], v[6:7], v[18:19], 0
	v_fma_f64 v[18:19], v[8:9], v[20:21], v[18:19]
	s_waitcnt lgkmcnt(0)
	v_fma_f64 v[18:19], v[10:11], v[23:24], v[18:19]
	v_fma_f64 v[23:24], v[12:13], v[25:26], v[18:19]
	ds_read_b128 v[18:21], v22 offset:112
	s_waitcnt lgkmcnt(0)
	v_fma_f64 v[18:19], v[14:15], v[18:19], v[23:24]
	v_fma_f64 v[18:19], v[16:17], v[20:21], v[18:19]
	v_add_f64 v[4:5], v[4:5], -v[18:19]
	s_and_saveexec_b64 s[0:1], vcc
	s_cbranch_execz .LBB7_56
; %bb.55:
	v_mov_b32_e32 v19, v17
	v_mov_b32_e32 v18, v16
	;; [unrolled: 1-line block ×18, first 2 shown]
	ds_write_b64 v1, v[2:3]
	v_mov_b32_e32 v2, v4
	v_mov_b32_e32 v3, v5
	;; [unrolled: 1-line block ×16, first 2 shown]
.LBB7_56:
	s_or_b64 exec, exec, s[0:1]
	v_mov_b32_e32 v0, 0
	s_waitcnt lgkmcnt(0)
	; wave barrier
	ds_read2_b64 v[18:21], v0 offset0:9 offset1:10
	ds_read2_b64 v[22:25], v0 offset0:11 offset1:12
	s_and_b64 vcc, exec, s[22:23]
	s_waitcnt lgkmcnt(1)
	v_fma_f64 v[18:19], v[4:5], v[18:19], 0
	v_fma_f64 v[18:19], v[6:7], v[20:21], v[18:19]
	s_waitcnt lgkmcnt(0)
	v_fma_f64 v[18:19], v[8:9], v[22:23], v[18:19]
	v_fma_f64 v[22:23], v[10:11], v[24:25], v[18:19]
	ds_read2_b64 v[18:21], v0 offset0:13 offset1:14
	ds_read_b64 v[24:25], v0 offset:120
	s_waitcnt lgkmcnt(1)
	v_fma_f64 v[18:19], v[12:13], v[18:19], v[22:23]
	v_fma_f64 v[18:19], v[14:15], v[20:21], v[18:19]
	s_waitcnt lgkmcnt(0)
	v_fma_f64 v[18:19], v[16:17], v[24:25], v[18:19]
	v_add_f64 v[2:3], v[2:3], -v[18:19]
	s_cbranch_vccz .LBB7_71
; %bb.57:
	global_load_dword v0, v0, s[20:21] offset:24
	s_waitcnt vmcnt(0)
	v_readfirstlane_b32 s0, v0
	s_add_i32 s0, s0, -1
	s_cmp_lg_u32 s0, 6
	s_cbranch_scc0 .LBB7_59
; %bb.58:
	s_lshl_b32 s0, s0, 1
	s_set_gpr_idx_on s0, gpr_idx(SRC0)
	v_mov_b32_e32 v0, v3
	v_mov_b32_e32 v1, v2
	s_set_gpr_idx_off
	v_mov_b32_e32 v31, v17
	v_mov_b32_e32 v29, v15
	;; [unrolled: 1-line block ×18, first 2 shown]
	s_set_gpr_idx_on s0, gpr_idx(DST)
	v_mov_b32_e32 v16, v14
	v_mov_b32_e32 v17, v15
	s_set_gpr_idx_off
	v_mov_b32_e32 v2, v16
	v_mov_b32_e32 v3, v17
	;; [unrolled: 1-line block ×16, first 2 shown]
.LBB7_59:
	v_mov_b32_e32 v0, 0
	global_load_dword v1, v0, s[20:21] offset:20
	s_waitcnt vmcnt(0)
	v_readfirstlane_b32 s0, v1
	s_add_i32 s0, s0, -1
	s_cmp_eq_u32 s0, 5
	s_cbranch_scc1 .LBB7_61
; %bb.60:
	s_lshl_b32 s0, s0, 1
	s_set_gpr_idx_on s0, gpr_idx(SRC0)
	v_mov_b32_e32 v1, v3
	v_mov_b32_e32 v30, v2
	s_set_gpr_idx_off
	v_mov_b32_e32 v29, v17
	v_mov_b32_e32 v25, v13
	;; [unrolled: 1-line block ×18, first 2 shown]
	s_set_gpr_idx_on s0, gpr_idx(DST)
	v_mov_b32_e32 v14, v12
	v_mov_b32_e32 v15, v13
	s_set_gpr_idx_off
	v_mov_b32_e32 v2, v14
	v_mov_b32_e32 v3, v15
	;; [unrolled: 1-line block ×16, first 2 shown]
.LBB7_61:
	global_load_dword v0, v0, s[20:21] offset:16
	s_waitcnt vmcnt(0)
	v_readfirstlane_b32 s0, v0
	s_add_i32 s0, s0, -1
	s_cmp_eq_u32 s0, 4
	s_cbranch_scc1 .LBB7_63
; %bb.62:
	s_lshl_b32 s0, s0, 1
	s_set_gpr_idx_on s0, gpr_idx(SRC0)
	v_mov_b32_e32 v0, v3
	v_mov_b32_e32 v1, v2
	s_set_gpr_idx_off
	v_mov_b32_e32 v27, v17
	v_mov_b32_e32 v21, v11
	;; [unrolled: 1-line block ×18, first 2 shown]
	s_set_gpr_idx_on s0, gpr_idx(DST)
	v_mov_b32_e32 v12, v10
	v_mov_b32_e32 v13, v11
	s_set_gpr_idx_off
	v_mov_b32_e32 v2, v12
	v_mov_b32_e32 v3, v13
	;; [unrolled: 1-line block ×16, first 2 shown]
.LBB7_63:
	v_mov_b32_e32 v0, 0
	global_load_dword v1, v0, s[20:21] offset:12
	s_waitcnt vmcnt(0)
	v_readfirstlane_b32 s0, v1
	s_add_i32 s0, s0, -1
	s_cmp_eq_u32 s0, 3
	s_cbranch_scc1 .LBB7_65
; %bb.64:
	s_lshl_b32 s0, s0, 1
	s_set_gpr_idx_on s0, gpr_idx(SRC0)
	v_mov_b32_e32 v1, v3
	v_mov_b32_e32 v26, v2
	s_set_gpr_idx_off
	v_mov_b32_e32 v25, v17
	v_mov_b32_e32 v24, v16
	;; [unrolled: 1-line block ×18, first 2 shown]
	s_set_gpr_idx_on s0, gpr_idx(DST)
	v_mov_b32_e32 v10, v8
	v_mov_b32_e32 v11, v9
	s_set_gpr_idx_off
	v_mov_b32_e32 v2, v10
	v_mov_b32_e32 v3, v11
	;; [unrolled: 1-line block ×16, first 2 shown]
.LBB7_65:
	global_load_dword v0, v0, s[20:21] offset:8
	s_waitcnt vmcnt(0)
	v_readfirstlane_b32 s0, v0
	s_add_i32 s0, s0, -1
	s_cmp_eq_u32 s0, 2
	s_cbranch_scc1 .LBB7_67
; %bb.66:
	s_lshl_b32 s0, s0, 1
	s_set_gpr_idx_on s0, gpr_idx(SRC0)
	v_mov_b32_e32 v0, v3
	v_mov_b32_e32 v1, v2
	s_set_gpr_idx_off
	v_mov_b32_e32 v23, v17
	v_mov_b32_e32 v22, v16
	;; [unrolled: 1-line block ×18, first 2 shown]
	s_set_gpr_idx_on s0, gpr_idx(DST)
	v_mov_b32_e32 v8, v6
	v_mov_b32_e32 v9, v7
	s_set_gpr_idx_off
	v_mov_b32_e32 v2, v8
	v_mov_b32_e32 v3, v9
	;; [unrolled: 1-line block ×16, first 2 shown]
.LBB7_67:
	v_mov_b32_e32 v0, 0
	global_load_dword v1, v0, s[20:21] offset:4
	s_waitcnt vmcnt(0)
	v_readfirstlane_b32 s0, v1
	s_add_i32 s0, s0, -1
	s_cmp_eq_u32 s0, 1
	s_cbranch_scc1 .LBB7_69
; %bb.68:
	s_lshl_b32 s0, s0, 1
	s_set_gpr_idx_on s0, gpr_idx(SRC0)
	v_mov_b32_e32 v1, v3
	v_mov_b32_e32 v22, v2
	s_set_gpr_idx_off
	v_mov_b32_e32 v21, v17
	v_mov_b32_e32 v20, v16
	v_mov_b32_e32 v19, v15
	v_mov_b32_e32 v18, v14
	v_mov_b32_e32 v17, v13
	v_mov_b32_e32 v16, v12
	v_mov_b32_e32 v15, v11
	v_mov_b32_e32 v14, v10
	v_mov_b32_e32 v13, v9
	v_mov_b32_e32 v12, v8
	v_mov_b32_e32 v11, v7
	v_mov_b32_e32 v10, v6
	v_mov_b32_e32 v9, v5
	v_mov_b32_e32 v8, v4
	v_mov_b32_e32 v7, v3
	v_mov_b32_e32 v6, v2
	v_mov_b32_e32 v8, v22
	v_mov_b32_e32 v9, v1
	s_set_gpr_idx_on s0, gpr_idx(DST)
	v_mov_b32_e32 v6, v4
	v_mov_b32_e32 v7, v5
	s_set_gpr_idx_off
	v_mov_b32_e32 v2, v6
	v_mov_b32_e32 v3, v7
	;; [unrolled: 1-line block ×16, first 2 shown]
.LBB7_69:
	global_load_dword v0, v0, s[20:21]
	s_waitcnt vmcnt(0)
	v_readfirstlane_b32 s0, v0
	s_add_i32 s0, s0, -1
	s_cmp_eq_u32 s0, 0
	s_cbranch_scc1 .LBB7_71
; %bb.70:
	s_lshl_b32 s0, s0, 1
	s_set_gpr_idx_on s0, gpr_idx(SRC0)
	v_mov_b32_e32 v0, v3
	v_mov_b32_e32 v1, v2
	s_set_gpr_idx_off
	v_mov_b32_e32 v19, v17
	v_mov_b32_e32 v18, v16
	;; [unrolled: 1-line block ×18, first 2 shown]
	s_set_gpr_idx_on s0, gpr_idx(DST)
	v_mov_b32_e32 v4, v2
	v_mov_b32_e32 v5, v3
	s_set_gpr_idx_off
	v_mov_b32_e32 v2, v4
	v_mov_b32_e32 v3, v5
	;; [unrolled: 1-line block ×16, first 2 shown]
.LBB7_71:
	global_store_dwordx2 v[32:33], v[2:3], off
	global_store_dwordx2 v[46:47], v[4:5], off
	;; [unrolled: 1-line block ×8, first 2 shown]
	s_endpgm
	.section	.rodata,"a",@progbits
	.p2align	6, 0x0
	.amdhsa_kernel _ZN9rocsolver6v33100L18getri_kernel_smallILi8EdPdEEvT1_iilPiilS4_bb
		.amdhsa_group_segment_fixed_size 136
		.amdhsa_private_segment_fixed_size 0
		.amdhsa_kernarg_size 60
		.amdhsa_user_sgpr_count 6
		.amdhsa_user_sgpr_private_segment_buffer 1
		.amdhsa_user_sgpr_dispatch_ptr 0
		.amdhsa_user_sgpr_queue_ptr 0
		.amdhsa_user_sgpr_kernarg_segment_ptr 1
		.amdhsa_user_sgpr_dispatch_id 0
		.amdhsa_user_sgpr_flat_scratch_init 0
		.amdhsa_user_sgpr_private_segment_size 0
		.amdhsa_uses_dynamic_stack 0
		.amdhsa_system_sgpr_private_segment_wavefront_offset 0
		.amdhsa_system_sgpr_workgroup_id_x 1
		.amdhsa_system_sgpr_workgroup_id_y 0
		.amdhsa_system_sgpr_workgroup_id_z 0
		.amdhsa_system_sgpr_workgroup_info 0
		.amdhsa_system_vgpr_workitem_id 0
		.amdhsa_next_free_vgpr 48
		.amdhsa_next_free_sgpr 24
		.amdhsa_reserve_vcc 1
		.amdhsa_reserve_flat_scratch 0
		.amdhsa_float_round_mode_32 0
		.amdhsa_float_round_mode_16_64 0
		.amdhsa_float_denorm_mode_32 3
		.amdhsa_float_denorm_mode_16_64 3
		.amdhsa_dx10_clamp 1
		.amdhsa_ieee_mode 1
		.amdhsa_fp16_overflow 0
		.amdhsa_exception_fp_ieee_invalid_op 0
		.amdhsa_exception_fp_denorm_src 0
		.amdhsa_exception_fp_ieee_div_zero 0
		.amdhsa_exception_fp_ieee_overflow 0
		.amdhsa_exception_fp_ieee_underflow 0
		.amdhsa_exception_fp_ieee_inexact 0
		.amdhsa_exception_int_div_zero 0
	.end_amdhsa_kernel
	.section	.text._ZN9rocsolver6v33100L18getri_kernel_smallILi8EdPdEEvT1_iilPiilS4_bb,"axG",@progbits,_ZN9rocsolver6v33100L18getri_kernel_smallILi8EdPdEEvT1_iilPiilS4_bb,comdat
.Lfunc_end7:
	.size	_ZN9rocsolver6v33100L18getri_kernel_smallILi8EdPdEEvT1_iilPiilS4_bb, .Lfunc_end7-_ZN9rocsolver6v33100L18getri_kernel_smallILi8EdPdEEvT1_iilPiilS4_bb
                                        ; -- End function
	.set _ZN9rocsolver6v33100L18getri_kernel_smallILi8EdPdEEvT1_iilPiilS4_bb.num_vgpr, 48
	.set _ZN9rocsolver6v33100L18getri_kernel_smallILi8EdPdEEvT1_iilPiilS4_bb.num_agpr, 0
	.set _ZN9rocsolver6v33100L18getri_kernel_smallILi8EdPdEEvT1_iilPiilS4_bb.numbered_sgpr, 24
	.set _ZN9rocsolver6v33100L18getri_kernel_smallILi8EdPdEEvT1_iilPiilS4_bb.num_named_barrier, 0
	.set _ZN9rocsolver6v33100L18getri_kernel_smallILi8EdPdEEvT1_iilPiilS4_bb.private_seg_size, 0
	.set _ZN9rocsolver6v33100L18getri_kernel_smallILi8EdPdEEvT1_iilPiilS4_bb.uses_vcc, 1
	.set _ZN9rocsolver6v33100L18getri_kernel_smallILi8EdPdEEvT1_iilPiilS4_bb.uses_flat_scratch, 0
	.set _ZN9rocsolver6v33100L18getri_kernel_smallILi8EdPdEEvT1_iilPiilS4_bb.has_dyn_sized_stack, 0
	.set _ZN9rocsolver6v33100L18getri_kernel_smallILi8EdPdEEvT1_iilPiilS4_bb.has_recursion, 0
	.set _ZN9rocsolver6v33100L18getri_kernel_smallILi8EdPdEEvT1_iilPiilS4_bb.has_indirect_call, 0
	.section	.AMDGPU.csdata,"",@progbits
; Kernel info:
; codeLenInByte = 5892
; TotalNumSgprs: 28
; NumVgprs: 48
; ScratchSize: 0
; MemoryBound: 0
; FloatMode: 240
; IeeeMode: 1
; LDSByteSize: 136 bytes/workgroup (compile time only)
; SGPRBlocks: 3
; VGPRBlocks: 11
; NumSGPRsForWavesPerEU: 28
; NumVGPRsForWavesPerEU: 48
; Occupancy: 5
; WaveLimiterHint : 0
; COMPUTE_PGM_RSRC2:SCRATCH_EN: 0
; COMPUTE_PGM_RSRC2:USER_SGPR: 6
; COMPUTE_PGM_RSRC2:TRAP_HANDLER: 0
; COMPUTE_PGM_RSRC2:TGID_X_EN: 1
; COMPUTE_PGM_RSRC2:TGID_Y_EN: 0
; COMPUTE_PGM_RSRC2:TGID_Z_EN: 0
; COMPUTE_PGM_RSRC2:TIDIG_COMP_CNT: 0
	.section	.text._ZN9rocsolver6v33100L18getri_kernel_smallILi9EdPdEEvT1_iilPiilS4_bb,"axG",@progbits,_ZN9rocsolver6v33100L18getri_kernel_smallILi9EdPdEEvT1_iilPiilS4_bb,comdat
	.globl	_ZN9rocsolver6v33100L18getri_kernel_smallILi9EdPdEEvT1_iilPiilS4_bb ; -- Begin function _ZN9rocsolver6v33100L18getri_kernel_smallILi9EdPdEEvT1_iilPiilS4_bb
	.p2align	8
	.type	_ZN9rocsolver6v33100L18getri_kernel_smallILi9EdPdEEvT1_iilPiilS4_bb,@function
_ZN9rocsolver6v33100L18getri_kernel_smallILi9EdPdEEvT1_iilPiilS4_bb: ; @_ZN9rocsolver6v33100L18getri_kernel_smallILi9EdPdEEvT1_iilPiilS4_bb
; %bb.0:
	v_cmp_gt_u32_e32 vcc, 9, v0
	s_and_saveexec_b64 s[0:1], vcc
	s_cbranch_execz .LBB8_16
; %bb.1:
	s_load_dword s0, s[4:5], 0x38
	s_load_dwordx4 s[8:11], s[4:5], 0x10
	s_load_dwordx4 s[24:27], s[4:5], 0x28
                                        ; implicit-def: $sgpr28_sgpr29
	s_waitcnt lgkmcnt(0)
	s_bitcmp1_b32 s0, 8
	s_cselect_b64 s[30:31], -1, 0
	s_ashr_i32 s7, s6, 31
	s_bfe_u32 s0, s0, 0x10008
	s_cmp_eq_u32 s0, 0
	s_cbranch_scc1 .LBB8_3
; %bb.2:
	s_load_dword s0, s[4:5], 0x20
	s_mul_i32 s1, s24, s7
	s_mul_hi_u32 s2, s24, s6
	s_mul_i32 s3, s25, s6
	s_add_i32 s2, s2, s1
	s_add_i32 s3, s2, s3
	s_mul_i32 s2, s24, s6
	s_waitcnt lgkmcnt(0)
	s_ashr_i32 s1, s0, 31
	s_lshl_b64 s[2:3], s[2:3], 2
	s_add_u32 s2, s10, s2
	s_addc_u32 s3, s11, s3
	s_lshl_b64 s[0:1], s[0:1], 2
	s_add_u32 s28, s2, s0
	s_addc_u32 s29, s3, s1
.LBB8_3:
	s_load_dwordx4 s[0:3], s[4:5], 0x0
	s_load_dword s10, s[4:5], 0x38
	s_mul_i32 s11, s8, s7
	s_mul_hi_u32 s12, s8, s6
	s_mul_i32 s9, s9, s6
	s_waitcnt lgkmcnt(0)
	s_ashr_i32 s5, s2, 31
	s_mov_b32 s4, s2
	s_add_i32 s2, s12, s11
	s_add_i32 s9, s2, s9
	s_mul_i32 s8, s8, s6
	s_lshl_b64 s[8:9], s[8:9], 3
	s_add_u32 s2, s0, s8
	s_addc_u32 s8, s1, s9
	s_lshl_b64 s[0:1], s[4:5], 3
	s_add_u32 s0, s2, s0
	s_addc_u32 s1, s8, s1
	s_add_i32 s2, s3, s3
	v_add_u32_e32 v1, s2, v0
	v_ashrrev_i32_e32 v2, 31, v1
	v_lshlrev_b64 v[2:3], 3, v[1:2]
	v_add_u32_e32 v1, s3, v1
	v_mov_b32_e32 v4, s1
	v_add_co_u32_e32 v52, vcc, s0, v2
	v_ashrrev_i32_e32 v2, 31, v1
	v_addc_co_u32_e32 v53, vcc, v4, v3, vcc
	v_lshlrev_b64 v[2:3], 3, v[1:2]
	v_add_u32_e32 v1, s3, v1
	v_add_co_u32_e32 v54, vcc, s0, v2
	v_ashrrev_i32_e32 v2, 31, v1
	v_addc_co_u32_e32 v55, vcc, v4, v3, vcc
	v_lshlrev_b64 v[2:3], 3, v[1:2]
	v_add_u32_e32 v1, s3, v1
	;; [unrolled: 5-line block ×5, first 2 shown]
	v_add_co_u32_e32 v62, vcc, s0, v2
	v_ashrrev_i32_e32 v2, 31, v1
	v_lshlrev_b64 v[1:2], 3, v[1:2]
	v_addc_co_u32_e32 v63, vcc, v4, v3, vcc
	v_mov_b32_e32 v3, s1
	v_add_co_u32_e32 v64, vcc, s0, v1
	v_lshlrev_b32_e32 v22, 3, v0
	v_addc_co_u32_e32 v65, vcc, v3, v2, vcc
	v_mov_b32_e32 v1, s1
	v_add_co_u32_e32 v66, vcc, s0, v22
	s_ashr_i32 s5, s3, 31
	s_mov_b32 s4, s3
	v_addc_co_u32_e32 v67, vcc, 0, v1, vcc
	s_lshl_b64 s[2:3], s[4:5], 3
	v_mov_b32_e32 v1, s3
	v_add_co_u32_e32 v68, vcc, s2, v66
	v_addc_co_u32_e32 v69, vcc, v67, v1, vcc
	global_load_dwordx2 v[2:3], v22, s[0:1]
	global_load_dwordx2 v[4:5], v[68:69], off
	global_load_dwordx2 v[6:7], v[52:53], off
	;; [unrolled: 1-line block ×8, first 2 shown]
	v_mov_b32_e32 v1, 0
	s_bitcmp0_b32 s10, 0
	s_mov_b64 s[0:1], -1
	s_cbranch_scc1 .LBB8_14
; %bb.4:
	v_cmp_eq_u32_e64 s[0:1], 0, v0
	s_and_saveexec_b64 s[2:3], s[0:1]
; %bb.5:
	v_mov_b32_e32 v20, 0
	ds_write_b32 v20, v20 offset:72
; %bb.6:
	s_or_b64 exec, exec, s[2:3]
	v_cmp_eq_u32_e32 vcc, 1, v0
	s_waitcnt vmcnt(7)
	v_cndmask_b32_e32 v20, v3, v5, vcc
	v_cmp_eq_u32_e64 s[2:3], 2, v0
	v_cndmask_b32_e32 v21, v2, v4, vcc
	s_waitcnt vmcnt(6)
	v_cndmask_b32_e64 v20, v20, v7, s[2:3]
	v_cmp_eq_u32_e64 s[4:5], 3, v0
	v_cndmask_b32_e64 v21, v21, v6, s[2:3]
	s_waitcnt vmcnt(5)
	v_cndmask_b32_e64 v20, v20, v9, s[4:5]
	v_cmp_eq_u32_e64 s[8:9], 4, v0
	v_cndmask_b32_e64 v21, v21, v8, s[4:5]
	;; [unrolled: 4-line block ×5, first 2 shown]
	s_waitcnt vmcnt(1)
	v_cndmask_b32_e64 v20, v20, v17, s[14:15]
	v_cndmask_b32_e64 v23, v21, v16, s[14:15]
	v_cmp_eq_u32_e32 vcc, 8, v0
	s_waitcnt vmcnt(0)
	v_cndmask_b32_e32 v21, v20, v19, vcc
	v_cndmask_b32_e32 v20, v23, v18, vcc
	v_cmp_eq_f64_e32 vcc, 0, v[20:21]
	s_waitcnt lgkmcnt(0)
	; wave barrier
	s_and_saveexec_b64 s[4:5], vcc
	s_cbranch_execz .LBB8_10
; %bb.7:
	v_mov_b32_e32 v23, 0
	ds_read_b32 v25, v23 offset:72
	v_add_u32_e32 v24, 1, v0
	s_waitcnt lgkmcnt(0)
	v_readfirstlane_b32 s2, v25
	s_cmp_eq_u32 s2, 0
	s_cselect_b64 s[8:9], -1, 0
	v_cmp_gt_i32_e32 vcc, s2, v24
	s_or_b64 s[8:9], s[8:9], vcc
	s_and_b64 exec, exec, s[8:9]
	s_cbranch_execz .LBB8_10
; %bb.8:
	s_mov_b64 s[8:9], 0
	v_mov_b32_e32 v25, s2
.LBB8_9:                                ; =>This Inner Loop Header: Depth=1
	ds_cmpst_rtn_b32 v25, v23, v25, v24 offset:72
	s_waitcnt lgkmcnt(0)
	v_cmp_ne_u32_e32 vcc, 0, v25
	v_cmp_le_i32_e64 s[2:3], v25, v24
	s_and_b64 s[2:3], vcc, s[2:3]
	s_and_b64 s[2:3], exec, s[2:3]
	s_or_b64 s[8:9], s[2:3], s[8:9]
	s_andn2_b64 exec, exec, s[8:9]
	s_cbranch_execnz .LBB8_9
.LBB8_10:
	s_or_b64 exec, exec, s[4:5]
	v_mov_b32_e32 v24, 0
	; wave barrier
	ds_read_b32 v23, v24 offset:72
	s_and_saveexec_b64 s[2:3], s[0:1]
	s_cbranch_execz .LBB8_12
; %bb.11:
	s_lshl_b64 s[4:5], s[6:7], 2
	s_add_u32 s4, s26, s4
	s_addc_u32 s5, s27, s5
	s_waitcnt lgkmcnt(0)
	global_store_dword v24, v23, s[4:5]
.LBB8_12:
	s_or_b64 exec, exec, s[2:3]
	s_waitcnt lgkmcnt(0)
	v_cmp_ne_u32_e32 vcc, 0, v23
	s_cbranch_vccz .LBB8_17
; %bb.13:
	s_mov_b64 s[0:1], 0
                                        ; implicit-def: $vgpr2_vgpr3_vgpr4_vgpr5_vgpr6_vgpr7_vgpr8_vgpr9_vgpr10_vgpr11_vgpr12_vgpr13_vgpr14_vgpr15_vgpr16_vgpr17_vgpr18_vgpr19_vgpr20_vgpr21_vgpr22_vgpr23_vgpr24_vgpr25_vgpr26_vgpr27_vgpr28_vgpr29_vgpr30_vgpr31_vgpr32_vgpr33
.LBB8_14:
	s_and_b64 vcc, exec, s[0:1]
	s_cbranch_vccz .LBB8_16
.LBB8_15:
	s_lshl_b64 s[0:1], s[6:7], 2
	s_add_u32 s0, s26, s0
	s_addc_u32 s1, s27, s1
	v_mov_b32_e32 v1, 0
	global_load_dword v1, v1, s[0:1]
	s_waitcnt vmcnt(0)
	v_cmp_ne_u32_e32 vcc, 0, v1
	s_cbranch_vccz .LBB8_58
.LBB8_16:
	s_endpgm
.LBB8_17:
	v_div_scale_f64 v[23:24], s[2:3], v[20:21], v[20:21], 1.0
	v_rcp_f64_e32 v[25:26], v[23:24]
	v_fma_f64 v[27:28], -v[23:24], v[25:26], 1.0
	v_fma_f64 v[25:26], v[25:26], v[27:28], v[25:26]
	v_div_scale_f64 v[27:28], vcc, 1.0, v[20:21], 1.0
	v_fma_f64 v[29:30], -v[23:24], v[25:26], 1.0
	v_fma_f64 v[25:26], v[25:26], v[29:30], v[25:26]
	v_mul_f64 v[29:30], v[27:28], v[25:26]
	v_fma_f64 v[23:24], -v[23:24], v[29:30], v[27:28]
	v_div_fmas_f64 v[23:24], v[23:24], v[25:26], v[29:30]
	v_cmp_eq_u32_e32 vcc, 8, v0
	v_div_fixup_f64 v[20:21], v[23:24], v[20:21], 1.0
	v_add_u32_e32 v24, 0x50, v22
	v_cndmask_b32_e32 v19, v19, v21, vcc
	v_cndmask_b32_e32 v18, v18, v20, vcc
	v_cmp_eq_u32_e32 vcc, 7, v0
	v_cndmask_b32_e32 v17, v17, v21, vcc
	v_cndmask_b32_e32 v16, v16, v20, vcc
	v_cmp_eq_u32_e32 vcc, 6, v0
	;; [unrolled: 3-line block ×8, first 2 shown]
	v_cndmask_b32_e32 v3, v3, v21, vcc
	v_cndmask_b32_e32 v2, v2, v20, vcc
	v_xor_b32_e32 v26, 0x80000000, v21
	v_mov_b32_e32 v25, v20
	ds_write2_b64 v22, v[25:26], v[4:5] offset1:10
	s_waitcnt lgkmcnt(0)
	; wave barrier
	s_and_saveexec_b64 s[2:3], s[0:1]
	s_cbranch_execz .LBB8_19
; %bb.18:
	ds_read_b64 v[4:5], v24
	v_mov_b32_e32 v22, 0
	ds_read_b64 v[22:23], v22 offset:8
	s_waitcnt lgkmcnt(1)
	v_fma_f64 v[4:5], v[20:21], v[4:5], 0
	s_waitcnt lgkmcnt(0)
	v_mul_f64 v[4:5], v[4:5], v[22:23]
.LBB8_19:
	s_or_b64 exec, exec, s[2:3]
	v_cmp_gt_u32_e32 vcc, 2, v0
	; wave barrier
	ds_write_b64 v24, v[6:7]
	s_waitcnt lgkmcnt(0)
	; wave barrier
	s_and_saveexec_b64 s[18:19], vcc
	s_cbranch_execz .LBB8_21
; %bb.20:
	v_cmp_eq_u32_e32 vcc, 1, v0
	v_cndmask_b32_e32 v20, v3, v5, vcc
	v_cmp_eq_u32_e64 s[2:3], 2, v0
	v_cndmask_b32_e64 v7, v20, v7, s[2:3]
	v_cndmask_b32_e32 v20, v2, v4, vcc
	v_cmp_eq_u32_e64 s[4:5], 3, v0
	v_cndmask_b32_e64 v6, v20, v6, s[2:3]
	v_cndmask_b32_e64 v7, v7, v9, s[4:5]
	v_cmp_eq_u32_e64 s[8:9], 4, v0
	v_cndmask_b32_e64 v6, v6, v8, s[4:5]
	v_cndmask_b32_e64 v7, v7, v11, s[8:9]
	v_cmp_eq_u32_e64 s[10:11], 5, v0
	v_cndmask_b32_e64 v6, v6, v10, s[8:9]
	ds_read_b64 v[20:21], v24
	v_cndmask_b32_e64 v7, v7, v13, s[10:11]
	v_cmp_eq_u32_e64 s[12:13], 6, v0
	v_cndmask_b32_e64 v6, v6, v12, s[10:11]
	v_cndmask_b32_e64 v7, v7, v15, s[12:13]
	v_cmp_eq_u32_e64 s[14:15], 7, v0
	v_cndmask_b32_e64 v6, v6, v14, s[12:13]
	;; [unrolled: 3-line block ×3, first 2 shown]
	v_cndmask_b32_e64 v7, v7, v19, s[16:17]
	v_cndmask_b32_e64 v6, v6, v18, s[16:17]
	s_waitcnt lgkmcnt(0)
	v_fma_f64 v[6:7], v[6:7], v[20:21], 0
	v_mov_b32_e32 v20, 0
	ds_read2_b64 v[20:23], v20 offset0:2 offset1:11
	s_waitcnt lgkmcnt(0)
	v_fma_f64 v[22:23], v[4:5], v[22:23], v[6:7]
	v_cndmask_b32_e64 v7, v7, v23, s[0:1]
	v_cndmask_b32_e64 v6, v6, v22, s[0:1]
	v_mul_f64 v[6:7], v[6:7], v[20:21]
.LBB8_21:
	s_or_b64 exec, exec, s[18:19]
	v_cmp_gt_u32_e32 vcc, 3, v0
	; wave barrier
	ds_write_b64 v24, v[8:9]
	s_waitcnt lgkmcnt(0)
	; wave barrier
	s_and_saveexec_b64 s[8:9], vcc
	s_cbranch_execz .LBB8_25
; %bb.22:
	v_mov_b32_e32 v20, 0x50
	v_lshl_add_u32 v25, v0, 3, v20
	v_mov_b32_e32 v20, 0
	v_mov_b32_e32 v23, v1
	v_mov_b32_e32 v21, 0
	s_mov_b64 s[10:11], 0
	v_mov_b32_e32 v22, v0
.LBB8_23:                               ; =>This Inner Loop Header: Depth=1
	v_cmp_eq_u32_e64 s[2:3], 1, v22
	v_cndmask_b32_e64 v28, v3, v5, s[2:3]
	v_cmp_eq_u32_e64 s[4:5], 2, v22
	v_cndmask_b32_e64 v28, v28, v7, s[4:5]
	v_cndmask_b32_e64 v29, v2, v4, s[2:3]
	v_cmp_eq_u32_e64 s[2:3], 3, v22
	v_cndmask_b32_e64 v28, v28, v9, s[2:3]
	v_cndmask_b32_e64 v29, v29, v6, s[4:5]
	v_cmp_eq_u32_e64 s[4:5], 4, v22
	v_cndmask_b32_e64 v28, v28, v11, s[4:5]
	v_cndmask_b32_e64 v29, v29, v8, s[2:3]
	v_cmp_eq_u32_e64 s[2:3], 5, v22
	ds_read_b64 v[26:27], v25
	v_cndmask_b32_e64 v28, v28, v13, s[2:3]
	v_cndmask_b32_e64 v29, v29, v10, s[4:5]
	v_cmp_eq_u32_e64 s[4:5], 6, v22
	v_cndmask_b32_e64 v28, v28, v15, s[4:5]
	v_cndmask_b32_e64 v29, v29, v12, s[2:3]
	v_cmp_eq_u32_e64 s[2:3], 7, v22
	v_cndmask_b32_e64 v28, v28, v17, s[2:3]
	v_cndmask_b32_e64 v30, v29, v14, s[4:5]
	v_cmp_eq_u32_e64 s[4:5], 8, v22
	v_cndmask_b32_e64 v29, v28, v19, s[4:5]
	v_cndmask_b32_e64 v28, v30, v16, s[2:3]
	v_cndmask_b32_e64 v28, v28, v18, s[4:5]
	s_waitcnt lgkmcnt(0)
	v_fma_f64 v[20:21], v[28:29], v[26:27], v[20:21]
	v_add_co_u32_e64 v22, s[2:3], 1, v22
	v_addc_co_u32_e64 v23, s[2:3], 0, v23, s[2:3]
	v_add_u32_e32 v26, -1, v22
	v_cmp_lt_u32_e64 s[2:3], 1, v26
	s_or_b64 s[10:11], s[2:3], s[10:11]
	v_add_u32_e32 v25, 8, v25
	s_andn2_b64 exec, exec, s[10:11]
	s_cbranch_execnz .LBB8_23
; %bb.24:
	s_or_b64 exec, exec, s[10:11]
	v_mov_b32_e32 v8, 0
	ds_read_b64 v[8:9], v8 offset:24
	s_waitcnt lgkmcnt(0)
	v_mul_f64 v[8:9], v[20:21], v[8:9]
.LBB8_25:
	s_or_b64 exec, exec, s[8:9]
	v_cmp_gt_u32_e64 s[2:3], 4, v0
	; wave barrier
	ds_write_b64 v24, v[10:11]
	s_waitcnt lgkmcnt(0)
	; wave barrier
	s_and_saveexec_b64 s[8:9], s[2:3]
	s_cbranch_execz .LBB8_29
; %bb.26:
	v_mov_b32_e32 v20, 0x50
	v_lshl_add_u32 v25, v0, 3, v20
	v_mov_b32_e32 v20, 0
	v_mov_b32_e32 v23, v1
	v_mov_b32_e32 v21, 0
	s_mov_b64 s[10:11], 0
	v_mov_b32_e32 v22, v0
.LBB8_27:                               ; =>This Inner Loop Header: Depth=1
	v_cmp_eq_u32_e64 s[2:3], 1, v22
	v_cndmask_b32_e64 v28, v3, v5, s[2:3]
	v_cmp_eq_u32_e64 s[4:5], 2, v22
	v_cndmask_b32_e64 v28, v28, v7, s[4:5]
	v_cndmask_b32_e64 v29, v2, v4, s[2:3]
	v_cmp_eq_u32_e64 s[2:3], 3, v22
	v_cndmask_b32_e64 v28, v28, v9, s[2:3]
	v_cndmask_b32_e64 v29, v29, v6, s[4:5]
	v_cmp_eq_u32_e64 s[4:5], 4, v22
	v_cndmask_b32_e64 v28, v28, v11, s[4:5]
	v_cndmask_b32_e64 v29, v29, v8, s[2:3]
	v_cmp_eq_u32_e64 s[2:3], 5, v22
	ds_read_b64 v[26:27], v25
	v_cndmask_b32_e64 v28, v28, v13, s[2:3]
	v_cndmask_b32_e64 v29, v29, v10, s[4:5]
	v_cmp_eq_u32_e64 s[4:5], 6, v22
	v_cndmask_b32_e64 v28, v28, v15, s[4:5]
	v_cndmask_b32_e64 v29, v29, v12, s[2:3]
	v_cmp_eq_u32_e64 s[2:3], 7, v22
	v_cndmask_b32_e64 v28, v28, v17, s[2:3]
	v_cndmask_b32_e64 v30, v29, v14, s[4:5]
	v_cmp_eq_u32_e64 s[4:5], 8, v22
	v_cndmask_b32_e64 v29, v28, v19, s[4:5]
	v_cndmask_b32_e64 v28, v30, v16, s[2:3]
	v_cndmask_b32_e64 v28, v28, v18, s[4:5]
	s_waitcnt lgkmcnt(0)
	v_fma_f64 v[20:21], v[28:29], v[26:27], v[20:21]
	v_add_co_u32_e64 v22, s[2:3], 1, v22
	v_addc_co_u32_e64 v23, s[2:3], 0, v23, s[2:3]
	v_add_u32_e32 v26, -1, v22
	v_cmp_lt_u32_e64 s[2:3], 2, v26
	s_or_b64 s[10:11], s[2:3], s[10:11]
	v_add_u32_e32 v25, 8, v25
	s_andn2_b64 exec, exec, s[10:11]
	s_cbranch_execnz .LBB8_27
; %bb.28:
	s_or_b64 exec, exec, s[10:11]
	v_mov_b32_e32 v10, 0
	ds_read_b64 v[10:11], v10 offset:32
	s_waitcnt lgkmcnt(0)
	v_mul_f64 v[10:11], v[20:21], v[10:11]
.LBB8_29:
	s_or_b64 exec, exec, s[8:9]
	v_cmp_gt_u32_e64 s[2:3], 5, v0
	; wave barrier
	ds_write_b64 v24, v[12:13]
	s_waitcnt lgkmcnt(0)
	; wave barrier
	s_and_saveexec_b64 s[10:11], s[2:3]
	;; [unrolled: 59-line block ×4, first 2 shown]
	s_cbranch_execz .LBB8_41
; %bb.38:
	v_mov_b32_e32 v20, 0x50
	v_lshl_add_u32 v25, v0, 3, v20
	v_mov_b32_e32 v20, 0
	v_mov_b32_e32 v23, v1
	;; [unrolled: 1-line block ×3, first 2 shown]
	s_mov_b64 s[14:15], 0
	v_mov_b32_e32 v22, v0
.LBB8_39:                               ; =>This Inner Loop Header: Depth=1
	v_cmp_eq_u32_e64 s[8:9], 1, v22
	v_cndmask_b32_e64 v1, v3, v5, s[8:9]
	v_cmp_eq_u32_e64 s[10:11], 2, v22
	v_cndmask_b32_e64 v1, v1, v7, s[10:11]
	v_cndmask_b32_e64 v28, v2, v4, s[8:9]
	v_cmp_eq_u32_e64 s[8:9], 3, v22
	v_cndmask_b32_e64 v1, v1, v9, s[8:9]
	;; [unrolled: 3-line block ×3, first 2 shown]
	v_cndmask_b32_e64 v28, v28, v8, s[8:9]
	v_cmp_eq_u32_e64 s[8:9], 5, v22
	ds_read_b64 v[26:27], v25
	v_cndmask_b32_e64 v1, v1, v13, s[8:9]
	v_cndmask_b32_e64 v28, v28, v10, s[10:11]
	v_cmp_eq_u32_e64 s[10:11], 6, v22
	v_cndmask_b32_e64 v1, v1, v15, s[10:11]
	v_cndmask_b32_e64 v28, v28, v12, s[8:9]
	v_cmp_eq_u32_e64 s[8:9], 7, v22
	;; [unrolled: 3-line block ×3, first 2 shown]
	v_cndmask_b32_e64 v29, v1, v19, s[10:11]
	v_cndmask_b32_e64 v1, v28, v16, s[8:9]
	;; [unrolled: 1-line block ×3, first 2 shown]
	s_waitcnt lgkmcnt(0)
	v_fma_f64 v[20:21], v[28:29], v[26:27], v[20:21]
	v_add_co_u32_e64 v22, s[8:9], 1, v22
	v_addc_co_u32_e64 v23, s[8:9], 0, v23, s[8:9]
	v_add_u32_e32 v1, -1, v22
	v_cmp_lt_u32_e64 s[8:9], 5, v1
	s_or_b64 s[14:15], s[8:9], s[14:15]
	v_add_u32_e32 v25, 8, v25
	s_andn2_b64 exec, exec, s[14:15]
	s_cbranch_execnz .LBB8_39
; %bb.40:
	s_or_b64 exec, exec, s[14:15]
	v_mov_b32_e32 v1, 0
	ds_read_b64 v[16:17], v1 offset:56
	s_waitcnt lgkmcnt(0)
	v_mul_f64 v[16:17], v[20:21], v[16:17]
.LBB8_41:
	s_or_b64 exec, exec, s[12:13]
	v_cmp_ne_u32_e64 s[8:9], 8, v0
	; wave barrier
	ds_write_b64 v24, v[18:19]
	s_waitcnt lgkmcnt(0)
	; wave barrier
	s_and_saveexec_b64 s[24:25], s[8:9]
	s_cbranch_execz .LBB8_57
; %bb.42:
	v_cmp_eq_u32_e64 s[8:9], 1, v0
	v_cndmask_b32_e64 v1, v3, v5, s[8:9]
	v_cmp_eq_u32_e64 s[10:11], 2, v0
	v_cndmask_b32_e64 v1, v1, v7, s[10:11]
	;; [unrolled: 2-line block ×8, first 2 shown]
	v_cndmask_b32_e64 v1, v2, v4, s[8:9]
	v_cndmask_b32_e64 v1, v1, v6, s[10:11]
	;; [unrolled: 1-line block ×4, first 2 shown]
	ds_read_b64 v[22:23], v24
	v_cndmask_b32_e64 v1, v1, v12, s[16:17]
	v_cndmask_b32_e64 v1, v1, v14, s[18:19]
	;; [unrolled: 1-line block ×4, first 2 shown]
	s_waitcnt lgkmcnt(0)
	v_fma_f64 v[20:21], v[20:21], v[22:23], 0
	s_and_saveexec_b64 s[22:23], s[4:5]
	s_cbranch_execz .LBB8_56
; %bb.43:
	v_add_u32_e32 v1, 1, v0
	v_cmp_eq_u32_e64 s[4:5], 1, v1
	v_cndmask_b32_e64 v22, v3, v5, s[4:5]
	v_cmp_eq_u32_e64 s[8:9], 2, v1
	v_cmp_eq_u32_e64 s[10:11], 3, v1
	;; [unrolled: 1-line block ×7, first 2 shown]
	v_cndmask_b32_e64 v1, v2, v4, s[4:5]
	v_cndmask_b32_e64 v22, v22, v7, s[8:9]
	;; [unrolled: 1-line block ×7, first 2 shown]
	ds_read_b64 v[25:26], v24 offset:8
	v_cndmask_b32_e64 v22, v22, v13, s[14:15]
	v_cndmask_b32_e64 v1, v1, v12, s[14:15]
	;; [unrolled: 1-line block ×8, first 2 shown]
	s_waitcnt lgkmcnt(0)
	v_fma_f64 v[20:21], v[22:23], v[25:26], v[20:21]
	v_cmp_ne_u32_e64 s[4:5], 6, v0
	s_and_saveexec_b64 s[34:35], s[4:5]
	s_cbranch_execz .LBB8_55
; %bb.44:
	v_add_u32_e32 v1, 2, v0
	v_cmp_eq_u32_e64 s[4:5], 1, v1
	v_cndmask_b32_e64 v22, v3, v5, s[4:5]
	v_cmp_eq_u32_e64 s[8:9], 2, v1
	v_cmp_eq_u32_e64 s[10:11], 3, v1
	;; [unrolled: 1-line block ×7, first 2 shown]
	v_cndmask_b32_e64 v1, v2, v4, s[4:5]
	v_cndmask_b32_e64 v22, v22, v7, s[8:9]
	;; [unrolled: 1-line block ×7, first 2 shown]
	ds_read_b64 v[25:26], v24 offset:16
	v_cndmask_b32_e64 v22, v22, v13, s[14:15]
	v_cndmask_b32_e64 v1, v1, v12, s[14:15]
	;; [unrolled: 1-line block ×8, first 2 shown]
	s_waitcnt lgkmcnt(0)
	v_fma_f64 v[20:21], v[22:23], v[25:26], v[20:21]
	s_and_saveexec_b64 s[20:21], s[2:3]
	s_cbranch_execz .LBB8_54
; %bb.45:
	v_add_u32_e32 v1, 3, v0
	v_cmp_eq_u32_e64 s[2:3], 1, v1
	v_cndmask_b32_e64 v22, v3, v5, s[2:3]
	v_cmp_eq_u32_e64 s[4:5], 2, v1
	v_cmp_eq_u32_e64 s[8:9], 3, v1
	;; [unrolled: 1-line block ×7, first 2 shown]
	v_cndmask_b32_e64 v1, v2, v4, s[2:3]
	v_cndmask_b32_e64 v22, v22, v7, s[4:5]
	;; [unrolled: 1-line block ×7, first 2 shown]
	ds_read_b64 v[25:26], v24 offset:24
	v_cndmask_b32_e64 v22, v22, v13, s[12:13]
	v_cndmask_b32_e64 v1, v1, v12, s[12:13]
	;; [unrolled: 1-line block ×8, first 2 shown]
	s_waitcnt lgkmcnt(0)
	v_fma_f64 v[20:21], v[22:23], v[25:26], v[20:21]
	v_cmp_ne_u32_e64 s[2:3], 4, v0
	s_and_saveexec_b64 s[36:37], s[2:3]
	s_cbranch_execz .LBB8_53
; %bb.46:
	v_add_u32_e32 v1, 4, v0
	v_cmp_eq_u32_e64 s[2:3], 1, v1
	v_cndmask_b32_e64 v22, v3, v5, s[2:3]
	v_cmp_eq_u32_e64 s[4:5], 2, v1
	v_cmp_eq_u32_e64 s[8:9], 3, v1
	;; [unrolled: 1-line block ×7, first 2 shown]
	v_cndmask_b32_e64 v1, v2, v4, s[2:3]
	v_cndmask_b32_e64 v22, v22, v7, s[4:5]
	;; [unrolled: 1-line block ×7, first 2 shown]
	ds_read_b64 v[25:26], v24 offset:32
	v_cndmask_b32_e64 v22, v22, v13, s[12:13]
	v_cndmask_b32_e64 v1, v1, v12, s[12:13]
	;; [unrolled: 1-line block ×8, first 2 shown]
	s_waitcnt lgkmcnt(0)
	v_fma_f64 v[20:21], v[22:23], v[25:26], v[20:21]
	s_and_saveexec_b64 s[18:19], vcc
	s_cbranch_execz .LBB8_52
; %bb.47:
	v_add_u32_e32 v1, 5, v0
	v_cmp_eq_u32_e32 vcc, 1, v1
	v_cndmask_b32_e32 v22, v3, v5, vcc
	v_cmp_eq_u32_e64 s[2:3], 2, v1
	v_cmp_eq_u32_e64 s[4:5], 3, v1
	;; [unrolled: 1-line block ×7, first 2 shown]
	v_cndmask_b32_e32 v1, v2, v4, vcc
	v_cndmask_b32_e64 v22, v22, v7, s[2:3]
	v_cndmask_b32_e64 v1, v1, v6, s[2:3]
	v_cndmask_b32_e64 v22, v22, v9, s[4:5]
	v_cndmask_b32_e64 v1, v1, v8, s[4:5]
	v_cndmask_b32_e64 v22, v22, v11, s[8:9]
	v_cndmask_b32_e64 v1, v1, v10, s[8:9]
	ds_read_b64 v[25:26], v24 offset:40
	v_cndmask_b32_e64 v22, v22, v13, s[10:11]
	v_cndmask_b32_e64 v1, v1, v12, s[10:11]
	;; [unrolled: 1-line block ×8, first 2 shown]
	s_waitcnt lgkmcnt(0)
	v_fma_f64 v[20:21], v[22:23], v[25:26], v[20:21]
	v_cmp_ne_u32_e32 vcc, 2, v0
	s_and_saveexec_b64 s[38:39], vcc
	s_cbranch_execz .LBB8_51
; %bb.48:
	v_add_u32_e32 v1, 6, v0
	v_cmp_eq_u32_e32 vcc, 1, v1
	v_cndmask_b32_e32 v22, v3, v5, vcc
	v_cmp_eq_u32_e64 s[2:3], 2, v1
	v_cndmask_b32_e64 v22, v22, v7, s[2:3]
	v_cmp_eq_u32_e64 s[4:5], 3, v1
	v_cndmask_b32_e64 v22, v22, v9, s[4:5]
	v_cmp_eq_u32_e64 s[8:9], 4, v1
	v_cndmask_b32_e64 v22, v22, v11, s[8:9]
	v_cmp_eq_u32_e64 s[10:11], 5, v1
	v_cndmask_b32_e64 v22, v22, v13, s[10:11]
	v_cmp_eq_u32_e64 s[12:13], 6, v1
	v_cmp_eq_u32_e64 s[14:15], 7, v1
	;; [unrolled: 1-line block ×3, first 2 shown]
	v_cndmask_b32_e32 v1, v2, v4, vcc
	v_cndmask_b32_e64 v22, v22, v15, s[12:13]
	v_cndmask_b32_e64 v1, v1, v6, s[2:3]
	;; [unrolled: 1-line block ×6, first 2 shown]
	ds_read_b64 v[22:23], v24 offset:48
	v_cndmask_b32_e64 v1, v1, v12, s[10:11]
	v_cndmask_b32_e64 v1, v1, v14, s[12:13]
	;; [unrolled: 1-line block ×4, first 2 shown]
	s_waitcnt lgkmcnt(0)
	v_fma_f64 v[20:21], v[18:19], v[22:23], v[20:21]
	s_and_saveexec_b64 s[2:3], s[0:1]
	s_cbranch_execz .LBB8_50
; %bb.49:
	ds_read_b64 v[18:19], v24 offset:56
	s_waitcnt lgkmcnt(0)
	v_fma_f64 v[20:21], v[16:17], v[18:19], v[20:21]
.LBB8_50:
	s_or_b64 exec, exec, s[2:3]
.LBB8_51:
	s_or_b64 exec, exec, s[38:39]
.LBB8_52:
	s_or_b64 exec, exec, s[18:19]
.LBB8_53:
	s_or_b64 exec, exec, s[36:37]
.LBB8_54:
	s_or_b64 exec, exec, s[20:21]
.LBB8_55:
	s_or_b64 exec, exec, s[34:35]
.LBB8_56:
	s_or_b64 exec, exec, s[22:23]
	v_mov_b32_e32 v1, 0
	ds_read_b64 v[18:19], v1 offset:64
	s_waitcnt lgkmcnt(0)
	v_mul_f64 v[18:19], v[20:21], v[18:19]
.LBB8_57:
	s_or_b64 exec, exec, s[24:25]
	; wave barrier
	s_cbranch_execnz .LBB8_15
	s_branch .LBB8_16
.LBB8_58:
	v_mov_b32_e32 v1, 0x50
	v_lshl_add_u32 v1, v0, 3, v1
	v_cmp_eq_u32_e32 vcc, 8, v0
	s_and_saveexec_b64 s[0:1], vcc
; %bb.59:
	ds_write_b64 v1, v[16:17]
	v_mov_b32_e32 v16, 0
	v_mov_b32_e32 v17, v16
; %bb.60:
	s_or_b64 exec, exec, s[0:1]
	v_mov_b32_e32 v34, 0
	s_waitcnt lgkmcnt(0)
	; wave barrier
	ds_read_b64 v[35:36], v34 offset:144
	v_cmp_lt_u32_e32 vcc, 6, v0
	s_waitcnt lgkmcnt(0)
	v_fma_f64 v[35:36], v[18:19], v[35:36], 0
	v_add_f64 v[16:17], v[16:17], -v[35:36]
	s_and_saveexec_b64 s[0:1], vcc
	s_cbranch_execz .LBB8_62
; %bb.61:
	v_mov_b32_e32 v22, v2
	v_mov_b32_e32 v23, v3
	;; [unrolled: 1-line block ×17, first 2 shown]
	ds_write_b64 v1, v[14:15]
	v_mov_b32_e32 v2, v22
	v_mov_b32_e32 v3, v23
	;; [unrolled: 1-line block ×32, first 2 shown]
.LBB8_62:
	s_or_b64 exec, exec, s[0:1]
	s_waitcnt lgkmcnt(0)
	; wave barrier
	ds_read2_b64 v[34:37], v34 offset0:17 offset1:18
	v_cmp_lt_u32_e32 vcc, 5, v0
	s_waitcnt lgkmcnt(0)
	v_fma_f64 v[34:35], v[16:17], v[34:35], 0
	v_fma_f64 v[34:35], v[18:19], v[36:37], v[34:35]
	v_add_f64 v[14:15], v[14:15], -v[34:35]
	s_and_saveexec_b64 s[0:1], vcc
	s_cbranch_execz .LBB8_64
; %bb.63:
	v_mov_b32_e32 v30, 0
	v_mov_b32_e32 v20, v2
	;; [unrolled: 1-line block ×18, first 2 shown]
	ds_write_b64 v1, v[12:13]
	v_mov_b32_e32 v2, v20
	v_mov_b32_e32 v3, v21
	;; [unrolled: 1-line block ×32, first 2 shown]
.LBB8_64:
	s_or_b64 exec, exec, s[0:1]
	v_mov_b32_e32 v34, 0
	s_waitcnt lgkmcnt(0)
	; wave barrier
	ds_read_b128 v[35:38], v34 offset:128
	ds_read_b64 v[39:40], v34 offset:144
	v_cmp_lt_u32_e32 vcc, 4, v0
	s_waitcnt lgkmcnt(1)
	v_fma_f64 v[35:36], v[14:15], v[35:36], 0
	v_fma_f64 v[35:36], v[16:17], v[37:38], v[35:36]
	s_waitcnt lgkmcnt(0)
	v_fma_f64 v[35:36], v[18:19], v[39:40], v[35:36]
	v_add_f64 v[12:13], v[12:13], -v[35:36]
	s_and_saveexec_b64 s[0:1], vcc
	s_cbranch_execz .LBB8_66
; %bb.65:
	v_mov_b32_e32 v26, v2
	v_mov_b32_e32 v27, v3
	;; [unrolled: 1-line block ×17, first 2 shown]
	ds_write_b64 v1, v[10:11]
	v_mov_b32_e32 v2, v26
	v_mov_b32_e32 v3, v27
	;; [unrolled: 1-line block ×32, first 2 shown]
.LBB8_66:
	s_or_b64 exec, exec, s[0:1]
	s_waitcnt lgkmcnt(0)
	; wave barrier
	ds_read2_b64 v[35:38], v34 offset0:15 offset1:16
	ds_read2_b64 v[39:42], v34 offset0:17 offset1:18
	v_cmp_lt_u32_e32 vcc, 3, v0
	s_waitcnt lgkmcnt(1)
	v_fma_f64 v[34:35], v[12:13], v[35:36], 0
	v_fma_f64 v[34:35], v[14:15], v[37:38], v[34:35]
	s_waitcnt lgkmcnt(0)
	v_fma_f64 v[34:35], v[16:17], v[39:40], v[34:35]
	v_fma_f64 v[34:35], v[18:19], v[41:42], v[34:35]
	v_add_f64 v[10:11], v[10:11], -v[34:35]
	s_and_saveexec_b64 s[0:1], vcc
	s_cbranch_execz .LBB8_68
; %bb.67:
	v_mov_b32_e32 v26, 0
	v_mov_b32_e32 v20, v2
	;; [unrolled: 1-line block ×18, first 2 shown]
	ds_write_b64 v1, v[8:9]
	v_mov_b32_e32 v2, v20
	v_mov_b32_e32 v3, v21
	;; [unrolled: 1-line block ×32, first 2 shown]
.LBB8_68:
	s_or_b64 exec, exec, s[0:1]
	v_mov_b32_e32 v34, 0
	s_waitcnt lgkmcnt(0)
	; wave barrier
	ds_read_b128 v[35:38], v34 offset:112
	ds_read_b128 v[39:42], v34 offset:128
	v_cmp_lt_u32_e32 vcc, 2, v0
	s_waitcnt lgkmcnt(1)
	v_fma_f64 v[35:36], v[10:11], v[35:36], 0
	v_fma_f64 v[35:36], v[12:13], v[37:38], v[35:36]
	ds_read_b64 v[37:38], v34 offset:144
	s_waitcnt lgkmcnt(1)
	v_fma_f64 v[35:36], v[14:15], v[39:40], v[35:36]
	v_fma_f64 v[35:36], v[16:17], v[41:42], v[35:36]
	s_waitcnt lgkmcnt(0)
	v_fma_f64 v[35:36], v[18:19], v[37:38], v[35:36]
	v_add_f64 v[8:9], v[8:9], -v[35:36]
	s_and_saveexec_b64 s[0:1], vcc
	s_cbranch_execz .LBB8_70
; %bb.69:
	v_mov_b32_e32 v30, v2
	v_mov_b32_e32 v31, v3
	;; [unrolled: 1-line block ×17, first 2 shown]
	ds_write_b64 v1, v[6:7]
	v_mov_b32_e32 v2, v30
	v_mov_b32_e32 v3, v31
	;; [unrolled: 1-line block ×32, first 2 shown]
.LBB8_70:
	s_or_b64 exec, exec, s[0:1]
	s_waitcnt lgkmcnt(0)
	; wave barrier
	ds_read2_b64 v[35:38], v34 offset0:13 offset1:14
	ds_read2_b64 v[39:42], v34 offset0:15 offset1:16
	v_cmp_lt_u32_e32 vcc, 1, v0
	s_waitcnt lgkmcnt(1)
	v_fma_f64 v[35:36], v[8:9], v[35:36], 0
	v_fma_f64 v[35:36], v[10:11], v[37:38], v[35:36]
	s_waitcnt lgkmcnt(0)
	v_fma_f64 v[35:36], v[12:13], v[39:40], v[35:36]
	v_fma_f64 v[38:39], v[14:15], v[41:42], v[35:36]
	ds_read2_b64 v[34:37], v34 offset0:17 offset1:18
	s_waitcnt lgkmcnt(0)
	v_fma_f64 v[34:35], v[16:17], v[34:35], v[38:39]
	v_fma_f64 v[34:35], v[18:19], v[36:37], v[34:35]
	v_add_f64 v[6:7], v[6:7], -v[34:35]
	s_and_saveexec_b64 s[0:1], vcc
	s_cbranch_execz .LBB8_72
; %bb.71:
	v_mov_b32_e32 v22, 0
	v_mov_b32_e32 v20, v2
	;; [unrolled: 1-line block ×18, first 2 shown]
	ds_write_b64 v1, v[4:5]
	v_mov_b32_e32 v2, v20
	v_mov_b32_e32 v3, v21
	v_mov_b32_e32 v4, v22
	v_mov_b32_e32 v5, v23
	v_mov_b32_e32 v6, v24
	v_mov_b32_e32 v7, v25
	v_mov_b32_e32 v8, v26
	v_mov_b32_e32 v9, v27
	v_mov_b32_e32 v10, v28
	v_mov_b32_e32 v11, v29
	v_mov_b32_e32 v12, v30
	v_mov_b32_e32 v13, v31
	v_mov_b32_e32 v14, v32
	v_mov_b32_e32 v15, v33
	v_mov_b32_e32 v16, v34
	v_mov_b32_e32 v17, v35
	v_mov_b32_e32 v18, v36
	v_mov_b32_e32 v19, v37
	v_mov_b32_e32 v20, v38
	v_mov_b32_e32 v21, v39
	v_mov_b32_e32 v22, v40
	v_mov_b32_e32 v23, v41
	v_mov_b32_e32 v24, v42
	v_mov_b32_e32 v25, v43
	v_mov_b32_e32 v26, v44
	v_mov_b32_e32 v27, v45
	v_mov_b32_e32 v28, v46
	v_mov_b32_e32 v29, v47
	v_mov_b32_e32 v30, v48
	v_mov_b32_e32 v31, v49
	v_mov_b32_e32 v32, v50
	v_mov_b32_e32 v33, v51
.LBB8_72:
	s_or_b64 exec, exec, s[0:1]
	v_mov_b32_e32 v34, 0
	s_waitcnt lgkmcnt(0)
	; wave barrier
	ds_read_b128 v[35:38], v34 offset:96
	ds_read_b128 v[39:42], v34 offset:112
	v_cmp_ne_u32_e32 vcc, 0, v0
	s_waitcnt lgkmcnt(1)
	v_fma_f64 v[35:36], v[6:7], v[35:36], 0
	v_fma_f64 v[35:36], v[8:9], v[37:38], v[35:36]
	s_waitcnt lgkmcnt(0)
	v_fma_f64 v[35:36], v[10:11], v[39:40], v[35:36]
	v_fma_f64 v[39:40], v[12:13], v[41:42], v[35:36]
	ds_read_b128 v[35:38], v34 offset:128
	ds_read_b64 v[41:42], v34 offset:144
	s_waitcnt lgkmcnt(1)
	v_fma_f64 v[35:36], v[14:15], v[35:36], v[39:40]
	v_fma_f64 v[35:36], v[16:17], v[37:38], v[35:36]
	s_waitcnt lgkmcnt(0)
	v_fma_f64 v[35:36], v[18:19], v[41:42], v[35:36]
	v_add_f64 v[4:5], v[4:5], -v[35:36]
	s_and_saveexec_b64 s[0:1], vcc
	s_cbranch_execz .LBB8_74
; %bb.73:
	v_mov_b32_e32 v35, v34
	v_mov_b32_e32 v36, v4
	;; [unrolled: 1-line block ×17, first 2 shown]
	ds_write_b64 v1, v[2:3]
	v_mov_b32_e32 v2, v34
	v_mov_b32_e32 v3, v35
	;; [unrolled: 1-line block ×32, first 2 shown]
.LBB8_74:
	s_or_b64 exec, exec, s[0:1]
	s_waitcnt lgkmcnt(0)
	; wave barrier
	ds_read2_b64 v[35:38], v34 offset0:11 offset1:12
	ds_read2_b64 v[39:42], v34 offset0:13 offset1:14
	s_and_b64 vcc, exec, s[30:31]
	s_waitcnt lgkmcnt(1)
	v_fma_f64 v[0:1], v[4:5], v[35:36], 0
	v_fma_f64 v[0:1], v[6:7], v[37:38], v[0:1]
	s_waitcnt lgkmcnt(0)
	v_fma_f64 v[0:1], v[8:9], v[39:40], v[0:1]
	v_fma_f64 v[0:1], v[10:11], v[41:42], v[0:1]
	ds_read2_b64 v[35:38], v34 offset0:15 offset1:16
	ds_read2_b64 v[39:42], v34 offset0:17 offset1:18
	s_waitcnt lgkmcnt(1)
	v_fma_f64 v[0:1], v[12:13], v[35:36], v[0:1]
	v_fma_f64 v[0:1], v[14:15], v[37:38], v[0:1]
	s_waitcnt lgkmcnt(0)
	v_fma_f64 v[0:1], v[16:17], v[39:40], v[0:1]
	v_fma_f64 v[0:1], v[18:19], v[41:42], v[0:1]
	v_add_f64 v[2:3], v[2:3], -v[0:1]
	s_cbranch_vccz .LBB8_91
; %bb.75:
	v_mov_b32_e32 v0, 0
	global_load_dword v1, v0, s[28:29] offset:28
	s_waitcnt vmcnt(0)
	v_readfirstlane_b32 s0, v1
	s_add_i32 s0, s0, -1
	s_cmp_lg_u32 s0, 7
	s_cbranch_scc0 .LBB8_77
; %bb.76:
	s_lshl_b32 s0, s0, 1
	s_set_gpr_idx_on s0, gpr_idx(SRC0)
	v_mov_b32_e32 v1, v3
	v_mov_b32_e32 v50, v2
	s_set_gpr_idx_off
	v_mov_b32_e32 v49, v33
	v_mov_b32_e32 v48, v32
	;; [unrolled: 1-line block ×34, first 2 shown]
	s_set_gpr_idx_on s0, gpr_idx(DST)
	v_mov_b32_e32 v18, v16
	v_mov_b32_e32 v19, v17
	s_set_gpr_idx_off
	v_mov_b32_e32 v2, v18
	v_mov_b32_e32 v3, v19
	;; [unrolled: 1-line block ×32, first 2 shown]
.LBB8_77:
	global_load_dword v0, v0, s[28:29] offset:24
	s_waitcnt vmcnt(0)
	v_readfirstlane_b32 s0, v0
	s_add_i32 s0, s0, -1
	s_cmp_eq_u32 s0, 6
	s_cbranch_scc1 .LBB8_79
; %bb.78:
	s_lshl_b32 s0, s0, 1
	s_set_gpr_idx_on s0, gpr_idx(SRC0)
	v_mov_b32_e32 v0, v3
	v_mov_b32_e32 v1, v2
	s_set_gpr_idx_off
	v_mov_b32_e32 v47, v33
	v_mov_b32_e32 v46, v32
	;; [unrolled: 1-line block ×34, first 2 shown]
	s_set_gpr_idx_on s0, gpr_idx(DST)
	v_mov_b32_e32 v16, v14
	v_mov_b32_e32 v17, v15
	s_set_gpr_idx_off
	v_mov_b32_e32 v2, v16
	v_mov_b32_e32 v3, v17
	v_mov_b32_e32 v4, v18
	v_mov_b32_e32 v5, v19
	v_mov_b32_e32 v6, v20
	v_mov_b32_e32 v7, v21
	v_mov_b32_e32 v8, v22
	v_mov_b32_e32 v9, v23
	v_mov_b32_e32 v10, v24
	v_mov_b32_e32 v11, v25
	v_mov_b32_e32 v12, v26
	v_mov_b32_e32 v13, v27
	v_mov_b32_e32 v14, v28
	v_mov_b32_e32 v15, v29
	v_mov_b32_e32 v16, v30
	v_mov_b32_e32 v17, v31
	v_mov_b32_e32 v18, v32
	v_mov_b32_e32 v19, v33
	v_mov_b32_e32 v20, v34
	v_mov_b32_e32 v21, v35
	v_mov_b32_e32 v22, v36
	v_mov_b32_e32 v23, v37
	v_mov_b32_e32 v24, v38
	v_mov_b32_e32 v25, v39
	v_mov_b32_e32 v26, v40
	v_mov_b32_e32 v27, v41
	v_mov_b32_e32 v28, v42
	v_mov_b32_e32 v29, v43
	v_mov_b32_e32 v30, v44
	v_mov_b32_e32 v31, v45
	v_mov_b32_e32 v32, v46
	v_mov_b32_e32 v33, v47
.LBB8_79:
	v_mov_b32_e32 v0, 0
	global_load_dword v1, v0, s[28:29] offset:20
	s_waitcnt vmcnt(0)
	v_readfirstlane_b32 s0, v1
	s_add_i32 s0, s0, -1
	s_cmp_eq_u32 s0, 5
	s_cbranch_scc1 .LBB8_81
; %bb.80:
	s_lshl_b32 s0, s0, 1
	s_set_gpr_idx_on s0, gpr_idx(SRC0)
	v_mov_b32_e32 v1, v3
	v_mov_b32_e32 v46, v2
	s_set_gpr_idx_off
	v_mov_b32_e32 v45, v33
	v_mov_b32_e32 v44, v32
	;; [unrolled: 1-line block ×34, first 2 shown]
	s_set_gpr_idx_on s0, gpr_idx(DST)
	v_mov_b32_e32 v14, v12
	v_mov_b32_e32 v15, v13
	s_set_gpr_idx_off
	v_mov_b32_e32 v2, v14
	v_mov_b32_e32 v3, v15
	;; [unrolled: 1-line block ×32, first 2 shown]
.LBB8_81:
	global_load_dword v0, v0, s[28:29] offset:16
	s_waitcnt vmcnt(0)
	v_readfirstlane_b32 s0, v0
	s_add_i32 s0, s0, -1
	s_cmp_eq_u32 s0, 4
	s_cbranch_scc1 .LBB8_83
; %bb.82:
	s_lshl_b32 s0, s0, 1
	s_set_gpr_idx_on s0, gpr_idx(SRC0)
	v_mov_b32_e32 v0, v3
	v_mov_b32_e32 v1, v2
	s_set_gpr_idx_off
	v_mov_b32_e32 v43, v33
	v_mov_b32_e32 v42, v32
	;; [unrolled: 1-line block ×34, first 2 shown]
	s_set_gpr_idx_on s0, gpr_idx(DST)
	v_mov_b32_e32 v12, v10
	v_mov_b32_e32 v13, v11
	s_set_gpr_idx_off
	v_mov_b32_e32 v2, v12
	v_mov_b32_e32 v3, v13
	v_mov_b32_e32 v4, v14
	v_mov_b32_e32 v5, v15
	v_mov_b32_e32 v6, v16
	v_mov_b32_e32 v7, v17
	v_mov_b32_e32 v8, v18
	v_mov_b32_e32 v9, v19
	v_mov_b32_e32 v10, v20
	v_mov_b32_e32 v11, v21
	v_mov_b32_e32 v12, v22
	v_mov_b32_e32 v13, v23
	v_mov_b32_e32 v14, v24
	v_mov_b32_e32 v15, v25
	v_mov_b32_e32 v16, v26
	v_mov_b32_e32 v17, v27
	v_mov_b32_e32 v18, v28
	v_mov_b32_e32 v19, v29
	v_mov_b32_e32 v20, v30
	v_mov_b32_e32 v21, v31
	v_mov_b32_e32 v22, v32
	v_mov_b32_e32 v23, v33
	v_mov_b32_e32 v24, v34
	v_mov_b32_e32 v25, v35
	v_mov_b32_e32 v26, v36
	v_mov_b32_e32 v27, v37
	v_mov_b32_e32 v28, v38
	v_mov_b32_e32 v29, v39
	v_mov_b32_e32 v30, v40
	v_mov_b32_e32 v31, v41
	v_mov_b32_e32 v32, v42
	v_mov_b32_e32 v33, v43
.LBB8_83:
	v_mov_b32_e32 v0, 0
	global_load_dword v1, v0, s[28:29] offset:12
	s_waitcnt vmcnt(0)
	v_readfirstlane_b32 s0, v1
	s_add_i32 s0, s0, -1
	s_cmp_eq_u32 s0, 3
	s_cbranch_scc1 .LBB8_85
; %bb.84:
	s_lshl_b32 s0, s0, 1
	s_set_gpr_idx_on s0, gpr_idx(SRC0)
	v_mov_b32_e32 v1, v3
	v_mov_b32_e32 v42, v2
	s_set_gpr_idx_off
	v_mov_b32_e32 v41, v33
	v_mov_b32_e32 v40, v32
	;; [unrolled: 1-line block ×34, first 2 shown]
	s_set_gpr_idx_on s0, gpr_idx(DST)
	v_mov_b32_e32 v10, v8
	v_mov_b32_e32 v11, v9
	s_set_gpr_idx_off
	v_mov_b32_e32 v2, v10
	v_mov_b32_e32 v3, v11
	;; [unrolled: 1-line block ×32, first 2 shown]
.LBB8_85:
	global_load_dword v0, v0, s[28:29] offset:8
	s_waitcnt vmcnt(0)
	v_readfirstlane_b32 s0, v0
	s_add_i32 s0, s0, -1
	s_cmp_eq_u32 s0, 2
	s_cbranch_scc1 .LBB8_87
; %bb.86:
	s_lshl_b32 s0, s0, 1
	s_set_gpr_idx_on s0, gpr_idx(SRC0)
	v_mov_b32_e32 v0, v3
	v_mov_b32_e32 v1, v2
	s_set_gpr_idx_off
	v_mov_b32_e32 v39, v33
	v_mov_b32_e32 v38, v32
	;; [unrolled: 1-line block ×34, first 2 shown]
	s_set_gpr_idx_on s0, gpr_idx(DST)
	v_mov_b32_e32 v8, v6
	v_mov_b32_e32 v9, v7
	s_set_gpr_idx_off
	v_mov_b32_e32 v2, v8
	v_mov_b32_e32 v3, v9
	v_mov_b32_e32 v4, v10
	v_mov_b32_e32 v5, v11
	v_mov_b32_e32 v6, v12
	v_mov_b32_e32 v7, v13
	v_mov_b32_e32 v8, v14
	v_mov_b32_e32 v9, v15
	v_mov_b32_e32 v10, v16
	v_mov_b32_e32 v11, v17
	v_mov_b32_e32 v12, v18
	v_mov_b32_e32 v13, v19
	v_mov_b32_e32 v14, v20
	v_mov_b32_e32 v15, v21
	v_mov_b32_e32 v16, v22
	v_mov_b32_e32 v17, v23
	v_mov_b32_e32 v18, v24
	v_mov_b32_e32 v19, v25
	v_mov_b32_e32 v20, v26
	v_mov_b32_e32 v21, v27
	v_mov_b32_e32 v22, v28
	v_mov_b32_e32 v23, v29
	v_mov_b32_e32 v24, v30
	v_mov_b32_e32 v25, v31
	v_mov_b32_e32 v26, v32
	v_mov_b32_e32 v27, v33
	v_mov_b32_e32 v28, v34
	v_mov_b32_e32 v29, v35
	v_mov_b32_e32 v30, v36
	v_mov_b32_e32 v31, v37
	v_mov_b32_e32 v32, v38
	v_mov_b32_e32 v33, v39
.LBB8_87:
	v_mov_b32_e32 v0, 0
	global_load_dword v1, v0, s[28:29] offset:4
	s_waitcnt vmcnt(0)
	v_readfirstlane_b32 s0, v1
	s_add_i32 s0, s0, -1
	s_cmp_eq_u32 s0, 1
	s_cbranch_scc1 .LBB8_89
; %bb.88:
	s_lshl_b32 s0, s0, 1
	s_set_gpr_idx_on s0, gpr_idx(SRC0)
	v_mov_b32_e32 v1, v3
	v_mov_b32_e32 v38, v2
	s_set_gpr_idx_off
	v_mov_b32_e32 v37, v33
	v_mov_b32_e32 v36, v32
	;; [unrolled: 1-line block ×34, first 2 shown]
	s_set_gpr_idx_on s0, gpr_idx(DST)
	v_mov_b32_e32 v6, v4
	v_mov_b32_e32 v7, v5
	s_set_gpr_idx_off
	v_mov_b32_e32 v2, v6
	v_mov_b32_e32 v3, v7
	;; [unrolled: 1-line block ×32, first 2 shown]
.LBB8_89:
	global_load_dword v0, v0, s[28:29]
	s_waitcnt vmcnt(0)
	v_readfirstlane_b32 s0, v0
	s_add_i32 s0, s0, -1
	s_cmp_eq_u32 s0, 0
	s_cbranch_scc1 .LBB8_91
; %bb.90:
	s_lshl_b32 s0, s0, 1
	s_set_gpr_idx_on s0, gpr_idx(SRC0)
	v_mov_b32_e32 v0, v3
	v_mov_b32_e32 v1, v2
	s_set_gpr_idx_off
	v_mov_b32_e32 v35, v33
	v_mov_b32_e32 v34, v32
	;; [unrolled: 1-line block ×34, first 2 shown]
	s_set_gpr_idx_on s0, gpr_idx(DST)
	v_mov_b32_e32 v4, v2
	v_mov_b32_e32 v5, v3
	s_set_gpr_idx_off
	v_mov_b32_e32 v2, v4
	v_mov_b32_e32 v3, v5
	v_mov_b32_e32 v4, v6
	v_mov_b32_e32 v5, v7
	v_mov_b32_e32 v6, v8
	v_mov_b32_e32 v7, v9
	v_mov_b32_e32 v8, v10
	v_mov_b32_e32 v9, v11
	v_mov_b32_e32 v10, v12
	v_mov_b32_e32 v11, v13
	v_mov_b32_e32 v12, v14
	v_mov_b32_e32 v13, v15
	v_mov_b32_e32 v14, v16
	v_mov_b32_e32 v15, v17
	v_mov_b32_e32 v16, v18
	v_mov_b32_e32 v17, v19
	v_mov_b32_e32 v18, v20
	v_mov_b32_e32 v19, v21
	v_mov_b32_e32 v20, v22
	v_mov_b32_e32 v21, v23
	v_mov_b32_e32 v22, v24
	v_mov_b32_e32 v23, v25
	v_mov_b32_e32 v24, v26
	v_mov_b32_e32 v25, v27
	v_mov_b32_e32 v26, v28
	v_mov_b32_e32 v27, v29
	v_mov_b32_e32 v28, v30
	v_mov_b32_e32 v29, v31
	v_mov_b32_e32 v30, v32
	v_mov_b32_e32 v31, v33
	v_mov_b32_e32 v32, v34
	v_mov_b32_e32 v33, v35
.LBB8_91:
	global_store_dwordx2 v[66:67], v[2:3], off
	global_store_dwordx2 v[68:69], v[4:5], off
	;; [unrolled: 1-line block ×9, first 2 shown]
	s_endpgm
	.section	.rodata,"a",@progbits
	.p2align	6, 0x0
	.amdhsa_kernel _ZN9rocsolver6v33100L18getri_kernel_smallILi9EdPdEEvT1_iilPiilS4_bb
		.amdhsa_group_segment_fixed_size 152
		.amdhsa_private_segment_fixed_size 0
		.amdhsa_kernarg_size 60
		.amdhsa_user_sgpr_count 6
		.amdhsa_user_sgpr_private_segment_buffer 1
		.amdhsa_user_sgpr_dispatch_ptr 0
		.amdhsa_user_sgpr_queue_ptr 0
		.amdhsa_user_sgpr_kernarg_segment_ptr 1
		.amdhsa_user_sgpr_dispatch_id 0
		.amdhsa_user_sgpr_flat_scratch_init 0
		.amdhsa_user_sgpr_private_segment_size 0
		.amdhsa_uses_dynamic_stack 0
		.amdhsa_system_sgpr_private_segment_wavefront_offset 0
		.amdhsa_system_sgpr_workgroup_id_x 1
		.amdhsa_system_sgpr_workgroup_id_y 0
		.amdhsa_system_sgpr_workgroup_id_z 0
		.amdhsa_system_sgpr_workgroup_info 0
		.amdhsa_system_vgpr_workitem_id 0
		.amdhsa_next_free_vgpr 70
		.amdhsa_next_free_sgpr 40
		.amdhsa_reserve_vcc 1
		.amdhsa_reserve_flat_scratch 0
		.amdhsa_float_round_mode_32 0
		.amdhsa_float_round_mode_16_64 0
		.amdhsa_float_denorm_mode_32 3
		.amdhsa_float_denorm_mode_16_64 3
		.amdhsa_dx10_clamp 1
		.amdhsa_ieee_mode 1
		.amdhsa_fp16_overflow 0
		.amdhsa_exception_fp_ieee_invalid_op 0
		.amdhsa_exception_fp_denorm_src 0
		.amdhsa_exception_fp_ieee_div_zero 0
		.amdhsa_exception_fp_ieee_overflow 0
		.amdhsa_exception_fp_ieee_underflow 0
		.amdhsa_exception_fp_ieee_inexact 0
		.amdhsa_exception_int_div_zero 0
	.end_amdhsa_kernel
	.section	.text._ZN9rocsolver6v33100L18getri_kernel_smallILi9EdPdEEvT1_iilPiilS4_bb,"axG",@progbits,_ZN9rocsolver6v33100L18getri_kernel_smallILi9EdPdEEvT1_iilPiilS4_bb,comdat
.Lfunc_end8:
	.size	_ZN9rocsolver6v33100L18getri_kernel_smallILi9EdPdEEvT1_iilPiilS4_bb, .Lfunc_end8-_ZN9rocsolver6v33100L18getri_kernel_smallILi9EdPdEEvT1_iilPiilS4_bb
                                        ; -- End function
	.set _ZN9rocsolver6v33100L18getri_kernel_smallILi9EdPdEEvT1_iilPiilS4_bb.num_vgpr, 70
	.set _ZN9rocsolver6v33100L18getri_kernel_smallILi9EdPdEEvT1_iilPiilS4_bb.num_agpr, 0
	.set _ZN9rocsolver6v33100L18getri_kernel_smallILi9EdPdEEvT1_iilPiilS4_bb.numbered_sgpr, 40
	.set _ZN9rocsolver6v33100L18getri_kernel_smallILi9EdPdEEvT1_iilPiilS4_bb.num_named_barrier, 0
	.set _ZN9rocsolver6v33100L18getri_kernel_smallILi9EdPdEEvT1_iilPiilS4_bb.private_seg_size, 0
	.set _ZN9rocsolver6v33100L18getri_kernel_smallILi9EdPdEEvT1_iilPiilS4_bb.uses_vcc, 1
	.set _ZN9rocsolver6v33100L18getri_kernel_smallILi9EdPdEEvT1_iilPiilS4_bb.uses_flat_scratch, 0
	.set _ZN9rocsolver6v33100L18getri_kernel_smallILi9EdPdEEvT1_iilPiilS4_bb.has_dyn_sized_stack, 0
	.set _ZN9rocsolver6v33100L18getri_kernel_smallILi9EdPdEEvT1_iilPiilS4_bb.has_recursion, 0
	.set _ZN9rocsolver6v33100L18getri_kernel_smallILi9EdPdEEvT1_iilPiilS4_bb.has_indirect_call, 0
	.section	.AMDGPU.csdata,"",@progbits
; Kernel info:
; codeLenInByte = 9920
; TotalNumSgprs: 44
; NumVgprs: 70
; ScratchSize: 0
; MemoryBound: 0
; FloatMode: 240
; IeeeMode: 1
; LDSByteSize: 152 bytes/workgroup (compile time only)
; SGPRBlocks: 5
; VGPRBlocks: 17
; NumSGPRsForWavesPerEU: 44
; NumVGPRsForWavesPerEU: 70
; Occupancy: 3
; WaveLimiterHint : 0
; COMPUTE_PGM_RSRC2:SCRATCH_EN: 0
; COMPUTE_PGM_RSRC2:USER_SGPR: 6
; COMPUTE_PGM_RSRC2:TRAP_HANDLER: 0
; COMPUTE_PGM_RSRC2:TGID_X_EN: 1
; COMPUTE_PGM_RSRC2:TGID_Y_EN: 0
; COMPUTE_PGM_RSRC2:TGID_Z_EN: 0
; COMPUTE_PGM_RSRC2:TIDIG_COMP_CNT: 0
	.section	.text._ZN9rocsolver6v33100L18getri_kernel_smallILi10EdPdEEvT1_iilPiilS4_bb,"axG",@progbits,_ZN9rocsolver6v33100L18getri_kernel_smallILi10EdPdEEvT1_iilPiilS4_bb,comdat
	.globl	_ZN9rocsolver6v33100L18getri_kernel_smallILi10EdPdEEvT1_iilPiilS4_bb ; -- Begin function _ZN9rocsolver6v33100L18getri_kernel_smallILi10EdPdEEvT1_iilPiilS4_bb
	.p2align	8
	.type	_ZN9rocsolver6v33100L18getri_kernel_smallILi10EdPdEEvT1_iilPiilS4_bb,@function
_ZN9rocsolver6v33100L18getri_kernel_smallILi10EdPdEEvT1_iilPiilS4_bb: ; @_ZN9rocsolver6v33100L18getri_kernel_smallILi10EdPdEEvT1_iilPiilS4_bb
; %bb.0:
	v_cmp_gt_u32_e32 vcc, 10, v0
	s_and_saveexec_b64 s[0:1], vcc
	s_cbranch_execz .LBB9_16
; %bb.1:
	s_load_dword s0, s[4:5], 0x38
	s_load_dwordx4 s[8:11], s[4:5], 0x10
	s_load_dwordx4 s[24:27], s[4:5], 0x28
                                        ; implicit-def: $sgpr28_sgpr29
	s_waitcnt lgkmcnt(0)
	s_bitcmp1_b32 s0, 8
	s_cselect_b64 s[30:31], -1, 0
	s_ashr_i32 s7, s6, 31
	s_bfe_u32 s0, s0, 0x10008
	s_cmp_eq_u32 s0, 0
	s_cbranch_scc1 .LBB9_3
; %bb.2:
	s_load_dword s0, s[4:5], 0x20
	s_mul_i32 s1, s24, s7
	s_mul_hi_u32 s2, s24, s6
	s_mul_i32 s3, s25, s6
	s_add_i32 s2, s2, s1
	s_add_i32 s3, s2, s3
	s_mul_i32 s2, s24, s6
	s_waitcnt lgkmcnt(0)
	s_ashr_i32 s1, s0, 31
	s_lshl_b64 s[2:3], s[2:3], 2
	s_add_u32 s2, s10, s2
	s_addc_u32 s3, s11, s3
	s_lshl_b64 s[0:1], s[0:1], 2
	s_add_u32 s28, s2, s0
	s_addc_u32 s29, s3, s1
.LBB9_3:
	s_load_dwordx4 s[0:3], s[4:5], 0x0
	s_load_dword s10, s[4:5], 0x38
	s_mul_i32 s11, s8, s7
	s_mul_hi_u32 s12, s8, s6
	s_mul_i32 s9, s9, s6
	s_waitcnt lgkmcnt(0)
	s_ashr_i32 s5, s2, 31
	s_mov_b32 s4, s2
	s_add_i32 s2, s12, s11
	s_add_i32 s9, s2, s9
	s_mul_i32 s8, s8, s6
	s_lshl_b64 s[8:9], s[8:9], 3
	s_add_u32 s2, s0, s8
	s_addc_u32 s8, s1, s9
	s_lshl_b64 s[0:1], s[4:5], 3
	s_add_u32 s0, s2, s0
	s_addc_u32 s1, s8, s1
	s_add_i32 s2, s3, s3
	v_add_u32_e32 v1, s2, v0
	v_ashrrev_i32_e32 v2, 31, v1
	v_lshlrev_b64 v[2:3], 3, v[1:2]
	v_add_u32_e32 v1, s3, v1
	v_mov_b32_e32 v4, s1
	v_add_co_u32_e32 v52, vcc, s0, v2
	v_ashrrev_i32_e32 v2, 31, v1
	v_addc_co_u32_e32 v53, vcc, v4, v3, vcc
	v_lshlrev_b64 v[2:3], 3, v[1:2]
	v_add_u32_e32 v1, s3, v1
	v_add_co_u32_e32 v54, vcc, s0, v2
	v_ashrrev_i32_e32 v2, 31, v1
	v_addc_co_u32_e32 v55, vcc, v4, v3, vcc
	v_lshlrev_b64 v[2:3], 3, v[1:2]
	v_add_u32_e32 v1, s3, v1
	v_add_co_u32_e32 v56, vcc, s0, v2
	v_ashrrev_i32_e32 v2, 31, v1
	v_addc_co_u32_e32 v57, vcc, v4, v3, vcc
	v_lshlrev_b64 v[2:3], 3, v[1:2]
	v_add_u32_e32 v1, s3, v1
	v_add_co_u32_e32 v58, vcc, s0, v2
	v_ashrrev_i32_e32 v2, 31, v1
	v_addc_co_u32_e32 v59, vcc, v4, v3, vcc
	v_lshlrev_b64 v[2:3], 3, v[1:2]
	v_add_u32_e32 v1, s3, v1
	v_add_co_u32_e32 v60, vcc, s0, v2
	v_ashrrev_i32_e32 v2, 31, v1
	v_addc_co_u32_e32 v61, vcc, v4, v3, vcc
	v_lshlrev_b64 v[2:3], 3, v[1:2]
	v_add_u32_e32 v1, s3, v1
	v_add_co_u32_e32 v62, vcc, s0, v2
	v_ashrrev_i32_e32 v2, 31, v1
	v_addc_co_u32_e32 v63, vcc, v4, v3, vcc
	v_lshlrev_b64 v[2:3], 3, v[1:2]
	v_add_u32_e32 v1, s3, v1
	v_add_co_u32_e32 v64, vcc, s0, v2
	v_ashrrev_i32_e32 v2, 31, v1
	v_lshlrev_b64 v[1:2], 3, v[1:2]
	v_addc_co_u32_e32 v65, vcc, v4, v3, vcc
	v_mov_b32_e32 v3, s1
	v_add_co_u32_e32 v66, vcc, s0, v1
	v_addc_co_u32_e32 v67, vcc, v3, v2, vcc
	v_lshlrev_b32_e32 v24, 3, v0
	v_mov_b32_e32 v1, s1
	v_add_co_u32_e32 v68, vcc, s0, v24
	s_ashr_i32 s5, s3, 31
	s_mov_b32 s4, s3
	v_addc_co_u32_e32 v69, vcc, 0, v1, vcc
	s_lshl_b64 s[2:3], s[4:5], 3
	v_mov_b32_e32 v1, s3
	v_add_co_u32_e32 v70, vcc, s2, v68
	v_addc_co_u32_e32 v71, vcc, v69, v1, vcc
	global_load_dwordx2 v[2:3], v24, s[0:1]
	global_load_dwordx2 v[4:5], v[70:71], off
	global_load_dwordx2 v[6:7], v[52:53], off
	;; [unrolled: 1-line block ×9, first 2 shown]
	v_mov_b32_e32 v1, 0
	s_bitcmp0_b32 s10, 0
	s_mov_b64 s[0:1], -1
	s_cbranch_scc1 .LBB9_14
; %bb.4:
	v_cmp_eq_u32_e64 s[0:1], 0, v0
	s_and_saveexec_b64 s[2:3], s[0:1]
; %bb.5:
	v_mov_b32_e32 v22, 0
	ds_write_b32 v22, v22 offset:160
; %bb.6:
	s_or_b64 exec, exec, s[2:3]
	v_cmp_eq_u32_e32 vcc, 1, v0
	s_waitcnt vmcnt(8)
	v_cndmask_b32_e32 v22, v3, v5, vcc
	v_cmp_eq_u32_e64 s[2:3], 2, v0
	s_waitcnt vmcnt(7)
	v_cndmask_b32_e64 v22, v22, v7, s[2:3]
	v_cmp_eq_u32_e64 s[4:5], 3, v0
	s_waitcnt vmcnt(6)
	v_cndmask_b32_e64 v22, v22, v9, s[4:5]
	;; [unrolled: 3-line block ×8, first 2 shown]
	v_cndmask_b32_e32 v22, v2, v4, vcc
	v_cndmask_b32_e64 v22, v22, v6, s[2:3]
	v_cndmask_b32_e64 v22, v22, v8, s[4:5]
	;; [unrolled: 1-line block ×8, first 2 shown]
	v_cmp_eq_f64_e32 vcc, 0, v[22:23]
	s_waitcnt lgkmcnt(0)
	; wave barrier
	s_and_saveexec_b64 s[4:5], vcc
	s_cbranch_execz .LBB9_10
; %bb.7:
	v_mov_b32_e32 v25, 0
	ds_read_b32 v27, v25 offset:160
	v_add_u32_e32 v26, 1, v0
	s_waitcnt lgkmcnt(0)
	v_readfirstlane_b32 s2, v27
	s_cmp_eq_u32 s2, 0
	s_cselect_b64 s[8:9], -1, 0
	v_cmp_gt_i32_e32 vcc, s2, v26
	s_or_b64 s[8:9], s[8:9], vcc
	s_and_b64 exec, exec, s[8:9]
	s_cbranch_execz .LBB9_10
; %bb.8:
	s_mov_b64 s[8:9], 0
	v_mov_b32_e32 v27, s2
.LBB9_9:                                ; =>This Inner Loop Header: Depth=1
	ds_cmpst_rtn_b32 v27, v25, v27, v26 offset:160
	s_waitcnt lgkmcnt(0)
	v_cmp_ne_u32_e32 vcc, 0, v27
	v_cmp_le_i32_e64 s[2:3], v27, v26
	s_and_b64 s[2:3], vcc, s[2:3]
	s_and_b64 s[2:3], exec, s[2:3]
	s_or_b64 s[8:9], s[2:3], s[8:9]
	s_andn2_b64 exec, exec, s[8:9]
	s_cbranch_execnz .LBB9_9
.LBB9_10:
	s_or_b64 exec, exec, s[4:5]
	v_mov_b32_e32 v26, 0
	; wave barrier
	ds_read_b32 v25, v26 offset:160
	s_and_saveexec_b64 s[2:3], s[0:1]
	s_cbranch_execz .LBB9_12
; %bb.11:
	s_lshl_b64 s[4:5], s[6:7], 2
	s_add_u32 s4, s26, s4
	s_addc_u32 s5, s27, s5
	s_waitcnt lgkmcnt(0)
	global_store_dword v26, v25, s[4:5]
.LBB9_12:
	s_or_b64 exec, exec, s[2:3]
	s_waitcnt lgkmcnt(0)
	v_cmp_ne_u32_e32 vcc, 0, v25
	s_cbranch_vccz .LBB9_17
; %bb.13:
	s_mov_b64 s[0:1], 0
                                        ; implicit-def: $vgpr2_vgpr3_vgpr4_vgpr5_vgpr6_vgpr7_vgpr8_vgpr9_vgpr10_vgpr11_vgpr12_vgpr13_vgpr14_vgpr15_vgpr16_vgpr17_vgpr18_vgpr19_vgpr20_vgpr21_vgpr22_vgpr23_vgpr24_vgpr25_vgpr26_vgpr27_vgpr28_vgpr29_vgpr30_vgpr31_vgpr32_vgpr33
.LBB9_14:
	s_and_b64 vcc, exec, s[0:1]
	s_cbranch_vccz .LBB9_16
.LBB9_15:
	s_lshl_b64 s[0:1], s[6:7], 2
	s_add_u32 s0, s26, s0
	s_addc_u32 s1, s27, s1
	v_mov_b32_e32 v1, 0
	global_load_dword v1, v1, s[0:1]
	s_waitcnt vmcnt(0)
	v_cmp_ne_u32_e32 vcc, 0, v1
	s_cbranch_vccz .LBB9_62
.LBB9_16:
	s_endpgm
.LBB9_17:
	v_div_scale_f64 v[25:26], s[2:3], v[22:23], v[22:23], 1.0
	v_rcp_f64_e32 v[27:28], v[25:26]
	v_fma_f64 v[29:30], -v[25:26], v[27:28], 1.0
	v_fma_f64 v[27:28], v[27:28], v[29:30], v[27:28]
	v_div_scale_f64 v[29:30], vcc, 1.0, v[22:23], 1.0
	v_fma_f64 v[31:32], -v[25:26], v[27:28], 1.0
	v_fma_f64 v[27:28], v[27:28], v[31:32], v[27:28]
	v_mul_f64 v[31:32], v[29:30], v[27:28]
	v_fma_f64 v[25:26], -v[25:26], v[31:32], v[29:30]
	v_div_fmas_f64 v[25:26], v[25:26], v[27:28], v[31:32]
	v_cmp_eq_u32_e32 vcc, 9, v0
	v_div_fixup_f64 v[22:23], v[25:26], v[22:23], 1.0
	v_add_u32_e32 v26, 0x50, v24
	v_cndmask_b32_e32 v21, v21, v23, vcc
	v_cndmask_b32_e32 v20, v20, v22, vcc
	v_cmp_eq_u32_e32 vcc, 8, v0
	v_cndmask_b32_e32 v19, v19, v23, vcc
	v_cndmask_b32_e32 v18, v18, v22, vcc
	v_cmp_eq_u32_e32 vcc, 7, v0
	;; [unrolled: 3-line block ×9, first 2 shown]
	v_cndmask_b32_e32 v3, v3, v23, vcc
	v_cndmask_b32_e32 v2, v2, v22, vcc
	v_xor_b32_e32 v28, 0x80000000, v23
	v_mov_b32_e32 v27, v22
	ds_write2_b64 v24, v[27:28], v[4:5] offset1:10
	s_waitcnt lgkmcnt(0)
	; wave barrier
	s_and_saveexec_b64 s[2:3], s[0:1]
	s_cbranch_execz .LBB9_19
; %bb.18:
	ds_read_b64 v[4:5], v26
	v_mov_b32_e32 v24, 0
	ds_read_b64 v[24:25], v24 offset:8
	s_waitcnt lgkmcnt(1)
	v_fma_f64 v[4:5], v[22:23], v[4:5], 0
	s_waitcnt lgkmcnt(0)
	v_mul_f64 v[4:5], v[4:5], v[24:25]
.LBB9_19:
	s_or_b64 exec, exec, s[2:3]
	v_cmp_gt_u32_e32 vcc, 2, v0
	; wave barrier
	ds_write_b64 v26, v[6:7]
	s_waitcnt lgkmcnt(0)
	; wave barrier
	s_and_saveexec_b64 s[22:23], vcc
	s_cbranch_execz .LBB9_21
; %bb.20:
	v_cmp_eq_u32_e64 s[2:3], 1, v0
	v_cndmask_b32_e64 v22, v3, v5, s[2:3]
	v_cmp_eq_u32_e64 s[4:5], 2, v0
	v_cndmask_b32_e64 v7, v22, v7, s[4:5]
	v_cndmask_b32_e64 v22, v2, v4, s[2:3]
	v_cmp_eq_u32_e64 s[8:9], 3, v0
	v_cndmask_b32_e64 v6, v22, v6, s[4:5]
	;; [unrolled: 3-line block ×5, first 2 shown]
	ds_read_b64 v[22:23], v26
	v_cndmask_b32_e64 v7, v7, v15, s[14:15]
	v_cmp_eq_u32_e64 s[16:17], 7, v0
	v_cndmask_b32_e64 v6, v6, v14, s[14:15]
	v_cndmask_b32_e64 v7, v7, v17, s[16:17]
	v_cmp_eq_u32_e64 s[18:19], 8, v0
	v_cndmask_b32_e64 v6, v6, v16, s[16:17]
	v_cndmask_b32_e64 v7, v7, v19, s[18:19]
	v_cmp_eq_u32_e64 s[20:21], 9, v0
	v_cndmask_b32_e64 v6, v6, v18, s[18:19]
	v_cndmask_b32_e64 v7, v7, v21, s[20:21]
	v_cndmask_b32_e64 v6, v6, v20, s[20:21]
	s_waitcnt lgkmcnt(0)
	v_fma_f64 v[6:7], v[6:7], v[22:23], 0
	v_mov_b32_e32 v22, 0
	ds_read2_b64 v[22:25], v22 offset0:2 offset1:11
	s_waitcnt lgkmcnt(0)
	v_fma_f64 v[24:25], v[4:5], v[24:25], v[6:7]
	v_cndmask_b32_e64 v7, v7, v25, s[0:1]
	v_cndmask_b32_e64 v6, v6, v24, s[0:1]
	v_mul_f64 v[6:7], v[6:7], v[22:23]
.LBB9_21:
	s_or_b64 exec, exec, s[22:23]
	v_cmp_gt_u32_e64 s[2:3], 3, v0
	; wave barrier
	ds_write_b64 v26, v[8:9]
	s_waitcnt lgkmcnt(0)
	; wave barrier
	s_and_saveexec_b64 s[8:9], s[2:3]
	s_cbranch_execz .LBB9_25
; %bb.22:
	v_mov_b32_e32 v22, 0x50
	v_lshl_add_u32 v27, v0, 3, v22
	v_mov_b32_e32 v22, 0
	v_mov_b32_e32 v25, v1
	v_mov_b32_e32 v23, 0
	s_mov_b64 s[10:11], 0
	v_mov_b32_e32 v24, v0
.LBB9_23:                               ; =>This Inner Loop Header: Depth=1
	v_cmp_eq_u32_e64 s[2:3], 1, v24
	v_cndmask_b32_e64 v30, v3, v5, s[2:3]
	v_cmp_eq_u32_e64 s[4:5], 2, v24
	v_cndmask_b32_e64 v30, v30, v7, s[4:5]
	v_cndmask_b32_e64 v31, v2, v4, s[2:3]
	v_cmp_eq_u32_e64 s[2:3], 3, v24
	v_cndmask_b32_e64 v30, v30, v9, s[2:3]
	v_cndmask_b32_e64 v31, v31, v6, s[4:5]
	v_cmp_eq_u32_e64 s[4:5], 4, v24
	v_cndmask_b32_e64 v30, v30, v11, s[4:5]
	v_cndmask_b32_e64 v31, v31, v8, s[2:3]
	v_cmp_eq_u32_e64 s[2:3], 5, v24
	v_cndmask_b32_e64 v30, v30, v13, s[2:3]
	v_cndmask_b32_e64 v31, v31, v10, s[4:5]
	v_cmp_eq_u32_e64 s[4:5], 6, v24
	ds_read_b64 v[28:29], v27
	v_cndmask_b32_e64 v30, v30, v15, s[4:5]
	v_cndmask_b32_e64 v31, v31, v12, s[2:3]
	v_cmp_eq_u32_e64 s[2:3], 7, v24
	v_cndmask_b32_e64 v30, v30, v17, s[2:3]
	v_cndmask_b32_e64 v31, v31, v14, s[4:5]
	v_cmp_eq_u32_e64 s[4:5], 8, v24
	v_cndmask_b32_e64 v30, v30, v19, s[4:5]
	v_cndmask_b32_e64 v32, v31, v16, s[2:3]
	v_cmp_eq_u32_e64 s[2:3], 9, v24
	v_cndmask_b32_e64 v31, v30, v21, s[2:3]
	v_cndmask_b32_e64 v30, v32, v18, s[4:5]
	v_cndmask_b32_e64 v30, v30, v20, s[2:3]
	s_waitcnt lgkmcnt(0)
	v_fma_f64 v[22:23], v[30:31], v[28:29], v[22:23]
	v_add_co_u32_e64 v24, s[2:3], 1, v24
	v_addc_co_u32_e64 v25, s[2:3], 0, v25, s[2:3]
	v_add_u32_e32 v28, -1, v24
	v_cmp_lt_u32_e64 s[2:3], 1, v28
	s_or_b64 s[10:11], s[2:3], s[10:11]
	v_add_u32_e32 v27, 8, v27
	s_andn2_b64 exec, exec, s[10:11]
	s_cbranch_execnz .LBB9_23
; %bb.24:
	s_or_b64 exec, exec, s[10:11]
	v_mov_b32_e32 v8, 0
	ds_read_b64 v[8:9], v8 offset:24
	s_waitcnt lgkmcnt(0)
	v_mul_f64 v[8:9], v[22:23], v[8:9]
.LBB9_25:
	s_or_b64 exec, exec, s[8:9]
	v_cmp_gt_u32_e64 s[2:3], 4, v0
	; wave barrier
	ds_write_b64 v26, v[10:11]
	s_waitcnt lgkmcnt(0)
	; wave barrier
	s_and_saveexec_b64 s[10:11], s[2:3]
	s_cbranch_execz .LBB9_29
; %bb.26:
	v_mov_b32_e32 v22, 0x50
	v_lshl_add_u32 v27, v0, 3, v22
	v_mov_b32_e32 v22, 0
	v_mov_b32_e32 v25, v1
	v_mov_b32_e32 v23, 0
	s_mov_b64 s[12:13], 0
	v_mov_b32_e32 v24, v0
.LBB9_27:                               ; =>This Inner Loop Header: Depth=1
	v_cmp_eq_u32_e64 s[4:5], 1, v24
	v_cndmask_b32_e64 v30, v3, v5, s[4:5]
	v_cmp_eq_u32_e64 s[8:9], 2, v24
	v_cndmask_b32_e64 v30, v30, v7, s[8:9]
	v_cndmask_b32_e64 v31, v2, v4, s[4:5]
	v_cmp_eq_u32_e64 s[4:5], 3, v24
	v_cndmask_b32_e64 v30, v30, v9, s[4:5]
	v_cndmask_b32_e64 v31, v31, v6, s[8:9]
	v_cmp_eq_u32_e64 s[8:9], 4, v24
	v_cndmask_b32_e64 v30, v30, v11, s[8:9]
	v_cndmask_b32_e64 v31, v31, v8, s[4:5]
	v_cmp_eq_u32_e64 s[4:5], 5, v24
	v_cndmask_b32_e64 v30, v30, v13, s[4:5]
	v_cndmask_b32_e64 v31, v31, v10, s[8:9]
	v_cmp_eq_u32_e64 s[8:9], 6, v24
	ds_read_b64 v[28:29], v27
	v_cndmask_b32_e64 v30, v30, v15, s[8:9]
	v_cndmask_b32_e64 v31, v31, v12, s[4:5]
	v_cmp_eq_u32_e64 s[4:5], 7, v24
	v_cndmask_b32_e64 v30, v30, v17, s[4:5]
	v_cndmask_b32_e64 v31, v31, v14, s[8:9]
	v_cmp_eq_u32_e64 s[8:9], 8, v24
	v_cndmask_b32_e64 v30, v30, v19, s[8:9]
	v_cndmask_b32_e64 v32, v31, v16, s[4:5]
	v_cmp_eq_u32_e64 s[4:5], 9, v24
	v_cndmask_b32_e64 v31, v30, v21, s[4:5]
	v_cndmask_b32_e64 v30, v32, v18, s[8:9]
	v_cndmask_b32_e64 v30, v30, v20, s[4:5]
	s_waitcnt lgkmcnt(0)
	v_fma_f64 v[22:23], v[30:31], v[28:29], v[22:23]
	v_add_co_u32_e64 v24, s[4:5], 1, v24
	v_addc_co_u32_e64 v25, s[4:5], 0, v25, s[4:5]
	v_add_u32_e32 v28, -1, v24
	v_cmp_lt_u32_e64 s[4:5], 2, v28
	s_or_b64 s[12:13], s[4:5], s[12:13]
	v_add_u32_e32 v27, 8, v27
	s_andn2_b64 exec, exec, s[12:13]
	s_cbranch_execnz .LBB9_27
; %bb.28:
	s_or_b64 exec, exec, s[12:13]
	v_mov_b32_e32 v10, 0
	ds_read_b64 v[10:11], v10 offset:32
	s_waitcnt lgkmcnt(0)
	v_mul_f64 v[10:11], v[22:23], v[10:11]
.LBB9_29:
	;; [unrolled: 62-line block ×5, first 2 shown]
	s_or_b64 exec, exec, s[12:13]
	v_cmp_gt_u32_e64 s[8:9], 8, v0
	; wave barrier
	ds_write_b64 v26, v[18:19]
	s_waitcnt lgkmcnt(0)
	; wave barrier
	s_and_saveexec_b64 s[34:35], s[8:9]
	s_cbranch_execz .LBB9_57
; %bb.42:
	v_cmp_eq_u32_e64 s[8:9], 1, v0
	v_cndmask_b32_e64 v22, v3, v5, s[8:9]
	v_cmp_eq_u32_e64 s[10:11], 2, v0
	v_cndmask_b32_e64 v22, v22, v7, s[10:11]
	;; [unrolled: 2-line block ×9, first 2 shown]
	v_cndmask_b32_e64 v22, v2, v4, s[8:9]
	v_cndmask_b32_e64 v22, v22, v6, s[10:11]
	;; [unrolled: 1-line block ×5, first 2 shown]
	ds_read_b64 v[24:25], v26
	v_cndmask_b32_e64 v22, v22, v14, s[18:19]
	v_cndmask_b32_e64 v22, v22, v16, s[20:21]
	;; [unrolled: 1-line block ×4, first 2 shown]
	s_waitcnt lgkmcnt(0)
	v_fma_f64 v[22:23], v[22:23], v[24:25], 0
	v_cmp_ne_u32_e64 s[8:9], 7, v0
	s_and_saveexec_b64 s[36:37], s[8:9]
	s_cbranch_execz .LBB9_56
; %bb.43:
	v_add_u32_e32 v24, 1, v0
	v_cmp_eq_u32_e64 s[8:9], 1, v24
	v_cndmask_b32_e64 v25, v3, v5, s[8:9]
	v_cmp_eq_u32_e64 s[10:11], 2, v24
	v_cmp_eq_u32_e64 s[12:13], 3, v24
	;; [unrolled: 1-line block ×8, first 2 shown]
	v_cndmask_b32_e64 v24, v2, v4, s[8:9]
	v_cndmask_b32_e64 v25, v25, v7, s[10:11]
	;; [unrolled: 1-line block ×9, first 2 shown]
	ds_read_b64 v[27:28], v26 offset:8
	v_cndmask_b32_e64 v25, v25, v15, s[18:19]
	v_cndmask_b32_e64 v24, v24, v14, s[18:19]
	;; [unrolled: 1-line block ×8, first 2 shown]
	s_waitcnt lgkmcnt(0)
	v_fma_f64 v[22:23], v[24:25], v[27:28], v[22:23]
	s_and_saveexec_b64 s[24:25], s[4:5]
	s_cbranch_execz .LBB9_55
; %bb.44:
	v_add_u32_e32 v24, 2, v0
	v_cmp_eq_u32_e64 s[4:5], 1, v24
	v_cndmask_b32_e64 v25, v3, v5, s[4:5]
	v_cmp_eq_u32_e64 s[8:9], 2, v24
	v_cmp_eq_u32_e64 s[10:11], 3, v24
	;; [unrolled: 1-line block ×8, first 2 shown]
	v_cndmask_b32_e64 v24, v2, v4, s[4:5]
	v_cndmask_b32_e64 v25, v25, v7, s[8:9]
	;; [unrolled: 1-line block ×9, first 2 shown]
	ds_read_b64 v[27:28], v26 offset:16
	v_cndmask_b32_e64 v25, v25, v15, s[16:17]
	v_cndmask_b32_e64 v24, v24, v14, s[16:17]
	;; [unrolled: 1-line block ×8, first 2 shown]
	s_waitcnt lgkmcnt(0)
	v_fma_f64 v[22:23], v[24:25], v[27:28], v[22:23]
	v_cmp_ne_u32_e64 s[4:5], 5, v0
	s_and_saveexec_b64 s[38:39], s[4:5]
	s_cbranch_execz .LBB9_54
; %bb.45:
	v_add_u32_e32 v24, 3, v0
	v_cmp_eq_u32_e64 s[4:5], 1, v24
	v_cndmask_b32_e64 v25, v3, v5, s[4:5]
	v_cmp_eq_u32_e64 s[8:9], 2, v24
	v_cmp_eq_u32_e64 s[10:11], 3, v24
	v_cmp_eq_u32_e64 s[12:13], 4, v24
	v_cmp_eq_u32_e64 s[14:15], 5, v24
	v_cmp_eq_u32_e64 s[16:17], 6, v24
	v_cmp_eq_u32_e64 s[18:19], 7, v24
	v_cmp_eq_u32_e64 s[20:21], 8, v24
	v_cmp_eq_u32_e64 s[22:23], 9, v24
	v_cndmask_b32_e64 v24, v2, v4, s[4:5]
	v_cndmask_b32_e64 v25, v25, v7, s[8:9]
	;; [unrolled: 1-line block ×9, first 2 shown]
	ds_read_b64 v[27:28], v26 offset:24
	v_cndmask_b32_e64 v25, v25, v15, s[16:17]
	v_cndmask_b32_e64 v24, v24, v14, s[16:17]
	v_cndmask_b32_e64 v25, v25, v17, s[18:19]
	v_cndmask_b32_e64 v24, v24, v16, s[18:19]
	v_cndmask_b32_e64 v25, v25, v19, s[20:21]
	v_cndmask_b32_e64 v24, v24, v18, s[20:21]
	v_cndmask_b32_e64 v25, v25, v21, s[22:23]
	v_cndmask_b32_e64 v24, v24, v20, s[22:23]
	s_waitcnt lgkmcnt(0)
	v_fma_f64 v[22:23], v[24:25], v[27:28], v[22:23]
	s_and_saveexec_b64 s[22:23], s[2:3]
	s_cbranch_execz .LBB9_53
; %bb.46:
	v_or_b32_e32 v24, 4, v0
	v_cmp_eq_u32_e64 s[2:3], 1, v24
	v_cndmask_b32_e64 v25, v3, v5, s[2:3]
	v_cmp_eq_u32_e64 s[4:5], 2, v24
	v_cmp_eq_u32_e64 s[8:9], 3, v24
	;; [unrolled: 1-line block ×8, first 2 shown]
	v_cndmask_b32_e64 v24, v2, v4, s[2:3]
	v_cndmask_b32_e64 v25, v25, v7, s[4:5]
	;; [unrolled: 1-line block ×9, first 2 shown]
	ds_read_b64 v[27:28], v26 offset:32
	v_cndmask_b32_e64 v25, v25, v15, s[14:15]
	v_cndmask_b32_e64 v24, v24, v14, s[14:15]
	;; [unrolled: 1-line block ×8, first 2 shown]
	s_waitcnt lgkmcnt(0)
	v_fma_f64 v[22:23], v[24:25], v[27:28], v[22:23]
	v_cmp_ne_u32_e64 s[2:3], 3, v0
	s_and_saveexec_b64 s[40:41], s[2:3]
	s_cbranch_execz .LBB9_52
; %bb.47:
	v_add_u32_e32 v24, 5, v0
	v_cmp_eq_u32_e64 s[2:3], 1, v24
	v_cndmask_b32_e64 v25, v3, v5, s[2:3]
	v_cmp_eq_u32_e64 s[4:5], 2, v24
	v_cmp_eq_u32_e64 s[8:9], 3, v24
	;; [unrolled: 1-line block ×8, first 2 shown]
	v_cndmask_b32_e64 v24, v2, v4, s[2:3]
	v_cndmask_b32_e64 v25, v25, v7, s[4:5]
	;; [unrolled: 1-line block ×9, first 2 shown]
	ds_read_b64 v[27:28], v26 offset:40
	v_cndmask_b32_e64 v25, v25, v15, s[14:15]
	v_cndmask_b32_e64 v24, v24, v14, s[14:15]
	;; [unrolled: 1-line block ×8, first 2 shown]
	s_waitcnt lgkmcnt(0)
	v_fma_f64 v[22:23], v[24:25], v[27:28], v[22:23]
	s_and_saveexec_b64 s[20:21], vcc
	s_cbranch_execz .LBB9_51
; %bb.48:
	v_or_b32_e32 v24, 6, v0
	v_cmp_eq_u32_e32 vcc, 1, v24
	v_cndmask_b32_e32 v25, v3, v5, vcc
	v_cmp_eq_u32_e64 s[2:3], 2, v24
	v_cndmask_b32_e64 v25, v25, v7, s[2:3]
	v_cmp_eq_u32_e64 s[4:5], 3, v24
	v_cndmask_b32_e64 v25, v25, v9, s[4:5]
	;; [unrolled: 2-line block ×3, first 2 shown]
	v_cmp_eq_u32_e64 s[10:11], 5, v24
	v_cmp_eq_u32_e64 s[12:13], 6, v24
	;; [unrolled: 1-line block ×5, first 2 shown]
	v_cndmask_b32_e32 v24, v2, v4, vcc
	v_cndmask_b32_e64 v25, v25, v13, s[10:11]
	v_cndmask_b32_e64 v24, v24, v6, s[2:3]
	;; [unrolled: 1-line block ×8, first 2 shown]
	ds_read_b64 v[24:25], v26 offset:48
	v_cndmask_b32_e64 v27, v27, v14, s[12:13]
	v_cndmask_b32_e64 v27, v27, v16, s[14:15]
	;; [unrolled: 1-line block ×5, first 2 shown]
	s_waitcnt lgkmcnt(0)
	v_fma_f64 v[22:23], v[18:19], v[24:25], v[22:23]
	s_and_saveexec_b64 s[2:3], s[0:1]
	s_cbranch_execz .LBB9_50
; %bb.49:
	ds_read_b64 v[18:19], v26 offset:56
	s_waitcnt lgkmcnt(0)
	v_fma_f64 v[22:23], v[16:17], v[18:19], v[22:23]
.LBB9_50:
	s_or_b64 exec, exec, s[2:3]
.LBB9_51:
	s_or_b64 exec, exec, s[20:21]
.LBB9_52:
	s_or_b64 exec, exec, s[40:41]
.LBB9_53:
	s_or_b64 exec, exec, s[22:23]
.LBB9_54:
	s_or_b64 exec, exec, s[38:39]
.LBB9_55:
	s_or_b64 exec, exec, s[24:25]
.LBB9_56:
	s_or_b64 exec, exec, s[36:37]
	v_mov_b32_e32 v18, 0
	ds_read_b64 v[18:19], v18 offset:64
	s_waitcnt lgkmcnt(0)
	v_mul_f64 v[18:19], v[22:23], v[18:19]
.LBB9_57:
	s_or_b64 exec, exec, s[34:35]
	v_cmp_ne_u32_e32 vcc, 9, v0
	; wave barrier
	ds_write_b64 v26, v[20:21]
	s_waitcnt lgkmcnt(0)
	; wave barrier
	s_and_saveexec_b64 s[2:3], vcc
	s_cbranch_execz .LBB9_61
; %bb.58:
	v_mov_b32_e32 v22, 0x50
	v_lshl_add_u32 v26, v0, 3, v22
	v_mov_b32_e32 v22, 0
	v_mov_b32_e32 v25, v1
	;; [unrolled: 1-line block ×3, first 2 shown]
	s_mov_b64 s[4:5], 0
	v_mov_b32_e32 v24, v0
.LBB9_59:                               ; =>This Inner Loop Header: Depth=1
	v_cmp_eq_u32_e32 vcc, 1, v24
	v_cndmask_b32_e32 v1, v3, v5, vcc
	v_cmp_eq_u32_e64 s[0:1], 2, v24
	v_cndmask_b32_e64 v1, v1, v7, s[0:1]
	v_cndmask_b32_e32 v29, v2, v4, vcc
	v_cmp_eq_u32_e32 vcc, 3, v24
	v_cndmask_b32_e32 v1, v1, v9, vcc
	v_cndmask_b32_e64 v29, v29, v6, s[0:1]
	v_cmp_eq_u32_e64 s[0:1], 4, v24
	v_cndmask_b32_e64 v1, v1, v11, s[0:1]
	v_cndmask_b32_e32 v29, v29, v8, vcc
	v_cmp_eq_u32_e32 vcc, 5, v24
	v_cndmask_b32_e32 v1, v1, v13, vcc
	v_cndmask_b32_e64 v29, v29, v10, s[0:1]
	v_cmp_eq_u32_e64 s[0:1], 6, v24
	ds_read_b64 v[27:28], v26
	v_cndmask_b32_e64 v1, v1, v15, s[0:1]
	v_cndmask_b32_e32 v29, v29, v12, vcc
	v_cmp_eq_u32_e32 vcc, 7, v24
	v_cndmask_b32_e32 v1, v1, v17, vcc
	v_cndmask_b32_e64 v29, v29, v14, s[0:1]
	v_cmp_eq_u32_e64 s[0:1], 8, v24
	v_cndmask_b32_e64 v1, v1, v19, s[0:1]
	v_cndmask_b32_e32 v29, v29, v16, vcc
	v_cmp_eq_u32_e32 vcc, 9, v24
	v_cndmask_b32_e32 v30, v1, v21, vcc
	v_cndmask_b32_e64 v1, v29, v18, s[0:1]
	v_cndmask_b32_e32 v29, v1, v20, vcc
	s_waitcnt lgkmcnt(0)
	v_fma_f64 v[22:23], v[29:30], v[27:28], v[22:23]
	v_add_co_u32_e32 v24, vcc, 1, v24
	v_addc_co_u32_e32 v25, vcc, 0, v25, vcc
	v_add_u32_e32 v1, -1, v24
	v_cmp_lt_u32_e32 vcc, 7, v1
	s_or_b64 s[4:5], vcc, s[4:5]
	v_add_u32_e32 v26, 8, v26
	s_andn2_b64 exec, exec, s[4:5]
	s_cbranch_execnz .LBB9_59
; %bb.60:
	s_or_b64 exec, exec, s[4:5]
	v_mov_b32_e32 v1, 0
	ds_read_b64 v[20:21], v1 offset:72
	s_waitcnt lgkmcnt(0)
	v_mul_f64 v[20:21], v[22:23], v[20:21]
.LBB9_61:
	s_or_b64 exec, exec, s[2:3]
	; wave barrier
	s_cbranch_execnz .LBB9_15
	s_branch .LBB9_16
.LBB9_62:
	v_mov_b32_e32 v1, 0x50
	v_lshl_add_u32 v1, v0, 3, v1
	v_cmp_eq_u32_e32 vcc, 9, v0
	s_and_saveexec_b64 s[0:1], vcc
; %bb.63:
	ds_write_b64 v1, v[18:19]
	v_mov_b32_e32 v18, 0
	v_mov_b32_e32 v19, v18
; %bb.64:
	s_or_b64 exec, exec, s[0:1]
	v_mov_b32_e32 v36, 0
	s_waitcnt lgkmcnt(0)
	; wave barrier
	ds_read_b64 v[34:35], v36 offset:152
	v_cmp_lt_u32_e32 vcc, 7, v0
	s_waitcnt lgkmcnt(0)
	v_fma_f64 v[34:35], v[20:21], v[34:35], 0
	v_add_f64 v[18:19], v[18:19], -v[34:35]
	s_and_saveexec_b64 s[0:1], vcc
	s_cbranch_execz .LBB9_66
; %bb.65:
	v_mov_b32_e32 v22, v2
	v_mov_b32_e32 v23, v3
	;; [unrolled: 1-line block ×19, first 2 shown]
	ds_write_b64 v1, v[16:17]
	v_mov_b32_e32 v2, v22
	v_mov_b32_e32 v3, v23
	;; [unrolled: 1-line block ×32, first 2 shown]
.LBB9_66:
	s_or_b64 exec, exec, s[0:1]
	s_waitcnt lgkmcnt(0)
	; wave barrier
	ds_read_b128 v[34:37], v36 offset:144
	v_cmp_lt_u32_e32 vcc, 6, v0
	s_waitcnt lgkmcnt(0)
	v_fma_f64 v[34:35], v[18:19], v[34:35], 0
	v_fma_f64 v[34:35], v[20:21], v[36:37], v[34:35]
	v_add_f64 v[16:17], v[16:17], -v[34:35]
	s_and_saveexec_b64 s[0:1], vcc
	s_cbranch_execz .LBB9_68
; %bb.67:
	v_mov_b32_e32 v34, 0
	v_mov_b32_e32 v22, v2
	;; [unrolled: 1-line block ×20, first 2 shown]
	ds_write_b64 v1, v[14:15]
	v_mov_b32_e32 v2, v22
	v_mov_b32_e32 v3, v23
	;; [unrolled: 1-line block ×32, first 2 shown]
.LBB9_68:
	s_or_b64 exec, exec, s[0:1]
	v_mov_b32_e32 v34, 0
	s_waitcnt lgkmcnt(0)
	; wave barrier
	ds_read2_b64 v[35:38], v34 offset0:17 offset1:18
	ds_read_b64 v[39:40], v34 offset:152
	v_cmp_lt_u32_e32 vcc, 5, v0
	s_waitcnt lgkmcnt(1)
	v_fma_f64 v[35:36], v[16:17], v[35:36], 0
	v_fma_f64 v[35:36], v[18:19], v[37:38], v[35:36]
	s_waitcnt lgkmcnt(0)
	v_fma_f64 v[35:36], v[20:21], v[39:40], v[35:36]
	v_add_f64 v[14:15], v[14:15], -v[35:36]
	s_and_saveexec_b64 s[0:1], vcc
	s_cbranch_execz .LBB9_70
; %bb.69:
	v_mov_b32_e32 v24, v2
	v_mov_b32_e32 v25, v3
	;; [unrolled: 1-line block ×19, first 2 shown]
	ds_write_b64 v1, v[12:13]
	v_mov_b32_e32 v2, v24
	v_mov_b32_e32 v3, v25
	;; [unrolled: 1-line block ×32, first 2 shown]
.LBB9_70:
	s_or_b64 exec, exec, s[0:1]
	s_waitcnt lgkmcnt(0)
	; wave barrier
	ds_read_b128 v[35:38], v34 offset:128
	ds_read_b128 v[39:42], v34 offset:144
	v_cmp_lt_u32_e32 vcc, 4, v0
	s_waitcnt lgkmcnt(1)
	v_fma_f64 v[34:35], v[14:15], v[35:36], 0
	v_fma_f64 v[34:35], v[16:17], v[37:38], v[34:35]
	s_waitcnt lgkmcnt(0)
	v_fma_f64 v[34:35], v[18:19], v[39:40], v[34:35]
	v_fma_f64 v[34:35], v[20:21], v[41:42], v[34:35]
	v_add_f64 v[12:13], v[12:13], -v[34:35]
	s_and_saveexec_b64 s[0:1], vcc
	s_cbranch_execz .LBB9_72
; %bb.71:
	v_mov_b32_e32 v30, 0
	v_mov_b32_e32 v22, v2
	;; [unrolled: 1-line block ×20, first 2 shown]
	ds_write_b64 v1, v[10:11]
	v_mov_b32_e32 v2, v22
	v_mov_b32_e32 v3, v23
	;; [unrolled: 1-line block ×32, first 2 shown]
.LBB9_72:
	s_or_b64 exec, exec, s[0:1]
	v_mov_b32_e32 v34, 0
	s_waitcnt lgkmcnt(0)
	; wave barrier
	ds_read2_b64 v[35:38], v34 offset0:15 offset1:16
	ds_read2_b64 v[39:42], v34 offset0:17 offset1:18
	v_cmp_lt_u32_e32 vcc, 3, v0
	s_waitcnt lgkmcnt(1)
	v_fma_f64 v[35:36], v[12:13], v[35:36], 0
	v_fma_f64 v[35:36], v[14:15], v[37:38], v[35:36]
	ds_read_b64 v[37:38], v34 offset:152
	s_waitcnt lgkmcnt(1)
	v_fma_f64 v[35:36], v[16:17], v[39:40], v[35:36]
	v_fma_f64 v[35:36], v[18:19], v[41:42], v[35:36]
	s_waitcnt lgkmcnt(0)
	v_fma_f64 v[35:36], v[20:21], v[37:38], v[35:36]
	v_add_f64 v[10:11], v[10:11], -v[35:36]
	s_and_saveexec_b64 s[0:1], vcc
	s_cbranch_execz .LBB9_74
; %bb.73:
	v_mov_b32_e32 v28, v2
	v_mov_b32_e32 v29, v3
	;; [unrolled: 1-line block ×19, first 2 shown]
	ds_write_b64 v1, v[8:9]
	v_mov_b32_e32 v2, v28
	v_mov_b32_e32 v3, v29
	;; [unrolled: 1-line block ×32, first 2 shown]
.LBB9_74:
	s_or_b64 exec, exec, s[0:1]
	s_waitcnt lgkmcnt(0)
	; wave barrier
	ds_read_b128 v[35:38], v34 offset:112
	ds_read_b128 v[39:42], v34 offset:128
	v_cmp_lt_u32_e32 vcc, 2, v0
	s_waitcnt lgkmcnt(1)
	v_fma_f64 v[35:36], v[10:11], v[35:36], 0
	v_fma_f64 v[35:36], v[12:13], v[37:38], v[35:36]
	s_waitcnt lgkmcnt(0)
	v_fma_f64 v[35:36], v[14:15], v[39:40], v[35:36]
	v_fma_f64 v[38:39], v[16:17], v[41:42], v[35:36]
	ds_read_b128 v[34:37], v34 offset:144
	s_waitcnt lgkmcnt(0)
	v_fma_f64 v[34:35], v[18:19], v[34:35], v[38:39]
	v_fma_f64 v[34:35], v[20:21], v[36:37], v[34:35]
	v_add_f64 v[8:9], v[8:9], -v[34:35]
	s_and_saveexec_b64 s[0:1], vcc
	s_cbranch_execz .LBB9_76
; %bb.75:
	v_mov_b32_e32 v26, 0
	v_mov_b32_e32 v22, v2
	;; [unrolled: 1-line block ×20, first 2 shown]
	ds_write_b64 v1, v[6:7]
	v_mov_b32_e32 v2, v22
	v_mov_b32_e32 v3, v23
	;; [unrolled: 1-line block ×32, first 2 shown]
.LBB9_76:
	s_or_b64 exec, exec, s[0:1]
	v_mov_b32_e32 v34, 0
	s_waitcnt lgkmcnt(0)
	; wave barrier
	ds_read2_b64 v[35:38], v34 offset0:13 offset1:14
	ds_read2_b64 v[39:42], v34 offset0:15 offset1:16
	v_cmp_lt_u32_e32 vcc, 1, v0
	s_waitcnt lgkmcnt(1)
	v_fma_f64 v[35:36], v[8:9], v[35:36], 0
	v_fma_f64 v[35:36], v[10:11], v[37:38], v[35:36]
	s_waitcnt lgkmcnt(0)
	v_fma_f64 v[35:36], v[12:13], v[39:40], v[35:36]
	v_fma_f64 v[39:40], v[14:15], v[41:42], v[35:36]
	ds_read2_b64 v[35:38], v34 offset0:17 offset1:18
	ds_read_b64 v[41:42], v34 offset:152
	s_waitcnt lgkmcnt(1)
	v_fma_f64 v[35:36], v[16:17], v[35:36], v[39:40]
	v_fma_f64 v[35:36], v[18:19], v[37:38], v[35:36]
	s_waitcnt lgkmcnt(0)
	v_fma_f64 v[35:36], v[20:21], v[41:42], v[35:36]
	v_add_f64 v[6:7], v[6:7], -v[35:36]
	s_and_saveexec_b64 s[0:1], vcc
	s_cbranch_execz .LBB9_78
; %bb.77:
	v_mov_b32_e32 v32, v2
	v_mov_b32_e32 v33, v3
	;; [unrolled: 1-line block ×19, first 2 shown]
	ds_write_b64 v1, v[4:5]
	v_mov_b32_e32 v2, v32
	v_mov_b32_e32 v3, v33
	;; [unrolled: 1-line block ×32, first 2 shown]
.LBB9_78:
	s_or_b64 exec, exec, s[0:1]
	s_waitcnt lgkmcnt(0)
	; wave barrier
	ds_read_b128 v[35:38], v34 offset:96
	ds_read_b128 v[39:42], v34 offset:112
	v_cmp_ne_u32_e32 vcc, 0, v0
	s_waitcnt lgkmcnt(1)
	v_fma_f64 v[35:36], v[6:7], v[35:36], 0
	v_fma_f64 v[35:36], v[8:9], v[37:38], v[35:36]
	s_waitcnt lgkmcnt(0)
	v_fma_f64 v[35:36], v[10:11], v[39:40], v[35:36]
	v_fma_f64 v[43:44], v[12:13], v[41:42], v[35:36]
	ds_read_b128 v[35:38], v34 offset:128
	ds_read_b128 v[39:42], v34 offset:144
	s_waitcnt lgkmcnt(1)
	v_fma_f64 v[34:35], v[14:15], v[35:36], v[43:44]
	v_fma_f64 v[34:35], v[16:17], v[37:38], v[34:35]
	s_waitcnt lgkmcnt(0)
	v_fma_f64 v[34:35], v[18:19], v[39:40], v[34:35]
	v_fma_f64 v[34:35], v[20:21], v[41:42], v[34:35]
	v_add_f64 v[4:5], v[4:5], -v[34:35]
	s_and_saveexec_b64 s[0:1], vcc
	s_cbranch_execz .LBB9_80
; %bb.79:
	v_mov_b32_e32 v22, 0
	v_mov_b32_e32 v23, v22
	;; [unrolled: 1-line block ×20, first 2 shown]
	ds_write_b64 v1, v[2:3]
	v_mov_b32_e32 v2, v22
	v_mov_b32_e32 v3, v23
	;; [unrolled: 1-line block ×32, first 2 shown]
.LBB9_80:
	s_or_b64 exec, exec, s[0:1]
	v_mov_b32_e32 v0, 0
	s_waitcnt lgkmcnt(0)
	; wave barrier
	ds_read2_b64 v[34:37], v0 offset0:11 offset1:12
	ds_read2_b64 v[38:41], v0 offset0:13 offset1:14
	s_and_b64 vcc, exec, s[30:31]
	s_waitcnt lgkmcnt(1)
	v_fma_f64 v[34:35], v[4:5], v[34:35], 0
	v_fma_f64 v[34:35], v[6:7], v[36:37], v[34:35]
	s_waitcnt lgkmcnt(0)
	v_fma_f64 v[34:35], v[8:9], v[38:39], v[34:35]
	v_fma_f64 v[42:43], v[10:11], v[40:41], v[34:35]
	ds_read2_b64 v[34:37], v0 offset0:15 offset1:16
	ds_read2_b64 v[38:41], v0 offset0:17 offset1:18
	s_waitcnt lgkmcnt(1)
	v_fma_f64 v[34:35], v[12:13], v[34:35], v[42:43]
	v_fma_f64 v[34:35], v[14:15], v[36:37], v[34:35]
	ds_read_b64 v[36:37], v0 offset:152
	s_waitcnt lgkmcnt(1)
	v_fma_f64 v[34:35], v[16:17], v[38:39], v[34:35]
	v_fma_f64 v[34:35], v[18:19], v[40:41], v[34:35]
	s_waitcnt lgkmcnt(0)
	v_fma_f64 v[34:35], v[20:21], v[36:37], v[34:35]
	v_add_f64 v[2:3], v[2:3], -v[34:35]
	s_cbranch_vccz .LBB9_99
; %bb.81:
	global_load_dword v0, v0, s[28:29] offset:32
	s_waitcnt vmcnt(0)
	v_readfirstlane_b32 s0, v0
	s_add_i32 s0, s0, -1
	s_cmp_lg_u32 s0, 8
	s_cbranch_scc0 .LBB9_83
; %bb.82:
	s_lshl_b32 s0, s0, 1
	s_set_gpr_idx_on s0, gpr_idx(SRC0)
	v_mov_b32_e32 v0, v3
	v_mov_b32_e32 v1, v2
	s_set_gpr_idx_off
	v_mov_b32_e32 v51, v33
	v_mov_b32_e32 v37, v19
	;; [unrolled: 1-line block ×34, first 2 shown]
	s_set_gpr_idx_on s0, gpr_idx(DST)
	v_mov_b32_e32 v20, v18
	v_mov_b32_e32 v21, v19
	s_set_gpr_idx_off
	v_mov_b32_e32 v2, v20
	v_mov_b32_e32 v3, v21
	;; [unrolled: 1-line block ×32, first 2 shown]
.LBB9_83:
	v_mov_b32_e32 v0, 0
	global_load_dword v1, v0, s[28:29] offset:28
	s_waitcnt vmcnt(0)
	v_readfirstlane_b32 s0, v1
	s_add_i32 s0, s0, -1
	s_cmp_eq_u32 s0, 7
	s_cbranch_scc1 .LBB9_85
; %bb.84:
	s_lshl_b32 s0, s0, 1
	s_set_gpr_idx_on s0, gpr_idx(SRC0)
	v_mov_b32_e32 v1, v3
	v_mov_b32_e32 v50, v2
	s_set_gpr_idx_off
	v_mov_b32_e32 v49, v33
	v_mov_b32_e32 v48, v32
	;; [unrolled: 1-line block ×34, first 2 shown]
	s_set_gpr_idx_on s0, gpr_idx(DST)
	v_mov_b32_e32 v18, v16
	v_mov_b32_e32 v19, v17
	s_set_gpr_idx_off
	v_mov_b32_e32 v2, v18
	v_mov_b32_e32 v3, v19
	;; [unrolled: 1-line block ×32, first 2 shown]
.LBB9_85:
	global_load_dword v0, v0, s[28:29] offset:24
	s_waitcnt vmcnt(0)
	v_readfirstlane_b32 s0, v0
	s_add_i32 s0, s0, -1
	s_cmp_eq_u32 s0, 6
	s_cbranch_scc1 .LBB9_87
; %bb.86:
	s_lshl_b32 s0, s0, 1
	s_set_gpr_idx_on s0, gpr_idx(SRC0)
	v_mov_b32_e32 v0, v3
	v_mov_b32_e32 v1, v2
	s_set_gpr_idx_off
	v_mov_b32_e32 v47, v33
	v_mov_b32_e32 v46, v32
	;; [unrolled: 1-line block ×34, first 2 shown]
	s_set_gpr_idx_on s0, gpr_idx(DST)
	v_mov_b32_e32 v16, v14
	v_mov_b32_e32 v17, v15
	s_set_gpr_idx_off
	v_mov_b32_e32 v2, v16
	v_mov_b32_e32 v3, v17
	;; [unrolled: 1-line block ×32, first 2 shown]
.LBB9_87:
	v_mov_b32_e32 v0, 0
	global_load_dword v1, v0, s[28:29] offset:20
	s_waitcnt vmcnt(0)
	v_readfirstlane_b32 s0, v1
	s_add_i32 s0, s0, -1
	s_cmp_eq_u32 s0, 5
	s_cbranch_scc1 .LBB9_89
; %bb.88:
	s_lshl_b32 s0, s0, 1
	s_set_gpr_idx_on s0, gpr_idx(SRC0)
	v_mov_b32_e32 v1, v3
	v_mov_b32_e32 v46, v2
	s_set_gpr_idx_off
	v_mov_b32_e32 v45, v33
	v_mov_b32_e32 v44, v32
	;; [unrolled: 1-line block ×34, first 2 shown]
	s_set_gpr_idx_on s0, gpr_idx(DST)
	v_mov_b32_e32 v14, v12
	v_mov_b32_e32 v15, v13
	s_set_gpr_idx_off
	v_mov_b32_e32 v2, v14
	v_mov_b32_e32 v3, v15
	;; [unrolled: 1-line block ×32, first 2 shown]
.LBB9_89:
	global_load_dword v0, v0, s[28:29] offset:16
	s_waitcnt vmcnt(0)
	v_readfirstlane_b32 s0, v0
	s_add_i32 s0, s0, -1
	s_cmp_eq_u32 s0, 4
	s_cbranch_scc1 .LBB9_91
; %bb.90:
	s_lshl_b32 s0, s0, 1
	s_set_gpr_idx_on s0, gpr_idx(SRC0)
	v_mov_b32_e32 v0, v3
	v_mov_b32_e32 v1, v2
	s_set_gpr_idx_off
	v_mov_b32_e32 v43, v33
	v_mov_b32_e32 v42, v32
	;; [unrolled: 1-line block ×34, first 2 shown]
	s_set_gpr_idx_on s0, gpr_idx(DST)
	v_mov_b32_e32 v12, v10
	v_mov_b32_e32 v13, v11
	s_set_gpr_idx_off
	v_mov_b32_e32 v2, v12
	v_mov_b32_e32 v3, v13
	;; [unrolled: 1-line block ×32, first 2 shown]
.LBB9_91:
	v_mov_b32_e32 v0, 0
	global_load_dword v1, v0, s[28:29] offset:12
	s_waitcnt vmcnt(0)
	v_readfirstlane_b32 s0, v1
	s_add_i32 s0, s0, -1
	s_cmp_eq_u32 s0, 3
	s_cbranch_scc1 .LBB9_93
; %bb.92:
	s_lshl_b32 s0, s0, 1
	s_set_gpr_idx_on s0, gpr_idx(SRC0)
	v_mov_b32_e32 v1, v3
	v_mov_b32_e32 v42, v2
	s_set_gpr_idx_off
	v_mov_b32_e32 v41, v33
	v_mov_b32_e32 v40, v32
	v_mov_b32_e32 v39, v31
	v_mov_b32_e32 v38, v30
	v_mov_b32_e32 v37, v29
	v_mov_b32_e32 v36, v28
	v_mov_b32_e32 v35, v27
	v_mov_b32_e32 v34, v26
	v_mov_b32_e32 v33, v25
	v_mov_b32_e32 v32, v24
	v_mov_b32_e32 v31, v23
	v_mov_b32_e32 v30, v22
	v_mov_b32_e32 v29, v21
	v_mov_b32_e32 v28, v20
	v_mov_b32_e32 v27, v19
	v_mov_b32_e32 v26, v18
	v_mov_b32_e32 v25, v17
	v_mov_b32_e32 v24, v16
	v_mov_b32_e32 v23, v15
	v_mov_b32_e32 v22, v14
	v_mov_b32_e32 v21, v13
	v_mov_b32_e32 v20, v12
	v_mov_b32_e32 v19, v11
	v_mov_b32_e32 v18, v10
	v_mov_b32_e32 v17, v9
	v_mov_b32_e32 v16, v8
	v_mov_b32_e32 v15, v7
	v_mov_b32_e32 v14, v6
	v_mov_b32_e32 v13, v5
	v_mov_b32_e32 v12, v4
	v_mov_b32_e32 v11, v3
	v_mov_b32_e32 v10, v2
	v_mov_b32_e32 v16, v42
	v_mov_b32_e32 v17, v1
	s_set_gpr_idx_on s0, gpr_idx(DST)
	v_mov_b32_e32 v10, v8
	v_mov_b32_e32 v11, v9
	s_set_gpr_idx_off
	v_mov_b32_e32 v2, v10
	v_mov_b32_e32 v3, v11
	;; [unrolled: 1-line block ×32, first 2 shown]
.LBB9_93:
	global_load_dword v0, v0, s[28:29] offset:8
	s_waitcnt vmcnt(0)
	v_readfirstlane_b32 s0, v0
	s_add_i32 s0, s0, -1
	s_cmp_eq_u32 s0, 2
	s_cbranch_scc1 .LBB9_95
; %bb.94:
	s_lshl_b32 s0, s0, 1
	s_set_gpr_idx_on s0, gpr_idx(SRC0)
	v_mov_b32_e32 v0, v3
	v_mov_b32_e32 v1, v2
	s_set_gpr_idx_off
	v_mov_b32_e32 v39, v33
	v_mov_b32_e32 v38, v32
	;; [unrolled: 1-line block ×34, first 2 shown]
	s_set_gpr_idx_on s0, gpr_idx(DST)
	v_mov_b32_e32 v8, v6
	v_mov_b32_e32 v9, v7
	s_set_gpr_idx_off
	v_mov_b32_e32 v2, v8
	v_mov_b32_e32 v3, v9
	;; [unrolled: 1-line block ×32, first 2 shown]
.LBB9_95:
	v_mov_b32_e32 v0, 0
	global_load_dword v1, v0, s[28:29] offset:4
	s_waitcnt vmcnt(0)
	v_readfirstlane_b32 s0, v1
	s_add_i32 s0, s0, -1
	s_cmp_eq_u32 s0, 1
	s_cbranch_scc1 .LBB9_97
; %bb.96:
	s_lshl_b32 s0, s0, 1
	s_set_gpr_idx_on s0, gpr_idx(SRC0)
	v_mov_b32_e32 v1, v3
	v_mov_b32_e32 v38, v2
	s_set_gpr_idx_off
	v_mov_b32_e32 v37, v33
	v_mov_b32_e32 v36, v32
	;; [unrolled: 1-line block ×34, first 2 shown]
	s_set_gpr_idx_on s0, gpr_idx(DST)
	v_mov_b32_e32 v6, v4
	v_mov_b32_e32 v7, v5
	s_set_gpr_idx_off
	v_mov_b32_e32 v2, v6
	v_mov_b32_e32 v3, v7
	;; [unrolled: 1-line block ×32, first 2 shown]
.LBB9_97:
	global_load_dword v0, v0, s[28:29]
	s_waitcnt vmcnt(0)
	v_readfirstlane_b32 s0, v0
	s_add_i32 s0, s0, -1
	s_cmp_eq_u32 s0, 0
	s_cbranch_scc1 .LBB9_99
; %bb.98:
	s_lshl_b32 s0, s0, 1
	s_set_gpr_idx_on s0, gpr_idx(SRC0)
	v_mov_b32_e32 v0, v3
	v_mov_b32_e32 v1, v2
	s_set_gpr_idx_off
	v_mov_b32_e32 v35, v33
	v_mov_b32_e32 v34, v32
	;; [unrolled: 1-line block ×34, first 2 shown]
	s_set_gpr_idx_on s0, gpr_idx(DST)
	v_mov_b32_e32 v4, v2
	v_mov_b32_e32 v5, v3
	s_set_gpr_idx_off
	v_mov_b32_e32 v2, v4
	v_mov_b32_e32 v3, v5
	;; [unrolled: 1-line block ×32, first 2 shown]
.LBB9_99:
	global_store_dwordx2 v[68:69], v[2:3], off
	global_store_dwordx2 v[70:71], v[4:5], off
	;; [unrolled: 1-line block ×10, first 2 shown]
	s_endpgm
	.section	.rodata,"a",@progbits
	.p2align	6, 0x0
	.amdhsa_kernel _ZN9rocsolver6v33100L18getri_kernel_smallILi10EdPdEEvT1_iilPiilS4_bb
		.amdhsa_group_segment_fixed_size 168
		.amdhsa_private_segment_fixed_size 0
		.amdhsa_kernarg_size 60
		.amdhsa_user_sgpr_count 6
		.amdhsa_user_sgpr_private_segment_buffer 1
		.amdhsa_user_sgpr_dispatch_ptr 0
		.amdhsa_user_sgpr_queue_ptr 0
		.amdhsa_user_sgpr_kernarg_segment_ptr 1
		.amdhsa_user_sgpr_dispatch_id 0
		.amdhsa_user_sgpr_flat_scratch_init 0
		.amdhsa_user_sgpr_private_segment_size 0
		.amdhsa_uses_dynamic_stack 0
		.amdhsa_system_sgpr_private_segment_wavefront_offset 0
		.amdhsa_system_sgpr_workgroup_id_x 1
		.amdhsa_system_sgpr_workgroup_id_y 0
		.amdhsa_system_sgpr_workgroup_id_z 0
		.amdhsa_system_sgpr_workgroup_info 0
		.amdhsa_system_vgpr_workitem_id 0
		.amdhsa_next_free_vgpr 72
		.amdhsa_next_free_sgpr 42
		.amdhsa_reserve_vcc 1
		.amdhsa_reserve_flat_scratch 0
		.amdhsa_float_round_mode_32 0
		.amdhsa_float_round_mode_16_64 0
		.amdhsa_float_denorm_mode_32 3
		.amdhsa_float_denorm_mode_16_64 3
		.amdhsa_dx10_clamp 1
		.amdhsa_ieee_mode 1
		.amdhsa_fp16_overflow 0
		.amdhsa_exception_fp_ieee_invalid_op 0
		.amdhsa_exception_fp_denorm_src 0
		.amdhsa_exception_fp_ieee_div_zero 0
		.amdhsa_exception_fp_ieee_overflow 0
		.amdhsa_exception_fp_ieee_underflow 0
		.amdhsa_exception_fp_ieee_inexact 0
		.amdhsa_exception_int_div_zero 0
	.end_amdhsa_kernel
	.section	.text._ZN9rocsolver6v33100L18getri_kernel_smallILi10EdPdEEvT1_iilPiilS4_bb,"axG",@progbits,_ZN9rocsolver6v33100L18getri_kernel_smallILi10EdPdEEvT1_iilPiilS4_bb,comdat
.Lfunc_end9:
	.size	_ZN9rocsolver6v33100L18getri_kernel_smallILi10EdPdEEvT1_iilPiilS4_bb, .Lfunc_end9-_ZN9rocsolver6v33100L18getri_kernel_smallILi10EdPdEEvT1_iilPiilS4_bb
                                        ; -- End function
	.set _ZN9rocsolver6v33100L18getri_kernel_smallILi10EdPdEEvT1_iilPiilS4_bb.num_vgpr, 72
	.set _ZN9rocsolver6v33100L18getri_kernel_smallILi10EdPdEEvT1_iilPiilS4_bb.num_agpr, 0
	.set _ZN9rocsolver6v33100L18getri_kernel_smallILi10EdPdEEvT1_iilPiilS4_bb.numbered_sgpr, 42
	.set _ZN9rocsolver6v33100L18getri_kernel_smallILi10EdPdEEvT1_iilPiilS4_bb.num_named_barrier, 0
	.set _ZN9rocsolver6v33100L18getri_kernel_smallILi10EdPdEEvT1_iilPiilS4_bb.private_seg_size, 0
	.set _ZN9rocsolver6v33100L18getri_kernel_smallILi10EdPdEEvT1_iilPiilS4_bb.uses_vcc, 1
	.set _ZN9rocsolver6v33100L18getri_kernel_smallILi10EdPdEEvT1_iilPiilS4_bb.uses_flat_scratch, 0
	.set _ZN9rocsolver6v33100L18getri_kernel_smallILi10EdPdEEvT1_iilPiilS4_bb.has_dyn_sized_stack, 0
	.set _ZN9rocsolver6v33100L18getri_kernel_smallILi10EdPdEEvT1_iilPiilS4_bb.has_recursion, 0
	.set _ZN9rocsolver6v33100L18getri_kernel_smallILi10EdPdEEvT1_iilPiilS4_bb.has_indirect_call, 0
	.section	.AMDGPU.csdata,"",@progbits
; Kernel info:
; codeLenInByte = 11420
; TotalNumSgprs: 46
; NumVgprs: 72
; ScratchSize: 0
; MemoryBound: 0
; FloatMode: 240
; IeeeMode: 1
; LDSByteSize: 168 bytes/workgroup (compile time only)
; SGPRBlocks: 5
; VGPRBlocks: 17
; NumSGPRsForWavesPerEU: 46
; NumVGPRsForWavesPerEU: 72
; Occupancy: 3
; WaveLimiterHint : 0
; COMPUTE_PGM_RSRC2:SCRATCH_EN: 0
; COMPUTE_PGM_RSRC2:USER_SGPR: 6
; COMPUTE_PGM_RSRC2:TRAP_HANDLER: 0
; COMPUTE_PGM_RSRC2:TGID_X_EN: 1
; COMPUTE_PGM_RSRC2:TGID_Y_EN: 0
; COMPUTE_PGM_RSRC2:TGID_Z_EN: 0
; COMPUTE_PGM_RSRC2:TIDIG_COMP_CNT: 0
	.section	.text._ZN9rocsolver6v33100L18getri_kernel_smallILi11EdPdEEvT1_iilPiilS4_bb,"axG",@progbits,_ZN9rocsolver6v33100L18getri_kernel_smallILi11EdPdEEvT1_iilPiilS4_bb,comdat
	.globl	_ZN9rocsolver6v33100L18getri_kernel_smallILi11EdPdEEvT1_iilPiilS4_bb ; -- Begin function _ZN9rocsolver6v33100L18getri_kernel_smallILi11EdPdEEvT1_iilPiilS4_bb
	.p2align	8
	.type	_ZN9rocsolver6v33100L18getri_kernel_smallILi11EdPdEEvT1_iilPiilS4_bb,@function
_ZN9rocsolver6v33100L18getri_kernel_smallILi11EdPdEEvT1_iilPiilS4_bb: ; @_ZN9rocsolver6v33100L18getri_kernel_smallILi11EdPdEEvT1_iilPiilS4_bb
; %bb.0:
	v_cmp_gt_u32_e32 vcc, 11, v0
	s_and_saveexec_b64 s[0:1], vcc
	s_cbranch_execz .LBB10_16
; %bb.1:
	s_load_dword s0, s[4:5], 0x38
	s_load_dwordx4 s[8:11], s[4:5], 0x10
	s_load_dwordx4 s[28:31], s[4:5], 0x28
                                        ; implicit-def: $sgpr34_sgpr35
	s_waitcnt lgkmcnt(0)
	s_bitcmp1_b32 s0, 8
	s_cselect_b64 s[36:37], -1, 0
	s_ashr_i32 s7, s6, 31
	s_bfe_u32 s0, s0, 0x10008
	s_cmp_eq_u32 s0, 0
	s_cbranch_scc1 .LBB10_3
; %bb.2:
	s_load_dword s0, s[4:5], 0x20
	s_mul_i32 s1, s28, s7
	s_mul_hi_u32 s2, s28, s6
	s_mul_i32 s3, s29, s6
	s_add_i32 s2, s2, s1
	s_add_i32 s3, s2, s3
	s_mul_i32 s2, s28, s6
	s_waitcnt lgkmcnt(0)
	s_ashr_i32 s1, s0, 31
	s_lshl_b64 s[2:3], s[2:3], 2
	s_add_u32 s2, s10, s2
	s_addc_u32 s3, s11, s3
	s_lshl_b64 s[0:1], s[0:1], 2
	s_add_u32 s34, s2, s0
	s_addc_u32 s35, s3, s1
.LBB10_3:
	s_load_dwordx4 s[0:3], s[4:5], 0x0
	s_load_dword s10, s[4:5], 0x38
	s_mul_i32 s11, s8, s7
	s_mul_hi_u32 s12, s8, s6
	s_mul_i32 s9, s9, s6
	s_waitcnt lgkmcnt(0)
	s_ashr_i32 s5, s2, 31
	s_mov_b32 s4, s2
	s_add_i32 s2, s12, s11
	s_add_i32 s9, s2, s9
	s_mul_i32 s8, s8, s6
	s_lshl_b64 s[8:9], s[8:9], 3
	s_add_u32 s2, s0, s8
	s_addc_u32 s8, s1, s9
	s_lshl_b64 s[0:1], s[4:5], 3
	s_add_u32 s0, s2, s0
	s_addc_u32 s1, s8, s1
	s_add_i32 s2, s3, s3
	v_add_u32_e32 v1, s2, v0
	v_ashrrev_i32_e32 v2, 31, v1
	v_lshlrev_b64 v[2:3], 3, v[1:2]
	v_add_u32_e32 v1, s3, v1
	v_mov_b32_e32 v4, s1
	v_add_co_u32_e32 v56, vcc, s0, v2
	v_ashrrev_i32_e32 v2, 31, v1
	v_addc_co_u32_e32 v57, vcc, v4, v3, vcc
	v_lshlrev_b64 v[2:3], 3, v[1:2]
	v_add_u32_e32 v1, s3, v1
	v_add_co_u32_e32 v58, vcc, s0, v2
	v_ashrrev_i32_e32 v2, 31, v1
	v_addc_co_u32_e32 v59, vcc, v4, v3, vcc
	v_lshlrev_b64 v[2:3], 3, v[1:2]
	v_add_u32_e32 v1, s3, v1
	;; [unrolled: 5-line block ×7, first 2 shown]
	v_add_co_u32_e32 v70, vcc, s0, v2
	v_ashrrev_i32_e32 v2, 31, v1
	v_lshlrev_b64 v[1:2], 3, v[1:2]
	v_addc_co_u32_e32 v71, vcc, v4, v3, vcc
	v_mov_b32_e32 v3, s1
	v_add_co_u32_e32 v72, vcc, s0, v1
	v_addc_co_u32_e32 v73, vcc, v3, v2, vcc
	v_lshlrev_b32_e32 v26, 3, v0
	v_mov_b32_e32 v1, s1
	v_add_co_u32_e32 v74, vcc, s0, v26
	s_ashr_i32 s5, s3, 31
	s_mov_b32 s4, s3
	v_addc_co_u32_e32 v75, vcc, 0, v1, vcc
	s_lshl_b64 s[2:3], s[4:5], 3
	v_mov_b32_e32 v1, s3
	v_add_co_u32_e32 v76, vcc, s2, v74
	v_addc_co_u32_e32 v77, vcc, v75, v1, vcc
	global_load_dwordx2 v[2:3], v26, s[0:1]
	global_load_dwordx2 v[4:5], v[76:77], off
	global_load_dwordx2 v[6:7], v[56:57], off
	global_load_dwordx2 v[8:9], v[58:59], off
	global_load_dwordx2 v[10:11], v[60:61], off
	global_load_dwordx2 v[12:13], v[62:63], off
	global_load_dwordx2 v[14:15], v[64:65], off
	global_load_dwordx2 v[16:17], v[66:67], off
	global_load_dwordx2 v[18:19], v[68:69], off
	global_load_dwordx2 v[20:21], v[70:71], off
	global_load_dwordx2 v[22:23], v[72:73], off
	v_mov_b32_e32 v1, 0
	s_bitcmp0_b32 s10, 0
	s_mov_b64 s[0:1], -1
	s_cbranch_scc1 .LBB10_14
; %bb.4:
	v_cmp_eq_u32_e64 s[0:1], 0, v0
	s_and_saveexec_b64 s[2:3], s[0:1]
; %bb.5:
	v_mov_b32_e32 v24, 0
	ds_write_b32 v24, v24 offset:88
; %bb.6:
	s_or_b64 exec, exec, s[2:3]
	v_cmp_eq_u32_e32 vcc, 1, v0
	s_waitcnt vmcnt(9)
	v_cndmask_b32_e32 v24, v3, v5, vcc
	v_cmp_eq_u32_e64 s[2:3], 2, v0
	s_waitcnt vmcnt(8)
	v_cndmask_b32_e64 v24, v24, v7, s[2:3]
	v_cmp_eq_u32_e64 s[4:5], 3, v0
	s_waitcnt vmcnt(7)
	v_cndmask_b32_e64 v24, v24, v9, s[4:5]
	;; [unrolled: 3-line block ×9, first 2 shown]
	v_cndmask_b32_e32 v24, v2, v4, vcc
	v_cndmask_b32_e64 v24, v24, v6, s[2:3]
	v_cndmask_b32_e64 v24, v24, v8, s[4:5]
	;; [unrolled: 1-line block ×9, first 2 shown]
	v_cmp_eq_f64_e32 vcc, 0, v[24:25]
	s_waitcnt lgkmcnt(0)
	; wave barrier
	s_and_saveexec_b64 s[4:5], vcc
	s_cbranch_execz .LBB10_10
; %bb.7:
	v_mov_b32_e32 v27, 0
	ds_read_b32 v29, v27 offset:88
	v_add_u32_e32 v28, 1, v0
	s_waitcnt lgkmcnt(0)
	v_readfirstlane_b32 s2, v29
	s_cmp_eq_u32 s2, 0
	s_cselect_b64 s[8:9], -1, 0
	v_cmp_gt_i32_e32 vcc, s2, v28
	s_or_b64 s[8:9], s[8:9], vcc
	s_and_b64 exec, exec, s[8:9]
	s_cbranch_execz .LBB10_10
; %bb.8:
	s_mov_b64 s[8:9], 0
	v_mov_b32_e32 v29, s2
.LBB10_9:                               ; =>This Inner Loop Header: Depth=1
	ds_cmpst_rtn_b32 v29, v27, v29, v28 offset:88
	s_waitcnt lgkmcnt(0)
	v_cmp_ne_u32_e32 vcc, 0, v29
	v_cmp_le_i32_e64 s[2:3], v29, v28
	s_and_b64 s[2:3], vcc, s[2:3]
	s_and_b64 s[2:3], exec, s[2:3]
	s_or_b64 s[8:9], s[2:3], s[8:9]
	s_andn2_b64 exec, exec, s[8:9]
	s_cbranch_execnz .LBB10_9
.LBB10_10:
	s_or_b64 exec, exec, s[4:5]
	v_mov_b32_e32 v28, 0
	; wave barrier
	ds_read_b32 v27, v28 offset:88
	s_and_saveexec_b64 s[2:3], s[0:1]
	s_cbranch_execz .LBB10_12
; %bb.11:
	s_lshl_b64 s[4:5], s[6:7], 2
	s_add_u32 s4, s30, s4
	s_addc_u32 s5, s31, s5
	s_waitcnt lgkmcnt(0)
	global_store_dword v28, v27, s[4:5]
.LBB10_12:
	s_or_b64 exec, exec, s[2:3]
	s_waitcnt lgkmcnt(0)
	v_cmp_ne_u32_e32 vcc, 0, v27
	s_cbranch_vccz .LBB10_17
; %bb.13:
	s_mov_b64 s[0:1], 0
                                        ; implicit-def: $vgpr2_vgpr3_vgpr4_vgpr5_vgpr6_vgpr7_vgpr8_vgpr9_vgpr10_vgpr11_vgpr12_vgpr13_vgpr14_vgpr15_vgpr16_vgpr17_vgpr18_vgpr19_vgpr20_vgpr21_vgpr22_vgpr23_vgpr24_vgpr25_vgpr26_vgpr27_vgpr28_vgpr29_vgpr30_vgpr31_vgpr32_vgpr33
.LBB10_14:
	s_and_b64 vcc, exec, s[0:1]
	s_cbranch_vccz .LBB10_16
.LBB10_15:
	s_lshl_b64 s[0:1], s[6:7], 2
	s_add_u32 s0, s30, s0
	s_addc_u32 s1, s31, s1
	v_mov_b32_e32 v1, 0
	global_load_dword v1, v1, s[0:1]
	s_waitcnt vmcnt(0)
	v_cmp_ne_u32_e32 vcc, 0, v1
	s_cbranch_vccz .LBB10_66
.LBB10_16:
	s_endpgm
.LBB10_17:
	v_div_scale_f64 v[27:28], s[2:3], v[24:25], v[24:25], 1.0
	v_rcp_f64_e32 v[29:30], v[27:28]
	v_fma_f64 v[31:32], -v[27:28], v[29:30], 1.0
	v_fma_f64 v[29:30], v[29:30], v[31:32], v[29:30]
	v_div_scale_f64 v[31:32], vcc, 1.0, v[24:25], 1.0
	v_fma_f64 v[33:34], -v[27:28], v[29:30], 1.0
	v_fma_f64 v[29:30], v[29:30], v[33:34], v[29:30]
	v_mul_f64 v[33:34], v[31:32], v[29:30]
	v_fma_f64 v[27:28], -v[27:28], v[33:34], v[31:32]
	v_div_fmas_f64 v[27:28], v[27:28], v[29:30], v[33:34]
	v_cmp_eq_u32_e32 vcc, 10, v0
	v_div_fixup_f64 v[24:25], v[27:28], v[24:25], 1.0
	v_add_u32_e32 v28, 0x60, v26
	v_cndmask_b32_e32 v23, v23, v25, vcc
	v_cndmask_b32_e32 v22, v22, v24, vcc
	v_cmp_eq_u32_e32 vcc, 9, v0
	v_cndmask_b32_e32 v21, v21, v25, vcc
	v_cndmask_b32_e32 v20, v20, v24, vcc
	v_cmp_eq_u32_e32 vcc, 8, v0
	v_cndmask_b32_e32 v19, v19, v25, vcc
	v_cndmask_b32_e32 v18, v18, v24, vcc
	v_cmp_eq_u32_e32 vcc, 7, v0
	v_cndmask_b32_e32 v17, v17, v25, vcc
	v_cndmask_b32_e32 v16, v16, v24, vcc
	v_cmp_eq_u32_e32 vcc, 6, v0
	v_cndmask_b32_e32 v15, v15, v25, vcc
	v_cndmask_b32_e32 v14, v14, v24, vcc
	v_cmp_eq_u32_e32 vcc, 5, v0
	v_cndmask_b32_e32 v13, v13, v25, vcc
	v_cndmask_b32_e32 v12, v12, v24, vcc
	v_cmp_eq_u32_e32 vcc, 4, v0
	v_cndmask_b32_e32 v11, v11, v25, vcc
	v_cndmask_b32_e32 v10, v10, v24, vcc
	v_cmp_eq_u32_e32 vcc, 3, v0
	v_cndmask_b32_e32 v9, v9, v25, vcc
	v_cndmask_b32_e32 v8, v8, v24, vcc
	v_cmp_eq_u32_e32 vcc, 2, v0
	v_cndmask_b32_e32 v7, v7, v25, vcc
	v_cndmask_b32_e32 v6, v6, v24, vcc
	v_cmp_eq_u32_e32 vcc, 1, v0
	v_cndmask_b32_e32 v5, v5, v25, vcc
	v_cndmask_b32_e32 v4, v4, v24, vcc
	v_cmp_eq_u32_e32 vcc, 0, v0
	v_cndmask_b32_e32 v3, v3, v25, vcc
	v_cndmask_b32_e32 v2, v2, v24, vcc
	v_xor_b32_e32 v30, 0x80000000, v25
	v_mov_b32_e32 v29, v24
	ds_write2_b64 v26, v[29:30], v[4:5] offset1:12
	s_waitcnt lgkmcnt(0)
	; wave barrier
	s_and_saveexec_b64 s[2:3], s[0:1]
	s_cbranch_execz .LBB10_19
; %bb.18:
	ds_read_b64 v[4:5], v28
	v_mov_b32_e32 v26, 0
	ds_read_b64 v[26:27], v26 offset:8
	s_waitcnt lgkmcnt(1)
	v_fma_f64 v[4:5], v[24:25], v[4:5], 0
	s_waitcnt lgkmcnt(0)
	v_mul_f64 v[4:5], v[4:5], v[26:27]
.LBB10_19:
	s_or_b64 exec, exec, s[2:3]
	v_cmp_gt_u32_e32 vcc, 2, v0
	; wave barrier
	ds_write_b64 v28, v[6:7]
	s_waitcnt lgkmcnt(0)
	; wave barrier
	s_and_saveexec_b64 s[24:25], vcc
	s_cbranch_execz .LBB10_21
; %bb.20:
	v_cmp_eq_u32_e64 s[2:3], 1, v0
	v_cndmask_b32_e64 v24, v3, v5, s[2:3]
	v_cmp_eq_u32_e64 s[4:5], 2, v0
	v_cndmask_b32_e64 v7, v24, v7, s[4:5]
	v_cndmask_b32_e64 v24, v2, v4, s[2:3]
	v_cmp_eq_u32_e64 s[8:9], 3, v0
	v_cndmask_b32_e64 v6, v24, v6, s[4:5]
	;; [unrolled: 3-line block ×6, first 2 shown]
	ds_read_b64 v[24:25], v28
	v_cndmask_b32_e64 v7, v7, v17, s[16:17]
	v_cmp_eq_u32_e64 s[18:19], 8, v0
	v_cndmask_b32_e64 v6, v6, v16, s[16:17]
	v_cndmask_b32_e64 v7, v7, v19, s[18:19]
	v_cmp_eq_u32_e64 s[20:21], 9, v0
	v_cndmask_b32_e64 v6, v6, v18, s[18:19]
	;; [unrolled: 3-line block ×3, first 2 shown]
	v_cndmask_b32_e64 v7, v7, v23, s[22:23]
	v_cndmask_b32_e64 v6, v6, v22, s[22:23]
	s_waitcnt lgkmcnt(0)
	v_fma_f64 v[6:7], v[6:7], v[24:25], 0
	v_mov_b32_e32 v24, 0
	ds_read2_b64 v[24:27], v24 offset0:2 offset1:13
	s_waitcnt lgkmcnt(0)
	v_fma_f64 v[26:27], v[4:5], v[26:27], v[6:7]
	v_cndmask_b32_e64 v7, v7, v27, s[0:1]
	v_cndmask_b32_e64 v6, v6, v26, s[0:1]
	v_mul_f64 v[6:7], v[6:7], v[24:25]
.LBB10_21:
	s_or_b64 exec, exec, s[24:25]
	v_cmp_gt_u32_e64 s[2:3], 3, v0
	; wave barrier
	ds_write_b64 v28, v[8:9]
	s_waitcnt lgkmcnt(0)
	; wave barrier
	s_and_saveexec_b64 s[8:9], s[2:3]
	s_cbranch_execz .LBB10_25
; %bb.22:
	v_mov_b32_e32 v24, 0x60
	v_lshl_add_u32 v29, v0, 3, v24
	v_mov_b32_e32 v24, 0
	v_mov_b32_e32 v27, v1
	;; [unrolled: 1-line block ×3, first 2 shown]
	s_mov_b64 s[10:11], 0
	v_mov_b32_e32 v26, v0
.LBB10_23:                              ; =>This Inner Loop Header: Depth=1
	v_cmp_eq_u32_e64 s[2:3], 1, v26
	v_cndmask_b32_e64 v32, v3, v5, s[2:3]
	v_cmp_eq_u32_e64 s[4:5], 2, v26
	v_cndmask_b32_e64 v32, v32, v7, s[4:5]
	v_cndmask_b32_e64 v33, v2, v4, s[2:3]
	v_cmp_eq_u32_e64 s[2:3], 3, v26
	v_cndmask_b32_e64 v32, v32, v9, s[2:3]
	;; [unrolled: 3-line block ×5, first 2 shown]
	v_cndmask_b32_e64 v33, v33, v12, s[2:3]
	v_cmp_eq_u32_e64 s[2:3], 7, v26
	ds_read_b64 v[30:31], v29
	v_cndmask_b32_e64 v32, v32, v17, s[2:3]
	v_cndmask_b32_e64 v33, v33, v14, s[4:5]
	v_cmp_eq_u32_e64 s[4:5], 8, v26
	v_cndmask_b32_e64 v32, v32, v19, s[4:5]
	v_cndmask_b32_e64 v33, v33, v16, s[2:3]
	v_cmp_eq_u32_e64 s[2:3], 9, v26
	;; [unrolled: 3-line block ×3, first 2 shown]
	v_cndmask_b32_e64 v33, v32, v23, s[4:5]
	v_cndmask_b32_e64 v32, v34, v20, s[2:3]
	;; [unrolled: 1-line block ×3, first 2 shown]
	s_waitcnt lgkmcnt(0)
	v_fma_f64 v[24:25], v[32:33], v[30:31], v[24:25]
	v_add_co_u32_e64 v26, s[2:3], 1, v26
	v_addc_co_u32_e64 v27, s[2:3], 0, v27, s[2:3]
	v_add_u32_e32 v30, -1, v26
	v_cmp_lt_u32_e64 s[2:3], 1, v30
	s_or_b64 s[10:11], s[2:3], s[10:11]
	v_add_u32_e32 v29, 8, v29
	s_andn2_b64 exec, exec, s[10:11]
	s_cbranch_execnz .LBB10_23
; %bb.24:
	s_or_b64 exec, exec, s[10:11]
	v_mov_b32_e32 v8, 0
	ds_read_b64 v[8:9], v8 offset:24
	s_waitcnt lgkmcnt(0)
	v_mul_f64 v[8:9], v[24:25], v[8:9]
.LBB10_25:
	s_or_b64 exec, exec, s[8:9]
	v_cmp_gt_u32_e64 s[2:3], 4, v0
	; wave barrier
	ds_write_b64 v28, v[10:11]
	s_waitcnt lgkmcnt(0)
	; wave barrier
	s_and_saveexec_b64 s[10:11], s[2:3]
	s_cbranch_execz .LBB10_29
; %bb.26:
	v_mov_b32_e32 v24, 0x60
	v_lshl_add_u32 v29, v0, 3, v24
	v_mov_b32_e32 v24, 0
	v_mov_b32_e32 v27, v1
	;; [unrolled: 1-line block ×3, first 2 shown]
	s_mov_b64 s[12:13], 0
	v_mov_b32_e32 v26, v0
.LBB10_27:                              ; =>This Inner Loop Header: Depth=1
	v_cmp_eq_u32_e64 s[4:5], 1, v26
	v_cndmask_b32_e64 v32, v3, v5, s[4:5]
	v_cmp_eq_u32_e64 s[8:9], 2, v26
	v_cndmask_b32_e64 v32, v32, v7, s[8:9]
	v_cndmask_b32_e64 v33, v2, v4, s[4:5]
	v_cmp_eq_u32_e64 s[4:5], 3, v26
	v_cndmask_b32_e64 v32, v32, v9, s[4:5]
	v_cndmask_b32_e64 v33, v33, v6, s[8:9]
	v_cmp_eq_u32_e64 s[8:9], 4, v26
	v_cndmask_b32_e64 v32, v32, v11, s[8:9]
	v_cndmask_b32_e64 v33, v33, v8, s[4:5]
	v_cmp_eq_u32_e64 s[4:5], 5, v26
	v_cndmask_b32_e64 v32, v32, v13, s[4:5]
	v_cndmask_b32_e64 v33, v33, v10, s[8:9]
	v_cmp_eq_u32_e64 s[8:9], 6, v26
	v_cndmask_b32_e64 v32, v32, v15, s[8:9]
	v_cndmask_b32_e64 v33, v33, v12, s[4:5]
	v_cmp_eq_u32_e64 s[4:5], 7, v26
	ds_read_b64 v[30:31], v29
	v_cndmask_b32_e64 v32, v32, v17, s[4:5]
	v_cndmask_b32_e64 v33, v33, v14, s[8:9]
	v_cmp_eq_u32_e64 s[8:9], 8, v26
	v_cndmask_b32_e64 v32, v32, v19, s[8:9]
	v_cndmask_b32_e64 v33, v33, v16, s[4:5]
	v_cmp_eq_u32_e64 s[4:5], 9, v26
	;; [unrolled: 3-line block ×3, first 2 shown]
	v_cndmask_b32_e64 v33, v32, v23, s[8:9]
	v_cndmask_b32_e64 v32, v34, v20, s[4:5]
	;; [unrolled: 1-line block ×3, first 2 shown]
	s_waitcnt lgkmcnt(0)
	v_fma_f64 v[24:25], v[32:33], v[30:31], v[24:25]
	v_add_co_u32_e64 v26, s[4:5], 1, v26
	v_addc_co_u32_e64 v27, s[4:5], 0, v27, s[4:5]
	v_add_u32_e32 v30, -1, v26
	v_cmp_lt_u32_e64 s[4:5], 2, v30
	s_or_b64 s[12:13], s[4:5], s[12:13]
	v_add_u32_e32 v29, 8, v29
	s_andn2_b64 exec, exec, s[12:13]
	s_cbranch_execnz .LBB10_27
; %bb.28:
	s_or_b64 exec, exec, s[12:13]
	v_mov_b32_e32 v10, 0
	ds_read_b64 v[10:11], v10 offset:32
	s_waitcnt lgkmcnt(0)
	v_mul_f64 v[10:11], v[24:25], v[10:11]
.LBB10_29:
	s_or_b64 exec, exec, s[10:11]
	v_cmp_gt_u32_e64 s[4:5], 5, v0
	; wave barrier
	ds_write_b64 v28, v[12:13]
	s_waitcnt lgkmcnt(0)
	; wave barrier
	s_and_saveexec_b64 s[10:11], s[4:5]
	s_cbranch_execz .LBB10_33
; %bb.30:
	v_mov_b32_e32 v24, 0x60
	v_lshl_add_u32 v29, v0, 3, v24
	v_mov_b32_e32 v24, 0
	v_mov_b32_e32 v27, v1
	;; [unrolled: 1-line block ×3, first 2 shown]
	s_mov_b64 s[12:13], 0
	v_mov_b32_e32 v26, v0
.LBB10_31:                              ; =>This Inner Loop Header: Depth=1
	v_cmp_eq_u32_e64 s[4:5], 1, v26
	v_cndmask_b32_e64 v32, v3, v5, s[4:5]
	v_cmp_eq_u32_e64 s[8:9], 2, v26
	v_cndmask_b32_e64 v32, v32, v7, s[8:9]
	v_cndmask_b32_e64 v33, v2, v4, s[4:5]
	v_cmp_eq_u32_e64 s[4:5], 3, v26
	v_cndmask_b32_e64 v32, v32, v9, s[4:5]
	;; [unrolled: 3-line block ×5, first 2 shown]
	v_cndmask_b32_e64 v33, v33, v12, s[4:5]
	v_cmp_eq_u32_e64 s[4:5], 7, v26
	ds_read_b64 v[30:31], v29
	v_cndmask_b32_e64 v32, v32, v17, s[4:5]
	v_cndmask_b32_e64 v33, v33, v14, s[8:9]
	v_cmp_eq_u32_e64 s[8:9], 8, v26
	v_cndmask_b32_e64 v32, v32, v19, s[8:9]
	v_cndmask_b32_e64 v33, v33, v16, s[4:5]
	v_cmp_eq_u32_e64 s[4:5], 9, v26
	;; [unrolled: 3-line block ×3, first 2 shown]
	v_cndmask_b32_e64 v33, v32, v23, s[8:9]
	v_cndmask_b32_e64 v32, v34, v20, s[4:5]
	;; [unrolled: 1-line block ×3, first 2 shown]
	s_waitcnt lgkmcnt(0)
	v_fma_f64 v[24:25], v[32:33], v[30:31], v[24:25]
	v_add_co_u32_e64 v26, s[4:5], 1, v26
	v_addc_co_u32_e64 v27, s[4:5], 0, v27, s[4:5]
	v_add_u32_e32 v30, -1, v26
	v_cmp_lt_u32_e64 s[4:5], 3, v30
	s_or_b64 s[12:13], s[4:5], s[12:13]
	v_add_u32_e32 v29, 8, v29
	s_andn2_b64 exec, exec, s[12:13]
	s_cbranch_execnz .LBB10_31
; %bb.32:
	s_or_b64 exec, exec, s[12:13]
	v_mov_b32_e32 v12, 0
	ds_read_b64 v[12:13], v12 offset:40
	s_waitcnt lgkmcnt(0)
	v_mul_f64 v[12:13], v[24:25], v[12:13]
.LBB10_33:
	s_or_b64 exec, exec, s[10:11]
	v_cmp_gt_u32_e64 s[4:5], 6, v0
	; wave barrier
	ds_write_b64 v28, v[14:15]
	s_waitcnt lgkmcnt(0)
	; wave barrier
	s_and_saveexec_b64 s[12:13], s[4:5]
	s_cbranch_execz .LBB10_37
; %bb.34:
	v_mov_b32_e32 v24, 0x60
	v_lshl_add_u32 v29, v0, 3, v24
	v_mov_b32_e32 v24, 0
	v_mov_b32_e32 v27, v1
	;; [unrolled: 1-line block ×3, first 2 shown]
	s_mov_b64 s[14:15], 0
	v_mov_b32_e32 v26, v0
.LBB10_35:                              ; =>This Inner Loop Header: Depth=1
	v_cmp_eq_u32_e64 s[8:9], 1, v26
	v_cndmask_b32_e64 v32, v3, v5, s[8:9]
	v_cmp_eq_u32_e64 s[10:11], 2, v26
	v_cndmask_b32_e64 v32, v32, v7, s[10:11]
	v_cndmask_b32_e64 v33, v2, v4, s[8:9]
	v_cmp_eq_u32_e64 s[8:9], 3, v26
	v_cndmask_b32_e64 v32, v32, v9, s[8:9]
	v_cndmask_b32_e64 v33, v33, v6, s[10:11]
	v_cmp_eq_u32_e64 s[10:11], 4, v26
	v_cndmask_b32_e64 v32, v32, v11, s[10:11]
	v_cndmask_b32_e64 v33, v33, v8, s[8:9]
	v_cmp_eq_u32_e64 s[8:9], 5, v26
	v_cndmask_b32_e64 v32, v32, v13, s[8:9]
	v_cndmask_b32_e64 v33, v33, v10, s[10:11]
	v_cmp_eq_u32_e64 s[10:11], 6, v26
	v_cndmask_b32_e64 v32, v32, v15, s[10:11]
	v_cndmask_b32_e64 v33, v33, v12, s[8:9]
	v_cmp_eq_u32_e64 s[8:9], 7, v26
	ds_read_b64 v[30:31], v29
	v_cndmask_b32_e64 v32, v32, v17, s[8:9]
	v_cndmask_b32_e64 v33, v33, v14, s[10:11]
	v_cmp_eq_u32_e64 s[10:11], 8, v26
	v_cndmask_b32_e64 v32, v32, v19, s[10:11]
	v_cndmask_b32_e64 v33, v33, v16, s[8:9]
	v_cmp_eq_u32_e64 s[8:9], 9, v26
	;; [unrolled: 3-line block ×3, first 2 shown]
	v_cndmask_b32_e64 v33, v32, v23, s[10:11]
	v_cndmask_b32_e64 v32, v34, v20, s[8:9]
	v_cndmask_b32_e64 v32, v32, v22, s[10:11]
	s_waitcnt lgkmcnt(0)
	v_fma_f64 v[24:25], v[32:33], v[30:31], v[24:25]
	v_add_co_u32_e64 v26, s[8:9], 1, v26
	v_addc_co_u32_e64 v27, s[8:9], 0, v27, s[8:9]
	v_add_u32_e32 v30, -1, v26
	v_cmp_lt_u32_e64 s[8:9], 4, v30
	s_or_b64 s[14:15], s[8:9], s[14:15]
	v_add_u32_e32 v29, 8, v29
	s_andn2_b64 exec, exec, s[14:15]
	s_cbranch_execnz .LBB10_35
; %bb.36:
	s_or_b64 exec, exec, s[14:15]
	v_mov_b32_e32 v14, 0
	ds_read_b64 v[14:15], v14 offset:48
	s_waitcnt lgkmcnt(0)
	v_mul_f64 v[14:15], v[24:25], v[14:15]
.LBB10_37:
	s_or_b64 exec, exec, s[12:13]
	v_cmp_gt_u32_e64 s[8:9], 7, v0
	; wave barrier
	ds_write_b64 v28, v[16:17]
	s_waitcnt lgkmcnt(0)
	; wave barrier
	s_and_saveexec_b64 s[12:13], s[8:9]
	s_cbranch_execz .LBB10_41
; %bb.38:
	v_mov_b32_e32 v24, 0x60
	v_lshl_add_u32 v29, v0, 3, v24
	v_mov_b32_e32 v24, 0
	v_mov_b32_e32 v27, v1
	;; [unrolled: 1-line block ×3, first 2 shown]
	s_mov_b64 s[14:15], 0
	v_mov_b32_e32 v26, v0
.LBB10_39:                              ; =>This Inner Loop Header: Depth=1
	v_cmp_eq_u32_e64 s[8:9], 1, v26
	v_cndmask_b32_e64 v32, v3, v5, s[8:9]
	v_cmp_eq_u32_e64 s[10:11], 2, v26
	v_cndmask_b32_e64 v32, v32, v7, s[10:11]
	v_cndmask_b32_e64 v33, v2, v4, s[8:9]
	v_cmp_eq_u32_e64 s[8:9], 3, v26
	v_cndmask_b32_e64 v32, v32, v9, s[8:9]
	;; [unrolled: 3-line block ×5, first 2 shown]
	v_cndmask_b32_e64 v33, v33, v12, s[8:9]
	v_cmp_eq_u32_e64 s[8:9], 7, v26
	ds_read_b64 v[30:31], v29
	v_cndmask_b32_e64 v32, v32, v17, s[8:9]
	v_cndmask_b32_e64 v33, v33, v14, s[10:11]
	v_cmp_eq_u32_e64 s[10:11], 8, v26
	v_cndmask_b32_e64 v32, v32, v19, s[10:11]
	v_cndmask_b32_e64 v33, v33, v16, s[8:9]
	v_cmp_eq_u32_e64 s[8:9], 9, v26
	;; [unrolled: 3-line block ×3, first 2 shown]
	v_cndmask_b32_e64 v33, v32, v23, s[10:11]
	v_cndmask_b32_e64 v32, v34, v20, s[8:9]
	;; [unrolled: 1-line block ×3, first 2 shown]
	s_waitcnt lgkmcnt(0)
	v_fma_f64 v[24:25], v[32:33], v[30:31], v[24:25]
	v_add_co_u32_e64 v26, s[8:9], 1, v26
	v_addc_co_u32_e64 v27, s[8:9], 0, v27, s[8:9]
	v_add_u32_e32 v30, -1, v26
	v_cmp_lt_u32_e64 s[8:9], 5, v30
	s_or_b64 s[14:15], s[8:9], s[14:15]
	v_add_u32_e32 v29, 8, v29
	s_andn2_b64 exec, exec, s[14:15]
	s_cbranch_execnz .LBB10_39
; %bb.40:
	s_or_b64 exec, exec, s[14:15]
	v_mov_b32_e32 v16, 0
	ds_read_b64 v[16:17], v16 offset:56
	s_waitcnt lgkmcnt(0)
	v_mul_f64 v[16:17], v[24:25], v[16:17]
.LBB10_41:
	s_or_b64 exec, exec, s[12:13]
	v_cmp_gt_u32_e64 s[8:9], 8, v0
	; wave barrier
	ds_write_b64 v28, v[18:19]
	s_waitcnt lgkmcnt(0)
	; wave barrier
	s_and_saveexec_b64 s[28:29], s[8:9]
	s_cbranch_execz .LBB10_57
; %bb.42:
	v_cmp_eq_u32_e64 s[8:9], 1, v0
	v_cndmask_b32_e64 v24, v3, v5, s[8:9]
	v_cmp_eq_u32_e64 s[10:11], 2, v0
	v_cndmask_b32_e64 v24, v24, v7, s[10:11]
	;; [unrolled: 2-line block ×10, first 2 shown]
	v_cndmask_b32_e64 v24, v2, v4, s[8:9]
	v_cndmask_b32_e64 v24, v24, v6, s[10:11]
	v_cndmask_b32_e64 v24, v24, v8, s[12:13]
	v_cndmask_b32_e64 v24, v24, v10, s[14:15]
	v_cndmask_b32_e64 v24, v24, v12, s[16:17]
	v_cndmask_b32_e64 v24, v24, v14, s[18:19]
	ds_read_b64 v[26:27], v28
	v_cndmask_b32_e64 v24, v24, v16, s[20:21]
	v_cndmask_b32_e64 v24, v24, v18, s[22:23]
	;; [unrolled: 1-line block ×4, first 2 shown]
	s_waitcnt lgkmcnt(0)
	v_fma_f64 v[24:25], v[24:25], v[26:27], 0
	v_cmp_ne_u32_e64 s[8:9], 7, v0
	s_and_saveexec_b64 s[38:39], s[8:9]
	s_cbranch_execz .LBB10_56
; %bb.43:
	v_add_u32_e32 v26, 1, v0
	v_cmp_eq_u32_e64 s[8:9], 1, v26
	v_cndmask_b32_e64 v27, v3, v5, s[8:9]
	v_cmp_eq_u32_e64 s[10:11], 2, v26
	v_cmp_eq_u32_e64 s[12:13], 3, v26
	;; [unrolled: 1-line block ×9, first 2 shown]
	v_cndmask_b32_e64 v26, v2, v4, s[8:9]
	v_cndmask_b32_e64 v27, v27, v7, s[10:11]
	;; [unrolled: 1-line block ×11, first 2 shown]
	ds_read_b64 v[29:30], v28 offset:8
	v_cndmask_b32_e64 v27, v27, v17, s[20:21]
	v_cndmask_b32_e64 v26, v26, v16, s[20:21]
	;; [unrolled: 1-line block ×8, first 2 shown]
	s_waitcnt lgkmcnt(0)
	v_fma_f64 v[24:25], v[26:27], v[29:30], v[24:25]
	s_and_saveexec_b64 s[26:27], s[4:5]
	s_cbranch_execz .LBB10_55
; %bb.44:
	v_add_u32_e32 v26, 2, v0
	v_cmp_eq_u32_e64 s[4:5], 1, v26
	v_cndmask_b32_e64 v27, v3, v5, s[4:5]
	v_cmp_eq_u32_e64 s[8:9], 2, v26
	v_cmp_eq_u32_e64 s[10:11], 3, v26
	v_cmp_eq_u32_e64 s[12:13], 4, v26
	v_cmp_eq_u32_e64 s[14:15], 5, v26
	v_cmp_eq_u32_e64 s[16:17], 6, v26
	v_cmp_eq_u32_e64 s[18:19], 7, v26
	v_cmp_eq_u32_e64 s[20:21], 8, v26
	v_cmp_eq_u32_e64 s[22:23], 9, v26
	v_cmp_eq_u32_e64 s[24:25], 10, v26
	v_cndmask_b32_e64 v26, v2, v4, s[4:5]
	v_cndmask_b32_e64 v27, v27, v7, s[8:9]
	;; [unrolled: 1-line block ×11, first 2 shown]
	ds_read_b64 v[29:30], v28 offset:16
	v_cndmask_b32_e64 v27, v27, v17, s[18:19]
	v_cndmask_b32_e64 v26, v26, v16, s[18:19]
	;; [unrolled: 1-line block ×8, first 2 shown]
	s_waitcnt lgkmcnt(0)
	v_fma_f64 v[24:25], v[26:27], v[29:30], v[24:25]
	v_cmp_ne_u32_e64 s[4:5], 5, v0
	s_and_saveexec_b64 s[40:41], s[4:5]
	s_cbranch_execz .LBB10_54
; %bb.45:
	v_add_u32_e32 v26, 3, v0
	v_cmp_eq_u32_e64 s[4:5], 1, v26
	v_cndmask_b32_e64 v27, v3, v5, s[4:5]
	v_cmp_eq_u32_e64 s[8:9], 2, v26
	v_cmp_eq_u32_e64 s[10:11], 3, v26
	;; [unrolled: 1-line block ×9, first 2 shown]
	v_cndmask_b32_e64 v26, v2, v4, s[4:5]
	v_cndmask_b32_e64 v27, v27, v7, s[8:9]
	;; [unrolled: 1-line block ×11, first 2 shown]
	ds_read_b64 v[29:30], v28 offset:24
	v_cndmask_b32_e64 v27, v27, v17, s[18:19]
	v_cndmask_b32_e64 v26, v26, v16, s[18:19]
	;; [unrolled: 1-line block ×8, first 2 shown]
	s_waitcnt lgkmcnt(0)
	v_fma_f64 v[24:25], v[26:27], v[29:30], v[24:25]
	s_and_saveexec_b64 s[24:25], s[2:3]
	s_cbranch_execz .LBB10_53
; %bb.46:
	v_or_b32_e32 v26, 4, v0
	v_cmp_eq_u32_e64 s[2:3], 1, v26
	v_cndmask_b32_e64 v27, v3, v5, s[2:3]
	v_cmp_eq_u32_e64 s[4:5], 2, v26
	v_cmp_eq_u32_e64 s[8:9], 3, v26
	;; [unrolled: 1-line block ×9, first 2 shown]
	v_cndmask_b32_e64 v26, v2, v4, s[2:3]
	v_cndmask_b32_e64 v27, v27, v7, s[4:5]
	;; [unrolled: 1-line block ×11, first 2 shown]
	ds_read_b64 v[29:30], v28 offset:32
	v_cndmask_b32_e64 v27, v27, v17, s[16:17]
	v_cndmask_b32_e64 v26, v26, v16, s[16:17]
	;; [unrolled: 1-line block ×8, first 2 shown]
	s_waitcnt lgkmcnt(0)
	v_fma_f64 v[24:25], v[26:27], v[29:30], v[24:25]
	v_cmp_ne_u32_e64 s[2:3], 3, v0
	s_and_saveexec_b64 s[42:43], s[2:3]
	s_cbranch_execz .LBB10_52
; %bb.47:
	v_add_u32_e32 v26, 5, v0
	v_cmp_eq_u32_e64 s[2:3], 1, v26
	v_cndmask_b32_e64 v27, v3, v5, s[2:3]
	v_cmp_eq_u32_e64 s[4:5], 2, v26
	v_cmp_eq_u32_e64 s[8:9], 3, v26
	v_cmp_eq_u32_e64 s[10:11], 4, v26
	v_cmp_eq_u32_e64 s[12:13], 5, v26
	v_cmp_eq_u32_e64 s[14:15], 6, v26
	v_cmp_eq_u32_e64 s[16:17], 7, v26
	v_cmp_eq_u32_e64 s[18:19], 8, v26
	v_cmp_eq_u32_e64 s[20:21], 9, v26
	v_cmp_eq_u32_e64 s[22:23], 10, v26
	v_cndmask_b32_e64 v26, v2, v4, s[2:3]
	v_cndmask_b32_e64 v27, v27, v7, s[4:5]
	;; [unrolled: 1-line block ×11, first 2 shown]
	ds_read_b64 v[29:30], v28 offset:40
	v_cndmask_b32_e64 v27, v27, v17, s[16:17]
	v_cndmask_b32_e64 v26, v26, v16, s[16:17]
	;; [unrolled: 1-line block ×8, first 2 shown]
	s_waitcnt lgkmcnt(0)
	v_fma_f64 v[24:25], v[26:27], v[29:30], v[24:25]
	s_and_saveexec_b64 s[22:23], vcc
	s_cbranch_execz .LBB10_51
; %bb.48:
	v_or_b32_e32 v26, 6, v0
	v_cmp_eq_u32_e32 vcc, 1, v26
	v_cndmask_b32_e32 v27, v3, v5, vcc
	v_cmp_eq_u32_e64 s[2:3], 2, v26
	v_cndmask_b32_e64 v27, v27, v7, s[2:3]
	v_cmp_eq_u32_e64 s[4:5], 3, v26
	v_cndmask_b32_e64 v27, v27, v9, s[4:5]
	v_cmp_eq_u32_e64 s[8:9], 4, v26
	v_cmp_eq_u32_e64 s[10:11], 5, v26
	;; [unrolled: 1-line block ×7, first 2 shown]
	v_cndmask_b32_e32 v26, v2, v4, vcc
	v_cndmask_b32_e64 v27, v27, v11, s[8:9]
	v_cndmask_b32_e64 v26, v26, v6, s[2:3]
	;; [unrolled: 1-line block ×10, first 2 shown]
	ds_read_b64 v[26:27], v28 offset:48
	v_cndmask_b32_e64 v29, v29, v16, s[14:15]
	v_cndmask_b32_e64 v18, v29, v18, s[16:17]
	;; [unrolled: 1-line block ×6, first 2 shown]
	s_waitcnt lgkmcnt(0)
	v_fma_f64 v[24:25], v[18:19], v[26:27], v[24:25]
	s_and_saveexec_b64 s[2:3], s[0:1]
	s_cbranch_execz .LBB10_50
; %bb.49:
	ds_read_b64 v[18:19], v28 offset:56
	s_waitcnt lgkmcnt(0)
	v_fma_f64 v[24:25], v[16:17], v[18:19], v[24:25]
.LBB10_50:
	s_or_b64 exec, exec, s[2:3]
.LBB10_51:
	s_or_b64 exec, exec, s[22:23]
.LBB10_52:
	s_or_b64 exec, exec, s[42:43]
.LBB10_53:
	s_or_b64 exec, exec, s[24:25]
.LBB10_54:
	s_or_b64 exec, exec, s[40:41]
.LBB10_55:
	s_or_b64 exec, exec, s[26:27]
.LBB10_56:
	s_or_b64 exec, exec, s[38:39]
	v_mov_b32_e32 v18, 0
	ds_read_b64 v[18:19], v18 offset:64
	s_waitcnt lgkmcnt(0)
	v_mul_f64 v[18:19], v[24:25], v[18:19]
.LBB10_57:
	s_or_b64 exec, exec, s[28:29]
	v_cmp_gt_u32_e32 vcc, 9, v0
	; wave barrier
	ds_write_b64 v28, v[20:21]
	s_waitcnt lgkmcnt(0)
	; wave barrier
	s_and_saveexec_b64 s[2:3], vcc
	s_cbranch_execz .LBB10_61
; %bb.58:
	v_mov_b32_e32 v24, 0x60
	v_lshl_add_u32 v29, v0, 3, v24
	v_mov_b32_e32 v24, 0
	v_mov_b32_e32 v27, v1
	;; [unrolled: 1-line block ×3, first 2 shown]
	s_mov_b64 s[4:5], 0
	v_mov_b32_e32 v26, v0
.LBB10_59:                              ; =>This Inner Loop Header: Depth=1
	v_cmp_eq_u32_e32 vcc, 1, v26
	v_cndmask_b32_e32 v32, v3, v5, vcc
	v_cmp_eq_u32_e64 s[0:1], 2, v26
	v_cndmask_b32_e64 v32, v32, v7, s[0:1]
	v_cndmask_b32_e32 v33, v2, v4, vcc
	v_cmp_eq_u32_e32 vcc, 3, v26
	v_cndmask_b32_e32 v32, v32, v9, vcc
	v_cndmask_b32_e64 v33, v33, v6, s[0:1]
	v_cmp_eq_u32_e64 s[0:1], 4, v26
	v_cndmask_b32_e64 v32, v32, v11, s[0:1]
	v_cndmask_b32_e32 v33, v33, v8, vcc
	v_cmp_eq_u32_e32 vcc, 5, v26
	v_cndmask_b32_e32 v32, v32, v13, vcc
	v_cndmask_b32_e64 v33, v33, v10, s[0:1]
	v_cmp_eq_u32_e64 s[0:1], 6, v26
	v_cndmask_b32_e64 v32, v32, v15, s[0:1]
	v_cndmask_b32_e32 v33, v33, v12, vcc
	v_cmp_eq_u32_e32 vcc, 7, v26
	ds_read_b64 v[30:31], v29
	v_cndmask_b32_e32 v32, v32, v17, vcc
	v_cndmask_b32_e64 v33, v33, v14, s[0:1]
	v_cmp_eq_u32_e64 s[0:1], 8, v26
	v_cndmask_b32_e64 v32, v32, v19, s[0:1]
	v_cndmask_b32_e32 v33, v33, v16, vcc
	v_cmp_eq_u32_e32 vcc, 9, v26
	v_cndmask_b32_e32 v32, v32, v21, vcc
	v_cndmask_b32_e64 v34, v33, v18, s[0:1]
	v_cmp_eq_u32_e64 s[0:1], 10, v26
	v_cndmask_b32_e64 v33, v32, v23, s[0:1]
	v_cndmask_b32_e32 v32, v34, v20, vcc
	v_cndmask_b32_e64 v32, v32, v22, s[0:1]
	s_waitcnt lgkmcnt(0)
	v_fma_f64 v[24:25], v[32:33], v[30:31], v[24:25]
	v_add_co_u32_e32 v26, vcc, 1, v26
	v_addc_co_u32_e32 v27, vcc, 0, v27, vcc
	v_add_u32_e32 v30, -1, v26
	v_cmp_lt_u32_e32 vcc, 7, v30
	s_or_b64 s[4:5], vcc, s[4:5]
	v_add_u32_e32 v29, 8, v29
	s_andn2_b64 exec, exec, s[4:5]
	s_cbranch_execnz .LBB10_59
; %bb.60:
	s_or_b64 exec, exec, s[4:5]
	v_mov_b32_e32 v20, 0
	ds_read_b64 v[20:21], v20 offset:72
	s_waitcnt lgkmcnt(0)
	v_mul_f64 v[20:21], v[24:25], v[20:21]
.LBB10_61:
	s_or_b64 exec, exec, s[2:3]
	v_cmp_ne_u32_e32 vcc, 10, v0
	; wave barrier
	ds_write_b64 v28, v[22:23]
	s_waitcnt lgkmcnt(0)
	; wave barrier
	s_and_saveexec_b64 s[2:3], vcc
	s_cbranch_execz .LBB10_65
; %bb.62:
	v_mov_b32_e32 v24, 0x60
	v_lshl_add_u32 v28, v0, 3, v24
	v_mov_b32_e32 v24, 0
	v_mov_b32_e32 v27, v1
	;; [unrolled: 1-line block ×3, first 2 shown]
	s_mov_b64 s[4:5], 0
	v_mov_b32_e32 v26, v0
.LBB10_63:                              ; =>This Inner Loop Header: Depth=1
	v_cmp_eq_u32_e32 vcc, 1, v26
	v_cndmask_b32_e32 v1, v3, v5, vcc
	v_cmp_eq_u32_e64 s[0:1], 2, v26
	v_cndmask_b32_e64 v1, v1, v7, s[0:1]
	v_cndmask_b32_e32 v31, v2, v4, vcc
	v_cmp_eq_u32_e32 vcc, 3, v26
	v_cndmask_b32_e32 v1, v1, v9, vcc
	v_cndmask_b32_e64 v31, v31, v6, s[0:1]
	v_cmp_eq_u32_e64 s[0:1], 4, v26
	v_cndmask_b32_e64 v1, v1, v11, s[0:1]
	v_cndmask_b32_e32 v31, v31, v8, vcc
	v_cmp_eq_u32_e32 vcc, 5, v26
	v_cndmask_b32_e32 v1, v1, v13, vcc
	v_cndmask_b32_e64 v31, v31, v10, s[0:1]
	v_cmp_eq_u32_e64 s[0:1], 6, v26
	v_cndmask_b32_e64 v1, v1, v15, s[0:1]
	v_cndmask_b32_e32 v31, v31, v12, vcc
	v_cmp_eq_u32_e32 vcc, 7, v26
	ds_read_b64 v[29:30], v28
	v_cndmask_b32_e32 v1, v1, v17, vcc
	v_cndmask_b32_e64 v31, v31, v14, s[0:1]
	v_cmp_eq_u32_e64 s[0:1], 8, v26
	v_cndmask_b32_e64 v1, v1, v19, s[0:1]
	v_cndmask_b32_e32 v31, v31, v16, vcc
	v_cmp_eq_u32_e32 vcc, 9, v26
	v_cndmask_b32_e32 v1, v1, v21, vcc
	v_cndmask_b32_e64 v31, v31, v18, s[0:1]
	v_cmp_eq_u32_e64 s[0:1], 10, v26
	v_cndmask_b32_e64 v32, v1, v23, s[0:1]
	v_cndmask_b32_e32 v1, v31, v20, vcc
	v_cndmask_b32_e64 v31, v1, v22, s[0:1]
	s_waitcnt lgkmcnt(0)
	v_fma_f64 v[24:25], v[31:32], v[29:30], v[24:25]
	v_add_co_u32_e32 v26, vcc, 1, v26
	v_addc_co_u32_e32 v27, vcc, 0, v27, vcc
	v_add_u32_e32 v1, -1, v26
	v_cmp_lt_u32_e32 vcc, 8, v1
	s_or_b64 s[4:5], vcc, s[4:5]
	v_add_u32_e32 v28, 8, v28
	s_andn2_b64 exec, exec, s[4:5]
	s_cbranch_execnz .LBB10_63
; %bb.64:
	s_or_b64 exec, exec, s[4:5]
	v_mov_b32_e32 v1, 0
	ds_read_b64 v[22:23], v1 offset:80
	s_waitcnt lgkmcnt(0)
	v_mul_f64 v[22:23], v[24:25], v[22:23]
.LBB10_65:
	s_or_b64 exec, exec, s[2:3]
	; wave barrier
	s_cbranch_execnz .LBB10_15
	s_branch .LBB10_16
.LBB10_66:
	v_mov_b32_e32 v1, 0x60
	v_lshl_add_u32 v1, v0, 3, v1
	v_cmp_eq_u32_e32 vcc, 10, v0
	s_and_saveexec_b64 s[0:1], vcc
; %bb.67:
	ds_write_b64 v1, v[20:21]
	v_mov_b32_e32 v20, 0
	v_mov_b32_e32 v21, v20
; %bb.68:
	s_or_b64 exec, exec, s[0:1]
	v_mov_b32_e32 v40, 0
	s_waitcnt lgkmcnt(0)
	; wave barrier
	ds_read_b64 v[34:35], v40 offset:176
	v_cmp_lt_u32_e32 vcc, 8, v0
	s_waitcnt lgkmcnt(0)
	v_fma_f64 v[34:35], v[22:23], v[34:35], 0
	v_add_f64 v[20:21], v[20:21], -v[34:35]
	s_and_saveexec_b64 s[0:1], vcc
	s_cbranch_execz .LBB10_70
; %bb.69:
	v_mov_b32_e32 v24, v2
	v_mov_b32_e32 v25, v3
	;; [unrolled: 1-line block ×21, first 2 shown]
	ds_write_b64 v1, v[18:19]
	v_mov_b32_e32 v2, v24
	v_mov_b32_e32 v3, v25
	;; [unrolled: 1-line block ×32, first 2 shown]
.LBB10_70:
	s_or_b64 exec, exec, s[0:1]
	s_waitcnt lgkmcnt(0)
	; wave barrier
	ds_read2_b64 v[34:37], v40 offset0:21 offset1:22
	v_cmp_lt_u32_e32 vcc, 7, v0
	s_waitcnt lgkmcnt(0)
	v_fma_f64 v[34:35], v[20:21], v[34:35], 0
	v_fma_f64 v[34:35], v[22:23], v[36:37], v[34:35]
	v_add_f64 v[18:19], v[18:19], -v[34:35]
	s_and_saveexec_b64 s[0:1], vcc
	s_cbranch_execz .LBB10_72
; %bb.71:
	v_mov_b32_e32 v38, 0
	v_mov_b32_e32 v24, v2
	;; [unrolled: 1-line block ×22, first 2 shown]
	ds_write_b64 v1, v[16:17]
	v_mov_b32_e32 v2, v24
	v_mov_b32_e32 v3, v25
	;; [unrolled: 1-line block ×32, first 2 shown]
.LBB10_72:
	s_or_b64 exec, exec, s[0:1]
	v_mov_b32_e32 v36, 0
	s_waitcnt lgkmcnt(0)
	; wave barrier
	ds_read_b128 v[37:40], v36 offset:160
	ds_read_b64 v[34:35], v36 offset:176
	v_cmp_lt_u32_e32 vcc, 6, v0
	s_waitcnt lgkmcnt(1)
	v_fma_f64 v[37:38], v[18:19], v[37:38], 0
	v_fma_f64 v[37:38], v[20:21], v[39:40], v[37:38]
	s_waitcnt lgkmcnt(0)
	v_fma_f64 v[34:35], v[22:23], v[34:35], v[37:38]
	v_add_f64 v[16:17], v[16:17], -v[34:35]
	s_and_saveexec_b64 s[0:1], vcc
	s_cbranch_execz .LBB10_74
; %bb.73:
	v_mov_b32_e32 v24, v2
	v_mov_b32_e32 v25, v3
	;; [unrolled: 1-line block ×21, first 2 shown]
	ds_write_b64 v1, v[14:15]
	v_mov_b32_e32 v2, v24
	v_mov_b32_e32 v3, v25
	;; [unrolled: 1-line block ×32, first 2 shown]
.LBB10_74:
	s_or_b64 exec, exec, s[0:1]
	s_waitcnt lgkmcnt(0)
	; wave barrier
	ds_read2_b64 v[37:40], v36 offset0:19 offset1:20
	ds_read2_b64 v[41:44], v36 offset0:21 offset1:22
	v_cmp_lt_u32_e32 vcc, 5, v0
	s_waitcnt lgkmcnt(1)
	v_fma_f64 v[34:35], v[16:17], v[37:38], 0
	v_fma_f64 v[34:35], v[18:19], v[39:40], v[34:35]
	s_waitcnt lgkmcnt(0)
	v_fma_f64 v[34:35], v[20:21], v[41:42], v[34:35]
	v_fma_f64 v[34:35], v[22:23], v[43:44], v[34:35]
	v_add_f64 v[14:15], v[14:15], -v[34:35]
	s_and_saveexec_b64 s[0:1], vcc
	s_cbranch_execz .LBB10_76
; %bb.75:
	v_mov_b32_e32 v34, 0
	v_mov_b32_e32 v24, v2
	;; [unrolled: 1-line block ×22, first 2 shown]
	ds_write_b64 v1, v[12:13]
	v_mov_b32_e32 v2, v24
	v_mov_b32_e32 v3, v25
	v_mov_b32_e32 v4, v26
	v_mov_b32_e32 v5, v27
	v_mov_b32_e32 v6, v28
	v_mov_b32_e32 v7, v29
	v_mov_b32_e32 v8, v30
	v_mov_b32_e32 v9, v31
	v_mov_b32_e32 v10, v32
	v_mov_b32_e32 v11, v33
	v_mov_b32_e32 v12, v34
	v_mov_b32_e32 v13, v35
	v_mov_b32_e32 v14, v36
	v_mov_b32_e32 v15, v37
	v_mov_b32_e32 v16, v38
	v_mov_b32_e32 v17, v39
	v_mov_b32_e32 v18, v40
	v_mov_b32_e32 v19, v41
	v_mov_b32_e32 v20, v42
	v_mov_b32_e32 v21, v43
	v_mov_b32_e32 v22, v44
	v_mov_b32_e32 v23, v45
	v_mov_b32_e32 v24, v46
	v_mov_b32_e32 v25, v47
	v_mov_b32_e32 v26, v48
	v_mov_b32_e32 v27, v49
	v_mov_b32_e32 v28, v50
	v_mov_b32_e32 v29, v51
	v_mov_b32_e32 v30, v52
	v_mov_b32_e32 v31, v53
	v_mov_b32_e32 v32, v54
	v_mov_b32_e32 v33, v55
.LBB10_76:
	s_or_b64 exec, exec, s[0:1]
	v_mov_b32_e32 v34, 0
	s_waitcnt lgkmcnt(0)
	; wave barrier
	ds_read_b128 v[35:38], v34 offset:144
	ds_read_b128 v[39:42], v34 offset:160
	v_cmp_lt_u32_e32 vcc, 4, v0
	s_waitcnt lgkmcnt(1)
	v_fma_f64 v[35:36], v[14:15], v[35:36], 0
	v_fma_f64 v[35:36], v[16:17], v[37:38], v[35:36]
	ds_read_b64 v[37:38], v34 offset:176
	s_waitcnt lgkmcnt(1)
	v_fma_f64 v[35:36], v[18:19], v[39:40], v[35:36]
	v_fma_f64 v[35:36], v[20:21], v[41:42], v[35:36]
	s_waitcnt lgkmcnt(0)
	v_fma_f64 v[35:36], v[22:23], v[37:38], v[35:36]
	v_add_f64 v[12:13], v[12:13], -v[35:36]
	s_and_saveexec_b64 s[0:1], vcc
	s_cbranch_execz .LBB10_78
; %bb.77:
	v_mov_b32_e32 v26, v2
	v_mov_b32_e32 v27, v3
	;; [unrolled: 1-line block ×21, first 2 shown]
	ds_write_b64 v1, v[10:11]
	v_mov_b32_e32 v2, v26
	v_mov_b32_e32 v3, v27
	;; [unrolled: 1-line block ×32, first 2 shown]
.LBB10_78:
	s_or_b64 exec, exec, s[0:1]
	s_waitcnt lgkmcnt(0)
	; wave barrier
	ds_read2_b64 v[35:38], v34 offset0:17 offset1:18
	ds_read2_b64 v[39:42], v34 offset0:19 offset1:20
	v_cmp_lt_u32_e32 vcc, 3, v0
	s_waitcnt lgkmcnt(1)
	v_fma_f64 v[35:36], v[12:13], v[35:36], 0
	v_fma_f64 v[35:36], v[14:15], v[37:38], v[35:36]
	s_waitcnt lgkmcnt(0)
	v_fma_f64 v[35:36], v[16:17], v[39:40], v[35:36]
	v_fma_f64 v[38:39], v[18:19], v[41:42], v[35:36]
	ds_read2_b64 v[34:37], v34 offset0:21 offset1:22
	s_waitcnt lgkmcnt(0)
	v_fma_f64 v[34:35], v[20:21], v[34:35], v[38:39]
	v_fma_f64 v[34:35], v[22:23], v[36:37], v[34:35]
	v_add_f64 v[10:11], v[10:11], -v[34:35]
	s_and_saveexec_b64 s[0:1], vcc
	s_cbranch_execz .LBB10_80
; %bb.79:
	v_mov_b32_e32 v30, 0
	v_mov_b32_e32 v24, v2
	;; [unrolled: 1-line block ×22, first 2 shown]
	ds_write_b64 v1, v[8:9]
	v_mov_b32_e32 v2, v24
	v_mov_b32_e32 v3, v25
	;; [unrolled: 1-line block ×32, first 2 shown]
.LBB10_80:
	s_or_b64 exec, exec, s[0:1]
	v_mov_b32_e32 v34, 0
	s_waitcnt lgkmcnt(0)
	; wave barrier
	ds_read_b128 v[35:38], v34 offset:128
	ds_read_b128 v[39:42], v34 offset:144
	v_cmp_lt_u32_e32 vcc, 2, v0
	s_waitcnt lgkmcnt(1)
	v_fma_f64 v[35:36], v[10:11], v[35:36], 0
	v_fma_f64 v[35:36], v[12:13], v[37:38], v[35:36]
	s_waitcnt lgkmcnt(0)
	v_fma_f64 v[35:36], v[14:15], v[39:40], v[35:36]
	v_fma_f64 v[39:40], v[16:17], v[41:42], v[35:36]
	ds_read_b128 v[35:38], v34 offset:160
	ds_read_b64 v[41:42], v34 offset:176
	s_waitcnt lgkmcnt(1)
	v_fma_f64 v[35:36], v[18:19], v[35:36], v[39:40]
	v_fma_f64 v[35:36], v[20:21], v[37:38], v[35:36]
	s_waitcnt lgkmcnt(0)
	v_fma_f64 v[35:36], v[22:23], v[41:42], v[35:36]
	v_add_f64 v[8:9], v[8:9], -v[35:36]
	s_and_saveexec_b64 s[0:1], vcc
	s_cbranch_execz .LBB10_82
; %bb.81:
	v_mov_b32_e32 v30, v2
	v_mov_b32_e32 v31, v3
	;; [unrolled: 1-line block ×21, first 2 shown]
	ds_write_b64 v1, v[6:7]
	v_mov_b32_e32 v2, v30
	v_mov_b32_e32 v3, v31
	;; [unrolled: 1-line block ×32, first 2 shown]
.LBB10_82:
	s_or_b64 exec, exec, s[0:1]
	s_waitcnt lgkmcnt(0)
	; wave barrier
	ds_read2_b64 v[35:38], v34 offset0:15 offset1:16
	ds_read2_b64 v[39:42], v34 offset0:17 offset1:18
	v_cmp_lt_u32_e32 vcc, 1, v0
	s_waitcnt lgkmcnt(1)
	v_fma_f64 v[35:36], v[8:9], v[35:36], 0
	v_fma_f64 v[35:36], v[10:11], v[37:38], v[35:36]
	s_waitcnt lgkmcnt(0)
	v_fma_f64 v[35:36], v[12:13], v[39:40], v[35:36]
	v_fma_f64 v[43:44], v[14:15], v[41:42], v[35:36]
	ds_read2_b64 v[35:38], v34 offset0:19 offset1:20
	ds_read2_b64 v[39:42], v34 offset0:21 offset1:22
	s_waitcnt lgkmcnt(1)
	v_fma_f64 v[34:35], v[16:17], v[35:36], v[43:44]
	v_fma_f64 v[34:35], v[18:19], v[37:38], v[34:35]
	s_waitcnt lgkmcnt(0)
	v_fma_f64 v[34:35], v[20:21], v[39:40], v[34:35]
	v_fma_f64 v[34:35], v[22:23], v[41:42], v[34:35]
	v_add_f64 v[6:7], v[6:7], -v[34:35]
	s_and_saveexec_b64 s[0:1], vcc
	s_cbranch_execz .LBB10_84
; %bb.83:
	v_mov_b32_e32 v26, 0
	v_mov_b32_e32 v24, v2
	;; [unrolled: 1-line block ×22, first 2 shown]
	ds_write_b64 v1, v[4:5]
	v_mov_b32_e32 v2, v24
	v_mov_b32_e32 v3, v25
	;; [unrolled: 1-line block ×32, first 2 shown]
.LBB10_84:
	s_or_b64 exec, exec, s[0:1]
	v_mov_b32_e32 v34, 0
	s_waitcnt lgkmcnt(0)
	; wave barrier
	ds_read_b128 v[35:38], v34 offset:112
	ds_read_b128 v[39:42], v34 offset:128
	v_cmp_ne_u32_e32 vcc, 0, v0
	s_waitcnt lgkmcnt(1)
	v_fma_f64 v[35:36], v[6:7], v[35:36], 0
	v_fma_f64 v[35:36], v[8:9], v[37:38], v[35:36]
	s_waitcnt lgkmcnt(0)
	v_fma_f64 v[35:36], v[10:11], v[39:40], v[35:36]
	v_fma_f64 v[43:44], v[12:13], v[41:42], v[35:36]
	ds_read_b128 v[35:38], v34 offset:144
	ds_read_b128 v[39:42], v34 offset:160
	s_waitcnt lgkmcnt(1)
	v_fma_f64 v[35:36], v[14:15], v[35:36], v[43:44]
	v_fma_f64 v[35:36], v[16:17], v[37:38], v[35:36]
	ds_read_b64 v[37:38], v34 offset:176
	s_waitcnt lgkmcnt(1)
	v_fma_f64 v[35:36], v[18:19], v[39:40], v[35:36]
	v_fma_f64 v[35:36], v[20:21], v[41:42], v[35:36]
	s_waitcnt lgkmcnt(0)
	v_fma_f64 v[35:36], v[22:23], v[37:38], v[35:36]
	v_add_f64 v[4:5], v[4:5], -v[35:36]
	s_and_saveexec_b64 s[0:1], vcc
	s_cbranch_execz .LBB10_86
; %bb.85:
	v_mov_b32_e32 v35, v34
	v_mov_b32_e32 v36, v4
	;; [unrolled: 1-line block ×21, first 2 shown]
	ds_write_b64 v1, v[2:3]
	v_mov_b32_e32 v2, v34
	v_mov_b32_e32 v3, v35
	v_mov_b32_e32 v4, v36
	v_mov_b32_e32 v5, v37
	v_mov_b32_e32 v6, v38
	v_mov_b32_e32 v7, v39
	v_mov_b32_e32 v8, v40
	v_mov_b32_e32 v9, v41
	v_mov_b32_e32 v10, v42
	v_mov_b32_e32 v11, v43
	v_mov_b32_e32 v12, v44
	v_mov_b32_e32 v13, v45
	v_mov_b32_e32 v14, v46
	v_mov_b32_e32 v15, v47
	v_mov_b32_e32 v16, v48
	v_mov_b32_e32 v17, v49
	v_mov_b32_e32 v18, v50
	v_mov_b32_e32 v19, v51
	v_mov_b32_e32 v20, v52
	v_mov_b32_e32 v21, v53
	v_mov_b32_e32 v22, v54
	v_mov_b32_e32 v23, v55
	v_mov_b32_e32 v24, v56
	v_mov_b32_e32 v25, v57
	v_mov_b32_e32 v26, v58
	v_mov_b32_e32 v27, v59
	v_mov_b32_e32 v28, v60
	v_mov_b32_e32 v29, v61
	v_mov_b32_e32 v30, v62
	v_mov_b32_e32 v31, v63
	v_mov_b32_e32 v32, v64
	v_mov_b32_e32 v33, v65
.LBB10_86:
	s_or_b64 exec, exec, s[0:1]
	s_waitcnt lgkmcnt(0)
	; wave barrier
	ds_read2_b64 v[35:38], v34 offset0:13 offset1:14
	ds_read2_b64 v[39:42], v34 offset0:15 offset1:16
	s_and_b64 vcc, exec, s[36:37]
	s_waitcnt lgkmcnt(1)
	v_fma_f64 v[0:1], v[4:5], v[35:36], 0
	v_fma_f64 v[0:1], v[6:7], v[37:38], v[0:1]
	s_waitcnt lgkmcnt(0)
	v_fma_f64 v[0:1], v[8:9], v[39:40], v[0:1]
	v_fma_f64 v[0:1], v[10:11], v[41:42], v[0:1]
	ds_read2_b64 v[35:38], v34 offset0:17 offset1:18
	ds_read2_b64 v[39:42], v34 offset0:19 offset1:20
	s_waitcnt lgkmcnt(1)
	v_fma_f64 v[0:1], v[12:13], v[35:36], v[0:1]
	v_fma_f64 v[0:1], v[14:15], v[37:38], v[0:1]
	ds_read2_b64 v[34:37], v34 offset0:21 offset1:22
	s_waitcnt lgkmcnt(1)
	v_fma_f64 v[0:1], v[16:17], v[39:40], v[0:1]
	v_fma_f64 v[0:1], v[18:19], v[41:42], v[0:1]
	s_waitcnt lgkmcnt(0)
	v_fma_f64 v[0:1], v[20:21], v[34:35], v[0:1]
	v_fma_f64 v[0:1], v[22:23], v[36:37], v[0:1]
	v_add_f64 v[2:3], v[2:3], -v[0:1]
	s_cbranch_vccz .LBB10_107
; %bb.87:
	v_mov_b32_e32 v0, 0
	global_load_dword v1, v0, s[34:35] offset:36
	s_waitcnt vmcnt(0)
	v_readfirstlane_b32 s0, v1
	s_add_i32 s0, s0, -1
	s_cmp_lg_u32 s0, 9
	s_cbranch_scc0 .LBB10_89
; %bb.88:
	s_lshl_b32 s0, s0, 1
	s_set_gpr_idx_on s0, gpr_idx(SRC0)
	v_mov_b32_e32 v1, v3
	v_mov_b32_e32 v54, v2
	s_set_gpr_idx_off
	v_mov_b32_e32 v53, v33
	v_mov_b32_e32 v41, v21
	;; [unrolled: 1-line block ×34, first 2 shown]
	s_set_gpr_idx_on s0, gpr_idx(DST)
	v_mov_b32_e32 v22, v20
	v_mov_b32_e32 v23, v21
	s_set_gpr_idx_off
	v_mov_b32_e32 v2, v22
	v_mov_b32_e32 v3, v23
	v_mov_b32_e32 v4, v24
	v_mov_b32_e32 v5, v25
	v_mov_b32_e32 v6, v26
	v_mov_b32_e32 v7, v27
	v_mov_b32_e32 v8, v28
	v_mov_b32_e32 v9, v29
	v_mov_b32_e32 v10, v30
	v_mov_b32_e32 v11, v31
	v_mov_b32_e32 v12, v32
	v_mov_b32_e32 v13, v33
	v_mov_b32_e32 v14, v34
	v_mov_b32_e32 v15, v35
	v_mov_b32_e32 v16, v36
	v_mov_b32_e32 v17, v37
	v_mov_b32_e32 v18, v38
	v_mov_b32_e32 v19, v39
	v_mov_b32_e32 v20, v40
	v_mov_b32_e32 v21, v41
	v_mov_b32_e32 v22, v42
	v_mov_b32_e32 v23, v43
	v_mov_b32_e32 v24, v44
	v_mov_b32_e32 v25, v45
	v_mov_b32_e32 v26, v46
	v_mov_b32_e32 v27, v47
	v_mov_b32_e32 v28, v48
	v_mov_b32_e32 v29, v49
	v_mov_b32_e32 v30, v50
	v_mov_b32_e32 v31, v51
	v_mov_b32_e32 v32, v52
	v_mov_b32_e32 v33, v53
.LBB10_89:
	global_load_dword v0, v0, s[34:35] offset:32
	s_waitcnt vmcnt(0)
	v_readfirstlane_b32 s0, v0
	s_add_i32 s0, s0, -1
	s_cmp_eq_u32 s0, 8
	s_cbranch_scc1 .LBB10_91
; %bb.90:
	s_lshl_b32 s0, s0, 1
	s_set_gpr_idx_on s0, gpr_idx(SRC0)
	v_mov_b32_e32 v0, v3
	v_mov_b32_e32 v1, v2
	s_set_gpr_idx_off
	v_mov_b32_e32 v51, v33
	v_mov_b32_e32 v37, v19
	;; [unrolled: 1-line block ×34, first 2 shown]
	s_set_gpr_idx_on s0, gpr_idx(DST)
	v_mov_b32_e32 v20, v18
	v_mov_b32_e32 v21, v19
	s_set_gpr_idx_off
	v_mov_b32_e32 v2, v20
	v_mov_b32_e32 v3, v21
	;; [unrolled: 1-line block ×32, first 2 shown]
.LBB10_91:
	v_mov_b32_e32 v0, 0
	global_load_dword v1, v0, s[34:35] offset:28
	s_waitcnt vmcnt(0)
	v_readfirstlane_b32 s0, v1
	s_add_i32 s0, s0, -1
	s_cmp_eq_u32 s0, 7
	s_cbranch_scc1 .LBB10_93
; %bb.92:
	s_lshl_b32 s0, s0, 1
	s_set_gpr_idx_on s0, gpr_idx(SRC0)
	v_mov_b32_e32 v1, v3
	v_mov_b32_e32 v50, v2
	s_set_gpr_idx_off
	v_mov_b32_e32 v49, v33
	v_mov_b32_e32 v48, v32
	;; [unrolled: 1-line block ×34, first 2 shown]
	s_set_gpr_idx_on s0, gpr_idx(DST)
	v_mov_b32_e32 v18, v16
	v_mov_b32_e32 v19, v17
	s_set_gpr_idx_off
	v_mov_b32_e32 v2, v18
	v_mov_b32_e32 v3, v19
	;; [unrolled: 1-line block ×32, first 2 shown]
.LBB10_93:
	global_load_dword v0, v0, s[34:35] offset:24
	s_waitcnt vmcnt(0)
	v_readfirstlane_b32 s0, v0
	s_add_i32 s0, s0, -1
	s_cmp_eq_u32 s0, 6
	s_cbranch_scc1 .LBB10_95
; %bb.94:
	s_lshl_b32 s0, s0, 1
	s_set_gpr_idx_on s0, gpr_idx(SRC0)
	v_mov_b32_e32 v0, v3
	v_mov_b32_e32 v1, v2
	s_set_gpr_idx_off
	v_mov_b32_e32 v47, v33
	v_mov_b32_e32 v46, v32
	;; [unrolled: 1-line block ×34, first 2 shown]
	s_set_gpr_idx_on s0, gpr_idx(DST)
	v_mov_b32_e32 v16, v14
	v_mov_b32_e32 v17, v15
	s_set_gpr_idx_off
	v_mov_b32_e32 v2, v16
	v_mov_b32_e32 v3, v17
	;; [unrolled: 1-line block ×32, first 2 shown]
.LBB10_95:
	v_mov_b32_e32 v0, 0
	global_load_dword v1, v0, s[34:35] offset:20
	s_waitcnt vmcnt(0)
	v_readfirstlane_b32 s0, v1
	s_add_i32 s0, s0, -1
	s_cmp_eq_u32 s0, 5
	s_cbranch_scc1 .LBB10_97
; %bb.96:
	s_lshl_b32 s0, s0, 1
	s_set_gpr_idx_on s0, gpr_idx(SRC0)
	v_mov_b32_e32 v1, v3
	v_mov_b32_e32 v46, v2
	s_set_gpr_idx_off
	v_mov_b32_e32 v45, v33
	v_mov_b32_e32 v44, v32
	;; [unrolled: 1-line block ×34, first 2 shown]
	s_set_gpr_idx_on s0, gpr_idx(DST)
	v_mov_b32_e32 v14, v12
	v_mov_b32_e32 v15, v13
	s_set_gpr_idx_off
	v_mov_b32_e32 v2, v14
	v_mov_b32_e32 v3, v15
	;; [unrolled: 1-line block ×32, first 2 shown]
.LBB10_97:
	global_load_dword v0, v0, s[34:35] offset:16
	s_waitcnt vmcnt(0)
	v_readfirstlane_b32 s0, v0
	s_add_i32 s0, s0, -1
	s_cmp_eq_u32 s0, 4
	s_cbranch_scc1 .LBB10_99
; %bb.98:
	s_lshl_b32 s0, s0, 1
	s_set_gpr_idx_on s0, gpr_idx(SRC0)
	v_mov_b32_e32 v0, v3
	v_mov_b32_e32 v1, v2
	s_set_gpr_idx_off
	v_mov_b32_e32 v43, v33
	v_mov_b32_e32 v42, v32
	;; [unrolled: 1-line block ×34, first 2 shown]
	s_set_gpr_idx_on s0, gpr_idx(DST)
	v_mov_b32_e32 v12, v10
	v_mov_b32_e32 v13, v11
	s_set_gpr_idx_off
	v_mov_b32_e32 v2, v12
	v_mov_b32_e32 v3, v13
	;; [unrolled: 1-line block ×32, first 2 shown]
.LBB10_99:
	v_mov_b32_e32 v0, 0
	global_load_dword v1, v0, s[34:35] offset:12
	s_waitcnt vmcnt(0)
	v_readfirstlane_b32 s0, v1
	s_add_i32 s0, s0, -1
	s_cmp_eq_u32 s0, 3
	s_cbranch_scc1 .LBB10_101
; %bb.100:
	s_lshl_b32 s0, s0, 1
	s_set_gpr_idx_on s0, gpr_idx(SRC0)
	v_mov_b32_e32 v1, v3
	v_mov_b32_e32 v42, v2
	s_set_gpr_idx_off
	v_mov_b32_e32 v41, v33
	v_mov_b32_e32 v40, v32
	v_mov_b32_e32 v39, v31
	v_mov_b32_e32 v38, v30
	v_mov_b32_e32 v37, v29
	v_mov_b32_e32 v36, v28
	v_mov_b32_e32 v35, v27
	v_mov_b32_e32 v34, v26
	v_mov_b32_e32 v33, v25
	v_mov_b32_e32 v32, v24
	v_mov_b32_e32 v31, v23
	v_mov_b32_e32 v30, v22
	v_mov_b32_e32 v29, v21
	v_mov_b32_e32 v28, v20
	v_mov_b32_e32 v27, v19
	v_mov_b32_e32 v26, v18
	v_mov_b32_e32 v25, v17
	v_mov_b32_e32 v24, v16
	v_mov_b32_e32 v23, v15
	v_mov_b32_e32 v22, v14
	v_mov_b32_e32 v21, v13
	v_mov_b32_e32 v20, v12
	v_mov_b32_e32 v19, v11
	v_mov_b32_e32 v18, v10
	v_mov_b32_e32 v17, v9
	v_mov_b32_e32 v16, v8
	v_mov_b32_e32 v15, v7
	v_mov_b32_e32 v14, v6
	v_mov_b32_e32 v13, v5
	v_mov_b32_e32 v12, v4
	v_mov_b32_e32 v11, v3
	v_mov_b32_e32 v10, v2
	v_mov_b32_e32 v16, v42
	v_mov_b32_e32 v17, v1
	s_set_gpr_idx_on s0, gpr_idx(DST)
	v_mov_b32_e32 v10, v8
	v_mov_b32_e32 v11, v9
	s_set_gpr_idx_off
	v_mov_b32_e32 v2, v10
	v_mov_b32_e32 v3, v11
	;; [unrolled: 1-line block ×32, first 2 shown]
.LBB10_101:
	global_load_dword v0, v0, s[34:35] offset:8
	s_waitcnt vmcnt(0)
	v_readfirstlane_b32 s0, v0
	s_add_i32 s0, s0, -1
	s_cmp_eq_u32 s0, 2
	s_cbranch_scc1 .LBB10_103
; %bb.102:
	s_lshl_b32 s0, s0, 1
	s_set_gpr_idx_on s0, gpr_idx(SRC0)
	v_mov_b32_e32 v0, v3
	v_mov_b32_e32 v1, v2
	s_set_gpr_idx_off
	v_mov_b32_e32 v39, v33
	v_mov_b32_e32 v38, v32
	;; [unrolled: 1-line block ×34, first 2 shown]
	s_set_gpr_idx_on s0, gpr_idx(DST)
	v_mov_b32_e32 v8, v6
	v_mov_b32_e32 v9, v7
	s_set_gpr_idx_off
	v_mov_b32_e32 v2, v8
	v_mov_b32_e32 v3, v9
	;; [unrolled: 1-line block ×32, first 2 shown]
.LBB10_103:
	v_mov_b32_e32 v0, 0
	global_load_dword v1, v0, s[34:35] offset:4
	s_waitcnt vmcnt(0)
	v_readfirstlane_b32 s0, v1
	s_add_i32 s0, s0, -1
	s_cmp_eq_u32 s0, 1
	s_cbranch_scc1 .LBB10_105
; %bb.104:
	s_lshl_b32 s0, s0, 1
	s_set_gpr_idx_on s0, gpr_idx(SRC0)
	v_mov_b32_e32 v1, v3
	v_mov_b32_e32 v38, v2
	s_set_gpr_idx_off
	v_mov_b32_e32 v37, v33
	v_mov_b32_e32 v36, v32
	;; [unrolled: 1-line block ×34, first 2 shown]
	s_set_gpr_idx_on s0, gpr_idx(DST)
	v_mov_b32_e32 v6, v4
	v_mov_b32_e32 v7, v5
	s_set_gpr_idx_off
	v_mov_b32_e32 v2, v6
	v_mov_b32_e32 v3, v7
	;; [unrolled: 1-line block ×32, first 2 shown]
.LBB10_105:
	global_load_dword v0, v0, s[34:35]
	s_waitcnt vmcnt(0)
	v_readfirstlane_b32 s0, v0
	s_add_i32 s0, s0, -1
	s_cmp_eq_u32 s0, 0
	s_cbranch_scc1 .LBB10_107
; %bb.106:
	s_lshl_b32 s0, s0, 1
	s_set_gpr_idx_on s0, gpr_idx(SRC0)
	v_mov_b32_e32 v0, v3
	v_mov_b32_e32 v1, v2
	s_set_gpr_idx_off
	v_mov_b32_e32 v35, v33
	v_mov_b32_e32 v34, v32
	v_mov_b32_e32 v33, v31
	v_mov_b32_e32 v32, v30
	v_mov_b32_e32 v31, v29
	v_mov_b32_e32 v30, v28
	v_mov_b32_e32 v29, v27
	v_mov_b32_e32 v28, v26
	v_mov_b32_e32 v27, v25
	v_mov_b32_e32 v26, v24
	v_mov_b32_e32 v25, v23
	v_mov_b32_e32 v24, v22
	v_mov_b32_e32 v23, v21
	v_mov_b32_e32 v22, v20
	v_mov_b32_e32 v21, v19
	v_mov_b32_e32 v20, v18
	v_mov_b32_e32 v19, v17
	v_mov_b32_e32 v18, v16
	v_mov_b32_e32 v17, v15
	v_mov_b32_e32 v16, v14
	v_mov_b32_e32 v15, v13
	v_mov_b32_e32 v14, v12
	v_mov_b32_e32 v13, v11
	v_mov_b32_e32 v12, v10
	v_mov_b32_e32 v11, v9
	v_mov_b32_e32 v10, v8
	v_mov_b32_e32 v9, v7
	v_mov_b32_e32 v8, v6
	v_mov_b32_e32 v7, v5
	v_mov_b32_e32 v6, v4
	v_mov_b32_e32 v5, v3
	v_mov_b32_e32 v4, v2
	v_mov_b32_e32 v4, v1
	v_mov_b32_e32 v5, v0
	s_set_gpr_idx_on s0, gpr_idx(DST)
	v_mov_b32_e32 v4, v2
	v_mov_b32_e32 v5, v3
	s_set_gpr_idx_off
	v_mov_b32_e32 v2, v4
	v_mov_b32_e32 v3, v5
	;; [unrolled: 1-line block ×32, first 2 shown]
.LBB10_107:
	global_store_dwordx2 v[74:75], v[2:3], off
	global_store_dwordx2 v[76:77], v[4:5], off
	;; [unrolled: 1-line block ×11, first 2 shown]
	s_endpgm
	.section	.rodata,"a",@progbits
	.p2align	6, 0x0
	.amdhsa_kernel _ZN9rocsolver6v33100L18getri_kernel_smallILi11EdPdEEvT1_iilPiilS4_bb
		.amdhsa_group_segment_fixed_size 184
		.amdhsa_private_segment_fixed_size 0
		.amdhsa_kernarg_size 60
		.amdhsa_user_sgpr_count 6
		.amdhsa_user_sgpr_private_segment_buffer 1
		.amdhsa_user_sgpr_dispatch_ptr 0
		.amdhsa_user_sgpr_queue_ptr 0
		.amdhsa_user_sgpr_kernarg_segment_ptr 1
		.amdhsa_user_sgpr_dispatch_id 0
		.amdhsa_user_sgpr_flat_scratch_init 0
		.amdhsa_user_sgpr_private_segment_size 0
		.amdhsa_uses_dynamic_stack 0
		.amdhsa_system_sgpr_private_segment_wavefront_offset 0
		.amdhsa_system_sgpr_workgroup_id_x 1
		.amdhsa_system_sgpr_workgroup_id_y 0
		.amdhsa_system_sgpr_workgroup_id_z 0
		.amdhsa_system_sgpr_workgroup_info 0
		.amdhsa_system_vgpr_workitem_id 0
		.amdhsa_next_free_vgpr 78
		.amdhsa_next_free_sgpr 44
		.amdhsa_reserve_vcc 1
		.amdhsa_reserve_flat_scratch 0
		.amdhsa_float_round_mode_32 0
		.amdhsa_float_round_mode_16_64 0
		.amdhsa_float_denorm_mode_32 3
		.amdhsa_float_denorm_mode_16_64 3
		.amdhsa_dx10_clamp 1
		.amdhsa_ieee_mode 1
		.amdhsa_fp16_overflow 0
		.amdhsa_exception_fp_ieee_invalid_op 0
		.amdhsa_exception_fp_denorm_src 0
		.amdhsa_exception_fp_ieee_div_zero 0
		.amdhsa_exception_fp_ieee_overflow 0
		.amdhsa_exception_fp_ieee_underflow 0
		.amdhsa_exception_fp_ieee_inexact 0
		.amdhsa_exception_int_div_zero 0
	.end_amdhsa_kernel
	.section	.text._ZN9rocsolver6v33100L18getri_kernel_smallILi11EdPdEEvT1_iilPiilS4_bb,"axG",@progbits,_ZN9rocsolver6v33100L18getri_kernel_smallILi11EdPdEEvT1_iilPiilS4_bb,comdat
.Lfunc_end10:
	.size	_ZN9rocsolver6v33100L18getri_kernel_smallILi11EdPdEEvT1_iilPiilS4_bb, .Lfunc_end10-_ZN9rocsolver6v33100L18getri_kernel_smallILi11EdPdEEvT1_iilPiilS4_bb
                                        ; -- End function
	.set _ZN9rocsolver6v33100L18getri_kernel_smallILi11EdPdEEvT1_iilPiilS4_bb.num_vgpr, 78
	.set _ZN9rocsolver6v33100L18getri_kernel_smallILi11EdPdEEvT1_iilPiilS4_bb.num_agpr, 0
	.set _ZN9rocsolver6v33100L18getri_kernel_smallILi11EdPdEEvT1_iilPiilS4_bb.numbered_sgpr, 44
	.set _ZN9rocsolver6v33100L18getri_kernel_smallILi11EdPdEEvT1_iilPiilS4_bb.num_named_barrier, 0
	.set _ZN9rocsolver6v33100L18getri_kernel_smallILi11EdPdEEvT1_iilPiilS4_bb.private_seg_size, 0
	.set _ZN9rocsolver6v33100L18getri_kernel_smallILi11EdPdEEvT1_iilPiilS4_bb.uses_vcc, 1
	.set _ZN9rocsolver6v33100L18getri_kernel_smallILi11EdPdEEvT1_iilPiilS4_bb.uses_flat_scratch, 0
	.set _ZN9rocsolver6v33100L18getri_kernel_smallILi11EdPdEEvT1_iilPiilS4_bb.has_dyn_sized_stack, 0
	.set _ZN9rocsolver6v33100L18getri_kernel_smallILi11EdPdEEvT1_iilPiilS4_bb.has_recursion, 0
	.set _ZN9rocsolver6v33100L18getri_kernel_smallILi11EdPdEEvT1_iilPiilS4_bb.has_indirect_call, 0
	.section	.AMDGPU.csdata,"",@progbits
; Kernel info:
; codeLenInByte = 12944
; TotalNumSgprs: 48
; NumVgprs: 78
; ScratchSize: 0
; MemoryBound: 0
; FloatMode: 240
; IeeeMode: 1
; LDSByteSize: 184 bytes/workgroup (compile time only)
; SGPRBlocks: 5
; VGPRBlocks: 19
; NumSGPRsForWavesPerEU: 48
; NumVGPRsForWavesPerEU: 78
; Occupancy: 3
; WaveLimiterHint : 0
; COMPUTE_PGM_RSRC2:SCRATCH_EN: 0
; COMPUTE_PGM_RSRC2:USER_SGPR: 6
; COMPUTE_PGM_RSRC2:TRAP_HANDLER: 0
; COMPUTE_PGM_RSRC2:TGID_X_EN: 1
; COMPUTE_PGM_RSRC2:TGID_Y_EN: 0
; COMPUTE_PGM_RSRC2:TGID_Z_EN: 0
; COMPUTE_PGM_RSRC2:TIDIG_COMP_CNT: 0
	.section	.text._ZN9rocsolver6v33100L18getri_kernel_smallILi12EdPdEEvT1_iilPiilS4_bb,"axG",@progbits,_ZN9rocsolver6v33100L18getri_kernel_smallILi12EdPdEEvT1_iilPiilS4_bb,comdat
	.globl	_ZN9rocsolver6v33100L18getri_kernel_smallILi12EdPdEEvT1_iilPiilS4_bb ; -- Begin function _ZN9rocsolver6v33100L18getri_kernel_smallILi12EdPdEEvT1_iilPiilS4_bb
	.p2align	8
	.type	_ZN9rocsolver6v33100L18getri_kernel_smallILi12EdPdEEvT1_iilPiilS4_bb,@function
_ZN9rocsolver6v33100L18getri_kernel_smallILi12EdPdEEvT1_iilPiilS4_bb: ; @_ZN9rocsolver6v33100L18getri_kernel_smallILi12EdPdEEvT1_iilPiilS4_bb
; %bb.0:
	v_cmp_gt_u32_e32 vcc, 12, v0
	s_and_saveexec_b64 s[0:1], vcc
	s_cbranch_execz .LBB11_16
; %bb.1:
	s_load_dword s0, s[4:5], 0x38
	s_load_dwordx4 s[8:11], s[4:5], 0x10
	s_load_dwordx4 s[28:31], s[4:5], 0x28
                                        ; implicit-def: $sgpr34_sgpr35
	s_waitcnt lgkmcnt(0)
	s_bitcmp1_b32 s0, 8
	s_cselect_b64 s[36:37], -1, 0
	s_ashr_i32 s7, s6, 31
	s_bfe_u32 s0, s0, 0x10008
	s_cmp_eq_u32 s0, 0
	s_cbranch_scc1 .LBB11_3
; %bb.2:
	s_load_dword s0, s[4:5], 0x20
	s_mul_i32 s1, s28, s7
	s_mul_hi_u32 s2, s28, s6
	s_mul_i32 s3, s29, s6
	s_add_i32 s2, s2, s1
	s_add_i32 s3, s2, s3
	s_mul_i32 s2, s28, s6
	s_waitcnt lgkmcnt(0)
	s_ashr_i32 s1, s0, 31
	s_lshl_b64 s[2:3], s[2:3], 2
	s_add_u32 s2, s10, s2
	s_addc_u32 s3, s11, s3
	s_lshl_b64 s[0:1], s[0:1], 2
	s_add_u32 s34, s2, s0
	s_addc_u32 s35, s3, s1
.LBB11_3:
	s_load_dwordx4 s[0:3], s[4:5], 0x0
	s_load_dword s10, s[4:5], 0x38
	s_mul_i32 s11, s8, s7
	s_mul_hi_u32 s12, s8, s6
	s_mul_i32 s9, s9, s6
	s_waitcnt lgkmcnt(0)
	s_ashr_i32 s5, s2, 31
	s_mov_b32 s4, s2
	s_add_i32 s2, s12, s11
	s_add_i32 s9, s2, s9
	s_mul_i32 s8, s8, s6
	s_lshl_b64 s[8:9], s[8:9], 3
	s_add_u32 s2, s0, s8
	s_addc_u32 s8, s1, s9
	s_lshl_b64 s[0:1], s[4:5], 3
	s_add_u32 s0, s2, s0
	s_addc_u32 s1, s8, s1
	s_add_i32 s2, s3, s3
	v_add_u32_e32 v1, s2, v0
	v_ashrrev_i32_e32 v2, 31, v1
	v_lshlrev_b64 v[2:3], 3, v[1:2]
	v_add_u32_e32 v1, s3, v1
	v_mov_b32_e32 v4, s1
	v_add_co_u32_e32 v56, vcc, s0, v2
	v_ashrrev_i32_e32 v2, 31, v1
	v_addc_co_u32_e32 v57, vcc, v4, v3, vcc
	v_lshlrev_b64 v[2:3], 3, v[1:2]
	v_add_u32_e32 v1, s3, v1
	v_add_co_u32_e32 v58, vcc, s0, v2
	v_ashrrev_i32_e32 v2, 31, v1
	v_addc_co_u32_e32 v59, vcc, v4, v3, vcc
	v_lshlrev_b64 v[2:3], 3, v[1:2]
	v_add_u32_e32 v1, s3, v1
	;; [unrolled: 5-line block ×8, first 2 shown]
	v_add_co_u32_e32 v72, vcc, s0, v2
	v_ashrrev_i32_e32 v2, 31, v1
	v_lshlrev_b64 v[1:2], 3, v[1:2]
	v_addc_co_u32_e32 v73, vcc, v4, v3, vcc
	v_mov_b32_e32 v3, s1
	v_add_co_u32_e32 v74, vcc, s0, v1
	v_addc_co_u32_e32 v75, vcc, v3, v2, vcc
	v_lshlrev_b32_e32 v28, 3, v0
	v_mov_b32_e32 v1, s1
	v_add_co_u32_e32 v76, vcc, s0, v28
	s_ashr_i32 s5, s3, 31
	s_mov_b32 s4, s3
	v_addc_co_u32_e32 v77, vcc, 0, v1, vcc
	s_lshl_b64 s[2:3], s[4:5], 3
	v_mov_b32_e32 v1, s3
	v_add_co_u32_e32 v78, vcc, s2, v76
	v_addc_co_u32_e32 v79, vcc, v77, v1, vcc
	global_load_dwordx2 v[2:3], v28, s[0:1]
	global_load_dwordx2 v[4:5], v[78:79], off
	global_load_dwordx2 v[6:7], v[56:57], off
	;; [unrolled: 1-line block ×11, first 2 shown]
	v_mov_b32_e32 v1, 0
	s_bitcmp0_b32 s10, 0
	s_mov_b64 s[0:1], -1
	s_cbranch_scc1 .LBB11_14
; %bb.4:
	v_cmp_eq_u32_e64 s[0:1], 0, v0
	s_and_saveexec_b64 s[2:3], s[0:1]
; %bb.5:
	v_mov_b32_e32 v26, 0
	ds_write_b32 v26, v26 offset:192
; %bb.6:
	s_or_b64 exec, exec, s[2:3]
	v_cmp_eq_u32_e32 vcc, 1, v0
	s_waitcnt vmcnt(10)
	v_cndmask_b32_e32 v26, v3, v5, vcc
	v_cmp_eq_u32_e64 s[2:3], 2, v0
	s_waitcnt vmcnt(9)
	v_cndmask_b32_e64 v26, v26, v7, s[2:3]
	v_cmp_eq_u32_e64 s[4:5], 3, v0
	s_waitcnt vmcnt(8)
	v_cndmask_b32_e64 v26, v26, v9, s[4:5]
	;; [unrolled: 3-line block ×10, first 2 shown]
	v_cndmask_b32_e32 v26, v2, v4, vcc
	v_cndmask_b32_e64 v26, v26, v6, s[2:3]
	v_cndmask_b32_e64 v26, v26, v8, s[4:5]
	;; [unrolled: 1-line block ×10, first 2 shown]
	v_cmp_eq_f64_e32 vcc, 0, v[26:27]
	s_waitcnt lgkmcnt(0)
	; wave barrier
	s_and_saveexec_b64 s[4:5], vcc
	s_cbranch_execz .LBB11_10
; %bb.7:
	v_mov_b32_e32 v29, 0
	ds_read_b32 v31, v29 offset:192
	v_add_u32_e32 v30, 1, v0
	s_waitcnt lgkmcnt(0)
	v_readfirstlane_b32 s2, v31
	s_cmp_eq_u32 s2, 0
	s_cselect_b64 s[8:9], -1, 0
	v_cmp_gt_i32_e32 vcc, s2, v30
	s_or_b64 s[8:9], s[8:9], vcc
	s_and_b64 exec, exec, s[8:9]
	s_cbranch_execz .LBB11_10
; %bb.8:
	s_mov_b64 s[8:9], 0
	v_mov_b32_e32 v31, s2
.LBB11_9:                               ; =>This Inner Loop Header: Depth=1
	ds_cmpst_rtn_b32 v31, v29, v31, v30 offset:192
	s_waitcnt lgkmcnt(0)
	v_cmp_ne_u32_e32 vcc, 0, v31
	v_cmp_le_i32_e64 s[2:3], v31, v30
	s_and_b64 s[2:3], vcc, s[2:3]
	s_and_b64 s[2:3], exec, s[2:3]
	s_or_b64 s[8:9], s[2:3], s[8:9]
	s_andn2_b64 exec, exec, s[8:9]
	s_cbranch_execnz .LBB11_9
.LBB11_10:
	s_or_b64 exec, exec, s[4:5]
	v_mov_b32_e32 v30, 0
	; wave barrier
	ds_read_b32 v29, v30 offset:192
	s_and_saveexec_b64 s[2:3], s[0:1]
	s_cbranch_execz .LBB11_12
; %bb.11:
	s_lshl_b64 s[4:5], s[6:7], 2
	s_add_u32 s4, s30, s4
	s_addc_u32 s5, s31, s5
	s_waitcnt lgkmcnt(0)
	global_store_dword v30, v29, s[4:5]
.LBB11_12:
	s_or_b64 exec, exec, s[2:3]
	s_waitcnt lgkmcnt(0)
	v_cmp_ne_u32_e32 vcc, 0, v29
	s_cbranch_vccz .LBB11_17
; %bb.13:
	s_mov_b64 s[0:1], 0
                                        ; implicit-def: $vgpr2_vgpr3_vgpr4_vgpr5_vgpr6_vgpr7_vgpr8_vgpr9_vgpr10_vgpr11_vgpr12_vgpr13_vgpr14_vgpr15_vgpr16_vgpr17_vgpr18_vgpr19_vgpr20_vgpr21_vgpr22_vgpr23_vgpr24_vgpr25_vgpr26_vgpr27_vgpr28_vgpr29_vgpr30_vgpr31_vgpr32_vgpr33
.LBB11_14:
	s_and_b64 vcc, exec, s[0:1]
	s_cbranch_vccz .LBB11_16
.LBB11_15:
	s_lshl_b64 s[0:1], s[6:7], 2
	s_add_u32 s0, s30, s0
	s_addc_u32 s1, s31, s1
	v_mov_b32_e32 v1, 0
	global_load_dword v1, v1, s[0:1]
	s_waitcnt vmcnt(0)
	v_cmp_ne_u32_e32 vcc, 0, v1
	s_cbranch_vccz .LBB11_70
.LBB11_16:
	s_endpgm
.LBB11_17:
	v_div_scale_f64 v[29:30], s[2:3], v[26:27], v[26:27], 1.0
	v_rcp_f64_e32 v[31:32], v[29:30]
	v_fma_f64 v[33:34], -v[29:30], v[31:32], 1.0
	v_fma_f64 v[31:32], v[31:32], v[33:34], v[31:32]
	v_div_scale_f64 v[33:34], vcc, 1.0, v[26:27], 1.0
	v_fma_f64 v[35:36], -v[29:30], v[31:32], 1.0
	v_fma_f64 v[31:32], v[31:32], v[35:36], v[31:32]
	v_mul_f64 v[35:36], v[33:34], v[31:32]
	v_fma_f64 v[29:30], -v[29:30], v[35:36], v[33:34]
	v_div_fmas_f64 v[29:30], v[29:30], v[31:32], v[35:36]
	v_cmp_eq_u32_e32 vcc, 11, v0
	v_div_fixup_f64 v[26:27], v[29:30], v[26:27], 1.0
	v_add_u32_e32 v30, 0x60, v28
	v_cndmask_b32_e32 v25, v25, v27, vcc
	v_cndmask_b32_e32 v24, v24, v26, vcc
	v_cmp_eq_u32_e32 vcc, 10, v0
	v_cndmask_b32_e32 v23, v23, v27, vcc
	v_cndmask_b32_e32 v22, v22, v26, vcc
	v_cmp_eq_u32_e32 vcc, 9, v0
	;; [unrolled: 3-line block ×11, first 2 shown]
	v_cndmask_b32_e32 v3, v3, v27, vcc
	v_cndmask_b32_e32 v2, v2, v26, vcc
	v_xor_b32_e32 v32, 0x80000000, v27
	v_mov_b32_e32 v31, v26
	ds_write2_b64 v28, v[31:32], v[4:5] offset1:12
	s_waitcnt lgkmcnt(0)
	; wave barrier
	s_and_saveexec_b64 s[2:3], s[0:1]
	s_cbranch_execz .LBB11_19
; %bb.18:
	ds_read_b64 v[4:5], v30
	v_mov_b32_e32 v28, 0
	ds_read_b64 v[28:29], v28 offset:8
	s_waitcnt lgkmcnt(1)
	v_fma_f64 v[4:5], v[26:27], v[4:5], 0
	s_waitcnt lgkmcnt(0)
	v_mul_f64 v[4:5], v[4:5], v[28:29]
.LBB11_19:
	s_or_b64 exec, exec, s[2:3]
	v_cmp_gt_u32_e32 vcc, 2, v0
	; wave barrier
	ds_write_b64 v30, v[6:7]
	s_waitcnt lgkmcnt(0)
	; wave barrier
	s_and_saveexec_b64 s[26:27], vcc
	s_cbranch_execz .LBB11_21
; %bb.20:
	v_cmp_eq_u32_e64 s[2:3], 1, v0
	v_cndmask_b32_e64 v26, v3, v5, s[2:3]
	v_cmp_eq_u32_e64 s[4:5], 2, v0
	v_cndmask_b32_e64 v7, v26, v7, s[4:5]
	v_cndmask_b32_e64 v26, v2, v4, s[2:3]
	v_cmp_eq_u32_e64 s[8:9], 3, v0
	v_cndmask_b32_e64 v6, v26, v6, s[4:5]
	v_cndmask_b32_e64 v7, v7, v9, s[8:9]
	v_cmp_eq_u32_e64 s[10:11], 4, v0
	v_cndmask_b32_e64 v6, v6, v8, s[8:9]
	v_cndmask_b32_e64 v7, v7, v11, s[10:11]
	v_cmp_eq_u32_e64 s[12:13], 5, v0
	v_cndmask_b32_e64 v6, v6, v10, s[10:11]
	v_cndmask_b32_e64 v7, v7, v13, s[12:13]
	v_cmp_eq_u32_e64 s[14:15], 6, v0
	v_cndmask_b32_e64 v6, v6, v12, s[12:13]
	v_cndmask_b32_e64 v7, v7, v15, s[14:15]
	v_cmp_eq_u32_e64 s[16:17], 7, v0
	v_cndmask_b32_e64 v6, v6, v14, s[14:15]
	v_cndmask_b32_e64 v7, v7, v17, s[16:17]
	v_cmp_eq_u32_e64 s[18:19], 8, v0
	v_cndmask_b32_e64 v6, v6, v16, s[16:17]
	ds_read_b64 v[26:27], v30
	v_cndmask_b32_e64 v7, v7, v19, s[18:19]
	v_cmp_eq_u32_e64 s[20:21], 9, v0
	v_cndmask_b32_e64 v6, v6, v18, s[18:19]
	v_cndmask_b32_e64 v7, v7, v21, s[20:21]
	v_cmp_eq_u32_e64 s[22:23], 10, v0
	v_cndmask_b32_e64 v6, v6, v20, s[20:21]
	;; [unrolled: 3-line block ×3, first 2 shown]
	v_cndmask_b32_e64 v7, v7, v25, s[24:25]
	v_cndmask_b32_e64 v6, v6, v24, s[24:25]
	s_waitcnt lgkmcnt(0)
	v_fma_f64 v[6:7], v[6:7], v[26:27], 0
	v_mov_b32_e32 v26, 0
	ds_read2_b64 v[26:29], v26 offset0:2 offset1:13
	s_waitcnt lgkmcnt(0)
	v_fma_f64 v[28:29], v[4:5], v[28:29], v[6:7]
	v_cndmask_b32_e64 v7, v7, v29, s[0:1]
	v_cndmask_b32_e64 v6, v6, v28, s[0:1]
	v_mul_f64 v[6:7], v[6:7], v[26:27]
.LBB11_21:
	s_or_b64 exec, exec, s[26:27]
	v_cmp_gt_u32_e64 s[2:3], 3, v0
	; wave barrier
	ds_write_b64 v30, v[8:9]
	s_waitcnt lgkmcnt(0)
	; wave barrier
	s_and_saveexec_b64 s[8:9], s[2:3]
	s_cbranch_execz .LBB11_25
; %bb.22:
	v_mov_b32_e32 v26, 0x60
	v_lshl_add_u32 v31, v0, 3, v26
	v_mov_b32_e32 v26, 0
	v_mov_b32_e32 v29, v1
	;; [unrolled: 1-line block ×3, first 2 shown]
	s_mov_b64 s[10:11], 0
	v_mov_b32_e32 v28, v0
.LBB11_23:                              ; =>This Inner Loop Header: Depth=1
	v_cmp_eq_u32_e64 s[2:3], 1, v28
	v_cndmask_b32_e64 v34, v3, v5, s[2:3]
	v_cmp_eq_u32_e64 s[4:5], 2, v28
	v_cndmask_b32_e64 v34, v34, v7, s[4:5]
	v_cndmask_b32_e64 v35, v2, v4, s[2:3]
	v_cmp_eq_u32_e64 s[2:3], 3, v28
	v_cndmask_b32_e64 v34, v34, v9, s[2:3]
	;; [unrolled: 3-line block ×6, first 2 shown]
	v_cndmask_b32_e64 v35, v35, v14, s[4:5]
	v_cmp_eq_u32_e64 s[4:5], 8, v28
	ds_read_b64 v[32:33], v31
	v_cndmask_b32_e64 v34, v34, v19, s[4:5]
	v_cndmask_b32_e64 v35, v35, v16, s[2:3]
	v_cmp_eq_u32_e64 s[2:3], 9, v28
	v_cndmask_b32_e64 v34, v34, v21, s[2:3]
	v_cndmask_b32_e64 v35, v35, v18, s[4:5]
	v_cmp_eq_u32_e64 s[4:5], 10, v28
	;; [unrolled: 3-line block ×3, first 2 shown]
	v_cndmask_b32_e64 v35, v34, v25, s[2:3]
	v_cndmask_b32_e64 v34, v36, v22, s[4:5]
	;; [unrolled: 1-line block ×3, first 2 shown]
	s_waitcnt lgkmcnt(0)
	v_fma_f64 v[26:27], v[34:35], v[32:33], v[26:27]
	v_add_co_u32_e64 v28, s[2:3], 1, v28
	v_addc_co_u32_e64 v29, s[2:3], 0, v29, s[2:3]
	v_add_u32_e32 v32, -1, v28
	v_cmp_lt_u32_e64 s[2:3], 1, v32
	s_or_b64 s[10:11], s[2:3], s[10:11]
	v_add_u32_e32 v31, 8, v31
	s_andn2_b64 exec, exec, s[10:11]
	s_cbranch_execnz .LBB11_23
; %bb.24:
	s_or_b64 exec, exec, s[10:11]
	v_mov_b32_e32 v8, 0
	ds_read_b64 v[8:9], v8 offset:24
	s_waitcnt lgkmcnt(0)
	v_mul_f64 v[8:9], v[26:27], v[8:9]
.LBB11_25:
	s_or_b64 exec, exec, s[8:9]
	v_cmp_gt_u32_e64 s[2:3], 4, v0
	; wave barrier
	ds_write_b64 v30, v[10:11]
	s_waitcnt lgkmcnt(0)
	; wave barrier
	s_and_saveexec_b64 s[10:11], s[2:3]
	s_cbranch_execz .LBB11_29
; %bb.26:
	v_mov_b32_e32 v26, 0x60
	v_lshl_add_u32 v31, v0, 3, v26
	v_mov_b32_e32 v26, 0
	v_mov_b32_e32 v29, v1
	;; [unrolled: 1-line block ×3, first 2 shown]
	s_mov_b64 s[12:13], 0
	v_mov_b32_e32 v28, v0
.LBB11_27:                              ; =>This Inner Loop Header: Depth=1
	v_cmp_eq_u32_e64 s[4:5], 1, v28
	v_cndmask_b32_e64 v34, v3, v5, s[4:5]
	v_cmp_eq_u32_e64 s[8:9], 2, v28
	v_cndmask_b32_e64 v34, v34, v7, s[8:9]
	v_cndmask_b32_e64 v35, v2, v4, s[4:5]
	v_cmp_eq_u32_e64 s[4:5], 3, v28
	v_cndmask_b32_e64 v34, v34, v9, s[4:5]
	;; [unrolled: 3-line block ×6, first 2 shown]
	v_cndmask_b32_e64 v35, v35, v14, s[8:9]
	v_cmp_eq_u32_e64 s[8:9], 8, v28
	ds_read_b64 v[32:33], v31
	v_cndmask_b32_e64 v34, v34, v19, s[8:9]
	v_cndmask_b32_e64 v35, v35, v16, s[4:5]
	v_cmp_eq_u32_e64 s[4:5], 9, v28
	v_cndmask_b32_e64 v34, v34, v21, s[4:5]
	v_cndmask_b32_e64 v35, v35, v18, s[8:9]
	v_cmp_eq_u32_e64 s[8:9], 10, v28
	;; [unrolled: 3-line block ×3, first 2 shown]
	v_cndmask_b32_e64 v35, v34, v25, s[4:5]
	v_cndmask_b32_e64 v34, v36, v22, s[8:9]
	;; [unrolled: 1-line block ×3, first 2 shown]
	s_waitcnt lgkmcnt(0)
	v_fma_f64 v[26:27], v[34:35], v[32:33], v[26:27]
	v_add_co_u32_e64 v28, s[4:5], 1, v28
	v_addc_co_u32_e64 v29, s[4:5], 0, v29, s[4:5]
	v_add_u32_e32 v32, -1, v28
	v_cmp_lt_u32_e64 s[4:5], 2, v32
	s_or_b64 s[12:13], s[4:5], s[12:13]
	v_add_u32_e32 v31, 8, v31
	s_andn2_b64 exec, exec, s[12:13]
	s_cbranch_execnz .LBB11_27
; %bb.28:
	s_or_b64 exec, exec, s[12:13]
	v_mov_b32_e32 v10, 0
	ds_read_b64 v[10:11], v10 offset:32
	s_waitcnt lgkmcnt(0)
	v_mul_f64 v[10:11], v[26:27], v[10:11]
.LBB11_29:
	s_or_b64 exec, exec, s[10:11]
	v_cmp_gt_u32_e64 s[4:5], 5, v0
	; wave barrier
	ds_write_b64 v30, v[12:13]
	s_waitcnt lgkmcnt(0)
	; wave barrier
	s_and_saveexec_b64 s[10:11], s[4:5]
	s_cbranch_execz .LBB11_33
; %bb.30:
	v_mov_b32_e32 v26, 0x60
	v_lshl_add_u32 v31, v0, 3, v26
	v_mov_b32_e32 v26, 0
	v_mov_b32_e32 v29, v1
	;; [unrolled: 1-line block ×3, first 2 shown]
	s_mov_b64 s[12:13], 0
	v_mov_b32_e32 v28, v0
.LBB11_31:                              ; =>This Inner Loop Header: Depth=1
	v_cmp_eq_u32_e64 s[4:5], 1, v28
	v_cndmask_b32_e64 v34, v3, v5, s[4:5]
	v_cmp_eq_u32_e64 s[8:9], 2, v28
	v_cndmask_b32_e64 v34, v34, v7, s[8:9]
	v_cndmask_b32_e64 v35, v2, v4, s[4:5]
	v_cmp_eq_u32_e64 s[4:5], 3, v28
	v_cndmask_b32_e64 v34, v34, v9, s[4:5]
	;; [unrolled: 3-line block ×6, first 2 shown]
	v_cndmask_b32_e64 v35, v35, v14, s[8:9]
	v_cmp_eq_u32_e64 s[8:9], 8, v28
	ds_read_b64 v[32:33], v31
	v_cndmask_b32_e64 v34, v34, v19, s[8:9]
	v_cndmask_b32_e64 v35, v35, v16, s[4:5]
	v_cmp_eq_u32_e64 s[4:5], 9, v28
	v_cndmask_b32_e64 v34, v34, v21, s[4:5]
	v_cndmask_b32_e64 v35, v35, v18, s[8:9]
	v_cmp_eq_u32_e64 s[8:9], 10, v28
	;; [unrolled: 3-line block ×3, first 2 shown]
	v_cndmask_b32_e64 v35, v34, v25, s[4:5]
	v_cndmask_b32_e64 v34, v36, v22, s[8:9]
	;; [unrolled: 1-line block ×3, first 2 shown]
	s_waitcnt lgkmcnt(0)
	v_fma_f64 v[26:27], v[34:35], v[32:33], v[26:27]
	v_add_co_u32_e64 v28, s[4:5], 1, v28
	v_addc_co_u32_e64 v29, s[4:5], 0, v29, s[4:5]
	v_add_u32_e32 v32, -1, v28
	v_cmp_lt_u32_e64 s[4:5], 3, v32
	s_or_b64 s[12:13], s[4:5], s[12:13]
	v_add_u32_e32 v31, 8, v31
	s_andn2_b64 exec, exec, s[12:13]
	s_cbranch_execnz .LBB11_31
; %bb.32:
	s_or_b64 exec, exec, s[12:13]
	v_mov_b32_e32 v12, 0
	ds_read_b64 v[12:13], v12 offset:40
	s_waitcnt lgkmcnt(0)
	v_mul_f64 v[12:13], v[26:27], v[12:13]
.LBB11_33:
	s_or_b64 exec, exec, s[10:11]
	v_cmp_gt_u32_e64 s[4:5], 6, v0
	; wave barrier
	ds_write_b64 v30, v[14:15]
	s_waitcnt lgkmcnt(0)
	; wave barrier
	s_and_saveexec_b64 s[12:13], s[4:5]
	s_cbranch_execz .LBB11_37
; %bb.34:
	v_mov_b32_e32 v26, 0x60
	v_lshl_add_u32 v31, v0, 3, v26
	v_mov_b32_e32 v26, 0
	v_mov_b32_e32 v29, v1
	;; [unrolled: 1-line block ×3, first 2 shown]
	s_mov_b64 s[14:15], 0
	v_mov_b32_e32 v28, v0
.LBB11_35:                              ; =>This Inner Loop Header: Depth=1
	v_cmp_eq_u32_e64 s[8:9], 1, v28
	v_cndmask_b32_e64 v34, v3, v5, s[8:9]
	v_cmp_eq_u32_e64 s[10:11], 2, v28
	v_cndmask_b32_e64 v34, v34, v7, s[10:11]
	v_cndmask_b32_e64 v35, v2, v4, s[8:9]
	v_cmp_eq_u32_e64 s[8:9], 3, v28
	v_cndmask_b32_e64 v34, v34, v9, s[8:9]
	;; [unrolled: 3-line block ×6, first 2 shown]
	v_cndmask_b32_e64 v35, v35, v14, s[10:11]
	v_cmp_eq_u32_e64 s[10:11], 8, v28
	ds_read_b64 v[32:33], v31
	v_cndmask_b32_e64 v34, v34, v19, s[10:11]
	v_cndmask_b32_e64 v35, v35, v16, s[8:9]
	v_cmp_eq_u32_e64 s[8:9], 9, v28
	v_cndmask_b32_e64 v34, v34, v21, s[8:9]
	v_cndmask_b32_e64 v35, v35, v18, s[10:11]
	v_cmp_eq_u32_e64 s[10:11], 10, v28
	v_cndmask_b32_e64 v34, v34, v23, s[10:11]
	v_cndmask_b32_e64 v36, v35, v20, s[8:9]
	v_cmp_eq_u32_e64 s[8:9], 11, v28
	v_cndmask_b32_e64 v35, v34, v25, s[8:9]
	v_cndmask_b32_e64 v34, v36, v22, s[10:11]
	;; [unrolled: 1-line block ×3, first 2 shown]
	s_waitcnt lgkmcnt(0)
	v_fma_f64 v[26:27], v[34:35], v[32:33], v[26:27]
	v_add_co_u32_e64 v28, s[8:9], 1, v28
	v_addc_co_u32_e64 v29, s[8:9], 0, v29, s[8:9]
	v_add_u32_e32 v32, -1, v28
	v_cmp_lt_u32_e64 s[8:9], 4, v32
	s_or_b64 s[14:15], s[8:9], s[14:15]
	v_add_u32_e32 v31, 8, v31
	s_andn2_b64 exec, exec, s[14:15]
	s_cbranch_execnz .LBB11_35
; %bb.36:
	s_or_b64 exec, exec, s[14:15]
	v_mov_b32_e32 v14, 0
	ds_read_b64 v[14:15], v14 offset:48
	s_waitcnt lgkmcnt(0)
	v_mul_f64 v[14:15], v[26:27], v[14:15]
.LBB11_37:
	s_or_b64 exec, exec, s[12:13]
	v_cmp_gt_u32_e64 s[8:9], 7, v0
	; wave barrier
	ds_write_b64 v30, v[16:17]
	s_waitcnt lgkmcnt(0)
	; wave barrier
	s_and_saveexec_b64 s[12:13], s[8:9]
	s_cbranch_execz .LBB11_41
; %bb.38:
	v_mov_b32_e32 v26, 0x60
	v_lshl_add_u32 v31, v0, 3, v26
	v_mov_b32_e32 v26, 0
	v_mov_b32_e32 v29, v1
	;; [unrolled: 1-line block ×3, first 2 shown]
	s_mov_b64 s[14:15], 0
	v_mov_b32_e32 v28, v0
.LBB11_39:                              ; =>This Inner Loop Header: Depth=1
	v_cmp_eq_u32_e64 s[8:9], 1, v28
	v_cndmask_b32_e64 v34, v3, v5, s[8:9]
	v_cmp_eq_u32_e64 s[10:11], 2, v28
	v_cndmask_b32_e64 v34, v34, v7, s[10:11]
	v_cndmask_b32_e64 v35, v2, v4, s[8:9]
	v_cmp_eq_u32_e64 s[8:9], 3, v28
	v_cndmask_b32_e64 v34, v34, v9, s[8:9]
	v_cndmask_b32_e64 v35, v35, v6, s[10:11]
	v_cmp_eq_u32_e64 s[10:11], 4, v28
	v_cndmask_b32_e64 v34, v34, v11, s[10:11]
	v_cndmask_b32_e64 v35, v35, v8, s[8:9]
	v_cmp_eq_u32_e64 s[8:9], 5, v28
	v_cndmask_b32_e64 v34, v34, v13, s[8:9]
	v_cndmask_b32_e64 v35, v35, v10, s[10:11]
	v_cmp_eq_u32_e64 s[10:11], 6, v28
	v_cndmask_b32_e64 v34, v34, v15, s[10:11]
	v_cndmask_b32_e64 v35, v35, v12, s[8:9]
	v_cmp_eq_u32_e64 s[8:9], 7, v28
	v_cndmask_b32_e64 v34, v34, v17, s[8:9]
	v_cndmask_b32_e64 v35, v35, v14, s[10:11]
	v_cmp_eq_u32_e64 s[10:11], 8, v28
	ds_read_b64 v[32:33], v31
	v_cndmask_b32_e64 v34, v34, v19, s[10:11]
	v_cndmask_b32_e64 v35, v35, v16, s[8:9]
	v_cmp_eq_u32_e64 s[8:9], 9, v28
	v_cndmask_b32_e64 v34, v34, v21, s[8:9]
	v_cndmask_b32_e64 v35, v35, v18, s[10:11]
	v_cmp_eq_u32_e64 s[10:11], 10, v28
	;; [unrolled: 3-line block ×3, first 2 shown]
	v_cndmask_b32_e64 v35, v34, v25, s[8:9]
	v_cndmask_b32_e64 v34, v36, v22, s[10:11]
	;; [unrolled: 1-line block ×3, first 2 shown]
	s_waitcnt lgkmcnt(0)
	v_fma_f64 v[26:27], v[34:35], v[32:33], v[26:27]
	v_add_co_u32_e64 v28, s[8:9], 1, v28
	v_addc_co_u32_e64 v29, s[8:9], 0, v29, s[8:9]
	v_add_u32_e32 v32, -1, v28
	v_cmp_lt_u32_e64 s[8:9], 5, v32
	s_or_b64 s[14:15], s[8:9], s[14:15]
	v_add_u32_e32 v31, 8, v31
	s_andn2_b64 exec, exec, s[14:15]
	s_cbranch_execnz .LBB11_39
; %bb.40:
	s_or_b64 exec, exec, s[14:15]
	v_mov_b32_e32 v16, 0
	ds_read_b64 v[16:17], v16 offset:56
	s_waitcnt lgkmcnt(0)
	v_mul_f64 v[16:17], v[26:27], v[16:17]
.LBB11_41:
	s_or_b64 exec, exec, s[12:13]
	v_cmp_gt_u32_e64 s[8:9], 8, v0
	; wave barrier
	ds_write_b64 v30, v[18:19]
	s_waitcnt lgkmcnt(0)
	; wave barrier
	s_and_saveexec_b64 s[38:39], s[8:9]
	s_cbranch_execz .LBB11_57
; %bb.42:
	v_cmp_eq_u32_e64 s[8:9], 1, v0
	v_cndmask_b32_e64 v26, v3, v5, s[8:9]
	v_cmp_eq_u32_e64 s[10:11], 2, v0
	v_cndmask_b32_e64 v26, v26, v7, s[10:11]
	;; [unrolled: 2-line block ×11, first 2 shown]
	v_cndmask_b32_e64 v26, v2, v4, s[8:9]
	v_cndmask_b32_e64 v26, v26, v6, s[10:11]
	;; [unrolled: 1-line block ×7, first 2 shown]
	ds_read_b64 v[28:29], v30
	v_cndmask_b32_e64 v26, v26, v18, s[22:23]
	v_cndmask_b32_e64 v26, v26, v20, s[24:25]
	;; [unrolled: 1-line block ×4, first 2 shown]
	s_waitcnt lgkmcnt(0)
	v_fma_f64 v[26:27], v[26:27], v[28:29], 0
	v_cmp_ne_u32_e64 s[8:9], 7, v0
	s_and_saveexec_b64 s[40:41], s[8:9]
	s_cbranch_execz .LBB11_56
; %bb.43:
	v_add_u32_e32 v28, 1, v0
	v_cmp_eq_u32_e64 s[8:9], 1, v28
	v_cndmask_b32_e64 v29, v3, v5, s[8:9]
	v_cmp_eq_u32_e64 s[10:11], 2, v28
	v_cmp_eq_u32_e64 s[12:13], 3, v28
	;; [unrolled: 1-line block ×10, first 2 shown]
	v_cndmask_b32_e64 v28, v2, v4, s[8:9]
	v_cndmask_b32_e64 v29, v29, v7, s[10:11]
	;; [unrolled: 1-line block ×13, first 2 shown]
	ds_read_b64 v[31:32], v30 offset:8
	v_cndmask_b32_e64 v29, v29, v19, s[22:23]
	v_cndmask_b32_e64 v28, v28, v18, s[22:23]
	;; [unrolled: 1-line block ×8, first 2 shown]
	s_waitcnt lgkmcnt(0)
	v_fma_f64 v[26:27], v[28:29], v[31:32], v[26:27]
	s_and_saveexec_b64 s[28:29], s[4:5]
	s_cbranch_execz .LBB11_55
; %bb.44:
	v_add_u32_e32 v28, 2, v0
	v_cmp_eq_u32_e64 s[4:5], 1, v28
	v_cndmask_b32_e64 v29, v3, v5, s[4:5]
	v_cmp_eq_u32_e64 s[8:9], 2, v28
	v_cmp_eq_u32_e64 s[10:11], 3, v28
	v_cmp_eq_u32_e64 s[12:13], 4, v28
	v_cmp_eq_u32_e64 s[14:15], 5, v28
	v_cmp_eq_u32_e64 s[16:17], 6, v28
	v_cmp_eq_u32_e64 s[18:19], 7, v28
	v_cmp_eq_u32_e64 s[20:21], 8, v28
	v_cmp_eq_u32_e64 s[22:23], 9, v28
	v_cmp_eq_u32_e64 s[24:25], 10, v28
	v_cmp_eq_u32_e64 s[26:27], 11, v28
	v_cndmask_b32_e64 v28, v2, v4, s[4:5]
	v_cndmask_b32_e64 v29, v29, v7, s[8:9]
	;; [unrolled: 1-line block ×13, first 2 shown]
	ds_read_b64 v[31:32], v30 offset:16
	v_cndmask_b32_e64 v29, v29, v19, s[20:21]
	v_cndmask_b32_e64 v28, v28, v18, s[20:21]
	;; [unrolled: 1-line block ×8, first 2 shown]
	s_waitcnt lgkmcnt(0)
	v_fma_f64 v[26:27], v[28:29], v[31:32], v[26:27]
	v_cmp_ne_u32_e64 s[4:5], 5, v0
	s_and_saveexec_b64 s[42:43], s[4:5]
	s_cbranch_execz .LBB11_54
; %bb.45:
	v_add_u32_e32 v28, 3, v0
	v_cmp_eq_u32_e64 s[4:5], 1, v28
	v_cndmask_b32_e64 v29, v3, v5, s[4:5]
	v_cmp_eq_u32_e64 s[8:9], 2, v28
	v_cmp_eq_u32_e64 s[10:11], 3, v28
	;; [unrolled: 1-line block ×10, first 2 shown]
	v_cndmask_b32_e64 v28, v2, v4, s[4:5]
	v_cndmask_b32_e64 v29, v29, v7, s[8:9]
	;; [unrolled: 1-line block ×13, first 2 shown]
	ds_read_b64 v[31:32], v30 offset:24
	v_cndmask_b32_e64 v29, v29, v19, s[20:21]
	v_cndmask_b32_e64 v28, v28, v18, s[20:21]
	;; [unrolled: 1-line block ×8, first 2 shown]
	s_waitcnt lgkmcnt(0)
	v_fma_f64 v[26:27], v[28:29], v[31:32], v[26:27]
	s_and_saveexec_b64 s[26:27], s[2:3]
	s_cbranch_execz .LBB11_53
; %bb.46:
	v_or_b32_e32 v28, 4, v0
	v_cmp_eq_u32_e64 s[2:3], 1, v28
	v_cndmask_b32_e64 v29, v3, v5, s[2:3]
	v_cmp_eq_u32_e64 s[4:5], 2, v28
	v_cmp_eq_u32_e64 s[8:9], 3, v28
	;; [unrolled: 1-line block ×10, first 2 shown]
	v_cndmask_b32_e64 v28, v2, v4, s[2:3]
	v_cndmask_b32_e64 v29, v29, v7, s[4:5]
	;; [unrolled: 1-line block ×13, first 2 shown]
	ds_read_b64 v[31:32], v30 offset:32
	v_cndmask_b32_e64 v29, v29, v19, s[18:19]
	v_cndmask_b32_e64 v28, v28, v18, s[18:19]
	;; [unrolled: 1-line block ×8, first 2 shown]
	s_waitcnt lgkmcnt(0)
	v_fma_f64 v[26:27], v[28:29], v[31:32], v[26:27]
	v_cmp_ne_u32_e64 s[2:3], 3, v0
	s_and_saveexec_b64 s[44:45], s[2:3]
	s_cbranch_execz .LBB11_52
; %bb.47:
	v_add_u32_e32 v28, 5, v0
	v_cmp_eq_u32_e64 s[2:3], 1, v28
	v_cndmask_b32_e64 v29, v3, v5, s[2:3]
	v_cmp_eq_u32_e64 s[4:5], 2, v28
	v_cmp_eq_u32_e64 s[8:9], 3, v28
	v_cmp_eq_u32_e64 s[10:11], 4, v28
	v_cmp_eq_u32_e64 s[12:13], 5, v28
	v_cmp_eq_u32_e64 s[14:15], 6, v28
	v_cmp_eq_u32_e64 s[16:17], 7, v28
	v_cmp_eq_u32_e64 s[18:19], 8, v28
	v_cmp_eq_u32_e64 s[20:21], 9, v28
	v_cmp_eq_u32_e64 s[22:23], 10, v28
	v_cmp_eq_u32_e64 s[24:25], 11, v28
	v_cndmask_b32_e64 v28, v2, v4, s[2:3]
	v_cndmask_b32_e64 v29, v29, v7, s[4:5]
	;; [unrolled: 1-line block ×13, first 2 shown]
	ds_read_b64 v[31:32], v30 offset:40
	v_cndmask_b32_e64 v29, v29, v19, s[18:19]
	v_cndmask_b32_e64 v28, v28, v18, s[18:19]
	;; [unrolled: 1-line block ×8, first 2 shown]
	s_waitcnt lgkmcnt(0)
	v_fma_f64 v[26:27], v[28:29], v[31:32], v[26:27]
	s_and_saveexec_b64 s[24:25], vcc
	s_cbranch_execz .LBB11_51
; %bb.48:
	v_or_b32_e32 v28, 6, v0
	v_cmp_eq_u32_e32 vcc, 1, v28
	v_cndmask_b32_e32 v29, v3, v5, vcc
	v_cmp_eq_u32_e64 s[2:3], 2, v28
	v_cndmask_b32_e64 v29, v29, v7, s[2:3]
	v_cmp_eq_u32_e64 s[4:5], 3, v28
	v_cmp_eq_u32_e64 s[8:9], 4, v28
	;; [unrolled: 1-line block ×9, first 2 shown]
	v_cndmask_b32_e32 v28, v2, v4, vcc
	v_cndmask_b32_e64 v29, v29, v9, s[4:5]
	v_cndmask_b32_e64 v28, v28, v6, s[2:3]
	;; [unrolled: 1-line block ×12, first 2 shown]
	ds_read_b64 v[28:29], v30 offset:48
	v_cndmask_b32_e64 v18, v31, v18, s[16:17]
	v_cndmask_b32_e64 v19, v19, v21, s[18:19]
	;; [unrolled: 1-line block ×7, first 2 shown]
	s_waitcnt lgkmcnt(0)
	v_fma_f64 v[26:27], v[18:19], v[28:29], v[26:27]
	s_and_saveexec_b64 s[2:3], s[0:1]
	s_cbranch_execz .LBB11_50
; %bb.49:
	ds_read_b64 v[18:19], v30 offset:56
	s_waitcnt lgkmcnt(0)
	v_fma_f64 v[26:27], v[16:17], v[18:19], v[26:27]
.LBB11_50:
	s_or_b64 exec, exec, s[2:3]
.LBB11_51:
	s_or_b64 exec, exec, s[24:25]
.LBB11_52:
	s_or_b64 exec, exec, s[44:45]
.LBB11_53:
	s_or_b64 exec, exec, s[26:27]
.LBB11_54:
	s_or_b64 exec, exec, s[42:43]
.LBB11_55:
	s_or_b64 exec, exec, s[28:29]
.LBB11_56:
	s_or_b64 exec, exec, s[40:41]
	v_mov_b32_e32 v18, 0
	ds_read_b64 v[18:19], v18 offset:64
	s_waitcnt lgkmcnt(0)
	v_mul_f64 v[18:19], v[26:27], v[18:19]
.LBB11_57:
	s_or_b64 exec, exec, s[38:39]
	v_cmp_gt_u32_e32 vcc, 9, v0
	; wave barrier
	ds_write_b64 v30, v[20:21]
	s_waitcnt lgkmcnt(0)
	; wave barrier
	s_and_saveexec_b64 s[2:3], vcc
	s_cbranch_execz .LBB11_61
; %bb.58:
	v_mov_b32_e32 v26, 0x60
	v_lshl_add_u32 v31, v0, 3, v26
	v_mov_b32_e32 v26, 0
	v_mov_b32_e32 v29, v1
	;; [unrolled: 1-line block ×3, first 2 shown]
	s_mov_b64 s[4:5], 0
	v_mov_b32_e32 v28, v0
.LBB11_59:                              ; =>This Inner Loop Header: Depth=1
	v_cmp_eq_u32_e32 vcc, 1, v28
	v_cndmask_b32_e32 v34, v3, v5, vcc
	v_cmp_eq_u32_e64 s[0:1], 2, v28
	v_cndmask_b32_e64 v34, v34, v7, s[0:1]
	v_cndmask_b32_e32 v35, v2, v4, vcc
	v_cmp_eq_u32_e32 vcc, 3, v28
	v_cndmask_b32_e32 v34, v34, v9, vcc
	v_cndmask_b32_e64 v35, v35, v6, s[0:1]
	v_cmp_eq_u32_e64 s[0:1], 4, v28
	v_cndmask_b32_e64 v34, v34, v11, s[0:1]
	v_cndmask_b32_e32 v35, v35, v8, vcc
	v_cmp_eq_u32_e32 vcc, 5, v28
	v_cndmask_b32_e32 v34, v34, v13, vcc
	v_cndmask_b32_e64 v35, v35, v10, s[0:1]
	;; [unrolled: 6-line block ×3, first 2 shown]
	v_cmp_eq_u32_e64 s[0:1], 8, v28
	ds_read_b64 v[32:33], v31
	v_cndmask_b32_e64 v34, v34, v19, s[0:1]
	v_cndmask_b32_e32 v35, v35, v16, vcc
	v_cmp_eq_u32_e32 vcc, 9, v28
	v_cndmask_b32_e32 v34, v34, v21, vcc
	v_cndmask_b32_e64 v35, v35, v18, s[0:1]
	v_cmp_eq_u32_e64 s[0:1], 10, v28
	v_cndmask_b32_e64 v34, v34, v23, s[0:1]
	v_cndmask_b32_e32 v36, v35, v20, vcc
	v_cmp_eq_u32_e32 vcc, 11, v28
	v_cndmask_b32_e32 v35, v34, v25, vcc
	v_cndmask_b32_e64 v34, v36, v22, s[0:1]
	v_cndmask_b32_e32 v34, v34, v24, vcc
	s_waitcnt lgkmcnt(0)
	v_fma_f64 v[26:27], v[34:35], v[32:33], v[26:27]
	v_add_co_u32_e32 v28, vcc, 1, v28
	v_addc_co_u32_e32 v29, vcc, 0, v29, vcc
	v_add_u32_e32 v32, -1, v28
	v_cmp_lt_u32_e32 vcc, 7, v32
	s_or_b64 s[4:5], vcc, s[4:5]
	v_add_u32_e32 v31, 8, v31
	s_andn2_b64 exec, exec, s[4:5]
	s_cbranch_execnz .LBB11_59
; %bb.60:
	s_or_b64 exec, exec, s[4:5]
	v_mov_b32_e32 v20, 0
	ds_read_b64 v[20:21], v20 offset:72
	s_waitcnt lgkmcnt(0)
	v_mul_f64 v[20:21], v[26:27], v[20:21]
.LBB11_61:
	s_or_b64 exec, exec, s[2:3]
	v_cmp_gt_u32_e32 vcc, 10, v0
	; wave barrier
	ds_write_b64 v30, v[22:23]
	s_waitcnt lgkmcnt(0)
	; wave barrier
	s_and_saveexec_b64 s[2:3], vcc
	s_cbranch_execz .LBB11_65
; %bb.62:
	v_mov_b32_e32 v26, 0x60
	v_lshl_add_u32 v31, v0, 3, v26
	v_mov_b32_e32 v26, 0
	v_mov_b32_e32 v29, v1
	;; [unrolled: 1-line block ×3, first 2 shown]
	s_mov_b64 s[4:5], 0
	v_mov_b32_e32 v28, v0
.LBB11_63:                              ; =>This Inner Loop Header: Depth=1
	v_cmp_eq_u32_e32 vcc, 1, v28
	v_cndmask_b32_e32 v34, v3, v5, vcc
	v_cmp_eq_u32_e64 s[0:1], 2, v28
	v_cndmask_b32_e64 v34, v34, v7, s[0:1]
	v_cndmask_b32_e32 v35, v2, v4, vcc
	v_cmp_eq_u32_e32 vcc, 3, v28
	v_cndmask_b32_e32 v34, v34, v9, vcc
	v_cndmask_b32_e64 v35, v35, v6, s[0:1]
	v_cmp_eq_u32_e64 s[0:1], 4, v28
	v_cndmask_b32_e64 v34, v34, v11, s[0:1]
	v_cndmask_b32_e32 v35, v35, v8, vcc
	v_cmp_eq_u32_e32 vcc, 5, v28
	v_cndmask_b32_e32 v34, v34, v13, vcc
	v_cndmask_b32_e64 v35, v35, v10, s[0:1]
	;; [unrolled: 6-line block ×3, first 2 shown]
	v_cmp_eq_u32_e64 s[0:1], 8, v28
	ds_read_b64 v[32:33], v31
	v_cndmask_b32_e64 v34, v34, v19, s[0:1]
	v_cndmask_b32_e32 v35, v35, v16, vcc
	v_cmp_eq_u32_e32 vcc, 9, v28
	v_cndmask_b32_e32 v34, v34, v21, vcc
	v_cndmask_b32_e64 v35, v35, v18, s[0:1]
	v_cmp_eq_u32_e64 s[0:1], 10, v28
	v_cndmask_b32_e64 v34, v34, v23, s[0:1]
	v_cndmask_b32_e32 v36, v35, v20, vcc
	v_cmp_eq_u32_e32 vcc, 11, v28
	v_cndmask_b32_e32 v35, v34, v25, vcc
	v_cndmask_b32_e64 v34, v36, v22, s[0:1]
	v_cndmask_b32_e32 v34, v34, v24, vcc
	s_waitcnt lgkmcnt(0)
	v_fma_f64 v[26:27], v[34:35], v[32:33], v[26:27]
	v_add_co_u32_e32 v28, vcc, 1, v28
	v_addc_co_u32_e32 v29, vcc, 0, v29, vcc
	v_add_u32_e32 v32, -1, v28
	v_cmp_lt_u32_e32 vcc, 8, v32
	s_or_b64 s[4:5], vcc, s[4:5]
	v_add_u32_e32 v31, 8, v31
	s_andn2_b64 exec, exec, s[4:5]
	s_cbranch_execnz .LBB11_63
; %bb.64:
	s_or_b64 exec, exec, s[4:5]
	v_mov_b32_e32 v22, 0
	ds_read_b64 v[22:23], v22 offset:80
	s_waitcnt lgkmcnt(0)
	v_mul_f64 v[22:23], v[26:27], v[22:23]
.LBB11_65:
	s_or_b64 exec, exec, s[2:3]
	v_cmp_ne_u32_e32 vcc, 11, v0
	; wave barrier
	ds_write_b64 v30, v[24:25]
	s_waitcnt lgkmcnt(0)
	; wave barrier
	s_and_saveexec_b64 s[2:3], vcc
	s_cbranch_execz .LBB11_69
; %bb.66:
	v_mov_b32_e32 v26, 0x60
	v_lshl_add_u32 v30, v0, 3, v26
	v_mov_b32_e32 v26, 0
	v_mov_b32_e32 v29, v1
	;; [unrolled: 1-line block ×3, first 2 shown]
	s_mov_b64 s[4:5], 0
	v_mov_b32_e32 v28, v0
.LBB11_67:                              ; =>This Inner Loop Header: Depth=1
	v_cmp_eq_u32_e32 vcc, 1, v28
	v_cndmask_b32_e32 v1, v3, v5, vcc
	v_cmp_eq_u32_e64 s[0:1], 2, v28
	v_cndmask_b32_e64 v1, v1, v7, s[0:1]
	v_cndmask_b32_e32 v33, v2, v4, vcc
	v_cmp_eq_u32_e32 vcc, 3, v28
	v_cndmask_b32_e32 v1, v1, v9, vcc
	v_cndmask_b32_e64 v33, v33, v6, s[0:1]
	v_cmp_eq_u32_e64 s[0:1], 4, v28
	v_cndmask_b32_e64 v1, v1, v11, s[0:1]
	v_cndmask_b32_e32 v33, v33, v8, vcc
	v_cmp_eq_u32_e32 vcc, 5, v28
	v_cndmask_b32_e32 v1, v1, v13, vcc
	v_cndmask_b32_e64 v33, v33, v10, s[0:1]
	;; [unrolled: 6-line block ×3, first 2 shown]
	v_cmp_eq_u32_e64 s[0:1], 8, v28
	ds_read_b64 v[31:32], v30
	v_cndmask_b32_e64 v1, v1, v19, s[0:1]
	v_cndmask_b32_e32 v33, v33, v16, vcc
	v_cmp_eq_u32_e32 vcc, 9, v28
	v_cndmask_b32_e32 v1, v1, v21, vcc
	v_cndmask_b32_e64 v33, v33, v18, s[0:1]
	v_cmp_eq_u32_e64 s[0:1], 10, v28
	v_cndmask_b32_e64 v1, v1, v23, s[0:1]
	v_cndmask_b32_e32 v33, v33, v20, vcc
	v_cmp_eq_u32_e32 vcc, 11, v28
	v_cndmask_b32_e32 v34, v1, v25, vcc
	v_cndmask_b32_e64 v1, v33, v22, s[0:1]
	v_cndmask_b32_e32 v33, v1, v24, vcc
	s_waitcnt lgkmcnt(0)
	v_fma_f64 v[26:27], v[33:34], v[31:32], v[26:27]
	v_add_co_u32_e32 v28, vcc, 1, v28
	v_addc_co_u32_e32 v29, vcc, 0, v29, vcc
	v_add_u32_e32 v1, -1, v28
	v_cmp_lt_u32_e32 vcc, 9, v1
	s_or_b64 s[4:5], vcc, s[4:5]
	v_add_u32_e32 v30, 8, v30
	s_andn2_b64 exec, exec, s[4:5]
	s_cbranch_execnz .LBB11_67
; %bb.68:
	s_or_b64 exec, exec, s[4:5]
	v_mov_b32_e32 v1, 0
	ds_read_b64 v[24:25], v1 offset:88
	s_waitcnt lgkmcnt(0)
	v_mul_f64 v[24:25], v[26:27], v[24:25]
.LBB11_69:
	s_or_b64 exec, exec, s[2:3]
	; wave barrier
	s_cbranch_execnz .LBB11_15
	s_branch .LBB11_16
.LBB11_70:
	v_mov_b32_e32 v1, 0x60
	v_lshl_add_u32 v1, v0, 3, v1
	v_cmp_eq_u32_e32 vcc, 11, v0
	s_and_saveexec_b64 s[0:1], vcc
; %bb.71:
	ds_write_b64 v1, v[22:23]
	v_mov_b32_e32 v22, 0
	v_mov_b32_e32 v23, v22
; %bb.72:
	s_or_b64 exec, exec, s[0:1]
	v_mov_b32_e32 v44, 0
	s_waitcnt lgkmcnt(0)
	; wave barrier
	ds_read_b64 v[34:35], v44 offset:184
	v_cmp_lt_u32_e32 vcc, 9, v0
	s_waitcnt lgkmcnt(0)
	v_fma_f64 v[34:35], v[24:25], v[34:35], 0
	v_add_f64 v[22:23], v[22:23], -v[34:35]
	s_and_saveexec_b64 s[0:1], vcc
	s_cbranch_execz .LBB11_74
; %bb.73:
	v_mov_b32_e32 v26, v2
	v_mov_b32_e32 v27, v3
	;; [unrolled: 1-line block ×23, first 2 shown]
	ds_write_b64 v1, v[20:21]
	v_mov_b32_e32 v2, v26
	v_mov_b32_e32 v3, v27
	;; [unrolled: 1-line block ×32, first 2 shown]
.LBB11_74:
	s_or_b64 exec, exec, s[0:1]
	s_waitcnt lgkmcnt(0)
	; wave barrier
	ds_read_b128 v[34:37], v44 offset:176
	v_cmp_lt_u32_e32 vcc, 8, v0
	s_waitcnt lgkmcnt(0)
	v_fma_f64 v[34:35], v[22:23], v[34:35], 0
	v_fma_f64 v[34:35], v[24:25], v[36:37], v[34:35]
	v_add_f64 v[20:21], v[20:21], -v[34:35]
	s_and_saveexec_b64 s[0:1], vcc
	s_cbranch_execz .LBB11_76
; %bb.75:
	v_mov_b32_e32 v42, 0
	v_mov_b32_e32 v26, v2
	;; [unrolled: 1-line block ×24, first 2 shown]
	ds_write_b64 v1, v[18:19]
	v_mov_b32_e32 v2, v26
	v_mov_b32_e32 v3, v27
	;; [unrolled: 1-line block ×32, first 2 shown]
.LBB11_76:
	s_or_b64 exec, exec, s[0:1]
	v_mov_b32_e32 v40, 0
	s_waitcnt lgkmcnt(0)
	; wave barrier
	ds_read2_b64 v[34:37], v40 offset0:21 offset1:22
	ds_read_b64 v[38:39], v40 offset:184
	v_cmp_lt_u32_e32 vcc, 7, v0
	s_waitcnt lgkmcnt(1)
	v_fma_f64 v[34:35], v[20:21], v[34:35], 0
	v_fma_f64 v[34:35], v[22:23], v[36:37], v[34:35]
	s_waitcnt lgkmcnt(0)
	v_fma_f64 v[34:35], v[24:25], v[38:39], v[34:35]
	v_add_f64 v[18:19], v[18:19], -v[34:35]
	s_and_saveexec_b64 s[0:1], vcc
	s_cbranch_execz .LBB11_78
; %bb.77:
	v_mov_b32_e32 v26, v2
	v_mov_b32_e32 v27, v3
	;; [unrolled: 1-line block ×23, first 2 shown]
	ds_write_b64 v1, v[16:17]
	v_mov_b32_e32 v2, v26
	v_mov_b32_e32 v3, v27
	;; [unrolled: 1-line block ×32, first 2 shown]
.LBB11_78:
	s_or_b64 exec, exec, s[0:1]
	s_waitcnt lgkmcnt(0)
	; wave barrier
	ds_read_b128 v[34:37], v40 offset:160
	ds_read_b128 v[38:41], v40 offset:176
	v_cmp_lt_u32_e32 vcc, 6, v0
	s_waitcnt lgkmcnt(1)
	v_fma_f64 v[34:35], v[18:19], v[34:35], 0
	v_fma_f64 v[34:35], v[20:21], v[36:37], v[34:35]
	s_waitcnt lgkmcnt(0)
	v_fma_f64 v[34:35], v[22:23], v[38:39], v[34:35]
	v_fma_f64 v[34:35], v[24:25], v[40:41], v[34:35]
	v_add_f64 v[16:17], v[16:17], -v[34:35]
	s_and_saveexec_b64 s[0:1], vcc
	s_cbranch_execz .LBB11_80
; %bb.79:
	v_mov_b32_e32 v38, 0
	v_mov_b32_e32 v26, v2
	;; [unrolled: 1-line block ×24, first 2 shown]
	ds_write_b64 v1, v[14:15]
	v_mov_b32_e32 v2, v26
	v_mov_b32_e32 v3, v27
	;; [unrolled: 1-line block ×32, first 2 shown]
.LBB11_80:
	s_or_b64 exec, exec, s[0:1]
	v_mov_b32_e32 v36, 0
	s_waitcnt lgkmcnt(0)
	; wave barrier
	ds_read2_b64 v[37:40], v36 offset0:19 offset1:20
	ds_read2_b64 v[41:44], v36 offset0:21 offset1:22
	v_cmp_lt_u32_e32 vcc, 5, v0
	s_waitcnt lgkmcnt(1)
	v_fma_f64 v[34:35], v[16:17], v[37:38], 0
	ds_read_b64 v[37:38], v36 offset:184
	v_fma_f64 v[34:35], v[18:19], v[39:40], v[34:35]
	s_waitcnt lgkmcnt(1)
	v_fma_f64 v[34:35], v[20:21], v[41:42], v[34:35]
	v_fma_f64 v[34:35], v[22:23], v[43:44], v[34:35]
	s_waitcnt lgkmcnt(0)
	v_fma_f64 v[34:35], v[24:25], v[37:38], v[34:35]
	v_add_f64 v[14:15], v[14:15], -v[34:35]
	s_and_saveexec_b64 s[0:1], vcc
	s_cbranch_execz .LBB11_82
; %bb.81:
	v_mov_b32_e32 v26, v2
	v_mov_b32_e32 v27, v3
	;; [unrolled: 1-line block ×23, first 2 shown]
	ds_write_b64 v1, v[12:13]
	v_mov_b32_e32 v2, v26
	v_mov_b32_e32 v3, v27
	;; [unrolled: 1-line block ×32, first 2 shown]
.LBB11_82:
	s_or_b64 exec, exec, s[0:1]
	s_waitcnt lgkmcnt(0)
	; wave barrier
	ds_read_b128 v[37:40], v36 offset:144
	ds_read_b128 v[41:44], v36 offset:160
	v_cmp_lt_u32_e32 vcc, 4, v0
	s_waitcnt lgkmcnt(1)
	v_fma_f64 v[34:35], v[14:15], v[37:38], 0
	v_fma_f64 v[34:35], v[16:17], v[39:40], v[34:35]
	s_waitcnt lgkmcnt(0)
	v_fma_f64 v[34:35], v[18:19], v[41:42], v[34:35]
	v_fma_f64 v[38:39], v[20:21], v[43:44], v[34:35]
	ds_read_b128 v[34:37], v36 offset:176
	s_waitcnt lgkmcnt(0)
	v_fma_f64 v[34:35], v[22:23], v[34:35], v[38:39]
	v_fma_f64 v[34:35], v[24:25], v[36:37], v[34:35]
	v_add_f64 v[12:13], v[12:13], -v[34:35]
	s_and_saveexec_b64 s[0:1], vcc
	s_cbranch_execz .LBB11_84
; %bb.83:
	v_mov_b32_e32 v34, 0
	v_mov_b32_e32 v26, v2
	;; [unrolled: 1-line block ×24, first 2 shown]
	ds_write_b64 v1, v[10:11]
	v_mov_b32_e32 v2, v26
	v_mov_b32_e32 v3, v27
	;; [unrolled: 1-line block ×32, first 2 shown]
.LBB11_84:
	s_or_b64 exec, exec, s[0:1]
	v_mov_b32_e32 v34, 0
	s_waitcnt lgkmcnt(0)
	; wave barrier
	ds_read2_b64 v[35:38], v34 offset0:17 offset1:18
	ds_read2_b64 v[39:42], v34 offset0:19 offset1:20
	v_cmp_lt_u32_e32 vcc, 3, v0
	s_waitcnt lgkmcnt(1)
	v_fma_f64 v[35:36], v[12:13], v[35:36], 0
	v_fma_f64 v[35:36], v[14:15], v[37:38], v[35:36]
	s_waitcnt lgkmcnt(0)
	v_fma_f64 v[35:36], v[16:17], v[39:40], v[35:36]
	v_fma_f64 v[39:40], v[18:19], v[41:42], v[35:36]
	ds_read2_b64 v[35:38], v34 offset0:21 offset1:22
	ds_read_b64 v[41:42], v34 offset:184
	s_waitcnt lgkmcnt(1)
	v_fma_f64 v[35:36], v[20:21], v[35:36], v[39:40]
	v_fma_f64 v[35:36], v[22:23], v[37:38], v[35:36]
	s_waitcnt lgkmcnt(0)
	v_fma_f64 v[35:36], v[24:25], v[41:42], v[35:36]
	v_add_f64 v[10:11], v[10:11], -v[35:36]
	s_and_saveexec_b64 s[0:1], vcc
	s_cbranch_execz .LBB11_86
; %bb.85:
	v_mov_b32_e32 v28, v2
	v_mov_b32_e32 v29, v3
	;; [unrolled: 1-line block ×23, first 2 shown]
	ds_write_b64 v1, v[8:9]
	v_mov_b32_e32 v2, v28
	v_mov_b32_e32 v3, v29
	;; [unrolled: 1-line block ×32, first 2 shown]
.LBB11_86:
	s_or_b64 exec, exec, s[0:1]
	s_waitcnt lgkmcnt(0)
	; wave barrier
	ds_read_b128 v[35:38], v34 offset:128
	ds_read_b128 v[39:42], v34 offset:144
	v_cmp_lt_u32_e32 vcc, 2, v0
	s_waitcnt lgkmcnt(1)
	v_fma_f64 v[35:36], v[10:11], v[35:36], 0
	v_fma_f64 v[35:36], v[12:13], v[37:38], v[35:36]
	s_waitcnt lgkmcnt(0)
	v_fma_f64 v[35:36], v[14:15], v[39:40], v[35:36]
	v_fma_f64 v[43:44], v[16:17], v[41:42], v[35:36]
	ds_read_b128 v[35:38], v34 offset:160
	ds_read_b128 v[39:42], v34 offset:176
	s_waitcnt lgkmcnt(1)
	v_fma_f64 v[34:35], v[18:19], v[35:36], v[43:44]
	v_fma_f64 v[34:35], v[20:21], v[37:38], v[34:35]
	s_waitcnt lgkmcnt(0)
	v_fma_f64 v[34:35], v[22:23], v[39:40], v[34:35]
	v_fma_f64 v[34:35], v[24:25], v[41:42], v[34:35]
	v_add_f64 v[8:9], v[8:9], -v[34:35]
	s_and_saveexec_b64 s[0:1], vcc
	s_cbranch_execz .LBB11_88
; %bb.87:
	v_mov_b32_e32 v30, 0
	v_mov_b32_e32 v26, v2
	;; [unrolled: 1-line block ×24, first 2 shown]
	ds_write_b64 v1, v[6:7]
	v_mov_b32_e32 v2, v26
	v_mov_b32_e32 v3, v27
	;; [unrolled: 1-line block ×32, first 2 shown]
.LBB11_88:
	s_or_b64 exec, exec, s[0:1]
	v_mov_b32_e32 v34, 0
	s_waitcnt lgkmcnt(0)
	; wave barrier
	ds_read2_b64 v[35:38], v34 offset0:15 offset1:16
	ds_read2_b64 v[39:42], v34 offset0:17 offset1:18
	v_cmp_lt_u32_e32 vcc, 1, v0
	s_waitcnt lgkmcnt(1)
	v_fma_f64 v[35:36], v[8:9], v[35:36], 0
	v_fma_f64 v[35:36], v[10:11], v[37:38], v[35:36]
	s_waitcnt lgkmcnt(0)
	v_fma_f64 v[35:36], v[12:13], v[39:40], v[35:36]
	v_fma_f64 v[43:44], v[14:15], v[41:42], v[35:36]
	ds_read2_b64 v[35:38], v34 offset0:19 offset1:20
	ds_read2_b64 v[39:42], v34 offset0:21 offset1:22
	s_waitcnt lgkmcnt(1)
	v_fma_f64 v[35:36], v[16:17], v[35:36], v[43:44]
	v_fma_f64 v[35:36], v[18:19], v[37:38], v[35:36]
	ds_read_b64 v[37:38], v34 offset:184
	s_waitcnt lgkmcnt(1)
	v_fma_f64 v[35:36], v[20:21], v[39:40], v[35:36]
	v_fma_f64 v[35:36], v[22:23], v[41:42], v[35:36]
	s_waitcnt lgkmcnt(0)
	v_fma_f64 v[35:36], v[24:25], v[37:38], v[35:36]
	v_add_f64 v[6:7], v[6:7], -v[35:36]
	s_and_saveexec_b64 s[0:1], vcc
	s_cbranch_execz .LBB11_90
; %bb.89:
	v_mov_b32_e32 v32, v2
	v_mov_b32_e32 v33, v3
	;; [unrolled: 1-line block ×23, first 2 shown]
	ds_write_b64 v1, v[4:5]
	v_mov_b32_e32 v2, v32
	v_mov_b32_e32 v3, v33
	;; [unrolled: 1-line block ×32, first 2 shown]
.LBB11_90:
	s_or_b64 exec, exec, s[0:1]
	s_waitcnt lgkmcnt(0)
	; wave barrier
	ds_read_b128 v[35:38], v34 offset:112
	ds_read_b128 v[39:42], v34 offset:128
	v_cmp_ne_u32_e32 vcc, 0, v0
	s_waitcnt lgkmcnt(1)
	v_fma_f64 v[35:36], v[6:7], v[35:36], 0
	v_fma_f64 v[35:36], v[8:9], v[37:38], v[35:36]
	s_waitcnt lgkmcnt(0)
	v_fma_f64 v[35:36], v[10:11], v[39:40], v[35:36]
	v_fma_f64 v[43:44], v[12:13], v[41:42], v[35:36]
	ds_read_b128 v[35:38], v34 offset:144
	ds_read_b128 v[39:42], v34 offset:160
	s_waitcnt lgkmcnt(1)
	v_fma_f64 v[35:36], v[14:15], v[35:36], v[43:44]
	v_fma_f64 v[35:36], v[16:17], v[37:38], v[35:36]
	s_waitcnt lgkmcnt(0)
	v_fma_f64 v[35:36], v[18:19], v[39:40], v[35:36]
	v_fma_f64 v[38:39], v[20:21], v[41:42], v[35:36]
	ds_read_b128 v[34:37], v34 offset:176
	s_waitcnt lgkmcnt(0)
	v_fma_f64 v[34:35], v[22:23], v[34:35], v[38:39]
	v_fma_f64 v[34:35], v[24:25], v[36:37], v[34:35]
	v_add_f64 v[4:5], v[4:5], -v[34:35]
	s_and_saveexec_b64 s[0:1], vcc
	s_cbranch_execz .LBB11_92
; %bb.91:
	v_mov_b32_e32 v26, 0
	v_mov_b32_e32 v27, v26
	;; [unrolled: 1-line block ×58, first 2 shown]
	ds_write_b64 v1, v[50:51]
.LBB11_92:
	s_or_b64 exec, exec, s[0:1]
	v_mov_b32_e32 v0, 0
	s_waitcnt lgkmcnt(0)
	; wave barrier
	ds_read2_b64 v[34:37], v0 offset0:13 offset1:14
	ds_read2_b64 v[38:41], v0 offset0:15 offset1:16
	s_and_b64 vcc, exec, s[36:37]
	s_waitcnt lgkmcnt(1)
	v_fma_f64 v[34:35], v[4:5], v[34:35], 0
	v_fma_f64 v[34:35], v[6:7], v[36:37], v[34:35]
	s_waitcnt lgkmcnt(0)
	v_fma_f64 v[34:35], v[8:9], v[38:39], v[34:35]
	v_fma_f64 v[42:43], v[10:11], v[40:41], v[34:35]
	ds_read2_b64 v[34:37], v0 offset0:17 offset1:18
	ds_read2_b64 v[38:41], v0 offset0:19 offset1:20
	s_waitcnt lgkmcnt(1)
	v_fma_f64 v[34:35], v[12:13], v[34:35], v[42:43]
	v_fma_f64 v[34:35], v[14:15], v[36:37], v[34:35]
	s_waitcnt lgkmcnt(0)
	v_fma_f64 v[34:35], v[16:17], v[38:39], v[34:35]
	v_fma_f64 v[38:39], v[18:19], v[40:41], v[34:35]
	ds_read2_b64 v[34:37], v0 offset0:21 offset1:22
	ds_read_b64 v[40:41], v0 offset:184
	s_waitcnt lgkmcnt(1)
	v_fma_f64 v[34:35], v[20:21], v[34:35], v[38:39]
	v_fma_f64 v[34:35], v[22:23], v[36:37], v[34:35]
	s_waitcnt lgkmcnt(0)
	v_fma_f64 v[34:35], v[24:25], v[40:41], v[34:35]
	v_add_f64 v[2:3], v[2:3], -v[34:35]
	s_cbranch_vccz .LBB11_115
; %bb.93:
	global_load_dword v0, v0, s[34:35] offset:40
	s_waitcnt vmcnt(0)
	v_readfirstlane_b32 s0, v0
	s_add_i32 s0, s0, -1
	s_cmp_lg_u32 s0, 10
	s_cbranch_scc0 .LBB11_95
; %bb.94:
	s_lshl_b32 s0, s0, 1
	s_set_gpr_idx_on s0, gpr_idx(SRC0)
	v_mov_b32_e32 v0, v3
	v_mov_b32_e32 v1, v2
	s_set_gpr_idx_off
	v_mov_b32_e32 v55, v33
	v_mov_b32_e32 v45, v23
	;; [unrolled: 1-line block ×34, first 2 shown]
	s_set_gpr_idx_on s0, gpr_idx(DST)
	v_mov_b32_e32 v24, v22
	v_mov_b32_e32 v25, v23
	s_set_gpr_idx_off
	v_mov_b32_e32 v2, v24
	v_mov_b32_e32 v3, v25
	;; [unrolled: 1-line block ×32, first 2 shown]
.LBB11_95:
	v_mov_b32_e32 v0, 0
	global_load_dword v1, v0, s[34:35] offset:36
	s_waitcnt vmcnt(0)
	v_readfirstlane_b32 s0, v1
	s_add_i32 s0, s0, -1
	s_cmp_eq_u32 s0, 9
	s_cbranch_scc1 .LBB11_97
; %bb.96:
	s_lshl_b32 s0, s0, 1
	s_set_gpr_idx_on s0, gpr_idx(SRC0)
	v_mov_b32_e32 v1, v3
	v_mov_b32_e32 v54, v2
	s_set_gpr_idx_off
	v_mov_b32_e32 v53, v33
	v_mov_b32_e32 v41, v21
	;; [unrolled: 1-line block ×34, first 2 shown]
	s_set_gpr_idx_on s0, gpr_idx(DST)
	v_mov_b32_e32 v22, v20
	v_mov_b32_e32 v23, v21
	s_set_gpr_idx_off
	v_mov_b32_e32 v2, v22
	v_mov_b32_e32 v3, v23
	;; [unrolled: 1-line block ×32, first 2 shown]
.LBB11_97:
	global_load_dword v0, v0, s[34:35] offset:32
	s_waitcnt vmcnt(0)
	v_readfirstlane_b32 s0, v0
	s_add_i32 s0, s0, -1
	s_cmp_eq_u32 s0, 8
	s_cbranch_scc1 .LBB11_99
; %bb.98:
	s_lshl_b32 s0, s0, 1
	s_set_gpr_idx_on s0, gpr_idx(SRC0)
	v_mov_b32_e32 v0, v3
	v_mov_b32_e32 v1, v2
	s_set_gpr_idx_off
	v_mov_b32_e32 v51, v33
	v_mov_b32_e32 v37, v19
	;; [unrolled: 1-line block ×34, first 2 shown]
	s_set_gpr_idx_on s0, gpr_idx(DST)
	v_mov_b32_e32 v20, v18
	v_mov_b32_e32 v21, v19
	s_set_gpr_idx_off
	v_mov_b32_e32 v2, v20
	v_mov_b32_e32 v3, v21
	;; [unrolled: 1-line block ×32, first 2 shown]
.LBB11_99:
	v_mov_b32_e32 v0, 0
	global_load_dword v1, v0, s[34:35] offset:28
	s_waitcnt vmcnt(0)
	v_readfirstlane_b32 s0, v1
	s_add_i32 s0, s0, -1
	s_cmp_eq_u32 s0, 7
	s_cbranch_scc1 .LBB11_101
; %bb.100:
	s_lshl_b32 s0, s0, 1
	s_set_gpr_idx_on s0, gpr_idx(SRC0)
	v_mov_b32_e32 v1, v3
	v_mov_b32_e32 v50, v2
	s_set_gpr_idx_off
	v_mov_b32_e32 v49, v33
	v_mov_b32_e32 v48, v32
	;; [unrolled: 1-line block ×34, first 2 shown]
	s_set_gpr_idx_on s0, gpr_idx(DST)
	v_mov_b32_e32 v18, v16
	v_mov_b32_e32 v19, v17
	s_set_gpr_idx_off
	v_mov_b32_e32 v2, v18
	v_mov_b32_e32 v3, v19
	;; [unrolled: 1-line block ×32, first 2 shown]
.LBB11_101:
	global_load_dword v0, v0, s[34:35] offset:24
	s_waitcnt vmcnt(0)
	v_readfirstlane_b32 s0, v0
	s_add_i32 s0, s0, -1
	s_cmp_eq_u32 s0, 6
	s_cbranch_scc1 .LBB11_103
; %bb.102:
	s_lshl_b32 s0, s0, 1
	s_set_gpr_idx_on s0, gpr_idx(SRC0)
	v_mov_b32_e32 v0, v3
	v_mov_b32_e32 v1, v2
	s_set_gpr_idx_off
	v_mov_b32_e32 v47, v33
	v_mov_b32_e32 v46, v32
	;; [unrolled: 1-line block ×34, first 2 shown]
	s_set_gpr_idx_on s0, gpr_idx(DST)
	v_mov_b32_e32 v16, v14
	v_mov_b32_e32 v17, v15
	s_set_gpr_idx_off
	v_mov_b32_e32 v2, v16
	v_mov_b32_e32 v3, v17
	;; [unrolled: 1-line block ×32, first 2 shown]
.LBB11_103:
	v_mov_b32_e32 v0, 0
	global_load_dword v1, v0, s[34:35] offset:20
	s_waitcnt vmcnt(0)
	v_readfirstlane_b32 s0, v1
	s_add_i32 s0, s0, -1
	s_cmp_eq_u32 s0, 5
	s_cbranch_scc1 .LBB11_105
; %bb.104:
	s_lshl_b32 s0, s0, 1
	s_set_gpr_idx_on s0, gpr_idx(SRC0)
	v_mov_b32_e32 v1, v3
	v_mov_b32_e32 v46, v2
	s_set_gpr_idx_off
	v_mov_b32_e32 v45, v33
	v_mov_b32_e32 v44, v32
	;; [unrolled: 1-line block ×34, first 2 shown]
	s_set_gpr_idx_on s0, gpr_idx(DST)
	v_mov_b32_e32 v14, v12
	v_mov_b32_e32 v15, v13
	s_set_gpr_idx_off
	v_mov_b32_e32 v2, v14
	v_mov_b32_e32 v3, v15
	;; [unrolled: 1-line block ×32, first 2 shown]
.LBB11_105:
	global_load_dword v0, v0, s[34:35] offset:16
	s_waitcnt vmcnt(0)
	v_readfirstlane_b32 s0, v0
	s_add_i32 s0, s0, -1
	s_cmp_eq_u32 s0, 4
	s_cbranch_scc1 .LBB11_107
; %bb.106:
	s_lshl_b32 s0, s0, 1
	s_set_gpr_idx_on s0, gpr_idx(SRC0)
	v_mov_b32_e32 v0, v3
	v_mov_b32_e32 v1, v2
	s_set_gpr_idx_off
	v_mov_b32_e32 v43, v33
	v_mov_b32_e32 v42, v32
	;; [unrolled: 1-line block ×34, first 2 shown]
	s_set_gpr_idx_on s0, gpr_idx(DST)
	v_mov_b32_e32 v12, v10
	v_mov_b32_e32 v13, v11
	s_set_gpr_idx_off
	v_mov_b32_e32 v2, v12
	v_mov_b32_e32 v3, v13
	v_mov_b32_e32 v4, v14
	v_mov_b32_e32 v5, v15
	v_mov_b32_e32 v6, v16
	v_mov_b32_e32 v7, v17
	v_mov_b32_e32 v8, v18
	v_mov_b32_e32 v9, v19
	v_mov_b32_e32 v10, v20
	v_mov_b32_e32 v11, v21
	v_mov_b32_e32 v12, v22
	v_mov_b32_e32 v13, v23
	v_mov_b32_e32 v14, v24
	v_mov_b32_e32 v15, v25
	v_mov_b32_e32 v16, v26
	v_mov_b32_e32 v17, v27
	v_mov_b32_e32 v18, v28
	v_mov_b32_e32 v19, v29
	v_mov_b32_e32 v20, v30
	v_mov_b32_e32 v21, v31
	v_mov_b32_e32 v22, v32
	v_mov_b32_e32 v23, v33
	v_mov_b32_e32 v24, v34
	v_mov_b32_e32 v25, v35
	v_mov_b32_e32 v26, v36
	v_mov_b32_e32 v27, v37
	v_mov_b32_e32 v28, v38
	v_mov_b32_e32 v29, v39
	v_mov_b32_e32 v30, v40
	v_mov_b32_e32 v31, v41
	v_mov_b32_e32 v32, v42
	v_mov_b32_e32 v33, v43
.LBB11_107:
	v_mov_b32_e32 v0, 0
	global_load_dword v1, v0, s[34:35] offset:12
	s_waitcnt vmcnt(0)
	v_readfirstlane_b32 s0, v1
	s_add_i32 s0, s0, -1
	s_cmp_eq_u32 s0, 3
	s_cbranch_scc1 .LBB11_109
; %bb.108:
	s_lshl_b32 s0, s0, 1
	s_set_gpr_idx_on s0, gpr_idx(SRC0)
	v_mov_b32_e32 v1, v3
	v_mov_b32_e32 v42, v2
	s_set_gpr_idx_off
	v_mov_b32_e32 v41, v33
	v_mov_b32_e32 v40, v32
	;; [unrolled: 1-line block ×34, first 2 shown]
	s_set_gpr_idx_on s0, gpr_idx(DST)
	v_mov_b32_e32 v10, v8
	v_mov_b32_e32 v11, v9
	s_set_gpr_idx_off
	v_mov_b32_e32 v2, v10
	v_mov_b32_e32 v3, v11
	;; [unrolled: 1-line block ×32, first 2 shown]
.LBB11_109:
	global_load_dword v0, v0, s[34:35] offset:8
	s_waitcnt vmcnt(0)
	v_readfirstlane_b32 s0, v0
	s_add_i32 s0, s0, -1
	s_cmp_eq_u32 s0, 2
	s_cbranch_scc1 .LBB11_111
; %bb.110:
	s_lshl_b32 s0, s0, 1
	s_set_gpr_idx_on s0, gpr_idx(SRC0)
	v_mov_b32_e32 v0, v3
	v_mov_b32_e32 v1, v2
	s_set_gpr_idx_off
	v_mov_b32_e32 v39, v33
	v_mov_b32_e32 v38, v32
	;; [unrolled: 1-line block ×34, first 2 shown]
	s_set_gpr_idx_on s0, gpr_idx(DST)
	v_mov_b32_e32 v8, v6
	v_mov_b32_e32 v9, v7
	s_set_gpr_idx_off
	v_mov_b32_e32 v2, v8
	v_mov_b32_e32 v3, v9
	;; [unrolled: 1-line block ×32, first 2 shown]
.LBB11_111:
	v_mov_b32_e32 v0, 0
	global_load_dword v1, v0, s[34:35] offset:4
	s_waitcnt vmcnt(0)
	v_readfirstlane_b32 s0, v1
	s_add_i32 s0, s0, -1
	s_cmp_eq_u32 s0, 1
	s_cbranch_scc1 .LBB11_113
; %bb.112:
	s_lshl_b32 s0, s0, 1
	s_set_gpr_idx_on s0, gpr_idx(SRC0)
	v_mov_b32_e32 v1, v3
	v_mov_b32_e32 v38, v2
	s_set_gpr_idx_off
	v_mov_b32_e32 v37, v33
	v_mov_b32_e32 v36, v32
	;; [unrolled: 1-line block ×34, first 2 shown]
	s_set_gpr_idx_on s0, gpr_idx(DST)
	v_mov_b32_e32 v6, v4
	v_mov_b32_e32 v7, v5
	s_set_gpr_idx_off
	v_mov_b32_e32 v2, v6
	v_mov_b32_e32 v3, v7
	;; [unrolled: 1-line block ×32, first 2 shown]
.LBB11_113:
	global_load_dword v0, v0, s[34:35]
	s_waitcnt vmcnt(0)
	v_readfirstlane_b32 s0, v0
	s_add_i32 s0, s0, -1
	s_cmp_eq_u32 s0, 0
	s_cbranch_scc1 .LBB11_115
; %bb.114:
	s_lshl_b32 s0, s0, 1
	s_set_gpr_idx_on s0, gpr_idx(SRC0)
	v_mov_b32_e32 v0, v3
	v_mov_b32_e32 v1, v2
	s_set_gpr_idx_off
	v_mov_b32_e32 v35, v33
	v_mov_b32_e32 v34, v32
	;; [unrolled: 1-line block ×34, first 2 shown]
	s_set_gpr_idx_on s0, gpr_idx(DST)
	v_mov_b32_e32 v4, v2
	v_mov_b32_e32 v5, v3
	s_set_gpr_idx_off
	v_mov_b32_e32 v2, v4
	v_mov_b32_e32 v3, v5
	;; [unrolled: 1-line block ×32, first 2 shown]
.LBB11_115:
	v_mov_b32_e32 v0, v2
	v_mov_b32_e32 v1, v3
	global_store_dwordx2 v[76:77], v[0:1], off
	v_mov_b32_e32 v0, v4
	v_mov_b32_e32 v1, v5
	global_store_dwordx2 v[78:79], v[0:1], off
	;; [unrolled: 3-line block ×12, first 2 shown]
	s_endpgm
	.section	.rodata,"a",@progbits
	.p2align	6, 0x0
	.amdhsa_kernel _ZN9rocsolver6v33100L18getri_kernel_smallILi12EdPdEEvT1_iilPiilS4_bb
		.amdhsa_group_segment_fixed_size 200
		.amdhsa_private_segment_fixed_size 0
		.amdhsa_kernarg_size 60
		.amdhsa_user_sgpr_count 6
		.amdhsa_user_sgpr_private_segment_buffer 1
		.amdhsa_user_sgpr_dispatch_ptr 0
		.amdhsa_user_sgpr_queue_ptr 0
		.amdhsa_user_sgpr_kernarg_segment_ptr 1
		.amdhsa_user_sgpr_dispatch_id 0
		.amdhsa_user_sgpr_flat_scratch_init 0
		.amdhsa_user_sgpr_private_segment_size 0
		.amdhsa_uses_dynamic_stack 0
		.amdhsa_system_sgpr_private_segment_wavefront_offset 0
		.amdhsa_system_sgpr_workgroup_id_x 1
		.amdhsa_system_sgpr_workgroup_id_y 0
		.amdhsa_system_sgpr_workgroup_id_z 0
		.amdhsa_system_sgpr_workgroup_info 0
		.amdhsa_system_vgpr_workitem_id 0
		.amdhsa_next_free_vgpr 80
		.amdhsa_next_free_sgpr 46
		.amdhsa_reserve_vcc 1
		.amdhsa_reserve_flat_scratch 0
		.amdhsa_float_round_mode_32 0
		.amdhsa_float_round_mode_16_64 0
		.amdhsa_float_denorm_mode_32 3
		.amdhsa_float_denorm_mode_16_64 3
		.amdhsa_dx10_clamp 1
		.amdhsa_ieee_mode 1
		.amdhsa_fp16_overflow 0
		.amdhsa_exception_fp_ieee_invalid_op 0
		.amdhsa_exception_fp_denorm_src 0
		.amdhsa_exception_fp_ieee_div_zero 0
		.amdhsa_exception_fp_ieee_overflow 0
		.amdhsa_exception_fp_ieee_underflow 0
		.amdhsa_exception_fp_ieee_inexact 0
		.amdhsa_exception_int_div_zero 0
	.end_amdhsa_kernel
	.section	.text._ZN9rocsolver6v33100L18getri_kernel_smallILi12EdPdEEvT1_iilPiilS4_bb,"axG",@progbits,_ZN9rocsolver6v33100L18getri_kernel_smallILi12EdPdEEvT1_iilPiilS4_bb,comdat
.Lfunc_end11:
	.size	_ZN9rocsolver6v33100L18getri_kernel_smallILi12EdPdEEvT1_iilPiilS4_bb, .Lfunc_end11-_ZN9rocsolver6v33100L18getri_kernel_smallILi12EdPdEEvT1_iilPiilS4_bb
                                        ; -- End function
	.set _ZN9rocsolver6v33100L18getri_kernel_smallILi12EdPdEEvT1_iilPiilS4_bb.num_vgpr, 80
	.set _ZN9rocsolver6v33100L18getri_kernel_smallILi12EdPdEEvT1_iilPiilS4_bb.num_agpr, 0
	.set _ZN9rocsolver6v33100L18getri_kernel_smallILi12EdPdEEvT1_iilPiilS4_bb.numbered_sgpr, 46
	.set _ZN9rocsolver6v33100L18getri_kernel_smallILi12EdPdEEvT1_iilPiilS4_bb.num_named_barrier, 0
	.set _ZN9rocsolver6v33100L18getri_kernel_smallILi12EdPdEEvT1_iilPiilS4_bb.private_seg_size, 0
	.set _ZN9rocsolver6v33100L18getri_kernel_smallILi12EdPdEEvT1_iilPiilS4_bb.uses_vcc, 1
	.set _ZN9rocsolver6v33100L18getri_kernel_smallILi12EdPdEEvT1_iilPiilS4_bb.uses_flat_scratch, 0
	.set _ZN9rocsolver6v33100L18getri_kernel_smallILi12EdPdEEvT1_iilPiilS4_bb.has_dyn_sized_stack, 0
	.set _ZN9rocsolver6v33100L18getri_kernel_smallILi12EdPdEEvT1_iilPiilS4_bb.has_recursion, 0
	.set _ZN9rocsolver6v33100L18getri_kernel_smallILi12EdPdEEvT1_iilPiilS4_bb.has_indirect_call, 0
	.section	.AMDGPU.csdata,"",@progbits
; Kernel info:
; codeLenInByte = 14624
; TotalNumSgprs: 50
; NumVgprs: 80
; ScratchSize: 0
; MemoryBound: 0
; FloatMode: 240
; IeeeMode: 1
; LDSByteSize: 200 bytes/workgroup (compile time only)
; SGPRBlocks: 6
; VGPRBlocks: 19
; NumSGPRsForWavesPerEU: 50
; NumVGPRsForWavesPerEU: 80
; Occupancy: 3
; WaveLimiterHint : 0
; COMPUTE_PGM_RSRC2:SCRATCH_EN: 0
; COMPUTE_PGM_RSRC2:USER_SGPR: 6
; COMPUTE_PGM_RSRC2:TRAP_HANDLER: 0
; COMPUTE_PGM_RSRC2:TGID_X_EN: 1
; COMPUTE_PGM_RSRC2:TGID_Y_EN: 0
; COMPUTE_PGM_RSRC2:TGID_Z_EN: 0
; COMPUTE_PGM_RSRC2:TIDIG_COMP_CNT: 0
	.section	.text._ZN9rocsolver6v33100L18getri_kernel_smallILi13EdPdEEvT1_iilPiilS4_bb,"axG",@progbits,_ZN9rocsolver6v33100L18getri_kernel_smallILi13EdPdEEvT1_iilPiilS4_bb,comdat
	.globl	_ZN9rocsolver6v33100L18getri_kernel_smallILi13EdPdEEvT1_iilPiilS4_bb ; -- Begin function _ZN9rocsolver6v33100L18getri_kernel_smallILi13EdPdEEvT1_iilPiilS4_bb
	.p2align	8
	.type	_ZN9rocsolver6v33100L18getri_kernel_smallILi13EdPdEEvT1_iilPiilS4_bb,@function
_ZN9rocsolver6v33100L18getri_kernel_smallILi13EdPdEEvT1_iilPiilS4_bb: ; @_ZN9rocsolver6v33100L18getri_kernel_smallILi13EdPdEEvT1_iilPiilS4_bb
; %bb.0:
	v_cmp_gt_u32_e32 vcc, 13, v0
	s_and_saveexec_b64 s[0:1], vcc
	s_cbranch_execz .LBB12_16
; %bb.1:
	s_load_dword s0, s[4:5], 0x38
	s_load_dwordx4 s[8:11], s[4:5], 0x10
	s_load_dwordx4 s[36:39], s[4:5], 0x28
                                        ; implicit-def: $sgpr34_sgpr35
	s_waitcnt lgkmcnt(0)
	s_bitcmp1_b32 s0, 8
	s_cselect_b64 s[40:41], -1, 0
	s_ashr_i32 s7, s6, 31
	s_bfe_u32 s0, s0, 0x10008
	s_cmp_eq_u32 s0, 0
	s_cbranch_scc1 .LBB12_3
; %bb.2:
	s_load_dword s0, s[4:5], 0x20
	s_mul_i32 s1, s36, s7
	s_mul_hi_u32 s2, s36, s6
	s_mul_i32 s3, s37, s6
	s_add_i32 s2, s2, s1
	s_add_i32 s3, s2, s3
	s_mul_i32 s2, s36, s6
	s_waitcnt lgkmcnt(0)
	s_ashr_i32 s1, s0, 31
	s_lshl_b64 s[2:3], s[2:3], 2
	s_add_u32 s2, s10, s2
	s_addc_u32 s3, s11, s3
	s_lshl_b64 s[0:1], s[0:1], 2
	s_add_u32 s34, s2, s0
	s_addc_u32 s35, s3, s1
.LBB12_3:
	s_load_dwordx4 s[0:3], s[4:5], 0x0
	s_load_dword s10, s[4:5], 0x38
	s_mul_i32 s11, s8, s7
	s_mul_hi_u32 s12, s8, s6
	s_mul_i32 s9, s9, s6
	s_waitcnt lgkmcnt(0)
	s_ashr_i32 s5, s2, 31
	s_mov_b32 s4, s2
	s_add_i32 s2, s12, s11
	s_add_i32 s9, s2, s9
	s_mul_i32 s8, s8, s6
	s_lshl_b64 s[8:9], s[8:9], 3
	s_add_u32 s2, s0, s8
	s_addc_u32 s8, s1, s9
	s_lshl_b64 s[0:1], s[4:5], 3
	s_add_u32 s0, s2, s0
	s_addc_u32 s1, s8, s1
	s_add_i32 s2, s3, s3
	v_add_u32_e32 v1, s2, v0
	v_ashrrev_i32_e32 v2, 31, v1
	v_lshlrev_b64 v[2:3], 3, v[1:2]
	v_add_u32_e32 v1, s3, v1
	v_mov_b32_e32 v4, s1
	v_add_co_u32_e32 v60, vcc, s0, v2
	v_ashrrev_i32_e32 v2, 31, v1
	v_addc_co_u32_e32 v61, vcc, v4, v3, vcc
	v_lshlrev_b64 v[2:3], 3, v[1:2]
	v_add_u32_e32 v1, s3, v1
	v_add_co_u32_e32 v62, vcc, s0, v2
	v_ashrrev_i32_e32 v2, 31, v1
	v_addc_co_u32_e32 v63, vcc, v4, v3, vcc
	v_lshlrev_b64 v[2:3], 3, v[1:2]
	v_add_u32_e32 v1, s3, v1
	;; [unrolled: 5-line block ×9, first 2 shown]
	v_add_co_u32_e32 v78, vcc, s0, v2
	v_ashrrev_i32_e32 v2, 31, v1
	v_lshlrev_b64 v[1:2], 3, v[1:2]
	v_addc_co_u32_e32 v79, vcc, v4, v3, vcc
	v_mov_b32_e32 v3, s1
	v_add_co_u32_e32 v80, vcc, s0, v1
	v_addc_co_u32_e32 v81, vcc, v3, v2, vcc
	v_lshlrev_b32_e32 v30, 3, v0
	v_mov_b32_e32 v1, s1
	v_add_co_u32_e32 v82, vcc, s0, v30
	s_ashr_i32 s5, s3, 31
	s_mov_b32 s4, s3
	v_addc_co_u32_e32 v83, vcc, 0, v1, vcc
	s_lshl_b64 s[2:3], s[4:5], 3
	v_mov_b32_e32 v1, s3
	v_add_co_u32_e32 v84, vcc, s2, v82
	v_addc_co_u32_e32 v85, vcc, v83, v1, vcc
	global_load_dwordx2 v[2:3], v30, s[0:1]
	global_load_dwordx2 v[4:5], v[84:85], off
	global_load_dwordx2 v[6:7], v[60:61], off
	;; [unrolled: 1-line block ×12, first 2 shown]
	v_mov_b32_e32 v1, 0
	s_bitcmp0_b32 s10, 0
	s_mov_b64 s[0:1], -1
	s_cbranch_scc1 .LBB12_14
; %bb.4:
	v_cmp_eq_u32_e64 s[0:1], 0, v0
	s_and_saveexec_b64 s[2:3], s[0:1]
; %bb.5:
	v_mov_b32_e32 v28, 0
	ds_write_b32 v28, v28 offset:104
; %bb.6:
	s_or_b64 exec, exec, s[2:3]
	v_cmp_eq_u32_e32 vcc, 1, v0
	s_waitcnt vmcnt(11)
	v_cndmask_b32_e32 v28, v3, v5, vcc
	v_cmp_eq_u32_e64 s[2:3], 2, v0
	s_waitcnt vmcnt(10)
	v_cndmask_b32_e64 v28, v28, v7, s[2:3]
	v_cmp_eq_u32_e64 s[4:5], 3, v0
	s_waitcnt vmcnt(9)
	v_cndmask_b32_e64 v28, v28, v9, s[4:5]
	;; [unrolled: 3-line block ×11, first 2 shown]
	v_cndmask_b32_e32 v28, v2, v4, vcc
	v_cndmask_b32_e64 v28, v28, v6, s[2:3]
	v_cndmask_b32_e64 v28, v28, v8, s[4:5]
	;; [unrolled: 1-line block ×11, first 2 shown]
	v_cmp_eq_f64_e32 vcc, 0, v[28:29]
	s_waitcnt lgkmcnt(0)
	; wave barrier
	s_and_saveexec_b64 s[4:5], vcc
	s_cbranch_execz .LBB12_10
; %bb.7:
	v_mov_b32_e32 v31, 0
	ds_read_b32 v33, v31 offset:104
	v_add_u32_e32 v32, 1, v0
	s_waitcnt lgkmcnt(0)
	v_readfirstlane_b32 s2, v33
	s_cmp_eq_u32 s2, 0
	s_cselect_b64 s[8:9], -1, 0
	v_cmp_gt_i32_e32 vcc, s2, v32
	s_or_b64 s[8:9], s[8:9], vcc
	s_and_b64 exec, exec, s[8:9]
	s_cbranch_execz .LBB12_10
; %bb.8:
	s_mov_b64 s[8:9], 0
	v_mov_b32_e32 v33, s2
.LBB12_9:                               ; =>This Inner Loop Header: Depth=1
	ds_cmpst_rtn_b32 v33, v31, v33, v32 offset:104
	s_waitcnt lgkmcnt(0)
	v_cmp_ne_u32_e32 vcc, 0, v33
	v_cmp_le_i32_e64 s[2:3], v33, v32
	s_and_b64 s[2:3], vcc, s[2:3]
	s_and_b64 s[2:3], exec, s[2:3]
	s_or_b64 s[8:9], s[2:3], s[8:9]
	s_andn2_b64 exec, exec, s[8:9]
	s_cbranch_execnz .LBB12_9
.LBB12_10:
	s_or_b64 exec, exec, s[4:5]
	v_mov_b32_e32 v32, 0
	; wave barrier
	ds_read_b32 v31, v32 offset:104
	s_and_saveexec_b64 s[2:3], s[0:1]
	s_cbranch_execz .LBB12_12
; %bb.11:
	s_lshl_b64 s[4:5], s[6:7], 2
	s_add_u32 s4, s38, s4
	s_addc_u32 s5, s39, s5
	s_waitcnt lgkmcnt(0)
	global_store_dword v32, v31, s[4:5]
.LBB12_12:
	s_or_b64 exec, exec, s[2:3]
	s_waitcnt lgkmcnt(0)
	v_cmp_ne_u32_e32 vcc, 0, v31
	s_cbranch_vccz .LBB12_17
; %bb.13:
	s_mov_b64 s[0:1], 0
                                        ; implicit-def: $vgpr2_vgpr3_vgpr4_vgpr5_vgpr6_vgpr7_vgpr8_vgpr9_vgpr10_vgpr11_vgpr12_vgpr13_vgpr14_vgpr15_vgpr16_vgpr17_vgpr18_vgpr19_vgpr20_vgpr21_vgpr22_vgpr23_vgpr24_vgpr25_vgpr26_vgpr27_vgpr28_vgpr29_vgpr30_vgpr31_vgpr32_vgpr33
.LBB12_14:
	s_and_b64 vcc, exec, s[0:1]
	s_cbranch_vccz .LBB12_16
.LBB12_15:
	s_lshl_b64 s[0:1], s[6:7], 2
	s_add_u32 s0, s38, s0
	s_addc_u32 s1, s39, s1
	v_mov_b32_e32 v1, 0
	global_load_dword v1, v1, s[0:1]
	s_waitcnt vmcnt(0)
	v_cmp_ne_u32_e32 vcc, 0, v1
	s_cbranch_vccz .LBB12_74
.LBB12_16:
	s_endpgm
.LBB12_17:
	v_div_scale_f64 v[31:32], s[2:3], v[28:29], v[28:29], 1.0
	v_rcp_f64_e32 v[33:34], v[31:32]
	v_fma_f64 v[35:36], -v[31:32], v[33:34], 1.0
	v_fma_f64 v[33:34], v[33:34], v[35:36], v[33:34]
	v_div_scale_f64 v[35:36], vcc, 1.0, v[28:29], 1.0
	v_fma_f64 v[37:38], -v[31:32], v[33:34], 1.0
	v_fma_f64 v[33:34], v[33:34], v[37:38], v[33:34]
	v_mul_f64 v[37:38], v[35:36], v[33:34]
	v_fma_f64 v[31:32], -v[31:32], v[37:38], v[35:36]
	v_div_fmas_f64 v[31:32], v[31:32], v[33:34], v[37:38]
	v_cmp_eq_u32_e32 vcc, 12, v0
	v_div_fixup_f64 v[28:29], v[31:32], v[28:29], 1.0
	v_add_u32_e32 v32, 0x70, v30
	v_cndmask_b32_e32 v27, v27, v29, vcc
	v_cndmask_b32_e32 v26, v26, v28, vcc
	v_cmp_eq_u32_e32 vcc, 11, v0
	v_cndmask_b32_e32 v25, v25, v29, vcc
	v_cndmask_b32_e32 v24, v24, v28, vcc
	v_cmp_eq_u32_e32 vcc, 10, v0
	;; [unrolled: 3-line block ×12, first 2 shown]
	v_cndmask_b32_e32 v3, v3, v29, vcc
	v_cndmask_b32_e32 v2, v2, v28, vcc
	v_xor_b32_e32 v34, 0x80000000, v29
	v_mov_b32_e32 v33, v28
	ds_write2_b64 v30, v[33:34], v[4:5] offset1:14
	s_waitcnt lgkmcnt(0)
	; wave barrier
	s_and_saveexec_b64 s[2:3], s[0:1]
	s_cbranch_execz .LBB12_19
; %bb.18:
	ds_read_b64 v[4:5], v32
	v_mov_b32_e32 v30, 0
	ds_read_b64 v[30:31], v30 offset:8
	s_waitcnt lgkmcnt(1)
	v_fma_f64 v[4:5], v[28:29], v[4:5], 0
	s_waitcnt lgkmcnt(0)
	v_mul_f64 v[4:5], v[4:5], v[30:31]
.LBB12_19:
	s_or_b64 exec, exec, s[2:3]
	v_cmp_gt_u32_e32 vcc, 2, v0
	; wave barrier
	ds_write_b64 v32, v[6:7]
	s_waitcnt lgkmcnt(0)
	; wave barrier
	s_and_saveexec_b64 s[28:29], vcc
	s_cbranch_execz .LBB12_21
; %bb.20:
	v_cmp_eq_u32_e64 s[2:3], 1, v0
	v_cndmask_b32_e64 v28, v3, v5, s[2:3]
	v_cmp_eq_u32_e64 s[4:5], 2, v0
	v_cndmask_b32_e64 v7, v28, v7, s[4:5]
	v_cndmask_b32_e64 v28, v2, v4, s[2:3]
	v_cmp_eq_u32_e64 s[8:9], 3, v0
	v_cndmask_b32_e64 v6, v28, v6, s[4:5]
	;; [unrolled: 3-line block ×8, first 2 shown]
	ds_read_b64 v[28:29], v32
	v_cndmask_b32_e64 v7, v7, v21, s[20:21]
	v_cmp_eq_u32_e64 s[22:23], 10, v0
	v_cndmask_b32_e64 v6, v6, v20, s[20:21]
	v_cndmask_b32_e64 v7, v7, v23, s[22:23]
	v_cmp_eq_u32_e64 s[24:25], 11, v0
	v_cndmask_b32_e64 v6, v6, v22, s[22:23]
	;; [unrolled: 3-line block ×3, first 2 shown]
	v_cndmask_b32_e64 v7, v7, v27, s[26:27]
	v_cndmask_b32_e64 v6, v6, v26, s[26:27]
	s_waitcnt lgkmcnt(0)
	v_fma_f64 v[6:7], v[6:7], v[28:29], 0
	v_mov_b32_e32 v28, 0
	ds_read2_b64 v[28:31], v28 offset0:2 offset1:15
	s_waitcnt lgkmcnt(0)
	v_fma_f64 v[30:31], v[4:5], v[30:31], v[6:7]
	v_cndmask_b32_e64 v7, v7, v31, s[0:1]
	v_cndmask_b32_e64 v6, v6, v30, s[0:1]
	v_mul_f64 v[6:7], v[6:7], v[28:29]
.LBB12_21:
	s_or_b64 exec, exec, s[28:29]
	v_cmp_gt_u32_e64 s[2:3], 3, v0
	; wave barrier
	ds_write_b64 v32, v[8:9]
	s_waitcnt lgkmcnt(0)
	; wave barrier
	s_and_saveexec_b64 s[8:9], s[2:3]
	s_cbranch_execz .LBB12_25
; %bb.22:
	v_mov_b32_e32 v28, 0x70
	v_lshl_add_u32 v33, v0, 3, v28
	v_mov_b32_e32 v28, 0
	v_mov_b32_e32 v31, v1
	;; [unrolled: 1-line block ×3, first 2 shown]
	s_mov_b64 s[10:11], 0
	v_mov_b32_e32 v30, v0
.LBB12_23:                              ; =>This Inner Loop Header: Depth=1
	v_cmp_eq_u32_e64 s[2:3], 1, v30
	v_cndmask_b32_e64 v36, v3, v5, s[2:3]
	v_cmp_eq_u32_e64 s[4:5], 2, v30
	v_cndmask_b32_e64 v36, v36, v7, s[4:5]
	v_cndmask_b32_e64 v37, v2, v4, s[2:3]
	v_cmp_eq_u32_e64 s[2:3], 3, v30
	v_cndmask_b32_e64 v36, v36, v9, s[2:3]
	v_cndmask_b32_e64 v37, v37, v6, s[4:5]
	v_cmp_eq_u32_e64 s[4:5], 4, v30
	v_cndmask_b32_e64 v36, v36, v11, s[4:5]
	v_cndmask_b32_e64 v37, v37, v8, s[2:3]
	v_cmp_eq_u32_e64 s[2:3], 5, v30
	v_cndmask_b32_e64 v36, v36, v13, s[2:3]
	v_cndmask_b32_e64 v37, v37, v10, s[4:5]
	v_cmp_eq_u32_e64 s[4:5], 6, v30
	v_cndmask_b32_e64 v36, v36, v15, s[4:5]
	v_cndmask_b32_e64 v37, v37, v12, s[2:3]
	v_cmp_eq_u32_e64 s[2:3], 7, v30
	v_cndmask_b32_e64 v36, v36, v17, s[2:3]
	v_cndmask_b32_e64 v37, v37, v14, s[4:5]
	v_cmp_eq_u32_e64 s[4:5], 8, v30
	v_cndmask_b32_e64 v36, v36, v19, s[4:5]
	v_cndmask_b32_e64 v37, v37, v16, s[2:3]
	v_cmp_eq_u32_e64 s[2:3], 9, v30
	ds_read_b64 v[34:35], v33
	v_cndmask_b32_e64 v36, v36, v21, s[2:3]
	v_cndmask_b32_e64 v37, v37, v18, s[4:5]
	v_cmp_eq_u32_e64 s[4:5], 10, v30
	v_cndmask_b32_e64 v36, v36, v23, s[4:5]
	v_cndmask_b32_e64 v37, v37, v20, s[2:3]
	v_cmp_eq_u32_e64 s[2:3], 11, v30
	;; [unrolled: 3-line block ×3, first 2 shown]
	v_cndmask_b32_e64 v37, v36, v27, s[4:5]
	v_cndmask_b32_e64 v36, v38, v24, s[2:3]
	;; [unrolled: 1-line block ×3, first 2 shown]
	s_waitcnt lgkmcnt(0)
	v_fma_f64 v[28:29], v[36:37], v[34:35], v[28:29]
	v_add_co_u32_e64 v30, s[2:3], 1, v30
	v_addc_co_u32_e64 v31, s[2:3], 0, v31, s[2:3]
	v_add_u32_e32 v34, -1, v30
	v_cmp_lt_u32_e64 s[2:3], 1, v34
	s_or_b64 s[10:11], s[2:3], s[10:11]
	v_add_u32_e32 v33, 8, v33
	s_andn2_b64 exec, exec, s[10:11]
	s_cbranch_execnz .LBB12_23
; %bb.24:
	s_or_b64 exec, exec, s[10:11]
	v_mov_b32_e32 v8, 0
	ds_read_b64 v[8:9], v8 offset:24
	s_waitcnt lgkmcnt(0)
	v_mul_f64 v[8:9], v[28:29], v[8:9]
.LBB12_25:
	s_or_b64 exec, exec, s[8:9]
	v_cmp_gt_u32_e64 s[2:3], 4, v0
	; wave barrier
	ds_write_b64 v32, v[10:11]
	s_waitcnt lgkmcnt(0)
	; wave barrier
	s_and_saveexec_b64 s[10:11], s[2:3]
	s_cbranch_execz .LBB12_29
; %bb.26:
	v_mov_b32_e32 v28, 0x70
	v_lshl_add_u32 v33, v0, 3, v28
	v_mov_b32_e32 v28, 0
	v_mov_b32_e32 v31, v1
	;; [unrolled: 1-line block ×3, first 2 shown]
	s_mov_b64 s[12:13], 0
	v_mov_b32_e32 v30, v0
.LBB12_27:                              ; =>This Inner Loop Header: Depth=1
	v_cmp_eq_u32_e64 s[4:5], 1, v30
	v_cndmask_b32_e64 v36, v3, v5, s[4:5]
	v_cmp_eq_u32_e64 s[8:9], 2, v30
	v_cndmask_b32_e64 v36, v36, v7, s[8:9]
	v_cndmask_b32_e64 v37, v2, v4, s[4:5]
	v_cmp_eq_u32_e64 s[4:5], 3, v30
	v_cndmask_b32_e64 v36, v36, v9, s[4:5]
	;; [unrolled: 3-line block ×7, first 2 shown]
	v_cndmask_b32_e64 v37, v37, v16, s[4:5]
	v_cmp_eq_u32_e64 s[4:5], 9, v30
	ds_read_b64 v[34:35], v33
	v_cndmask_b32_e64 v36, v36, v21, s[4:5]
	v_cndmask_b32_e64 v37, v37, v18, s[8:9]
	v_cmp_eq_u32_e64 s[8:9], 10, v30
	v_cndmask_b32_e64 v36, v36, v23, s[8:9]
	v_cndmask_b32_e64 v37, v37, v20, s[4:5]
	v_cmp_eq_u32_e64 s[4:5], 11, v30
	;; [unrolled: 3-line block ×3, first 2 shown]
	v_cndmask_b32_e64 v37, v36, v27, s[8:9]
	v_cndmask_b32_e64 v36, v38, v24, s[4:5]
	;; [unrolled: 1-line block ×3, first 2 shown]
	s_waitcnt lgkmcnt(0)
	v_fma_f64 v[28:29], v[36:37], v[34:35], v[28:29]
	v_add_co_u32_e64 v30, s[4:5], 1, v30
	v_addc_co_u32_e64 v31, s[4:5], 0, v31, s[4:5]
	v_add_u32_e32 v34, -1, v30
	v_cmp_lt_u32_e64 s[4:5], 2, v34
	s_or_b64 s[12:13], s[4:5], s[12:13]
	v_add_u32_e32 v33, 8, v33
	s_andn2_b64 exec, exec, s[12:13]
	s_cbranch_execnz .LBB12_27
; %bb.28:
	s_or_b64 exec, exec, s[12:13]
	v_mov_b32_e32 v10, 0
	ds_read_b64 v[10:11], v10 offset:32
	s_waitcnt lgkmcnt(0)
	v_mul_f64 v[10:11], v[28:29], v[10:11]
.LBB12_29:
	s_or_b64 exec, exec, s[10:11]
	v_cmp_gt_u32_e64 s[4:5], 5, v0
	; wave barrier
	ds_write_b64 v32, v[12:13]
	s_waitcnt lgkmcnt(0)
	; wave barrier
	s_and_saveexec_b64 s[10:11], s[4:5]
	s_cbranch_execz .LBB12_33
; %bb.30:
	v_mov_b32_e32 v28, 0x70
	v_lshl_add_u32 v33, v0, 3, v28
	v_mov_b32_e32 v28, 0
	v_mov_b32_e32 v31, v1
	;; [unrolled: 1-line block ×3, first 2 shown]
	s_mov_b64 s[12:13], 0
	v_mov_b32_e32 v30, v0
.LBB12_31:                              ; =>This Inner Loop Header: Depth=1
	v_cmp_eq_u32_e64 s[4:5], 1, v30
	v_cndmask_b32_e64 v36, v3, v5, s[4:5]
	v_cmp_eq_u32_e64 s[8:9], 2, v30
	v_cndmask_b32_e64 v36, v36, v7, s[8:9]
	v_cndmask_b32_e64 v37, v2, v4, s[4:5]
	v_cmp_eq_u32_e64 s[4:5], 3, v30
	v_cndmask_b32_e64 v36, v36, v9, s[4:5]
	;; [unrolled: 3-line block ×7, first 2 shown]
	v_cndmask_b32_e64 v37, v37, v16, s[4:5]
	v_cmp_eq_u32_e64 s[4:5], 9, v30
	ds_read_b64 v[34:35], v33
	v_cndmask_b32_e64 v36, v36, v21, s[4:5]
	v_cndmask_b32_e64 v37, v37, v18, s[8:9]
	v_cmp_eq_u32_e64 s[8:9], 10, v30
	v_cndmask_b32_e64 v36, v36, v23, s[8:9]
	v_cndmask_b32_e64 v37, v37, v20, s[4:5]
	v_cmp_eq_u32_e64 s[4:5], 11, v30
	;; [unrolled: 3-line block ×3, first 2 shown]
	v_cndmask_b32_e64 v37, v36, v27, s[8:9]
	v_cndmask_b32_e64 v36, v38, v24, s[4:5]
	;; [unrolled: 1-line block ×3, first 2 shown]
	s_waitcnt lgkmcnt(0)
	v_fma_f64 v[28:29], v[36:37], v[34:35], v[28:29]
	v_add_co_u32_e64 v30, s[4:5], 1, v30
	v_addc_co_u32_e64 v31, s[4:5], 0, v31, s[4:5]
	v_add_u32_e32 v34, -1, v30
	v_cmp_lt_u32_e64 s[4:5], 3, v34
	s_or_b64 s[12:13], s[4:5], s[12:13]
	v_add_u32_e32 v33, 8, v33
	s_andn2_b64 exec, exec, s[12:13]
	s_cbranch_execnz .LBB12_31
; %bb.32:
	s_or_b64 exec, exec, s[12:13]
	v_mov_b32_e32 v12, 0
	ds_read_b64 v[12:13], v12 offset:40
	s_waitcnt lgkmcnt(0)
	v_mul_f64 v[12:13], v[28:29], v[12:13]
.LBB12_33:
	s_or_b64 exec, exec, s[10:11]
	v_cmp_gt_u32_e64 s[4:5], 6, v0
	; wave barrier
	ds_write_b64 v32, v[14:15]
	s_waitcnt lgkmcnt(0)
	; wave barrier
	s_and_saveexec_b64 s[12:13], s[4:5]
	s_cbranch_execz .LBB12_37
; %bb.34:
	v_mov_b32_e32 v28, 0x70
	v_lshl_add_u32 v33, v0, 3, v28
	v_mov_b32_e32 v28, 0
	v_mov_b32_e32 v31, v1
	;; [unrolled: 1-line block ×3, first 2 shown]
	s_mov_b64 s[14:15], 0
	v_mov_b32_e32 v30, v0
.LBB12_35:                              ; =>This Inner Loop Header: Depth=1
	v_cmp_eq_u32_e64 s[8:9], 1, v30
	v_cndmask_b32_e64 v36, v3, v5, s[8:9]
	v_cmp_eq_u32_e64 s[10:11], 2, v30
	v_cndmask_b32_e64 v36, v36, v7, s[10:11]
	v_cndmask_b32_e64 v37, v2, v4, s[8:9]
	v_cmp_eq_u32_e64 s[8:9], 3, v30
	v_cndmask_b32_e64 v36, v36, v9, s[8:9]
	;; [unrolled: 3-line block ×7, first 2 shown]
	v_cndmask_b32_e64 v37, v37, v16, s[8:9]
	v_cmp_eq_u32_e64 s[8:9], 9, v30
	ds_read_b64 v[34:35], v33
	v_cndmask_b32_e64 v36, v36, v21, s[8:9]
	v_cndmask_b32_e64 v37, v37, v18, s[10:11]
	v_cmp_eq_u32_e64 s[10:11], 10, v30
	v_cndmask_b32_e64 v36, v36, v23, s[10:11]
	v_cndmask_b32_e64 v37, v37, v20, s[8:9]
	v_cmp_eq_u32_e64 s[8:9], 11, v30
	;; [unrolled: 3-line block ×3, first 2 shown]
	v_cndmask_b32_e64 v37, v36, v27, s[10:11]
	v_cndmask_b32_e64 v36, v38, v24, s[8:9]
	;; [unrolled: 1-line block ×3, first 2 shown]
	s_waitcnt lgkmcnt(0)
	v_fma_f64 v[28:29], v[36:37], v[34:35], v[28:29]
	v_add_co_u32_e64 v30, s[8:9], 1, v30
	v_addc_co_u32_e64 v31, s[8:9], 0, v31, s[8:9]
	v_add_u32_e32 v34, -1, v30
	v_cmp_lt_u32_e64 s[8:9], 4, v34
	s_or_b64 s[14:15], s[8:9], s[14:15]
	v_add_u32_e32 v33, 8, v33
	s_andn2_b64 exec, exec, s[14:15]
	s_cbranch_execnz .LBB12_35
; %bb.36:
	s_or_b64 exec, exec, s[14:15]
	v_mov_b32_e32 v14, 0
	ds_read_b64 v[14:15], v14 offset:48
	s_waitcnt lgkmcnt(0)
	v_mul_f64 v[14:15], v[28:29], v[14:15]
.LBB12_37:
	s_or_b64 exec, exec, s[12:13]
	v_cmp_gt_u32_e64 s[8:9], 7, v0
	; wave barrier
	ds_write_b64 v32, v[16:17]
	s_waitcnt lgkmcnt(0)
	; wave barrier
	s_and_saveexec_b64 s[12:13], s[8:9]
	s_cbranch_execz .LBB12_41
; %bb.38:
	v_mov_b32_e32 v28, 0x70
	v_lshl_add_u32 v33, v0, 3, v28
	v_mov_b32_e32 v28, 0
	v_mov_b32_e32 v31, v1
	;; [unrolled: 1-line block ×3, first 2 shown]
	s_mov_b64 s[14:15], 0
	v_mov_b32_e32 v30, v0
.LBB12_39:                              ; =>This Inner Loop Header: Depth=1
	v_cmp_eq_u32_e64 s[8:9], 1, v30
	v_cndmask_b32_e64 v36, v3, v5, s[8:9]
	v_cmp_eq_u32_e64 s[10:11], 2, v30
	v_cndmask_b32_e64 v36, v36, v7, s[10:11]
	v_cndmask_b32_e64 v37, v2, v4, s[8:9]
	v_cmp_eq_u32_e64 s[8:9], 3, v30
	v_cndmask_b32_e64 v36, v36, v9, s[8:9]
	;; [unrolled: 3-line block ×7, first 2 shown]
	v_cndmask_b32_e64 v37, v37, v16, s[8:9]
	v_cmp_eq_u32_e64 s[8:9], 9, v30
	ds_read_b64 v[34:35], v33
	v_cndmask_b32_e64 v36, v36, v21, s[8:9]
	v_cndmask_b32_e64 v37, v37, v18, s[10:11]
	v_cmp_eq_u32_e64 s[10:11], 10, v30
	v_cndmask_b32_e64 v36, v36, v23, s[10:11]
	v_cndmask_b32_e64 v37, v37, v20, s[8:9]
	v_cmp_eq_u32_e64 s[8:9], 11, v30
	;; [unrolled: 3-line block ×3, first 2 shown]
	v_cndmask_b32_e64 v37, v36, v27, s[10:11]
	v_cndmask_b32_e64 v36, v38, v24, s[8:9]
	;; [unrolled: 1-line block ×3, first 2 shown]
	s_waitcnt lgkmcnt(0)
	v_fma_f64 v[28:29], v[36:37], v[34:35], v[28:29]
	v_add_co_u32_e64 v30, s[8:9], 1, v30
	v_addc_co_u32_e64 v31, s[8:9], 0, v31, s[8:9]
	v_add_u32_e32 v34, -1, v30
	v_cmp_lt_u32_e64 s[8:9], 5, v34
	s_or_b64 s[14:15], s[8:9], s[14:15]
	v_add_u32_e32 v33, 8, v33
	s_andn2_b64 exec, exec, s[14:15]
	s_cbranch_execnz .LBB12_39
; %bb.40:
	s_or_b64 exec, exec, s[14:15]
	v_mov_b32_e32 v16, 0
	ds_read_b64 v[16:17], v16 offset:56
	s_waitcnt lgkmcnt(0)
	v_mul_f64 v[16:17], v[28:29], v[16:17]
.LBB12_41:
	s_or_b64 exec, exec, s[12:13]
	v_cmp_gt_u32_e64 s[8:9], 8, v0
	; wave barrier
	ds_write_b64 v32, v[18:19]
	s_waitcnt lgkmcnt(0)
	; wave barrier
	s_and_saveexec_b64 s[36:37], s[8:9]
	s_cbranch_execz .LBB12_57
; %bb.42:
	v_cmp_eq_u32_e64 s[8:9], 1, v0
	v_cndmask_b32_e64 v28, v3, v5, s[8:9]
	v_cmp_eq_u32_e64 s[10:11], 2, v0
	v_cndmask_b32_e64 v28, v28, v7, s[10:11]
	;; [unrolled: 2-line block ×12, first 2 shown]
	v_cndmask_b32_e64 v28, v2, v4, s[8:9]
	v_cndmask_b32_e64 v28, v28, v6, s[10:11]
	;; [unrolled: 1-line block ×8, first 2 shown]
	ds_read_b64 v[30:31], v32
	v_cndmask_b32_e64 v28, v28, v20, s[24:25]
	v_cndmask_b32_e64 v28, v28, v22, s[26:27]
	v_cndmask_b32_e64 v28, v28, v24, s[28:29]
	v_cndmask_b32_e64 v28, v28, v26, s[30:31]
	s_waitcnt lgkmcnt(0)
	v_fma_f64 v[28:29], v[28:29], v[30:31], 0
	v_cmp_ne_u32_e64 s[8:9], 7, v0
	s_and_saveexec_b64 s[42:43], s[8:9]
	s_cbranch_execz .LBB12_56
; %bb.43:
	v_add_u32_e32 v30, 1, v0
	v_cmp_eq_u32_e64 s[8:9], 1, v30
	v_cndmask_b32_e64 v31, v3, v5, s[8:9]
	v_cmp_eq_u32_e64 s[10:11], 2, v30
	v_cmp_eq_u32_e64 s[12:13], 3, v30
	;; [unrolled: 1-line block ×11, first 2 shown]
	v_cndmask_b32_e64 v30, v2, v4, s[8:9]
	v_cndmask_b32_e64 v31, v31, v7, s[10:11]
	;; [unrolled: 1-line block ×15, first 2 shown]
	ds_read_b64 v[33:34], v32 offset:8
	v_cndmask_b32_e64 v31, v31, v21, s[24:25]
	v_cndmask_b32_e64 v30, v30, v20, s[24:25]
	;; [unrolled: 1-line block ×8, first 2 shown]
	s_waitcnt lgkmcnt(0)
	v_fma_f64 v[28:29], v[30:31], v[33:34], v[28:29]
	s_and_saveexec_b64 s[30:31], s[4:5]
	s_cbranch_execz .LBB12_55
; %bb.44:
	v_add_u32_e32 v30, 2, v0
	v_cmp_eq_u32_e64 s[4:5], 1, v30
	v_cndmask_b32_e64 v31, v3, v5, s[4:5]
	v_cmp_eq_u32_e64 s[8:9], 2, v30
	v_cmp_eq_u32_e64 s[10:11], 3, v30
	;; [unrolled: 1-line block ×11, first 2 shown]
	v_cndmask_b32_e64 v30, v2, v4, s[4:5]
	v_cndmask_b32_e64 v31, v31, v7, s[8:9]
	;; [unrolled: 1-line block ×15, first 2 shown]
	ds_read_b64 v[33:34], v32 offset:16
	v_cndmask_b32_e64 v31, v31, v21, s[22:23]
	v_cndmask_b32_e64 v30, v30, v20, s[22:23]
	;; [unrolled: 1-line block ×8, first 2 shown]
	s_waitcnt lgkmcnt(0)
	v_fma_f64 v[28:29], v[30:31], v[33:34], v[28:29]
	v_cmp_ne_u32_e64 s[4:5], 5, v0
	s_and_saveexec_b64 s[44:45], s[4:5]
	s_cbranch_execz .LBB12_54
; %bb.45:
	v_add_u32_e32 v30, 3, v0
	v_cmp_eq_u32_e64 s[4:5], 1, v30
	v_cndmask_b32_e64 v31, v3, v5, s[4:5]
	v_cmp_eq_u32_e64 s[8:9], 2, v30
	v_cmp_eq_u32_e64 s[10:11], 3, v30
	;; [unrolled: 1-line block ×11, first 2 shown]
	v_cndmask_b32_e64 v30, v2, v4, s[4:5]
	v_cndmask_b32_e64 v31, v31, v7, s[8:9]
	v_cndmask_b32_e64 v30, v30, v6, s[8:9]
	v_cndmask_b32_e64 v31, v31, v9, s[10:11]
	v_cndmask_b32_e64 v30, v30, v8, s[10:11]
	v_cndmask_b32_e64 v31, v31, v11, s[12:13]
	v_cndmask_b32_e64 v30, v30, v10, s[12:13]
	v_cndmask_b32_e64 v31, v31, v13, s[14:15]
	v_cndmask_b32_e64 v30, v30, v12, s[14:15]
	v_cndmask_b32_e64 v31, v31, v15, s[16:17]
	v_cndmask_b32_e64 v30, v30, v14, s[16:17]
	v_cndmask_b32_e64 v31, v31, v17, s[18:19]
	v_cndmask_b32_e64 v30, v30, v16, s[18:19]
	v_cndmask_b32_e64 v31, v31, v19, s[20:21]
	v_cndmask_b32_e64 v30, v30, v18, s[20:21]
	ds_read_b64 v[33:34], v32 offset:24
	v_cndmask_b32_e64 v31, v31, v21, s[22:23]
	v_cndmask_b32_e64 v30, v30, v20, s[22:23]
	;; [unrolled: 1-line block ×8, first 2 shown]
	s_waitcnt lgkmcnt(0)
	v_fma_f64 v[28:29], v[30:31], v[33:34], v[28:29]
	s_and_saveexec_b64 s[28:29], s[2:3]
	s_cbranch_execz .LBB12_53
; %bb.46:
	v_or_b32_e32 v30, 4, v0
	v_cmp_eq_u32_e64 s[2:3], 1, v30
	v_cndmask_b32_e64 v31, v3, v5, s[2:3]
	v_cmp_eq_u32_e64 s[4:5], 2, v30
	v_cmp_eq_u32_e64 s[8:9], 3, v30
	v_cmp_eq_u32_e64 s[10:11], 4, v30
	v_cmp_eq_u32_e64 s[12:13], 5, v30
	v_cmp_eq_u32_e64 s[14:15], 6, v30
	v_cmp_eq_u32_e64 s[16:17], 7, v30
	v_cmp_eq_u32_e64 s[18:19], 8, v30
	v_cmp_eq_u32_e64 s[20:21], 9, v30
	v_cmp_eq_u32_e64 s[22:23], 10, v30
	v_cmp_eq_u32_e64 s[24:25], 11, v30
	v_cmp_eq_u32_e64 s[26:27], 12, v30
	v_cndmask_b32_e64 v30, v2, v4, s[2:3]
	v_cndmask_b32_e64 v31, v31, v7, s[4:5]
	;; [unrolled: 1-line block ×15, first 2 shown]
	ds_read_b64 v[33:34], v32 offset:32
	v_cndmask_b32_e64 v31, v31, v21, s[20:21]
	v_cndmask_b32_e64 v30, v30, v20, s[20:21]
	;; [unrolled: 1-line block ×8, first 2 shown]
	s_waitcnt lgkmcnt(0)
	v_fma_f64 v[28:29], v[30:31], v[33:34], v[28:29]
	v_cmp_ne_u32_e64 s[2:3], 3, v0
	s_and_saveexec_b64 s[46:47], s[2:3]
	s_cbranch_execz .LBB12_52
; %bb.47:
	v_add_u32_e32 v30, 5, v0
	v_cmp_eq_u32_e64 s[2:3], 1, v30
	v_cndmask_b32_e64 v31, v3, v5, s[2:3]
	v_cmp_eq_u32_e64 s[4:5], 2, v30
	v_cmp_eq_u32_e64 s[8:9], 3, v30
	;; [unrolled: 1-line block ×11, first 2 shown]
	v_cndmask_b32_e64 v30, v2, v4, s[2:3]
	v_cndmask_b32_e64 v31, v31, v7, s[4:5]
	;; [unrolled: 1-line block ×15, first 2 shown]
	ds_read_b64 v[33:34], v32 offset:40
	v_cndmask_b32_e64 v31, v31, v21, s[20:21]
	v_cndmask_b32_e64 v30, v30, v20, s[20:21]
	v_cndmask_b32_e64 v31, v31, v23, s[22:23]
	v_cndmask_b32_e64 v30, v30, v22, s[22:23]
	v_cndmask_b32_e64 v31, v31, v25, s[24:25]
	v_cndmask_b32_e64 v30, v30, v24, s[24:25]
	v_cndmask_b32_e64 v31, v31, v27, s[26:27]
	v_cndmask_b32_e64 v30, v30, v26, s[26:27]
	s_waitcnt lgkmcnt(0)
	v_fma_f64 v[28:29], v[30:31], v[33:34], v[28:29]
	s_and_saveexec_b64 s[26:27], vcc
	s_cbranch_execz .LBB12_51
; %bb.48:
	v_or_b32_e32 v30, 6, v0
	v_cmp_eq_u32_e32 vcc, 1, v30
	v_cndmask_b32_e32 v31, v3, v5, vcc
	v_cmp_eq_u32_e64 s[2:3], 2, v30
	v_cmp_eq_u32_e64 s[4:5], 3, v30
	v_cmp_eq_u32_e64 s[8:9], 4, v30
	v_cmp_eq_u32_e64 s[10:11], 5, v30
	v_cmp_eq_u32_e64 s[12:13], 6, v30
	v_cmp_eq_u32_e64 s[14:15], 7, v30
	v_cmp_eq_u32_e64 s[16:17], 8, v30
	v_cmp_eq_u32_e64 s[18:19], 9, v30
	v_cmp_eq_u32_e64 s[20:21], 10, v30
	v_cmp_eq_u32_e64 s[22:23], 11, v30
	v_cmp_eq_u32_e64 s[24:25], 12, v30
	v_cndmask_b32_e32 v30, v2, v4, vcc
	v_cndmask_b32_e64 v31, v31, v7, s[2:3]
	v_cndmask_b32_e64 v30, v30, v6, s[2:3]
	;; [unrolled: 1-line block ×14, first 2 shown]
	ds_read_b64 v[30:31], v32 offset:48
	v_cndmask_b32_e64 v19, v19, v21, s[18:19]
	v_cndmask_b32_e64 v18, v18, v20, s[18:19]
	;; [unrolled: 1-line block ×8, first 2 shown]
	s_waitcnt lgkmcnt(0)
	v_fma_f64 v[28:29], v[18:19], v[30:31], v[28:29]
	s_and_saveexec_b64 s[2:3], s[0:1]
	s_cbranch_execz .LBB12_50
; %bb.49:
	ds_read_b64 v[18:19], v32 offset:56
	s_waitcnt lgkmcnt(0)
	v_fma_f64 v[28:29], v[16:17], v[18:19], v[28:29]
.LBB12_50:
	s_or_b64 exec, exec, s[2:3]
.LBB12_51:
	s_or_b64 exec, exec, s[26:27]
.LBB12_52:
	s_or_b64 exec, exec, s[46:47]
.LBB12_53:
	s_or_b64 exec, exec, s[28:29]
.LBB12_54:
	s_or_b64 exec, exec, s[44:45]
.LBB12_55:
	s_or_b64 exec, exec, s[30:31]
.LBB12_56:
	s_or_b64 exec, exec, s[42:43]
	v_mov_b32_e32 v18, 0
	ds_read_b64 v[18:19], v18 offset:64
	s_waitcnt lgkmcnt(0)
	v_mul_f64 v[18:19], v[28:29], v[18:19]
.LBB12_57:
	s_or_b64 exec, exec, s[36:37]
	v_cmp_gt_u32_e32 vcc, 9, v0
	; wave barrier
	ds_write_b64 v32, v[20:21]
	s_waitcnt lgkmcnt(0)
	; wave barrier
	s_and_saveexec_b64 s[2:3], vcc
	s_cbranch_execz .LBB12_61
; %bb.58:
	v_mov_b32_e32 v28, 0x70
	v_lshl_add_u32 v33, v0, 3, v28
	v_mov_b32_e32 v28, 0
	v_mov_b32_e32 v31, v1
	;; [unrolled: 1-line block ×3, first 2 shown]
	s_mov_b64 s[4:5], 0
	v_mov_b32_e32 v30, v0
.LBB12_59:                              ; =>This Inner Loop Header: Depth=1
	v_cmp_eq_u32_e32 vcc, 1, v30
	v_cndmask_b32_e32 v36, v3, v5, vcc
	v_cmp_eq_u32_e64 s[0:1], 2, v30
	v_cndmask_b32_e64 v36, v36, v7, s[0:1]
	v_cndmask_b32_e32 v37, v2, v4, vcc
	v_cmp_eq_u32_e32 vcc, 3, v30
	v_cndmask_b32_e32 v36, v36, v9, vcc
	v_cndmask_b32_e64 v37, v37, v6, s[0:1]
	v_cmp_eq_u32_e64 s[0:1], 4, v30
	v_cndmask_b32_e64 v36, v36, v11, s[0:1]
	v_cndmask_b32_e32 v37, v37, v8, vcc
	v_cmp_eq_u32_e32 vcc, 5, v30
	v_cndmask_b32_e32 v36, v36, v13, vcc
	v_cndmask_b32_e64 v37, v37, v10, s[0:1]
	;; [unrolled: 6-line block ×3, first 2 shown]
	v_cmp_eq_u32_e64 s[0:1], 8, v30
	v_cndmask_b32_e64 v36, v36, v19, s[0:1]
	v_cndmask_b32_e32 v37, v37, v16, vcc
	v_cmp_eq_u32_e32 vcc, 9, v30
	ds_read_b64 v[34:35], v33
	v_cndmask_b32_e32 v36, v36, v21, vcc
	v_cndmask_b32_e64 v37, v37, v18, s[0:1]
	v_cmp_eq_u32_e64 s[0:1], 10, v30
	v_cndmask_b32_e64 v36, v36, v23, s[0:1]
	v_cndmask_b32_e32 v37, v37, v20, vcc
	v_cmp_eq_u32_e32 vcc, 11, v30
	v_cndmask_b32_e32 v36, v36, v25, vcc
	v_cndmask_b32_e64 v38, v37, v22, s[0:1]
	v_cmp_eq_u32_e64 s[0:1], 12, v30
	v_cndmask_b32_e64 v37, v36, v27, s[0:1]
	v_cndmask_b32_e32 v36, v38, v24, vcc
	v_cndmask_b32_e64 v36, v36, v26, s[0:1]
	s_waitcnt lgkmcnt(0)
	v_fma_f64 v[28:29], v[36:37], v[34:35], v[28:29]
	v_add_co_u32_e32 v30, vcc, 1, v30
	v_addc_co_u32_e32 v31, vcc, 0, v31, vcc
	v_add_u32_e32 v34, -1, v30
	v_cmp_lt_u32_e32 vcc, 7, v34
	s_or_b64 s[4:5], vcc, s[4:5]
	v_add_u32_e32 v33, 8, v33
	s_andn2_b64 exec, exec, s[4:5]
	s_cbranch_execnz .LBB12_59
; %bb.60:
	s_or_b64 exec, exec, s[4:5]
	v_mov_b32_e32 v20, 0
	ds_read_b64 v[20:21], v20 offset:72
	s_waitcnt lgkmcnt(0)
	v_mul_f64 v[20:21], v[28:29], v[20:21]
.LBB12_61:
	s_or_b64 exec, exec, s[2:3]
	v_cmp_gt_u32_e32 vcc, 10, v0
	; wave barrier
	ds_write_b64 v32, v[22:23]
	s_waitcnt lgkmcnt(0)
	; wave barrier
	s_and_saveexec_b64 s[2:3], vcc
	s_cbranch_execz .LBB12_65
; %bb.62:
	v_mov_b32_e32 v28, 0x70
	v_lshl_add_u32 v33, v0, 3, v28
	v_mov_b32_e32 v28, 0
	v_mov_b32_e32 v31, v1
	v_mov_b32_e32 v29, 0
	s_mov_b64 s[4:5], 0
	v_mov_b32_e32 v30, v0
.LBB12_63:                              ; =>This Inner Loop Header: Depth=1
	v_cmp_eq_u32_e32 vcc, 1, v30
	v_cndmask_b32_e32 v36, v3, v5, vcc
	v_cmp_eq_u32_e64 s[0:1], 2, v30
	v_cndmask_b32_e64 v36, v36, v7, s[0:1]
	v_cndmask_b32_e32 v37, v2, v4, vcc
	v_cmp_eq_u32_e32 vcc, 3, v30
	v_cndmask_b32_e32 v36, v36, v9, vcc
	v_cndmask_b32_e64 v37, v37, v6, s[0:1]
	v_cmp_eq_u32_e64 s[0:1], 4, v30
	v_cndmask_b32_e64 v36, v36, v11, s[0:1]
	v_cndmask_b32_e32 v37, v37, v8, vcc
	v_cmp_eq_u32_e32 vcc, 5, v30
	v_cndmask_b32_e32 v36, v36, v13, vcc
	v_cndmask_b32_e64 v37, v37, v10, s[0:1]
	;; [unrolled: 6-line block ×3, first 2 shown]
	v_cmp_eq_u32_e64 s[0:1], 8, v30
	v_cndmask_b32_e64 v36, v36, v19, s[0:1]
	v_cndmask_b32_e32 v37, v37, v16, vcc
	v_cmp_eq_u32_e32 vcc, 9, v30
	ds_read_b64 v[34:35], v33
	v_cndmask_b32_e32 v36, v36, v21, vcc
	v_cndmask_b32_e64 v37, v37, v18, s[0:1]
	v_cmp_eq_u32_e64 s[0:1], 10, v30
	v_cndmask_b32_e64 v36, v36, v23, s[0:1]
	v_cndmask_b32_e32 v37, v37, v20, vcc
	v_cmp_eq_u32_e32 vcc, 11, v30
	v_cndmask_b32_e32 v36, v36, v25, vcc
	v_cndmask_b32_e64 v38, v37, v22, s[0:1]
	v_cmp_eq_u32_e64 s[0:1], 12, v30
	v_cndmask_b32_e64 v37, v36, v27, s[0:1]
	v_cndmask_b32_e32 v36, v38, v24, vcc
	v_cndmask_b32_e64 v36, v36, v26, s[0:1]
	s_waitcnt lgkmcnt(0)
	v_fma_f64 v[28:29], v[36:37], v[34:35], v[28:29]
	v_add_co_u32_e32 v30, vcc, 1, v30
	v_addc_co_u32_e32 v31, vcc, 0, v31, vcc
	v_add_u32_e32 v34, -1, v30
	v_cmp_lt_u32_e32 vcc, 8, v34
	s_or_b64 s[4:5], vcc, s[4:5]
	v_add_u32_e32 v33, 8, v33
	s_andn2_b64 exec, exec, s[4:5]
	s_cbranch_execnz .LBB12_63
; %bb.64:
	s_or_b64 exec, exec, s[4:5]
	v_mov_b32_e32 v22, 0
	ds_read_b64 v[22:23], v22 offset:80
	s_waitcnt lgkmcnt(0)
	v_mul_f64 v[22:23], v[28:29], v[22:23]
.LBB12_65:
	s_or_b64 exec, exec, s[2:3]
	v_cmp_gt_u32_e32 vcc, 11, v0
	; wave barrier
	ds_write_b64 v32, v[24:25]
	s_waitcnt lgkmcnt(0)
	; wave barrier
	s_and_saveexec_b64 s[2:3], vcc
	s_cbranch_execz .LBB12_69
; %bb.66:
	v_mov_b32_e32 v28, 0x70
	v_lshl_add_u32 v33, v0, 3, v28
	v_mov_b32_e32 v28, 0
	v_mov_b32_e32 v31, v1
	;; [unrolled: 1-line block ×3, first 2 shown]
	s_mov_b64 s[4:5], 0
	v_mov_b32_e32 v30, v0
.LBB12_67:                              ; =>This Inner Loop Header: Depth=1
	v_cmp_eq_u32_e32 vcc, 1, v30
	v_cndmask_b32_e32 v36, v3, v5, vcc
	v_cmp_eq_u32_e64 s[0:1], 2, v30
	v_cndmask_b32_e64 v36, v36, v7, s[0:1]
	v_cndmask_b32_e32 v37, v2, v4, vcc
	v_cmp_eq_u32_e32 vcc, 3, v30
	v_cndmask_b32_e32 v36, v36, v9, vcc
	v_cndmask_b32_e64 v37, v37, v6, s[0:1]
	v_cmp_eq_u32_e64 s[0:1], 4, v30
	v_cndmask_b32_e64 v36, v36, v11, s[0:1]
	v_cndmask_b32_e32 v37, v37, v8, vcc
	v_cmp_eq_u32_e32 vcc, 5, v30
	v_cndmask_b32_e32 v36, v36, v13, vcc
	v_cndmask_b32_e64 v37, v37, v10, s[0:1]
	;; [unrolled: 6-line block ×3, first 2 shown]
	v_cmp_eq_u32_e64 s[0:1], 8, v30
	v_cndmask_b32_e64 v36, v36, v19, s[0:1]
	v_cndmask_b32_e32 v37, v37, v16, vcc
	v_cmp_eq_u32_e32 vcc, 9, v30
	ds_read_b64 v[34:35], v33
	v_cndmask_b32_e32 v36, v36, v21, vcc
	v_cndmask_b32_e64 v37, v37, v18, s[0:1]
	v_cmp_eq_u32_e64 s[0:1], 10, v30
	v_cndmask_b32_e64 v36, v36, v23, s[0:1]
	v_cndmask_b32_e32 v37, v37, v20, vcc
	v_cmp_eq_u32_e32 vcc, 11, v30
	v_cndmask_b32_e32 v36, v36, v25, vcc
	v_cndmask_b32_e64 v38, v37, v22, s[0:1]
	v_cmp_eq_u32_e64 s[0:1], 12, v30
	v_cndmask_b32_e64 v37, v36, v27, s[0:1]
	v_cndmask_b32_e32 v36, v38, v24, vcc
	v_cndmask_b32_e64 v36, v36, v26, s[0:1]
	s_waitcnt lgkmcnt(0)
	v_fma_f64 v[28:29], v[36:37], v[34:35], v[28:29]
	v_add_co_u32_e32 v30, vcc, 1, v30
	v_addc_co_u32_e32 v31, vcc, 0, v31, vcc
	v_add_u32_e32 v34, -1, v30
	v_cmp_lt_u32_e32 vcc, 9, v34
	s_or_b64 s[4:5], vcc, s[4:5]
	v_add_u32_e32 v33, 8, v33
	s_andn2_b64 exec, exec, s[4:5]
	s_cbranch_execnz .LBB12_67
; %bb.68:
	s_or_b64 exec, exec, s[4:5]
	v_mov_b32_e32 v24, 0
	ds_read_b64 v[24:25], v24 offset:88
	s_waitcnt lgkmcnt(0)
	v_mul_f64 v[24:25], v[28:29], v[24:25]
.LBB12_69:
	s_or_b64 exec, exec, s[2:3]
	v_cmp_ne_u32_e32 vcc, 12, v0
	; wave barrier
	ds_write_b64 v32, v[26:27]
	s_waitcnt lgkmcnt(0)
	; wave barrier
	s_and_saveexec_b64 s[2:3], vcc
	s_cbranch_execz .LBB12_73
; %bb.70:
	v_mov_b32_e32 v28, 0x70
	v_lshl_add_u32 v32, v0, 3, v28
	v_mov_b32_e32 v28, 0
	v_mov_b32_e32 v31, v1
	;; [unrolled: 1-line block ×3, first 2 shown]
	s_mov_b64 s[4:5], 0
	v_mov_b32_e32 v30, v0
.LBB12_71:                              ; =>This Inner Loop Header: Depth=1
	v_cmp_eq_u32_e32 vcc, 1, v30
	v_cndmask_b32_e32 v1, v3, v5, vcc
	v_cmp_eq_u32_e64 s[0:1], 2, v30
	v_cndmask_b32_e64 v1, v1, v7, s[0:1]
	v_cndmask_b32_e32 v35, v2, v4, vcc
	v_cmp_eq_u32_e32 vcc, 3, v30
	v_cndmask_b32_e32 v1, v1, v9, vcc
	v_cndmask_b32_e64 v35, v35, v6, s[0:1]
	v_cmp_eq_u32_e64 s[0:1], 4, v30
	v_cndmask_b32_e64 v1, v1, v11, s[0:1]
	v_cndmask_b32_e32 v35, v35, v8, vcc
	v_cmp_eq_u32_e32 vcc, 5, v30
	v_cndmask_b32_e32 v1, v1, v13, vcc
	v_cndmask_b32_e64 v35, v35, v10, s[0:1]
	;; [unrolled: 6-line block ×3, first 2 shown]
	v_cmp_eq_u32_e64 s[0:1], 8, v30
	v_cndmask_b32_e64 v1, v1, v19, s[0:1]
	v_cndmask_b32_e32 v35, v35, v16, vcc
	v_cmp_eq_u32_e32 vcc, 9, v30
	ds_read_b64 v[33:34], v32
	v_cndmask_b32_e32 v1, v1, v21, vcc
	v_cndmask_b32_e64 v35, v35, v18, s[0:1]
	v_cmp_eq_u32_e64 s[0:1], 10, v30
	v_cndmask_b32_e64 v1, v1, v23, s[0:1]
	v_cndmask_b32_e32 v35, v35, v20, vcc
	v_cmp_eq_u32_e32 vcc, 11, v30
	v_cndmask_b32_e32 v1, v1, v25, vcc
	v_cndmask_b32_e64 v35, v35, v22, s[0:1]
	v_cmp_eq_u32_e64 s[0:1], 12, v30
	v_cndmask_b32_e64 v36, v1, v27, s[0:1]
	v_cndmask_b32_e32 v1, v35, v24, vcc
	v_cndmask_b32_e64 v35, v1, v26, s[0:1]
	s_waitcnt lgkmcnt(0)
	v_fma_f64 v[28:29], v[35:36], v[33:34], v[28:29]
	v_add_co_u32_e32 v30, vcc, 1, v30
	v_addc_co_u32_e32 v31, vcc, 0, v31, vcc
	v_add_u32_e32 v1, -1, v30
	v_cmp_lt_u32_e32 vcc, 10, v1
	s_or_b64 s[4:5], vcc, s[4:5]
	v_add_u32_e32 v32, 8, v32
	s_andn2_b64 exec, exec, s[4:5]
	s_cbranch_execnz .LBB12_71
; %bb.72:
	s_or_b64 exec, exec, s[4:5]
	v_mov_b32_e32 v1, 0
	ds_read_b64 v[26:27], v1 offset:96
	s_waitcnt lgkmcnt(0)
	v_mul_f64 v[26:27], v[28:29], v[26:27]
.LBB12_73:
	s_or_b64 exec, exec, s[2:3]
	; wave barrier
	s_cbranch_execnz .LBB12_15
	s_branch .LBB12_16
.LBB12_74:
	v_mov_b32_e32 v1, 0x70
	v_lshl_add_u32 v1, v0, 3, v1
	v_cmp_eq_u32_e32 vcc, 12, v0
	s_and_saveexec_b64 s[0:1], vcc
	s_cbranch_execz .LBB12_76
; %bb.75:
	v_mov_b32_e32 v50, 0
	v_mov_b32_e32 v28, v2
	;; [unrolled: 1-line block ×26, first 2 shown]
	ds_write_b64 v1, v[24:25]
	v_mov_b32_e32 v2, v28
	v_mov_b32_e32 v3, v29
	;; [unrolled: 1-line block ×32, first 2 shown]
.LBB12_76:
	s_or_b64 exec, exec, s[0:1]
	v_mov_b32_e32 v48, 0
	s_waitcnt lgkmcnt(0)
	; wave barrier
	ds_read_b64 v[34:35], v48 offset:208
	v_cmp_lt_u32_e32 vcc, 10, v0
	s_waitcnt lgkmcnt(0)
	v_fma_f64 v[34:35], v[26:27], v[34:35], 0
	v_add_f64 v[24:25], v[24:25], -v[34:35]
	s_and_saveexec_b64 s[0:1], vcc
	s_cbranch_execz .LBB12_78
; %bb.77:
	v_mov_b32_e32 v28, v2
	v_mov_b32_e32 v29, v3
	;; [unrolled: 1-line block ×25, first 2 shown]
	ds_write_b64 v1, v[22:23]
	v_mov_b32_e32 v2, v28
	v_mov_b32_e32 v3, v29
	;; [unrolled: 1-line block ×32, first 2 shown]
.LBB12_78:
	s_or_b64 exec, exec, s[0:1]
	s_waitcnt lgkmcnt(0)
	; wave barrier
	ds_read2_b64 v[34:37], v48 offset0:25 offset1:26
	v_cmp_lt_u32_e32 vcc, 9, v0
	s_waitcnt lgkmcnt(0)
	v_fma_f64 v[34:35], v[24:25], v[34:35], 0
	v_fma_f64 v[34:35], v[26:27], v[36:37], v[34:35]
	v_add_f64 v[22:23], v[22:23], -v[34:35]
	s_and_saveexec_b64 s[0:1], vcc
	s_cbranch_execz .LBB12_80
; %bb.79:
	v_mov_b32_e32 v46, 0
	v_mov_b32_e32 v28, v2
	;; [unrolled: 1-line block ×26, first 2 shown]
	ds_write_b64 v1, v[20:21]
	v_mov_b32_e32 v2, v28
	v_mov_b32_e32 v3, v29
	;; [unrolled: 1-line block ×32, first 2 shown]
.LBB12_80:
	s_or_b64 exec, exec, s[0:1]
	v_mov_b32_e32 v44, 0
	s_waitcnt lgkmcnt(0)
	; wave barrier
	ds_read_b128 v[34:37], v44 offset:192
	ds_read_b64 v[38:39], v44 offset:208
	v_cmp_lt_u32_e32 vcc, 8, v0
	s_waitcnt lgkmcnt(1)
	v_fma_f64 v[34:35], v[22:23], v[34:35], 0
	v_fma_f64 v[34:35], v[24:25], v[36:37], v[34:35]
	s_waitcnt lgkmcnt(0)
	v_fma_f64 v[34:35], v[26:27], v[38:39], v[34:35]
	v_add_f64 v[20:21], v[20:21], -v[34:35]
	s_and_saveexec_b64 s[0:1], vcc
	s_cbranch_execz .LBB12_82
; %bb.81:
	v_mov_b32_e32 v28, v2
	v_mov_b32_e32 v29, v3
	v_mov_b32_e32 v30, v4
	v_mov_b32_e32 v31, v5
	v_mov_b32_e32 v32, v6
	v_mov_b32_e32 v33, v7
	v_mov_b32_e32 v34, v8
	v_mov_b32_e32 v35, v9
	v_mov_b32_e32 v36, v10
	v_mov_b32_e32 v37, v11
	v_mov_b32_e32 v38, v12
	v_mov_b32_e32 v39, v13
	v_mov_b32_e32 v40, v14
	v_mov_b32_e32 v41, v15
	v_mov_b32_e32 v42, v16
	v_mov_b32_e32 v43, v17
	v_mov_b32_e32 v45, v44
	v_mov_b32_e32 v46, v20
	v_mov_b32_e32 v47, v21
	v_mov_b32_e32 v48, v22
	v_mov_b32_e32 v49, v23
	v_mov_b32_e32 v50, v24
	v_mov_b32_e32 v51, v25
	v_mov_b32_e32 v52, v26
	v_mov_b32_e32 v53, v27
	ds_write_b64 v1, v[18:19]
	v_mov_b32_e32 v2, v28
	v_mov_b32_e32 v3, v29
	v_mov_b32_e32 v4, v30
	v_mov_b32_e32 v5, v31
	v_mov_b32_e32 v6, v32
	v_mov_b32_e32 v7, v33
	v_mov_b32_e32 v8, v34
	v_mov_b32_e32 v9, v35
	v_mov_b32_e32 v10, v36
	v_mov_b32_e32 v11, v37
	v_mov_b32_e32 v12, v38
	v_mov_b32_e32 v13, v39
	v_mov_b32_e32 v14, v40
	v_mov_b32_e32 v15, v41
	v_mov_b32_e32 v16, v42
	v_mov_b32_e32 v17, v43
	v_mov_b32_e32 v18, v44
	v_mov_b32_e32 v19, v45
	v_mov_b32_e32 v20, v46
	v_mov_b32_e32 v21, v47
	v_mov_b32_e32 v22, v48
	v_mov_b32_e32 v23, v49
	v_mov_b32_e32 v24, v50
	v_mov_b32_e32 v25, v51
	v_mov_b32_e32 v26, v52
	v_mov_b32_e32 v27, v53
	v_mov_b32_e32 v28, v54
	v_mov_b32_e32 v29, v55
	v_mov_b32_e32 v30, v56
	v_mov_b32_e32 v31, v57
	v_mov_b32_e32 v32, v58
	v_mov_b32_e32 v33, v59
.LBB12_82:
	s_or_b64 exec, exec, s[0:1]
	s_waitcnt lgkmcnt(0)
	; wave barrier
	ds_read2_b64 v[34:37], v44 offset0:23 offset1:24
	ds_read2_b64 v[38:41], v44 offset0:25 offset1:26
	v_cmp_lt_u32_e32 vcc, 7, v0
	s_waitcnt lgkmcnt(1)
	v_fma_f64 v[34:35], v[20:21], v[34:35], 0
	v_fma_f64 v[34:35], v[22:23], v[36:37], v[34:35]
	s_waitcnt lgkmcnt(0)
	v_fma_f64 v[34:35], v[24:25], v[38:39], v[34:35]
	v_fma_f64 v[34:35], v[26:27], v[40:41], v[34:35]
	v_add_f64 v[18:19], v[18:19], -v[34:35]
	s_and_saveexec_b64 s[0:1], vcc
	s_cbranch_execz .LBB12_84
; %bb.83:
	v_mov_b32_e32 v42, 0
	v_mov_b32_e32 v28, v2
	v_mov_b32_e32 v29, v3
	v_mov_b32_e32 v30, v4
	v_mov_b32_e32 v31, v5
	v_mov_b32_e32 v32, v6
	v_mov_b32_e32 v33, v7
	v_mov_b32_e32 v34, v8
	v_mov_b32_e32 v35, v9
	v_mov_b32_e32 v36, v10
	v_mov_b32_e32 v37, v11
	v_mov_b32_e32 v38, v12
	v_mov_b32_e32 v39, v13
	v_mov_b32_e32 v40, v14
	v_mov_b32_e32 v41, v15
	v_mov_b32_e32 v43, v42
	v_mov_b32_e32 v44, v18
	v_mov_b32_e32 v45, v19
	v_mov_b32_e32 v46, v20
	v_mov_b32_e32 v47, v21
	v_mov_b32_e32 v48, v22
	v_mov_b32_e32 v49, v23
	v_mov_b32_e32 v50, v24
	v_mov_b32_e32 v51, v25
	v_mov_b32_e32 v52, v26
	v_mov_b32_e32 v53, v27
	ds_write_b64 v1, v[16:17]
	v_mov_b32_e32 v2, v28
	v_mov_b32_e32 v3, v29
	;; [unrolled: 1-line block ×32, first 2 shown]
.LBB12_84:
	s_or_b64 exec, exec, s[0:1]
	v_mov_b32_e32 v40, 0
	s_waitcnt lgkmcnt(0)
	; wave barrier
	ds_read_b128 v[34:37], v40 offset:176
	ds_read_b128 v[41:44], v40 offset:192
	v_cmp_lt_u32_e32 vcc, 6, v0
	s_waitcnt lgkmcnt(1)
	v_fma_f64 v[34:35], v[18:19], v[34:35], 0
	v_fma_f64 v[34:35], v[20:21], v[36:37], v[34:35]
	ds_read_b64 v[36:37], v40 offset:208
	s_waitcnt lgkmcnt(1)
	v_fma_f64 v[34:35], v[22:23], v[41:42], v[34:35]
	v_fma_f64 v[34:35], v[24:25], v[43:44], v[34:35]
	s_waitcnt lgkmcnt(0)
	v_fma_f64 v[34:35], v[26:27], v[36:37], v[34:35]
	v_add_f64 v[16:17], v[16:17], -v[34:35]
	s_and_saveexec_b64 s[0:1], vcc
	s_cbranch_execz .LBB12_86
; %bb.85:
	v_mov_b32_e32 v28, v2
	v_mov_b32_e32 v29, v3
	;; [unrolled: 1-line block ×25, first 2 shown]
	ds_write_b64 v1, v[14:15]
	v_mov_b32_e32 v2, v28
	v_mov_b32_e32 v3, v29
	;; [unrolled: 1-line block ×32, first 2 shown]
.LBB12_86:
	s_or_b64 exec, exec, s[0:1]
	s_waitcnt lgkmcnt(0)
	; wave barrier
	ds_read2_b64 v[34:37], v40 offset0:21 offset1:22
	ds_read2_b64 v[41:44], v40 offset0:23 offset1:24
	v_cmp_lt_u32_e32 vcc, 5, v0
	s_waitcnt lgkmcnt(1)
	v_fma_f64 v[34:35], v[16:17], v[34:35], 0
	v_fma_f64 v[34:35], v[18:19], v[36:37], v[34:35]
	s_waitcnt lgkmcnt(0)
	v_fma_f64 v[34:35], v[20:21], v[41:42], v[34:35]
	v_fma_f64 v[38:39], v[22:23], v[43:44], v[34:35]
	ds_read2_b64 v[34:37], v40 offset0:25 offset1:26
	s_waitcnt lgkmcnt(0)
	v_fma_f64 v[34:35], v[24:25], v[34:35], v[38:39]
	v_fma_f64 v[34:35], v[26:27], v[36:37], v[34:35]
	v_add_f64 v[14:15], v[14:15], -v[34:35]
	s_and_saveexec_b64 s[0:1], vcc
	s_cbranch_execz .LBB12_88
; %bb.87:
	v_mov_b32_e32 v38, 0
	v_mov_b32_e32 v28, v2
	;; [unrolled: 1-line block ×26, first 2 shown]
	ds_write_b64 v1, v[12:13]
	v_mov_b32_e32 v2, v28
	v_mov_b32_e32 v3, v29
	;; [unrolled: 1-line block ×32, first 2 shown]
.LBB12_88:
	s_or_b64 exec, exec, s[0:1]
	v_mov_b32_e32 v36, 0
	s_waitcnt lgkmcnt(0)
	; wave barrier
	ds_read_b128 v[37:40], v36 offset:160
	ds_read_b128 v[41:44], v36 offset:176
	v_cmp_lt_u32_e32 vcc, 4, v0
	s_waitcnt lgkmcnt(1)
	v_fma_f64 v[34:35], v[14:15], v[37:38], 0
	v_fma_f64 v[34:35], v[16:17], v[39:40], v[34:35]
	s_waitcnt lgkmcnt(0)
	v_fma_f64 v[34:35], v[18:19], v[41:42], v[34:35]
	ds_read_b128 v[37:40], v36 offset:192
	ds_read_b64 v[41:42], v36 offset:208
	v_fma_f64 v[34:35], v[20:21], v[43:44], v[34:35]
	s_waitcnt lgkmcnt(1)
	v_fma_f64 v[34:35], v[22:23], v[37:38], v[34:35]
	v_fma_f64 v[34:35], v[24:25], v[39:40], v[34:35]
	s_waitcnt lgkmcnt(0)
	v_fma_f64 v[34:35], v[26:27], v[41:42], v[34:35]
	v_add_f64 v[12:13], v[12:13], -v[34:35]
	s_and_saveexec_b64 s[0:1], vcc
	s_cbranch_execz .LBB12_90
; %bb.89:
	v_mov_b32_e32 v28, v2
	v_mov_b32_e32 v29, v3
	;; [unrolled: 1-line block ×25, first 2 shown]
	ds_write_b64 v1, v[10:11]
	v_mov_b32_e32 v2, v28
	v_mov_b32_e32 v3, v29
	;; [unrolled: 1-line block ×32, first 2 shown]
.LBB12_90:
	s_or_b64 exec, exec, s[0:1]
	s_waitcnt lgkmcnt(0)
	; wave barrier
	ds_read2_b64 v[37:40], v36 offset0:19 offset1:20
	ds_read2_b64 v[41:44], v36 offset0:21 offset1:22
	v_cmp_lt_u32_e32 vcc, 3, v0
	s_waitcnt lgkmcnt(1)
	v_fma_f64 v[34:35], v[12:13], v[37:38], 0
	v_fma_f64 v[34:35], v[14:15], v[39:40], v[34:35]
	s_waitcnt lgkmcnt(0)
	v_fma_f64 v[34:35], v[16:17], v[41:42], v[34:35]
	v_fma_f64 v[34:35], v[18:19], v[43:44], v[34:35]
	ds_read2_b64 v[37:40], v36 offset0:23 offset1:24
	ds_read2_b64 v[41:44], v36 offset0:25 offset1:26
	s_waitcnt lgkmcnt(1)
	v_fma_f64 v[34:35], v[20:21], v[37:38], v[34:35]
	v_fma_f64 v[34:35], v[22:23], v[39:40], v[34:35]
	s_waitcnt lgkmcnt(0)
	v_fma_f64 v[34:35], v[24:25], v[41:42], v[34:35]
	v_fma_f64 v[34:35], v[26:27], v[43:44], v[34:35]
	v_add_f64 v[10:11], v[10:11], -v[34:35]
	s_and_saveexec_b64 s[0:1], vcc
	s_cbranch_execz .LBB12_92
; %bb.91:
	v_mov_b32_e32 v34, 0
	v_mov_b32_e32 v28, v2
	;; [unrolled: 1-line block ×26, first 2 shown]
	ds_write_b64 v1, v[8:9]
	v_mov_b32_e32 v2, v28
	v_mov_b32_e32 v3, v29
	;; [unrolled: 1-line block ×32, first 2 shown]
.LBB12_92:
	s_or_b64 exec, exec, s[0:1]
	v_mov_b32_e32 v34, 0
	s_waitcnt lgkmcnt(0)
	; wave barrier
	ds_read_b128 v[35:38], v34 offset:144
	ds_read_b128 v[39:42], v34 offset:160
	v_cmp_lt_u32_e32 vcc, 2, v0
	s_waitcnt lgkmcnt(1)
	v_fma_f64 v[35:36], v[10:11], v[35:36], 0
	v_fma_f64 v[35:36], v[12:13], v[37:38], v[35:36]
	s_waitcnt lgkmcnt(0)
	v_fma_f64 v[35:36], v[14:15], v[39:40], v[35:36]
	v_fma_f64 v[43:44], v[16:17], v[41:42], v[35:36]
	ds_read_b128 v[35:38], v34 offset:176
	ds_read_b128 v[39:42], v34 offset:192
	s_waitcnt lgkmcnt(1)
	v_fma_f64 v[35:36], v[18:19], v[35:36], v[43:44]
	v_fma_f64 v[35:36], v[20:21], v[37:38], v[35:36]
	ds_read_b64 v[37:38], v34 offset:208
	s_waitcnt lgkmcnt(1)
	v_fma_f64 v[35:36], v[22:23], v[39:40], v[35:36]
	v_fma_f64 v[35:36], v[24:25], v[41:42], v[35:36]
	s_waitcnt lgkmcnt(0)
	v_fma_f64 v[35:36], v[26:27], v[37:38], v[35:36]
	v_add_f64 v[8:9], v[8:9], -v[35:36]
	s_and_saveexec_b64 s[0:1], vcc
	s_cbranch_execz .LBB12_94
; %bb.93:
	v_mov_b32_e32 v30, v2
	v_mov_b32_e32 v31, v3
	;; [unrolled: 1-line block ×59, first 2 shown]
	ds_write_b64 v1, v[56:57]
.LBB12_94:
	s_or_b64 exec, exec, s[0:1]
	s_waitcnt lgkmcnt(0)
	; wave barrier
	ds_read2_b64 v[35:38], v34 offset0:17 offset1:18
	ds_read2_b64 v[39:42], v34 offset0:19 offset1:20
	v_cmp_lt_u32_e32 vcc, 1, v0
	s_waitcnt lgkmcnt(1)
	v_fma_f64 v[35:36], v[8:9], v[35:36], 0
	v_fma_f64 v[35:36], v[10:11], v[37:38], v[35:36]
	s_waitcnt lgkmcnt(0)
	v_fma_f64 v[35:36], v[12:13], v[39:40], v[35:36]
	v_fma_f64 v[43:44], v[14:15], v[41:42], v[35:36]
	ds_read2_b64 v[35:38], v34 offset0:21 offset1:22
	ds_read2_b64 v[39:42], v34 offset0:23 offset1:24
	s_waitcnt lgkmcnt(1)
	v_fma_f64 v[35:36], v[16:17], v[35:36], v[43:44]
	v_fma_f64 v[35:36], v[18:19], v[37:38], v[35:36]
	s_waitcnt lgkmcnt(0)
	v_fma_f64 v[35:36], v[20:21], v[39:40], v[35:36]
	v_fma_f64 v[38:39], v[22:23], v[41:42], v[35:36]
	ds_read2_b64 v[34:37], v34 offset0:25 offset1:26
	s_waitcnt lgkmcnt(0)
	v_fma_f64 v[34:35], v[24:25], v[34:35], v[38:39]
	v_fma_f64 v[34:35], v[26:27], v[36:37], v[34:35]
	v_add_f64 v[6:7], v[6:7], -v[34:35]
	s_and_saveexec_b64 s[0:1], vcc
	s_cbranch_execz .LBB12_96
; %bb.95:
	v_mov_b32_e32 v30, 0
	v_mov_b32_e32 v28, v2
	;; [unrolled: 1-line block ×60, first 2 shown]
	ds_write_b64 v1, v[54:55]
.LBB12_96:
	s_or_b64 exec, exec, s[0:1]
	v_mov_b32_e32 v34, 0
	s_waitcnt lgkmcnt(0)
	; wave barrier
	ds_read_b128 v[35:38], v34 offset:128
	ds_read_b128 v[39:42], v34 offset:144
	v_cmp_ne_u32_e32 vcc, 0, v0
	s_waitcnt lgkmcnt(1)
	v_fma_f64 v[35:36], v[6:7], v[35:36], 0
	v_fma_f64 v[35:36], v[8:9], v[37:38], v[35:36]
	s_waitcnt lgkmcnt(0)
	v_fma_f64 v[35:36], v[10:11], v[39:40], v[35:36]
	v_fma_f64 v[43:44], v[12:13], v[41:42], v[35:36]
	ds_read_b128 v[35:38], v34 offset:160
	ds_read_b128 v[39:42], v34 offset:176
	s_waitcnt lgkmcnt(1)
	v_fma_f64 v[35:36], v[14:15], v[35:36], v[43:44]
	v_fma_f64 v[35:36], v[16:17], v[37:38], v[35:36]
	s_waitcnt lgkmcnt(0)
	v_fma_f64 v[35:36], v[18:19], v[39:40], v[35:36]
	v_fma_f64 v[39:40], v[20:21], v[41:42], v[35:36]
	ds_read_b128 v[35:38], v34 offset:192
	ds_read_b64 v[41:42], v34 offset:208
	s_waitcnt lgkmcnt(1)
	v_fma_f64 v[35:36], v[22:23], v[35:36], v[39:40]
	v_fma_f64 v[35:36], v[24:25], v[37:38], v[35:36]
	s_waitcnt lgkmcnt(0)
	v_fma_f64 v[35:36], v[26:27], v[41:42], v[35:36]
	v_add_f64 v[4:5], v[4:5], -v[35:36]
	s_and_saveexec_b64 s[0:1], vcc
	s_cbranch_execz .LBB12_98
; %bb.97:
	v_mov_b32_e32 v35, v34
	v_mov_b32_e32 v36, v4
	;; [unrolled: 1-line block ×59, first 2 shown]
	ds_write_b64 v1, v[86:87]
.LBB12_98:
	s_or_b64 exec, exec, s[0:1]
	s_waitcnt lgkmcnt(0)
	; wave barrier
	ds_read2_b64 v[35:38], v34 offset0:15 offset1:16
	ds_read2_b64 v[39:42], v34 offset0:17 offset1:18
	s_and_b64 vcc, exec, s[40:41]
	s_waitcnt lgkmcnt(1)
	v_fma_f64 v[0:1], v[4:5], v[35:36], 0
	v_fma_f64 v[0:1], v[6:7], v[37:38], v[0:1]
	s_waitcnt lgkmcnt(0)
	v_fma_f64 v[0:1], v[8:9], v[39:40], v[0:1]
	v_fma_f64 v[0:1], v[10:11], v[41:42], v[0:1]
	ds_read2_b64 v[35:38], v34 offset0:19 offset1:20
	ds_read2_b64 v[39:42], v34 offset0:21 offset1:22
	s_waitcnt lgkmcnt(1)
	v_fma_f64 v[0:1], v[12:13], v[35:36], v[0:1]
	v_fma_f64 v[0:1], v[14:15], v[37:38], v[0:1]
	s_waitcnt lgkmcnt(0)
	v_fma_f64 v[0:1], v[16:17], v[39:40], v[0:1]
	v_fma_f64 v[0:1], v[18:19], v[41:42], v[0:1]
	ds_read2_b64 v[35:38], v34 offset0:23 offset1:24
	ds_read2_b64 v[39:42], v34 offset0:25 offset1:26
	s_waitcnt lgkmcnt(1)
	v_fma_f64 v[0:1], v[20:21], v[35:36], v[0:1]
	v_fma_f64 v[0:1], v[22:23], v[37:38], v[0:1]
	s_waitcnt lgkmcnt(0)
	v_fma_f64 v[0:1], v[24:25], v[39:40], v[0:1]
	v_fma_f64 v[0:1], v[26:27], v[41:42], v[0:1]
	v_add_f64 v[2:3], v[2:3], -v[0:1]
	s_cbranch_vccz .LBB12_123
; %bb.99:
	v_mov_b32_e32 v0, 0
	global_load_dword v1, v0, s[34:35] offset:44
	s_waitcnt vmcnt(0)
	v_readfirstlane_b32 s0, v1
	s_add_i32 s0, s0, -1
	s_cmp_lg_u32 s0, 11
	s_cbranch_scc0 .LBB12_101
; %bb.100:
	s_lshl_b32 s0, s0, 1
	s_set_gpr_idx_on s0, gpr_idx(SRC0)
	v_mov_b32_e32 v1, v3
	v_mov_b32_e32 v58, v2
	s_set_gpr_idx_off
	v_mov_b32_e32 v57, v33
	v_mov_b32_e32 v49, v25
	;; [unrolled: 1-line block ×34, first 2 shown]
	s_set_gpr_idx_on s0, gpr_idx(DST)
	v_mov_b32_e32 v26, v24
	v_mov_b32_e32 v27, v25
	s_set_gpr_idx_off
	v_mov_b32_e32 v2, v26
	v_mov_b32_e32 v3, v27
	;; [unrolled: 1-line block ×32, first 2 shown]
.LBB12_101:
	global_load_dword v0, v0, s[34:35] offset:40
	s_waitcnt vmcnt(0)
	v_readfirstlane_b32 s0, v0
	s_add_i32 s0, s0, -1
	s_cmp_eq_u32 s0, 10
	s_cbranch_scc1 .LBB12_103
; %bb.102:
	s_lshl_b32 s0, s0, 1
	s_set_gpr_idx_on s0, gpr_idx(SRC0)
	v_mov_b32_e32 v0, v3
	v_mov_b32_e32 v1, v2
	s_set_gpr_idx_off
	v_mov_b32_e32 v55, v33
	v_mov_b32_e32 v45, v23
	;; [unrolled: 1-line block ×34, first 2 shown]
	s_set_gpr_idx_on s0, gpr_idx(DST)
	v_mov_b32_e32 v24, v22
	v_mov_b32_e32 v25, v23
	s_set_gpr_idx_off
	v_mov_b32_e32 v2, v24
	v_mov_b32_e32 v3, v25
	;; [unrolled: 1-line block ×32, first 2 shown]
.LBB12_103:
	v_mov_b32_e32 v0, 0
	global_load_dword v1, v0, s[34:35] offset:36
	s_waitcnt vmcnt(0)
	v_readfirstlane_b32 s0, v1
	s_add_i32 s0, s0, -1
	s_cmp_eq_u32 s0, 9
	s_cbranch_scc1 .LBB12_105
; %bb.104:
	s_lshl_b32 s0, s0, 1
	s_set_gpr_idx_on s0, gpr_idx(SRC0)
	v_mov_b32_e32 v1, v3
	v_mov_b32_e32 v54, v2
	s_set_gpr_idx_off
	v_mov_b32_e32 v53, v33
	v_mov_b32_e32 v41, v21
	;; [unrolled: 1-line block ×34, first 2 shown]
	s_set_gpr_idx_on s0, gpr_idx(DST)
	v_mov_b32_e32 v22, v20
	v_mov_b32_e32 v23, v21
	s_set_gpr_idx_off
	v_mov_b32_e32 v2, v22
	v_mov_b32_e32 v3, v23
	;; [unrolled: 1-line block ×32, first 2 shown]
.LBB12_105:
	global_load_dword v0, v0, s[34:35] offset:32
	s_waitcnt vmcnt(0)
	v_readfirstlane_b32 s0, v0
	s_add_i32 s0, s0, -1
	s_cmp_eq_u32 s0, 8
	s_cbranch_scc1 .LBB12_107
; %bb.106:
	s_lshl_b32 s0, s0, 1
	s_set_gpr_idx_on s0, gpr_idx(SRC0)
	v_mov_b32_e32 v0, v3
	v_mov_b32_e32 v1, v2
	s_set_gpr_idx_off
	v_mov_b32_e32 v51, v33
	v_mov_b32_e32 v37, v19
	v_mov_b32_e32 v36, v18
	v_mov_b32_e32 v50, v32
	v_mov_b32_e32 v49, v31
	v_mov_b32_e32 v48, v30
	v_mov_b32_e32 v47, v29
	v_mov_b32_e32 v46, v28
	v_mov_b32_e32 v45, v27
	v_mov_b32_e32 v44, v26
	v_mov_b32_e32 v43, v25
	v_mov_b32_e32 v42, v24
	v_mov_b32_e32 v41, v23
	v_mov_b32_e32 v40, v22
	v_mov_b32_e32 v39, v21
	v_mov_b32_e32 v38, v20
	v_mov_b32_e32 v35, v17
	v_mov_b32_e32 v34, v16
	v_mov_b32_e32 v33, v15
	v_mov_b32_e32 v32, v14
	v_mov_b32_e32 v31, v13
	v_mov_b32_e32 v30, v12
	v_mov_b32_e32 v29, v11
	v_mov_b32_e32 v28, v10
	v_mov_b32_e32 v27, v9
	v_mov_b32_e32 v26, v8
	v_mov_b32_e32 v25, v7
	v_mov_b32_e32 v24, v6
	v_mov_b32_e32 v23, v5
	v_mov_b32_e32 v22, v4
	v_mov_b32_e32 v21, v3
	v_mov_b32_e32 v20, v2
	v_mov_b32_e32 v36, v1
	v_mov_b32_e32 v37, v0
	s_set_gpr_idx_on s0, gpr_idx(DST)
	v_mov_b32_e32 v20, v18
	v_mov_b32_e32 v21, v19
	s_set_gpr_idx_off
	v_mov_b32_e32 v2, v20
	v_mov_b32_e32 v3, v21
	;; [unrolled: 1-line block ×32, first 2 shown]
.LBB12_107:
	v_mov_b32_e32 v0, 0
	global_load_dword v1, v0, s[34:35] offset:28
	s_waitcnt vmcnt(0)
	v_readfirstlane_b32 s0, v1
	s_add_i32 s0, s0, -1
	s_cmp_eq_u32 s0, 7
	s_cbranch_scc1 .LBB12_109
; %bb.108:
	s_lshl_b32 s0, s0, 1
	s_set_gpr_idx_on s0, gpr_idx(SRC0)
	v_mov_b32_e32 v1, v3
	v_mov_b32_e32 v50, v2
	s_set_gpr_idx_off
	v_mov_b32_e32 v49, v33
	v_mov_b32_e32 v48, v32
	;; [unrolled: 1-line block ×34, first 2 shown]
	s_set_gpr_idx_on s0, gpr_idx(DST)
	v_mov_b32_e32 v18, v16
	v_mov_b32_e32 v19, v17
	s_set_gpr_idx_off
	v_mov_b32_e32 v2, v18
	v_mov_b32_e32 v3, v19
	;; [unrolled: 1-line block ×32, first 2 shown]
.LBB12_109:
	global_load_dword v0, v0, s[34:35] offset:24
	s_waitcnt vmcnt(0)
	v_readfirstlane_b32 s0, v0
	s_add_i32 s0, s0, -1
	s_cmp_eq_u32 s0, 6
	s_cbranch_scc1 .LBB12_111
; %bb.110:
	s_lshl_b32 s0, s0, 1
	s_set_gpr_idx_on s0, gpr_idx(SRC0)
	v_mov_b32_e32 v0, v3
	v_mov_b32_e32 v1, v2
	s_set_gpr_idx_off
	v_mov_b32_e32 v47, v33
	v_mov_b32_e32 v46, v32
	;; [unrolled: 1-line block ×34, first 2 shown]
	s_set_gpr_idx_on s0, gpr_idx(DST)
	v_mov_b32_e32 v16, v14
	v_mov_b32_e32 v17, v15
	s_set_gpr_idx_off
	v_mov_b32_e32 v2, v16
	v_mov_b32_e32 v3, v17
	v_mov_b32_e32 v4, v18
	v_mov_b32_e32 v5, v19
	v_mov_b32_e32 v6, v20
	v_mov_b32_e32 v7, v21
	v_mov_b32_e32 v8, v22
	v_mov_b32_e32 v9, v23
	v_mov_b32_e32 v10, v24
	v_mov_b32_e32 v11, v25
	v_mov_b32_e32 v12, v26
	v_mov_b32_e32 v13, v27
	v_mov_b32_e32 v14, v28
	v_mov_b32_e32 v15, v29
	v_mov_b32_e32 v16, v30
	v_mov_b32_e32 v17, v31
	v_mov_b32_e32 v18, v32
	v_mov_b32_e32 v19, v33
	v_mov_b32_e32 v20, v34
	v_mov_b32_e32 v21, v35
	v_mov_b32_e32 v22, v36
	v_mov_b32_e32 v23, v37
	v_mov_b32_e32 v24, v38
	v_mov_b32_e32 v25, v39
	v_mov_b32_e32 v26, v40
	v_mov_b32_e32 v27, v41
	v_mov_b32_e32 v28, v42
	v_mov_b32_e32 v29, v43
	v_mov_b32_e32 v30, v44
	v_mov_b32_e32 v31, v45
	v_mov_b32_e32 v32, v46
	v_mov_b32_e32 v33, v47
.LBB12_111:
	v_mov_b32_e32 v0, 0
	global_load_dword v1, v0, s[34:35] offset:20
	s_waitcnt vmcnt(0)
	v_readfirstlane_b32 s0, v1
	s_add_i32 s0, s0, -1
	s_cmp_eq_u32 s0, 5
	s_cbranch_scc1 .LBB12_113
; %bb.112:
	s_lshl_b32 s0, s0, 1
	s_set_gpr_idx_on s0, gpr_idx(SRC0)
	v_mov_b32_e32 v1, v3
	v_mov_b32_e32 v46, v2
	s_set_gpr_idx_off
	v_mov_b32_e32 v45, v33
	v_mov_b32_e32 v44, v32
	;; [unrolled: 1-line block ×34, first 2 shown]
	s_set_gpr_idx_on s0, gpr_idx(DST)
	v_mov_b32_e32 v14, v12
	v_mov_b32_e32 v15, v13
	s_set_gpr_idx_off
	v_mov_b32_e32 v2, v14
	v_mov_b32_e32 v3, v15
	;; [unrolled: 1-line block ×32, first 2 shown]
.LBB12_113:
	global_load_dword v0, v0, s[34:35] offset:16
	s_waitcnt vmcnt(0)
	v_readfirstlane_b32 s0, v0
	s_add_i32 s0, s0, -1
	s_cmp_eq_u32 s0, 4
	s_cbranch_scc1 .LBB12_115
; %bb.114:
	s_lshl_b32 s0, s0, 1
	s_set_gpr_idx_on s0, gpr_idx(SRC0)
	v_mov_b32_e32 v0, v3
	v_mov_b32_e32 v1, v2
	s_set_gpr_idx_off
	v_mov_b32_e32 v43, v33
	v_mov_b32_e32 v42, v32
	;; [unrolled: 1-line block ×34, first 2 shown]
	s_set_gpr_idx_on s0, gpr_idx(DST)
	v_mov_b32_e32 v12, v10
	v_mov_b32_e32 v13, v11
	s_set_gpr_idx_off
	v_mov_b32_e32 v2, v12
	v_mov_b32_e32 v3, v13
	;; [unrolled: 1-line block ×32, first 2 shown]
.LBB12_115:
	v_mov_b32_e32 v0, 0
	global_load_dword v1, v0, s[34:35] offset:12
	s_waitcnt vmcnt(0)
	v_readfirstlane_b32 s0, v1
	s_add_i32 s0, s0, -1
	s_cmp_eq_u32 s0, 3
	s_cbranch_scc1 .LBB12_117
; %bb.116:
	s_lshl_b32 s0, s0, 1
	s_set_gpr_idx_on s0, gpr_idx(SRC0)
	v_mov_b32_e32 v1, v3
	v_mov_b32_e32 v42, v2
	s_set_gpr_idx_off
	v_mov_b32_e32 v41, v33
	v_mov_b32_e32 v40, v32
	;; [unrolled: 1-line block ×34, first 2 shown]
	s_set_gpr_idx_on s0, gpr_idx(DST)
	v_mov_b32_e32 v10, v8
	v_mov_b32_e32 v11, v9
	s_set_gpr_idx_off
	v_mov_b32_e32 v2, v10
	v_mov_b32_e32 v3, v11
	;; [unrolled: 1-line block ×32, first 2 shown]
.LBB12_117:
	global_load_dword v0, v0, s[34:35] offset:8
	s_waitcnt vmcnt(0)
	v_readfirstlane_b32 s0, v0
	s_add_i32 s0, s0, -1
	s_cmp_eq_u32 s0, 2
	s_cbranch_scc1 .LBB12_119
; %bb.118:
	s_lshl_b32 s0, s0, 1
	s_set_gpr_idx_on s0, gpr_idx(SRC0)
	v_mov_b32_e32 v0, v3
	v_mov_b32_e32 v1, v2
	s_set_gpr_idx_off
	v_mov_b32_e32 v39, v33
	v_mov_b32_e32 v38, v32
	;; [unrolled: 1-line block ×34, first 2 shown]
	s_set_gpr_idx_on s0, gpr_idx(DST)
	v_mov_b32_e32 v8, v6
	v_mov_b32_e32 v9, v7
	s_set_gpr_idx_off
	v_mov_b32_e32 v2, v8
	v_mov_b32_e32 v3, v9
	;; [unrolled: 1-line block ×32, first 2 shown]
.LBB12_119:
	v_mov_b32_e32 v0, 0
	global_load_dword v1, v0, s[34:35] offset:4
	s_waitcnt vmcnt(0)
	v_readfirstlane_b32 s0, v1
	s_add_i32 s0, s0, -1
	s_cmp_eq_u32 s0, 1
	s_cbranch_scc1 .LBB12_121
; %bb.120:
	s_lshl_b32 s0, s0, 1
	s_set_gpr_idx_on s0, gpr_idx(SRC0)
	v_mov_b32_e32 v1, v3
	v_mov_b32_e32 v38, v2
	s_set_gpr_idx_off
	v_mov_b32_e32 v37, v33
	v_mov_b32_e32 v36, v32
	;; [unrolled: 1-line block ×34, first 2 shown]
	s_set_gpr_idx_on s0, gpr_idx(DST)
	v_mov_b32_e32 v6, v4
	v_mov_b32_e32 v7, v5
	s_set_gpr_idx_off
	v_mov_b32_e32 v2, v6
	v_mov_b32_e32 v3, v7
	;; [unrolled: 1-line block ×32, first 2 shown]
.LBB12_121:
	global_load_dword v0, v0, s[34:35]
	s_waitcnt vmcnt(0)
	v_readfirstlane_b32 s0, v0
	s_add_i32 s0, s0, -1
	s_cmp_eq_u32 s0, 0
	s_cbranch_scc1 .LBB12_123
; %bb.122:
	s_lshl_b32 s0, s0, 1
	s_set_gpr_idx_on s0, gpr_idx(SRC0)
	v_mov_b32_e32 v0, v3
	v_mov_b32_e32 v1, v2
	s_set_gpr_idx_off
	v_mov_b32_e32 v35, v33
	v_mov_b32_e32 v34, v32
	v_mov_b32_e32 v33, v31
	v_mov_b32_e32 v32, v30
	v_mov_b32_e32 v31, v29
	v_mov_b32_e32 v30, v28
	v_mov_b32_e32 v29, v27
	v_mov_b32_e32 v28, v26
	v_mov_b32_e32 v27, v25
	v_mov_b32_e32 v26, v24
	v_mov_b32_e32 v25, v23
	v_mov_b32_e32 v24, v22
	v_mov_b32_e32 v23, v21
	v_mov_b32_e32 v22, v20
	v_mov_b32_e32 v21, v19
	v_mov_b32_e32 v20, v18
	v_mov_b32_e32 v19, v17
	v_mov_b32_e32 v18, v16
	v_mov_b32_e32 v17, v15
	v_mov_b32_e32 v16, v14
	v_mov_b32_e32 v15, v13
	v_mov_b32_e32 v14, v12
	v_mov_b32_e32 v13, v11
	v_mov_b32_e32 v12, v10
	v_mov_b32_e32 v11, v9
	v_mov_b32_e32 v10, v8
	v_mov_b32_e32 v9, v7
	v_mov_b32_e32 v8, v6
	v_mov_b32_e32 v7, v5
	v_mov_b32_e32 v6, v4
	v_mov_b32_e32 v5, v3
	v_mov_b32_e32 v4, v2
	v_mov_b32_e32 v4, v1
	v_mov_b32_e32 v5, v0
	s_set_gpr_idx_on s0, gpr_idx(DST)
	v_mov_b32_e32 v4, v2
	v_mov_b32_e32 v5, v3
	s_set_gpr_idx_off
	v_mov_b32_e32 v2, v4
	v_mov_b32_e32 v3, v5
	;; [unrolled: 1-line block ×32, first 2 shown]
.LBB12_123:
	v_mov_b32_e32 v0, v2
	v_mov_b32_e32 v1, v3
	global_store_dwordx2 v[82:83], v[0:1], off
	v_mov_b32_e32 v0, v4
	v_mov_b32_e32 v1, v5
	global_store_dwordx2 v[84:85], v[0:1], off
	;; [unrolled: 3-line block ×13, first 2 shown]
	s_endpgm
	.section	.rodata,"a",@progbits
	.p2align	6, 0x0
	.amdhsa_kernel _ZN9rocsolver6v33100L18getri_kernel_smallILi13EdPdEEvT1_iilPiilS4_bb
		.amdhsa_group_segment_fixed_size 216
		.amdhsa_private_segment_fixed_size 0
		.amdhsa_kernarg_size 60
		.amdhsa_user_sgpr_count 6
		.amdhsa_user_sgpr_private_segment_buffer 1
		.amdhsa_user_sgpr_dispatch_ptr 0
		.amdhsa_user_sgpr_queue_ptr 0
		.amdhsa_user_sgpr_kernarg_segment_ptr 1
		.amdhsa_user_sgpr_dispatch_id 0
		.amdhsa_user_sgpr_flat_scratch_init 0
		.amdhsa_user_sgpr_private_segment_size 0
		.amdhsa_uses_dynamic_stack 0
		.amdhsa_system_sgpr_private_segment_wavefront_offset 0
		.amdhsa_system_sgpr_workgroup_id_x 1
		.amdhsa_system_sgpr_workgroup_id_y 0
		.amdhsa_system_sgpr_workgroup_id_z 0
		.amdhsa_system_sgpr_workgroup_info 0
		.amdhsa_system_vgpr_workitem_id 0
		.amdhsa_next_free_vgpr 88
		.amdhsa_next_free_sgpr 48
		.amdhsa_reserve_vcc 1
		.amdhsa_reserve_flat_scratch 0
		.amdhsa_float_round_mode_32 0
		.amdhsa_float_round_mode_16_64 0
		.amdhsa_float_denorm_mode_32 3
		.amdhsa_float_denorm_mode_16_64 3
		.amdhsa_dx10_clamp 1
		.amdhsa_ieee_mode 1
		.amdhsa_fp16_overflow 0
		.amdhsa_exception_fp_ieee_invalid_op 0
		.amdhsa_exception_fp_denorm_src 0
		.amdhsa_exception_fp_ieee_div_zero 0
		.amdhsa_exception_fp_ieee_overflow 0
		.amdhsa_exception_fp_ieee_underflow 0
		.amdhsa_exception_fp_ieee_inexact 0
		.amdhsa_exception_int_div_zero 0
	.end_amdhsa_kernel
	.section	.text._ZN9rocsolver6v33100L18getri_kernel_smallILi13EdPdEEvT1_iilPiilS4_bb,"axG",@progbits,_ZN9rocsolver6v33100L18getri_kernel_smallILi13EdPdEEvT1_iilPiilS4_bb,comdat
.Lfunc_end12:
	.size	_ZN9rocsolver6v33100L18getri_kernel_smallILi13EdPdEEvT1_iilPiilS4_bb, .Lfunc_end12-_ZN9rocsolver6v33100L18getri_kernel_smallILi13EdPdEEvT1_iilPiilS4_bb
                                        ; -- End function
	.set _ZN9rocsolver6v33100L18getri_kernel_smallILi13EdPdEEvT1_iilPiilS4_bb.num_vgpr, 88
	.set _ZN9rocsolver6v33100L18getri_kernel_smallILi13EdPdEEvT1_iilPiilS4_bb.num_agpr, 0
	.set _ZN9rocsolver6v33100L18getri_kernel_smallILi13EdPdEEvT1_iilPiilS4_bb.numbered_sgpr, 48
	.set _ZN9rocsolver6v33100L18getri_kernel_smallILi13EdPdEEvT1_iilPiilS4_bb.num_named_barrier, 0
	.set _ZN9rocsolver6v33100L18getri_kernel_smallILi13EdPdEEvT1_iilPiilS4_bb.private_seg_size, 0
	.set _ZN9rocsolver6v33100L18getri_kernel_smallILi13EdPdEEvT1_iilPiilS4_bb.uses_vcc, 1
	.set _ZN9rocsolver6v33100L18getri_kernel_smallILi13EdPdEEvT1_iilPiilS4_bb.uses_flat_scratch, 0
	.set _ZN9rocsolver6v33100L18getri_kernel_smallILi13EdPdEEvT1_iilPiilS4_bb.has_dyn_sized_stack, 0
	.set _ZN9rocsolver6v33100L18getri_kernel_smallILi13EdPdEEvT1_iilPiilS4_bb.has_recursion, 0
	.set _ZN9rocsolver6v33100L18getri_kernel_smallILi13EdPdEEvT1_iilPiilS4_bb.has_indirect_call, 0
	.section	.AMDGPU.csdata,"",@progbits
; Kernel info:
; codeLenInByte = 16544
; TotalNumSgprs: 52
; NumVgprs: 88
; ScratchSize: 0
; MemoryBound: 0
; FloatMode: 240
; IeeeMode: 1
; LDSByteSize: 216 bytes/workgroup (compile time only)
; SGPRBlocks: 6
; VGPRBlocks: 21
; NumSGPRsForWavesPerEU: 52
; NumVGPRsForWavesPerEU: 88
; Occupancy: 2
; WaveLimiterHint : 0
; COMPUTE_PGM_RSRC2:SCRATCH_EN: 0
; COMPUTE_PGM_RSRC2:USER_SGPR: 6
; COMPUTE_PGM_RSRC2:TRAP_HANDLER: 0
; COMPUTE_PGM_RSRC2:TGID_X_EN: 1
; COMPUTE_PGM_RSRC2:TGID_Y_EN: 0
; COMPUTE_PGM_RSRC2:TGID_Z_EN: 0
; COMPUTE_PGM_RSRC2:TIDIG_COMP_CNT: 0
	.section	.text._ZN9rocsolver6v33100L18getri_kernel_smallILi14EdPdEEvT1_iilPiilS4_bb,"axG",@progbits,_ZN9rocsolver6v33100L18getri_kernel_smallILi14EdPdEEvT1_iilPiilS4_bb,comdat
	.globl	_ZN9rocsolver6v33100L18getri_kernel_smallILi14EdPdEEvT1_iilPiilS4_bb ; -- Begin function _ZN9rocsolver6v33100L18getri_kernel_smallILi14EdPdEEvT1_iilPiilS4_bb
	.p2align	8
	.type	_ZN9rocsolver6v33100L18getri_kernel_smallILi14EdPdEEvT1_iilPiilS4_bb,@function
_ZN9rocsolver6v33100L18getri_kernel_smallILi14EdPdEEvT1_iilPiilS4_bb: ; @_ZN9rocsolver6v33100L18getri_kernel_smallILi14EdPdEEvT1_iilPiilS4_bb
; %bb.0:
	v_cmp_gt_u32_e32 vcc, 14, v0
	s_and_saveexec_b64 s[0:1], vcc
	s_cbranch_execz .LBB13_16
; %bb.1:
	s_load_dword s0, s[4:5], 0x38
	s_load_dwordx4 s[8:11], s[4:5], 0x10
	s_load_dwordx4 s[36:39], s[4:5], 0x28
                                        ; implicit-def: $sgpr40_sgpr41
	s_waitcnt lgkmcnt(0)
	s_bitcmp1_b32 s0, 8
	s_cselect_b64 s[42:43], -1, 0
	s_ashr_i32 s7, s6, 31
	s_bfe_u32 s0, s0, 0x10008
	s_cmp_eq_u32 s0, 0
	s_cbranch_scc1 .LBB13_3
; %bb.2:
	s_load_dword s0, s[4:5], 0x20
	s_mul_i32 s1, s36, s7
	s_mul_hi_u32 s2, s36, s6
	s_mul_i32 s3, s37, s6
	s_add_i32 s2, s2, s1
	s_add_i32 s3, s2, s3
	s_mul_i32 s2, s36, s6
	s_waitcnt lgkmcnt(0)
	s_ashr_i32 s1, s0, 31
	s_lshl_b64 s[2:3], s[2:3], 2
	s_add_u32 s2, s10, s2
	s_addc_u32 s3, s11, s3
	s_lshl_b64 s[0:1], s[0:1], 2
	s_add_u32 s40, s2, s0
	s_addc_u32 s41, s3, s1
.LBB13_3:
	s_load_dwordx4 s[0:3], s[4:5], 0x0
	s_load_dword s10, s[4:5], 0x38
	s_mul_i32 s11, s8, s7
	s_mul_hi_u32 s12, s8, s6
	s_mul_i32 s9, s9, s6
	s_waitcnt lgkmcnt(0)
	s_ashr_i32 s5, s2, 31
	s_mov_b32 s4, s2
	s_add_i32 s2, s12, s11
	s_add_i32 s9, s2, s9
	s_mul_i32 s8, s8, s6
	s_lshl_b64 s[8:9], s[8:9], 3
	s_add_u32 s2, s0, s8
	s_addc_u32 s8, s1, s9
	s_lshl_b64 s[0:1], s[4:5], 3
	s_add_u32 s0, s2, s0
	s_addc_u32 s1, s8, s1
	s_add_i32 s2, s3, s3
	v_add_u32_e32 v1, s2, v0
	v_ashrrev_i32_e32 v2, 31, v1
	v_lshlrev_b64 v[2:3], 3, v[1:2]
	v_add_u32_e32 v1, s3, v1
	v_mov_b32_e32 v4, s1
	v_add_co_u32_e32 v60, vcc, s0, v2
	v_ashrrev_i32_e32 v2, 31, v1
	v_addc_co_u32_e32 v61, vcc, v4, v3, vcc
	v_lshlrev_b64 v[2:3], 3, v[1:2]
	v_add_u32_e32 v1, s3, v1
	v_add_co_u32_e32 v62, vcc, s0, v2
	v_ashrrev_i32_e32 v2, 31, v1
	v_addc_co_u32_e32 v63, vcc, v4, v3, vcc
	v_lshlrev_b64 v[2:3], 3, v[1:2]
	v_add_u32_e32 v1, s3, v1
	;; [unrolled: 5-line block ×10, first 2 shown]
	v_add_co_u32_e32 v80, vcc, s0, v2
	v_ashrrev_i32_e32 v2, 31, v1
	v_lshlrev_b64 v[1:2], 3, v[1:2]
	v_addc_co_u32_e32 v81, vcc, v4, v3, vcc
	v_mov_b32_e32 v3, s1
	v_add_co_u32_e32 v82, vcc, s0, v1
	v_addc_co_u32_e32 v83, vcc, v3, v2, vcc
	v_lshlrev_b32_e32 v32, 3, v0
	v_mov_b32_e32 v1, s1
	v_add_co_u32_e32 v84, vcc, s0, v32
	s_ashr_i32 s5, s3, 31
	s_mov_b32 s4, s3
	v_addc_co_u32_e32 v85, vcc, 0, v1, vcc
	s_lshl_b64 s[2:3], s[4:5], 3
	v_mov_b32_e32 v1, s3
	v_add_co_u32_e32 v86, vcc, s2, v84
	v_addc_co_u32_e32 v87, vcc, v85, v1, vcc
	global_load_dwordx2 v[2:3], v32, s[0:1]
	global_load_dwordx2 v[4:5], v[86:87], off
	global_load_dwordx2 v[6:7], v[60:61], off
	;; [unrolled: 1-line block ×13, first 2 shown]
	v_mov_b32_e32 v1, 0
	s_bitcmp0_b32 s10, 0
	s_mov_b64 s[0:1], -1
	s_cbranch_scc1 .LBB13_14
; %bb.4:
	v_cmp_eq_u32_e64 s[0:1], 0, v0
	s_and_saveexec_b64 s[2:3], s[0:1]
; %bb.5:
	v_mov_b32_e32 v30, 0
	ds_write_b32 v30, v30 offset:224
; %bb.6:
	s_or_b64 exec, exec, s[2:3]
	v_cmp_eq_u32_e32 vcc, 1, v0
	s_waitcnt vmcnt(12)
	v_cndmask_b32_e32 v30, v3, v5, vcc
	v_cmp_eq_u32_e64 s[2:3], 2, v0
	s_waitcnt vmcnt(11)
	v_cndmask_b32_e64 v30, v30, v7, s[2:3]
	v_cmp_eq_u32_e64 s[4:5], 3, v0
	s_waitcnt vmcnt(10)
	v_cndmask_b32_e64 v30, v30, v9, s[4:5]
	;; [unrolled: 3-line block ×12, first 2 shown]
	v_cndmask_b32_e32 v30, v2, v4, vcc
	v_cndmask_b32_e64 v30, v30, v6, s[2:3]
	v_cndmask_b32_e64 v30, v30, v8, s[4:5]
	;; [unrolled: 1-line block ×12, first 2 shown]
	v_cmp_eq_f64_e32 vcc, 0, v[30:31]
	s_waitcnt lgkmcnt(0)
	; wave barrier
	s_and_saveexec_b64 s[4:5], vcc
	s_cbranch_execz .LBB13_10
; %bb.7:
	v_mov_b32_e32 v33, 0
	ds_read_b32 v35, v33 offset:224
	v_add_u32_e32 v34, 1, v0
	s_waitcnt lgkmcnt(0)
	v_readfirstlane_b32 s2, v35
	s_cmp_eq_u32 s2, 0
	s_cselect_b64 s[8:9], -1, 0
	v_cmp_gt_i32_e32 vcc, s2, v34
	s_or_b64 s[8:9], s[8:9], vcc
	s_and_b64 exec, exec, s[8:9]
	s_cbranch_execz .LBB13_10
; %bb.8:
	s_mov_b64 s[8:9], 0
	v_mov_b32_e32 v35, s2
.LBB13_9:                               ; =>This Inner Loop Header: Depth=1
	ds_cmpst_rtn_b32 v35, v33, v35, v34 offset:224
	s_waitcnt lgkmcnt(0)
	v_cmp_ne_u32_e32 vcc, 0, v35
	v_cmp_le_i32_e64 s[2:3], v35, v34
	s_and_b64 s[2:3], vcc, s[2:3]
	s_and_b64 s[2:3], exec, s[2:3]
	s_or_b64 s[8:9], s[2:3], s[8:9]
	s_andn2_b64 exec, exec, s[8:9]
	s_cbranch_execnz .LBB13_9
.LBB13_10:
	s_or_b64 exec, exec, s[4:5]
	v_mov_b32_e32 v34, 0
	; wave barrier
	ds_read_b32 v33, v34 offset:224
	s_and_saveexec_b64 s[2:3], s[0:1]
	s_cbranch_execz .LBB13_12
; %bb.11:
	s_lshl_b64 s[4:5], s[6:7], 2
	s_add_u32 s4, s38, s4
	s_addc_u32 s5, s39, s5
	s_waitcnt lgkmcnt(0)
	global_store_dword v34, v33, s[4:5]
.LBB13_12:
	s_or_b64 exec, exec, s[2:3]
	s_waitcnt lgkmcnt(0)
	v_cmp_ne_u32_e32 vcc, 0, v33
	s_cbranch_vccz .LBB13_17
; %bb.13:
	s_mov_b64 s[0:1], 0
                                        ; implicit-def: $vgpr2_vgpr3_vgpr4_vgpr5_vgpr6_vgpr7_vgpr8_vgpr9_vgpr10_vgpr11_vgpr12_vgpr13_vgpr14_vgpr15_vgpr16_vgpr17_vgpr18_vgpr19_vgpr20_vgpr21_vgpr22_vgpr23_vgpr24_vgpr25_vgpr26_vgpr27_vgpr28_vgpr29_vgpr30_vgpr31_vgpr32_vgpr33
.LBB13_14:
	s_and_b64 vcc, exec, s[0:1]
	s_cbranch_vccz .LBB13_16
.LBB13_15:
	s_lshl_b64 s[0:1], s[6:7], 2
	s_add_u32 s0, s38, s0
	s_addc_u32 s1, s39, s1
	v_mov_b32_e32 v1, 0
	global_load_dword v1, v1, s[0:1]
	s_waitcnt vmcnt(0)
	v_cmp_ne_u32_e32 vcc, 0, v1
	s_cbranch_vccz .LBB13_78
.LBB13_16:
	s_endpgm
.LBB13_17:
	v_div_scale_f64 v[33:34], s[2:3], v[30:31], v[30:31], 1.0
	v_rcp_f64_e32 v[35:36], v[33:34]
	v_fma_f64 v[37:38], -v[33:34], v[35:36], 1.0
	v_fma_f64 v[35:36], v[35:36], v[37:38], v[35:36]
	v_div_scale_f64 v[37:38], vcc, 1.0, v[30:31], 1.0
	v_fma_f64 v[39:40], -v[33:34], v[35:36], 1.0
	v_fma_f64 v[35:36], v[35:36], v[39:40], v[35:36]
	v_mul_f64 v[39:40], v[37:38], v[35:36]
	v_fma_f64 v[33:34], -v[33:34], v[39:40], v[37:38]
	v_div_fmas_f64 v[33:34], v[33:34], v[35:36], v[39:40]
	v_cmp_eq_u32_e32 vcc, 13, v0
	v_div_fixup_f64 v[30:31], v[33:34], v[30:31], 1.0
	v_add_u32_e32 v34, 0x70, v32
	v_cndmask_b32_e32 v29, v29, v31, vcc
	v_cndmask_b32_e32 v28, v28, v30, vcc
	v_cmp_eq_u32_e32 vcc, 12, v0
	v_cndmask_b32_e32 v27, v27, v31, vcc
	v_cndmask_b32_e32 v26, v26, v30, vcc
	v_cmp_eq_u32_e32 vcc, 11, v0
	;; [unrolled: 3-line block ×13, first 2 shown]
	v_cndmask_b32_e32 v3, v3, v31, vcc
	v_cndmask_b32_e32 v2, v2, v30, vcc
	v_xor_b32_e32 v36, 0x80000000, v31
	v_mov_b32_e32 v35, v30
	ds_write2_b64 v32, v[35:36], v[4:5] offset1:14
	s_waitcnt lgkmcnt(0)
	; wave barrier
	s_and_saveexec_b64 s[2:3], s[0:1]
	s_cbranch_execz .LBB13_19
; %bb.18:
	ds_read_b64 v[4:5], v34
	v_mov_b32_e32 v32, 0
	ds_read_b64 v[32:33], v32 offset:8
	s_waitcnt lgkmcnt(1)
	v_fma_f64 v[4:5], v[30:31], v[4:5], 0
	s_waitcnt lgkmcnt(0)
	v_mul_f64 v[4:5], v[4:5], v[32:33]
.LBB13_19:
	s_or_b64 exec, exec, s[2:3]
	v_cmp_gt_u32_e32 vcc, 2, v0
	; wave barrier
	ds_write_b64 v34, v[6:7]
	s_waitcnt lgkmcnt(0)
	; wave barrier
	s_and_saveexec_b64 s[30:31], vcc
	s_cbranch_execz .LBB13_21
; %bb.20:
	v_cmp_eq_u32_e64 s[2:3], 1, v0
	v_cndmask_b32_e64 v30, v3, v5, s[2:3]
	v_cmp_eq_u32_e64 s[4:5], 2, v0
	v_cndmask_b32_e64 v7, v30, v7, s[4:5]
	v_cndmask_b32_e64 v30, v2, v4, s[2:3]
	v_cmp_eq_u32_e64 s[8:9], 3, v0
	v_cndmask_b32_e64 v6, v30, v6, s[4:5]
	;; [unrolled: 3-line block ×9, first 2 shown]
	ds_read_b64 v[30:31], v34
	v_cndmask_b32_e64 v7, v7, v23, s[22:23]
	v_cmp_eq_u32_e64 s[24:25], 11, v0
	v_cndmask_b32_e64 v6, v6, v22, s[22:23]
	v_cndmask_b32_e64 v7, v7, v25, s[24:25]
	v_cmp_eq_u32_e64 s[26:27], 12, v0
	v_cndmask_b32_e64 v6, v6, v24, s[24:25]
	;; [unrolled: 3-line block ×3, first 2 shown]
	v_cndmask_b32_e64 v7, v7, v29, s[28:29]
	v_cndmask_b32_e64 v6, v6, v28, s[28:29]
	s_waitcnt lgkmcnt(0)
	v_fma_f64 v[6:7], v[6:7], v[30:31], 0
	v_mov_b32_e32 v30, 0
	ds_read2_b64 v[30:33], v30 offset0:2 offset1:15
	s_waitcnt lgkmcnt(0)
	v_fma_f64 v[32:33], v[4:5], v[32:33], v[6:7]
	v_cndmask_b32_e64 v7, v7, v33, s[0:1]
	v_cndmask_b32_e64 v6, v6, v32, s[0:1]
	v_mul_f64 v[6:7], v[6:7], v[30:31]
.LBB13_21:
	s_or_b64 exec, exec, s[30:31]
	v_cmp_gt_u32_e64 s[2:3], 3, v0
	; wave barrier
	ds_write_b64 v34, v[8:9]
	s_waitcnt lgkmcnt(0)
	; wave barrier
	s_and_saveexec_b64 s[8:9], s[2:3]
	s_cbranch_execz .LBB13_25
; %bb.22:
	v_mov_b32_e32 v30, 0x70
	v_lshl_add_u32 v35, v0, 3, v30
	v_mov_b32_e32 v30, 0
	v_mov_b32_e32 v33, v1
	v_mov_b32_e32 v31, 0
	s_mov_b64 s[10:11], 0
	v_mov_b32_e32 v32, v0
.LBB13_23:                              ; =>This Inner Loop Header: Depth=1
	v_cmp_eq_u32_e64 s[2:3], 1, v32
	v_cndmask_b32_e64 v38, v3, v5, s[2:3]
	v_cmp_eq_u32_e64 s[4:5], 2, v32
	v_cndmask_b32_e64 v38, v38, v7, s[4:5]
	v_cndmask_b32_e64 v39, v2, v4, s[2:3]
	v_cmp_eq_u32_e64 s[2:3], 3, v32
	v_cndmask_b32_e64 v38, v38, v9, s[2:3]
	v_cndmask_b32_e64 v39, v39, v6, s[4:5]
	v_cmp_eq_u32_e64 s[4:5], 4, v32
	v_cndmask_b32_e64 v38, v38, v11, s[4:5]
	v_cndmask_b32_e64 v39, v39, v8, s[2:3]
	v_cmp_eq_u32_e64 s[2:3], 5, v32
	v_cndmask_b32_e64 v38, v38, v13, s[2:3]
	v_cndmask_b32_e64 v39, v39, v10, s[4:5]
	v_cmp_eq_u32_e64 s[4:5], 6, v32
	v_cndmask_b32_e64 v38, v38, v15, s[4:5]
	v_cndmask_b32_e64 v39, v39, v12, s[2:3]
	v_cmp_eq_u32_e64 s[2:3], 7, v32
	v_cndmask_b32_e64 v38, v38, v17, s[2:3]
	v_cndmask_b32_e64 v39, v39, v14, s[4:5]
	v_cmp_eq_u32_e64 s[4:5], 8, v32
	v_cndmask_b32_e64 v38, v38, v19, s[4:5]
	v_cndmask_b32_e64 v39, v39, v16, s[2:3]
	v_cmp_eq_u32_e64 s[2:3], 9, v32
	v_cndmask_b32_e64 v38, v38, v21, s[2:3]
	v_cndmask_b32_e64 v39, v39, v18, s[4:5]
	v_cmp_eq_u32_e64 s[4:5], 10, v32
	ds_read_b64 v[36:37], v35
	v_cndmask_b32_e64 v38, v38, v23, s[4:5]
	v_cndmask_b32_e64 v39, v39, v20, s[2:3]
	v_cmp_eq_u32_e64 s[2:3], 11, v32
	v_cndmask_b32_e64 v38, v38, v25, s[2:3]
	v_cndmask_b32_e64 v39, v39, v22, s[4:5]
	v_cmp_eq_u32_e64 s[4:5], 12, v32
	;; [unrolled: 3-line block ×3, first 2 shown]
	v_cndmask_b32_e64 v39, v38, v29, s[2:3]
	v_cndmask_b32_e64 v38, v40, v26, s[4:5]
	;; [unrolled: 1-line block ×3, first 2 shown]
	s_waitcnt lgkmcnt(0)
	v_fma_f64 v[30:31], v[38:39], v[36:37], v[30:31]
	v_add_co_u32_e64 v32, s[2:3], 1, v32
	v_addc_co_u32_e64 v33, s[2:3], 0, v33, s[2:3]
	v_add_u32_e32 v36, -1, v32
	v_cmp_lt_u32_e64 s[2:3], 1, v36
	s_or_b64 s[10:11], s[2:3], s[10:11]
	v_add_u32_e32 v35, 8, v35
	s_andn2_b64 exec, exec, s[10:11]
	s_cbranch_execnz .LBB13_23
; %bb.24:
	s_or_b64 exec, exec, s[10:11]
	v_mov_b32_e32 v8, 0
	ds_read_b64 v[8:9], v8 offset:24
	s_waitcnt lgkmcnt(0)
	v_mul_f64 v[8:9], v[30:31], v[8:9]
.LBB13_25:
	s_or_b64 exec, exec, s[8:9]
	v_cmp_gt_u32_e64 s[2:3], 4, v0
	; wave barrier
	ds_write_b64 v34, v[10:11]
	s_waitcnt lgkmcnt(0)
	; wave barrier
	s_and_saveexec_b64 s[10:11], s[2:3]
	s_cbranch_execz .LBB13_29
; %bb.26:
	v_mov_b32_e32 v30, 0x70
	v_lshl_add_u32 v35, v0, 3, v30
	v_mov_b32_e32 v30, 0
	v_mov_b32_e32 v33, v1
	;; [unrolled: 1-line block ×3, first 2 shown]
	s_mov_b64 s[12:13], 0
	v_mov_b32_e32 v32, v0
.LBB13_27:                              ; =>This Inner Loop Header: Depth=1
	v_cmp_eq_u32_e64 s[4:5], 1, v32
	v_cndmask_b32_e64 v38, v3, v5, s[4:5]
	v_cmp_eq_u32_e64 s[8:9], 2, v32
	v_cndmask_b32_e64 v38, v38, v7, s[8:9]
	v_cndmask_b32_e64 v39, v2, v4, s[4:5]
	v_cmp_eq_u32_e64 s[4:5], 3, v32
	v_cndmask_b32_e64 v38, v38, v9, s[4:5]
	;; [unrolled: 3-line block ×8, first 2 shown]
	v_cndmask_b32_e64 v39, v39, v18, s[8:9]
	v_cmp_eq_u32_e64 s[8:9], 10, v32
	ds_read_b64 v[36:37], v35
	v_cndmask_b32_e64 v38, v38, v23, s[8:9]
	v_cndmask_b32_e64 v39, v39, v20, s[4:5]
	v_cmp_eq_u32_e64 s[4:5], 11, v32
	v_cndmask_b32_e64 v38, v38, v25, s[4:5]
	v_cndmask_b32_e64 v39, v39, v22, s[8:9]
	v_cmp_eq_u32_e64 s[8:9], 12, v32
	;; [unrolled: 3-line block ×3, first 2 shown]
	v_cndmask_b32_e64 v39, v38, v29, s[4:5]
	v_cndmask_b32_e64 v38, v40, v26, s[8:9]
	v_cndmask_b32_e64 v38, v38, v28, s[4:5]
	s_waitcnt lgkmcnt(0)
	v_fma_f64 v[30:31], v[38:39], v[36:37], v[30:31]
	v_add_co_u32_e64 v32, s[4:5], 1, v32
	v_addc_co_u32_e64 v33, s[4:5], 0, v33, s[4:5]
	v_add_u32_e32 v36, -1, v32
	v_cmp_lt_u32_e64 s[4:5], 2, v36
	s_or_b64 s[12:13], s[4:5], s[12:13]
	v_add_u32_e32 v35, 8, v35
	s_andn2_b64 exec, exec, s[12:13]
	s_cbranch_execnz .LBB13_27
; %bb.28:
	s_or_b64 exec, exec, s[12:13]
	v_mov_b32_e32 v10, 0
	ds_read_b64 v[10:11], v10 offset:32
	s_waitcnt lgkmcnt(0)
	v_mul_f64 v[10:11], v[30:31], v[10:11]
.LBB13_29:
	s_or_b64 exec, exec, s[10:11]
	v_cmp_gt_u32_e64 s[4:5], 5, v0
	; wave barrier
	ds_write_b64 v34, v[12:13]
	s_waitcnt lgkmcnt(0)
	; wave barrier
	s_and_saveexec_b64 s[10:11], s[4:5]
	s_cbranch_execz .LBB13_33
; %bb.30:
	v_mov_b32_e32 v30, 0x70
	v_lshl_add_u32 v35, v0, 3, v30
	v_mov_b32_e32 v30, 0
	v_mov_b32_e32 v33, v1
	;; [unrolled: 1-line block ×3, first 2 shown]
	s_mov_b64 s[12:13], 0
	v_mov_b32_e32 v32, v0
.LBB13_31:                              ; =>This Inner Loop Header: Depth=1
	v_cmp_eq_u32_e64 s[4:5], 1, v32
	v_cndmask_b32_e64 v38, v3, v5, s[4:5]
	v_cmp_eq_u32_e64 s[8:9], 2, v32
	v_cndmask_b32_e64 v38, v38, v7, s[8:9]
	v_cndmask_b32_e64 v39, v2, v4, s[4:5]
	v_cmp_eq_u32_e64 s[4:5], 3, v32
	v_cndmask_b32_e64 v38, v38, v9, s[4:5]
	;; [unrolled: 3-line block ×8, first 2 shown]
	v_cndmask_b32_e64 v39, v39, v18, s[8:9]
	v_cmp_eq_u32_e64 s[8:9], 10, v32
	ds_read_b64 v[36:37], v35
	v_cndmask_b32_e64 v38, v38, v23, s[8:9]
	v_cndmask_b32_e64 v39, v39, v20, s[4:5]
	v_cmp_eq_u32_e64 s[4:5], 11, v32
	v_cndmask_b32_e64 v38, v38, v25, s[4:5]
	v_cndmask_b32_e64 v39, v39, v22, s[8:9]
	v_cmp_eq_u32_e64 s[8:9], 12, v32
	;; [unrolled: 3-line block ×3, first 2 shown]
	v_cndmask_b32_e64 v39, v38, v29, s[4:5]
	v_cndmask_b32_e64 v38, v40, v26, s[8:9]
	;; [unrolled: 1-line block ×3, first 2 shown]
	s_waitcnt lgkmcnt(0)
	v_fma_f64 v[30:31], v[38:39], v[36:37], v[30:31]
	v_add_co_u32_e64 v32, s[4:5], 1, v32
	v_addc_co_u32_e64 v33, s[4:5], 0, v33, s[4:5]
	v_add_u32_e32 v36, -1, v32
	v_cmp_lt_u32_e64 s[4:5], 3, v36
	s_or_b64 s[12:13], s[4:5], s[12:13]
	v_add_u32_e32 v35, 8, v35
	s_andn2_b64 exec, exec, s[12:13]
	s_cbranch_execnz .LBB13_31
; %bb.32:
	s_or_b64 exec, exec, s[12:13]
	v_mov_b32_e32 v12, 0
	ds_read_b64 v[12:13], v12 offset:40
	s_waitcnt lgkmcnt(0)
	v_mul_f64 v[12:13], v[30:31], v[12:13]
.LBB13_33:
	s_or_b64 exec, exec, s[10:11]
	v_cmp_gt_u32_e64 s[4:5], 6, v0
	; wave barrier
	ds_write_b64 v34, v[14:15]
	s_waitcnt lgkmcnt(0)
	; wave barrier
	s_and_saveexec_b64 s[12:13], s[4:5]
	s_cbranch_execz .LBB13_37
; %bb.34:
	v_mov_b32_e32 v30, 0x70
	v_lshl_add_u32 v35, v0, 3, v30
	v_mov_b32_e32 v30, 0
	v_mov_b32_e32 v33, v1
	;; [unrolled: 1-line block ×3, first 2 shown]
	s_mov_b64 s[14:15], 0
	v_mov_b32_e32 v32, v0
.LBB13_35:                              ; =>This Inner Loop Header: Depth=1
	v_cmp_eq_u32_e64 s[8:9], 1, v32
	v_cndmask_b32_e64 v38, v3, v5, s[8:9]
	v_cmp_eq_u32_e64 s[10:11], 2, v32
	v_cndmask_b32_e64 v38, v38, v7, s[10:11]
	v_cndmask_b32_e64 v39, v2, v4, s[8:9]
	v_cmp_eq_u32_e64 s[8:9], 3, v32
	v_cndmask_b32_e64 v38, v38, v9, s[8:9]
	;; [unrolled: 3-line block ×8, first 2 shown]
	v_cndmask_b32_e64 v39, v39, v18, s[10:11]
	v_cmp_eq_u32_e64 s[10:11], 10, v32
	ds_read_b64 v[36:37], v35
	v_cndmask_b32_e64 v38, v38, v23, s[10:11]
	v_cndmask_b32_e64 v39, v39, v20, s[8:9]
	v_cmp_eq_u32_e64 s[8:9], 11, v32
	v_cndmask_b32_e64 v38, v38, v25, s[8:9]
	v_cndmask_b32_e64 v39, v39, v22, s[10:11]
	v_cmp_eq_u32_e64 s[10:11], 12, v32
	;; [unrolled: 3-line block ×3, first 2 shown]
	v_cndmask_b32_e64 v39, v38, v29, s[8:9]
	v_cndmask_b32_e64 v38, v40, v26, s[10:11]
	;; [unrolled: 1-line block ×3, first 2 shown]
	s_waitcnt lgkmcnt(0)
	v_fma_f64 v[30:31], v[38:39], v[36:37], v[30:31]
	v_add_co_u32_e64 v32, s[8:9], 1, v32
	v_addc_co_u32_e64 v33, s[8:9], 0, v33, s[8:9]
	v_add_u32_e32 v36, -1, v32
	v_cmp_lt_u32_e64 s[8:9], 4, v36
	s_or_b64 s[14:15], s[8:9], s[14:15]
	v_add_u32_e32 v35, 8, v35
	s_andn2_b64 exec, exec, s[14:15]
	s_cbranch_execnz .LBB13_35
; %bb.36:
	s_or_b64 exec, exec, s[14:15]
	v_mov_b32_e32 v14, 0
	ds_read_b64 v[14:15], v14 offset:48
	s_waitcnt lgkmcnt(0)
	v_mul_f64 v[14:15], v[30:31], v[14:15]
.LBB13_37:
	s_or_b64 exec, exec, s[12:13]
	v_cmp_gt_u32_e64 s[8:9], 7, v0
	; wave barrier
	ds_write_b64 v34, v[16:17]
	s_waitcnt lgkmcnt(0)
	; wave barrier
	s_and_saveexec_b64 s[12:13], s[8:9]
	s_cbranch_execz .LBB13_41
; %bb.38:
	v_mov_b32_e32 v30, 0x70
	v_lshl_add_u32 v35, v0, 3, v30
	v_mov_b32_e32 v30, 0
	v_mov_b32_e32 v33, v1
	;; [unrolled: 1-line block ×3, first 2 shown]
	s_mov_b64 s[14:15], 0
	v_mov_b32_e32 v32, v0
.LBB13_39:                              ; =>This Inner Loop Header: Depth=1
	v_cmp_eq_u32_e64 s[8:9], 1, v32
	v_cndmask_b32_e64 v38, v3, v5, s[8:9]
	v_cmp_eq_u32_e64 s[10:11], 2, v32
	v_cndmask_b32_e64 v38, v38, v7, s[10:11]
	v_cndmask_b32_e64 v39, v2, v4, s[8:9]
	v_cmp_eq_u32_e64 s[8:9], 3, v32
	v_cndmask_b32_e64 v38, v38, v9, s[8:9]
	;; [unrolled: 3-line block ×8, first 2 shown]
	v_cndmask_b32_e64 v39, v39, v18, s[10:11]
	v_cmp_eq_u32_e64 s[10:11], 10, v32
	ds_read_b64 v[36:37], v35
	v_cndmask_b32_e64 v38, v38, v23, s[10:11]
	v_cndmask_b32_e64 v39, v39, v20, s[8:9]
	v_cmp_eq_u32_e64 s[8:9], 11, v32
	v_cndmask_b32_e64 v38, v38, v25, s[8:9]
	v_cndmask_b32_e64 v39, v39, v22, s[10:11]
	v_cmp_eq_u32_e64 s[10:11], 12, v32
	;; [unrolled: 3-line block ×3, first 2 shown]
	v_cndmask_b32_e64 v39, v38, v29, s[8:9]
	v_cndmask_b32_e64 v38, v40, v26, s[10:11]
	;; [unrolled: 1-line block ×3, first 2 shown]
	s_waitcnt lgkmcnt(0)
	v_fma_f64 v[30:31], v[38:39], v[36:37], v[30:31]
	v_add_co_u32_e64 v32, s[8:9], 1, v32
	v_addc_co_u32_e64 v33, s[8:9], 0, v33, s[8:9]
	v_add_u32_e32 v36, -1, v32
	v_cmp_lt_u32_e64 s[8:9], 5, v36
	s_or_b64 s[14:15], s[8:9], s[14:15]
	v_add_u32_e32 v35, 8, v35
	s_andn2_b64 exec, exec, s[14:15]
	s_cbranch_execnz .LBB13_39
; %bb.40:
	s_or_b64 exec, exec, s[14:15]
	v_mov_b32_e32 v16, 0
	ds_read_b64 v[16:17], v16 offset:56
	s_waitcnt lgkmcnt(0)
	v_mul_f64 v[16:17], v[30:31], v[16:17]
.LBB13_41:
	s_or_b64 exec, exec, s[12:13]
	v_cmp_gt_u32_e64 s[8:9], 8, v0
	; wave barrier
	ds_write_b64 v34, v[18:19]
	s_waitcnt lgkmcnt(0)
	; wave barrier
	s_and_saveexec_b64 s[36:37], s[8:9]
	s_cbranch_execz .LBB13_57
; %bb.42:
	v_cmp_eq_u32_e64 s[8:9], 1, v0
	v_cndmask_b32_e64 v30, v3, v5, s[8:9]
	v_cmp_eq_u32_e64 s[10:11], 2, v0
	v_cndmask_b32_e64 v30, v30, v7, s[10:11]
	;; [unrolled: 2-line block ×13, first 2 shown]
	v_cndmask_b32_e64 v30, v2, v4, s[8:9]
	v_cndmask_b32_e64 v30, v30, v6, s[10:11]
	;; [unrolled: 1-line block ×9, first 2 shown]
	ds_read_b64 v[32:33], v34
	v_cndmask_b32_e64 v30, v30, v22, s[26:27]
	v_cndmask_b32_e64 v30, v30, v24, s[28:29]
	;; [unrolled: 1-line block ×4, first 2 shown]
	s_waitcnt lgkmcnt(0)
	v_fma_f64 v[30:31], v[30:31], v[32:33], 0
	v_cmp_ne_u32_e64 s[8:9], 7, v0
	s_and_saveexec_b64 s[44:45], s[8:9]
	s_cbranch_execz .LBB13_56
; %bb.43:
	v_add_u32_e32 v32, 1, v0
	v_cmp_eq_u32_e64 s[8:9], 1, v32
	v_cndmask_b32_e64 v33, v3, v5, s[8:9]
	v_cmp_eq_u32_e64 s[10:11], 2, v32
	v_cmp_eq_u32_e64 s[12:13], 3, v32
	;; [unrolled: 1-line block ×12, first 2 shown]
	v_cndmask_b32_e64 v32, v2, v4, s[8:9]
	v_cndmask_b32_e64 v33, v33, v7, s[10:11]
	;; [unrolled: 1-line block ×17, first 2 shown]
	ds_read_b64 v[35:36], v34 offset:8
	v_cndmask_b32_e64 v33, v33, v23, s[26:27]
	v_cndmask_b32_e64 v32, v32, v22, s[26:27]
	;; [unrolled: 1-line block ×8, first 2 shown]
	s_waitcnt lgkmcnt(0)
	v_fma_f64 v[30:31], v[32:33], v[35:36], v[30:31]
	s_and_saveexec_b64 s[34:35], s[4:5]
	s_cbranch_execz .LBB13_55
; %bb.44:
	v_add_u32_e32 v32, 2, v0
	v_cmp_eq_u32_e64 s[4:5], 1, v32
	v_cndmask_b32_e64 v33, v3, v5, s[4:5]
	v_cmp_eq_u32_e64 s[8:9], 2, v32
	v_cmp_eq_u32_e64 s[10:11], 3, v32
	;; [unrolled: 1-line block ×12, first 2 shown]
	v_cndmask_b32_e64 v32, v2, v4, s[4:5]
	v_cndmask_b32_e64 v33, v33, v7, s[8:9]
	;; [unrolled: 1-line block ×17, first 2 shown]
	ds_read_b64 v[35:36], v34 offset:16
	v_cndmask_b32_e64 v33, v33, v23, s[24:25]
	v_cndmask_b32_e64 v32, v32, v22, s[24:25]
	;; [unrolled: 1-line block ×8, first 2 shown]
	s_waitcnt lgkmcnt(0)
	v_fma_f64 v[30:31], v[32:33], v[35:36], v[30:31]
	v_cmp_ne_u32_e64 s[4:5], 5, v0
	s_and_saveexec_b64 s[46:47], s[4:5]
	s_cbranch_execz .LBB13_54
; %bb.45:
	v_add_u32_e32 v32, 3, v0
	v_cmp_eq_u32_e64 s[4:5], 1, v32
	v_cndmask_b32_e64 v33, v3, v5, s[4:5]
	v_cmp_eq_u32_e64 s[8:9], 2, v32
	v_cmp_eq_u32_e64 s[10:11], 3, v32
	;; [unrolled: 1-line block ×12, first 2 shown]
	v_cndmask_b32_e64 v32, v2, v4, s[4:5]
	v_cndmask_b32_e64 v33, v33, v7, s[8:9]
	;; [unrolled: 1-line block ×17, first 2 shown]
	ds_read_b64 v[35:36], v34 offset:24
	v_cndmask_b32_e64 v33, v33, v23, s[24:25]
	v_cndmask_b32_e64 v32, v32, v22, s[24:25]
	v_cndmask_b32_e64 v33, v33, v25, s[26:27]
	v_cndmask_b32_e64 v32, v32, v24, s[26:27]
	v_cndmask_b32_e64 v33, v33, v27, s[28:29]
	v_cndmask_b32_e64 v32, v32, v26, s[28:29]
	v_cndmask_b32_e64 v33, v33, v29, s[30:31]
	v_cndmask_b32_e64 v32, v32, v28, s[30:31]
	s_waitcnt lgkmcnt(0)
	v_fma_f64 v[30:31], v[32:33], v[35:36], v[30:31]
	s_and_saveexec_b64 s[30:31], s[2:3]
	s_cbranch_execz .LBB13_53
; %bb.46:
	v_or_b32_e32 v32, 4, v0
	v_cmp_eq_u32_e64 s[2:3], 1, v32
	v_cndmask_b32_e64 v33, v3, v5, s[2:3]
	v_cmp_eq_u32_e64 s[4:5], 2, v32
	v_cmp_eq_u32_e64 s[8:9], 3, v32
	;; [unrolled: 1-line block ×12, first 2 shown]
	v_cndmask_b32_e64 v32, v2, v4, s[2:3]
	v_cndmask_b32_e64 v33, v33, v7, s[4:5]
	;; [unrolled: 1-line block ×17, first 2 shown]
	ds_read_b64 v[35:36], v34 offset:32
	v_cndmask_b32_e64 v33, v33, v23, s[22:23]
	v_cndmask_b32_e64 v32, v32, v22, s[22:23]
	;; [unrolled: 1-line block ×8, first 2 shown]
	s_waitcnt lgkmcnt(0)
	v_fma_f64 v[30:31], v[32:33], v[35:36], v[30:31]
	v_cmp_ne_u32_e64 s[2:3], 3, v0
	s_and_saveexec_b64 s[48:49], s[2:3]
	s_cbranch_execz .LBB13_52
; %bb.47:
	v_add_u32_e32 v32, 5, v0
	v_cmp_eq_u32_e64 s[2:3], 1, v32
	v_cndmask_b32_e64 v33, v3, v5, s[2:3]
	v_cmp_eq_u32_e64 s[4:5], 2, v32
	v_cmp_eq_u32_e64 s[8:9], 3, v32
	;; [unrolled: 1-line block ×12, first 2 shown]
	v_cndmask_b32_e64 v32, v2, v4, s[2:3]
	v_cndmask_b32_e64 v33, v33, v7, s[4:5]
	;; [unrolled: 1-line block ×17, first 2 shown]
	ds_read_b64 v[35:36], v34 offset:40
	v_cndmask_b32_e64 v33, v33, v23, s[22:23]
	v_cndmask_b32_e64 v32, v32, v22, s[22:23]
	;; [unrolled: 1-line block ×8, first 2 shown]
	s_waitcnt lgkmcnt(0)
	v_fma_f64 v[30:31], v[32:33], v[35:36], v[30:31]
	s_and_saveexec_b64 s[28:29], vcc
	s_cbranch_execz .LBB13_51
; %bb.48:
	v_or_b32_e32 v32, 6, v0
	v_cmp_eq_u32_e32 vcc, 1, v32
	v_cndmask_b32_e32 v33, v3, v5, vcc
	v_cmp_eq_u32_e64 s[2:3], 2, v32
	v_cmp_eq_u32_e64 s[4:5], 3, v32
	;; [unrolled: 1-line block ×12, first 2 shown]
	v_cndmask_b32_e32 v32, v2, v4, vcc
	v_cndmask_b32_e64 v33, v33, v7, s[2:3]
	v_cndmask_b32_e64 v32, v32, v6, s[2:3]
	;; [unrolled: 1-line block ×16, first 2 shown]
	ds_read_b64 v[32:33], v34 offset:48
	v_cndmask_b32_e64 v19, v19, v23, s[20:21]
	v_cndmask_b32_e64 v18, v18, v22, s[20:21]
	;; [unrolled: 1-line block ×8, first 2 shown]
	s_waitcnt lgkmcnt(0)
	v_fma_f64 v[30:31], v[18:19], v[32:33], v[30:31]
	s_and_saveexec_b64 s[2:3], s[0:1]
	s_cbranch_execz .LBB13_50
; %bb.49:
	ds_read_b64 v[18:19], v34 offset:56
	s_waitcnt lgkmcnt(0)
	v_fma_f64 v[30:31], v[16:17], v[18:19], v[30:31]
.LBB13_50:
	s_or_b64 exec, exec, s[2:3]
.LBB13_51:
	s_or_b64 exec, exec, s[28:29]
.LBB13_52:
	s_or_b64 exec, exec, s[48:49]
.LBB13_53:
	s_or_b64 exec, exec, s[30:31]
.LBB13_54:
	s_or_b64 exec, exec, s[46:47]
.LBB13_55:
	s_or_b64 exec, exec, s[34:35]
.LBB13_56:
	s_or_b64 exec, exec, s[44:45]
	v_mov_b32_e32 v18, 0
	ds_read_b64 v[18:19], v18 offset:64
	s_waitcnt lgkmcnt(0)
	v_mul_f64 v[18:19], v[30:31], v[18:19]
.LBB13_57:
	s_or_b64 exec, exec, s[36:37]
	v_cmp_gt_u32_e32 vcc, 9, v0
	; wave barrier
	ds_write_b64 v34, v[20:21]
	s_waitcnt lgkmcnt(0)
	; wave barrier
	s_and_saveexec_b64 s[2:3], vcc
	s_cbranch_execz .LBB13_61
; %bb.58:
	v_mov_b32_e32 v30, 0x70
	v_lshl_add_u32 v35, v0, 3, v30
	v_mov_b32_e32 v30, 0
	v_mov_b32_e32 v33, v1
	;; [unrolled: 1-line block ×3, first 2 shown]
	s_mov_b64 s[4:5], 0
	v_mov_b32_e32 v32, v0
.LBB13_59:                              ; =>This Inner Loop Header: Depth=1
	v_cmp_eq_u32_e32 vcc, 1, v32
	v_cndmask_b32_e32 v38, v3, v5, vcc
	v_cmp_eq_u32_e64 s[0:1], 2, v32
	v_cndmask_b32_e64 v38, v38, v7, s[0:1]
	v_cndmask_b32_e32 v39, v2, v4, vcc
	v_cmp_eq_u32_e32 vcc, 3, v32
	v_cndmask_b32_e32 v38, v38, v9, vcc
	v_cndmask_b32_e64 v39, v39, v6, s[0:1]
	v_cmp_eq_u32_e64 s[0:1], 4, v32
	v_cndmask_b32_e64 v38, v38, v11, s[0:1]
	v_cndmask_b32_e32 v39, v39, v8, vcc
	v_cmp_eq_u32_e32 vcc, 5, v32
	v_cndmask_b32_e32 v38, v38, v13, vcc
	v_cndmask_b32_e64 v39, v39, v10, s[0:1]
	;; [unrolled: 6-line block ×4, first 2 shown]
	v_cmp_eq_u32_e64 s[0:1], 10, v32
	ds_read_b64 v[36:37], v35
	v_cndmask_b32_e64 v38, v38, v23, s[0:1]
	v_cndmask_b32_e32 v39, v39, v20, vcc
	v_cmp_eq_u32_e32 vcc, 11, v32
	v_cndmask_b32_e32 v38, v38, v25, vcc
	v_cndmask_b32_e64 v39, v39, v22, s[0:1]
	v_cmp_eq_u32_e64 s[0:1], 12, v32
	v_cndmask_b32_e64 v38, v38, v27, s[0:1]
	v_cndmask_b32_e32 v40, v39, v24, vcc
	v_cmp_eq_u32_e32 vcc, 13, v32
	v_cndmask_b32_e32 v39, v38, v29, vcc
	v_cndmask_b32_e64 v38, v40, v26, s[0:1]
	v_cndmask_b32_e32 v38, v38, v28, vcc
	s_waitcnt lgkmcnt(0)
	v_fma_f64 v[30:31], v[38:39], v[36:37], v[30:31]
	v_add_co_u32_e32 v32, vcc, 1, v32
	v_addc_co_u32_e32 v33, vcc, 0, v33, vcc
	v_add_u32_e32 v36, -1, v32
	v_cmp_lt_u32_e32 vcc, 7, v36
	s_or_b64 s[4:5], vcc, s[4:5]
	v_add_u32_e32 v35, 8, v35
	s_andn2_b64 exec, exec, s[4:5]
	s_cbranch_execnz .LBB13_59
; %bb.60:
	s_or_b64 exec, exec, s[4:5]
	v_mov_b32_e32 v20, 0
	ds_read_b64 v[20:21], v20 offset:72
	s_waitcnt lgkmcnt(0)
	v_mul_f64 v[20:21], v[30:31], v[20:21]
.LBB13_61:
	s_or_b64 exec, exec, s[2:3]
	v_cmp_gt_u32_e32 vcc, 10, v0
	; wave barrier
	ds_write_b64 v34, v[22:23]
	s_waitcnt lgkmcnt(0)
	; wave barrier
	s_and_saveexec_b64 s[2:3], vcc
	s_cbranch_execz .LBB13_65
; %bb.62:
	v_mov_b32_e32 v30, 0x70
	v_lshl_add_u32 v35, v0, 3, v30
	v_mov_b32_e32 v30, 0
	v_mov_b32_e32 v33, v1
	v_mov_b32_e32 v31, 0
	s_mov_b64 s[4:5], 0
	v_mov_b32_e32 v32, v0
.LBB13_63:                              ; =>This Inner Loop Header: Depth=1
	v_cmp_eq_u32_e32 vcc, 1, v32
	v_cndmask_b32_e32 v38, v3, v5, vcc
	v_cmp_eq_u32_e64 s[0:1], 2, v32
	v_cndmask_b32_e64 v38, v38, v7, s[0:1]
	v_cndmask_b32_e32 v39, v2, v4, vcc
	v_cmp_eq_u32_e32 vcc, 3, v32
	v_cndmask_b32_e32 v38, v38, v9, vcc
	v_cndmask_b32_e64 v39, v39, v6, s[0:1]
	v_cmp_eq_u32_e64 s[0:1], 4, v32
	v_cndmask_b32_e64 v38, v38, v11, s[0:1]
	v_cndmask_b32_e32 v39, v39, v8, vcc
	v_cmp_eq_u32_e32 vcc, 5, v32
	v_cndmask_b32_e32 v38, v38, v13, vcc
	v_cndmask_b32_e64 v39, v39, v10, s[0:1]
	v_cmp_eq_u32_e64 s[0:1], 6, v32
	v_cndmask_b32_e64 v38, v38, v15, s[0:1]
	v_cndmask_b32_e32 v39, v39, v12, vcc
	v_cmp_eq_u32_e32 vcc, 7, v32
	v_cndmask_b32_e32 v38, v38, v17, vcc
	v_cndmask_b32_e64 v39, v39, v14, s[0:1]
	v_cmp_eq_u32_e64 s[0:1], 8, v32
	v_cndmask_b32_e64 v38, v38, v19, s[0:1]
	v_cndmask_b32_e32 v39, v39, v16, vcc
	v_cmp_eq_u32_e32 vcc, 9, v32
	v_cndmask_b32_e32 v38, v38, v21, vcc
	v_cndmask_b32_e64 v39, v39, v18, s[0:1]
	v_cmp_eq_u32_e64 s[0:1], 10, v32
	ds_read_b64 v[36:37], v35
	v_cndmask_b32_e64 v38, v38, v23, s[0:1]
	v_cndmask_b32_e32 v39, v39, v20, vcc
	v_cmp_eq_u32_e32 vcc, 11, v32
	v_cndmask_b32_e32 v38, v38, v25, vcc
	v_cndmask_b32_e64 v39, v39, v22, s[0:1]
	v_cmp_eq_u32_e64 s[0:1], 12, v32
	v_cndmask_b32_e64 v38, v38, v27, s[0:1]
	v_cndmask_b32_e32 v40, v39, v24, vcc
	v_cmp_eq_u32_e32 vcc, 13, v32
	v_cndmask_b32_e32 v39, v38, v29, vcc
	v_cndmask_b32_e64 v38, v40, v26, s[0:1]
	v_cndmask_b32_e32 v38, v38, v28, vcc
	s_waitcnt lgkmcnt(0)
	v_fma_f64 v[30:31], v[38:39], v[36:37], v[30:31]
	v_add_co_u32_e32 v32, vcc, 1, v32
	v_addc_co_u32_e32 v33, vcc, 0, v33, vcc
	v_add_u32_e32 v36, -1, v32
	v_cmp_lt_u32_e32 vcc, 8, v36
	s_or_b64 s[4:5], vcc, s[4:5]
	v_add_u32_e32 v35, 8, v35
	s_andn2_b64 exec, exec, s[4:5]
	s_cbranch_execnz .LBB13_63
; %bb.64:
	s_or_b64 exec, exec, s[4:5]
	v_mov_b32_e32 v22, 0
	ds_read_b64 v[22:23], v22 offset:80
	s_waitcnt lgkmcnt(0)
	v_mul_f64 v[22:23], v[30:31], v[22:23]
.LBB13_65:
	s_or_b64 exec, exec, s[2:3]
	v_cmp_gt_u32_e32 vcc, 11, v0
	; wave barrier
	ds_write_b64 v34, v[24:25]
	s_waitcnt lgkmcnt(0)
	; wave barrier
	s_and_saveexec_b64 s[2:3], vcc
	s_cbranch_execz .LBB13_69
; %bb.66:
	v_mov_b32_e32 v30, 0x70
	v_lshl_add_u32 v35, v0, 3, v30
	v_mov_b32_e32 v30, 0
	v_mov_b32_e32 v33, v1
	;; [unrolled: 1-line block ×3, first 2 shown]
	s_mov_b64 s[4:5], 0
	v_mov_b32_e32 v32, v0
.LBB13_67:                              ; =>This Inner Loop Header: Depth=1
	v_cmp_eq_u32_e32 vcc, 1, v32
	v_cndmask_b32_e32 v38, v3, v5, vcc
	v_cmp_eq_u32_e64 s[0:1], 2, v32
	v_cndmask_b32_e64 v38, v38, v7, s[0:1]
	v_cndmask_b32_e32 v39, v2, v4, vcc
	v_cmp_eq_u32_e32 vcc, 3, v32
	v_cndmask_b32_e32 v38, v38, v9, vcc
	v_cndmask_b32_e64 v39, v39, v6, s[0:1]
	v_cmp_eq_u32_e64 s[0:1], 4, v32
	v_cndmask_b32_e64 v38, v38, v11, s[0:1]
	v_cndmask_b32_e32 v39, v39, v8, vcc
	v_cmp_eq_u32_e32 vcc, 5, v32
	v_cndmask_b32_e32 v38, v38, v13, vcc
	v_cndmask_b32_e64 v39, v39, v10, s[0:1]
	;; [unrolled: 6-line block ×4, first 2 shown]
	v_cmp_eq_u32_e64 s[0:1], 10, v32
	ds_read_b64 v[36:37], v35
	v_cndmask_b32_e64 v38, v38, v23, s[0:1]
	v_cndmask_b32_e32 v39, v39, v20, vcc
	v_cmp_eq_u32_e32 vcc, 11, v32
	v_cndmask_b32_e32 v38, v38, v25, vcc
	v_cndmask_b32_e64 v39, v39, v22, s[0:1]
	v_cmp_eq_u32_e64 s[0:1], 12, v32
	v_cndmask_b32_e64 v38, v38, v27, s[0:1]
	v_cndmask_b32_e32 v40, v39, v24, vcc
	v_cmp_eq_u32_e32 vcc, 13, v32
	v_cndmask_b32_e32 v39, v38, v29, vcc
	v_cndmask_b32_e64 v38, v40, v26, s[0:1]
	v_cndmask_b32_e32 v38, v38, v28, vcc
	s_waitcnt lgkmcnt(0)
	v_fma_f64 v[30:31], v[38:39], v[36:37], v[30:31]
	v_add_co_u32_e32 v32, vcc, 1, v32
	v_addc_co_u32_e32 v33, vcc, 0, v33, vcc
	v_add_u32_e32 v36, -1, v32
	v_cmp_lt_u32_e32 vcc, 9, v36
	s_or_b64 s[4:5], vcc, s[4:5]
	v_add_u32_e32 v35, 8, v35
	s_andn2_b64 exec, exec, s[4:5]
	s_cbranch_execnz .LBB13_67
; %bb.68:
	s_or_b64 exec, exec, s[4:5]
	v_mov_b32_e32 v24, 0
	ds_read_b64 v[24:25], v24 offset:88
	s_waitcnt lgkmcnt(0)
	v_mul_f64 v[24:25], v[30:31], v[24:25]
.LBB13_69:
	s_or_b64 exec, exec, s[2:3]
	v_cmp_gt_u32_e32 vcc, 12, v0
	; wave barrier
	ds_write_b64 v34, v[26:27]
	s_waitcnt lgkmcnt(0)
	; wave barrier
	s_and_saveexec_b64 s[2:3], vcc
	s_cbranch_execz .LBB13_73
; %bb.70:
	v_mov_b32_e32 v30, 0x70
	v_lshl_add_u32 v35, v0, 3, v30
	v_mov_b32_e32 v30, 0
	v_mov_b32_e32 v33, v1
	;; [unrolled: 1-line block ×3, first 2 shown]
	s_mov_b64 s[4:5], 0
	v_mov_b32_e32 v32, v0
.LBB13_71:                              ; =>This Inner Loop Header: Depth=1
	v_cmp_eq_u32_e32 vcc, 1, v32
	v_cndmask_b32_e32 v38, v3, v5, vcc
	v_cmp_eq_u32_e64 s[0:1], 2, v32
	v_cndmask_b32_e64 v38, v38, v7, s[0:1]
	v_cndmask_b32_e32 v39, v2, v4, vcc
	v_cmp_eq_u32_e32 vcc, 3, v32
	v_cndmask_b32_e32 v38, v38, v9, vcc
	v_cndmask_b32_e64 v39, v39, v6, s[0:1]
	v_cmp_eq_u32_e64 s[0:1], 4, v32
	v_cndmask_b32_e64 v38, v38, v11, s[0:1]
	v_cndmask_b32_e32 v39, v39, v8, vcc
	v_cmp_eq_u32_e32 vcc, 5, v32
	v_cndmask_b32_e32 v38, v38, v13, vcc
	v_cndmask_b32_e64 v39, v39, v10, s[0:1]
	;; [unrolled: 6-line block ×4, first 2 shown]
	v_cmp_eq_u32_e64 s[0:1], 10, v32
	ds_read_b64 v[36:37], v35
	v_cndmask_b32_e64 v38, v38, v23, s[0:1]
	v_cndmask_b32_e32 v39, v39, v20, vcc
	v_cmp_eq_u32_e32 vcc, 11, v32
	v_cndmask_b32_e32 v38, v38, v25, vcc
	v_cndmask_b32_e64 v39, v39, v22, s[0:1]
	v_cmp_eq_u32_e64 s[0:1], 12, v32
	v_cndmask_b32_e64 v38, v38, v27, s[0:1]
	v_cndmask_b32_e32 v40, v39, v24, vcc
	v_cmp_eq_u32_e32 vcc, 13, v32
	v_cndmask_b32_e32 v39, v38, v29, vcc
	v_cndmask_b32_e64 v38, v40, v26, s[0:1]
	v_cndmask_b32_e32 v38, v38, v28, vcc
	s_waitcnt lgkmcnt(0)
	v_fma_f64 v[30:31], v[38:39], v[36:37], v[30:31]
	v_add_co_u32_e32 v32, vcc, 1, v32
	v_addc_co_u32_e32 v33, vcc, 0, v33, vcc
	v_add_u32_e32 v36, -1, v32
	v_cmp_lt_u32_e32 vcc, 10, v36
	s_or_b64 s[4:5], vcc, s[4:5]
	v_add_u32_e32 v35, 8, v35
	s_andn2_b64 exec, exec, s[4:5]
	s_cbranch_execnz .LBB13_71
; %bb.72:
	s_or_b64 exec, exec, s[4:5]
	v_mov_b32_e32 v26, 0
	ds_read_b64 v[26:27], v26 offset:96
	s_waitcnt lgkmcnt(0)
	v_mul_f64 v[26:27], v[30:31], v[26:27]
.LBB13_73:
	s_or_b64 exec, exec, s[2:3]
	v_cmp_ne_u32_e32 vcc, 13, v0
	; wave barrier
	ds_write_b64 v34, v[28:29]
	s_waitcnt lgkmcnt(0)
	; wave barrier
	s_and_saveexec_b64 s[2:3], vcc
	s_cbranch_execz .LBB13_77
; %bb.74:
	v_mov_b32_e32 v30, 0x70
	v_lshl_add_u32 v34, v0, 3, v30
	v_mov_b32_e32 v30, 0
	v_mov_b32_e32 v33, v1
	;; [unrolled: 1-line block ×3, first 2 shown]
	s_mov_b64 s[4:5], 0
	v_mov_b32_e32 v32, v0
.LBB13_75:                              ; =>This Inner Loop Header: Depth=1
	v_cmp_eq_u32_e32 vcc, 1, v32
	v_cndmask_b32_e32 v1, v3, v5, vcc
	v_cmp_eq_u32_e64 s[0:1], 2, v32
	v_cndmask_b32_e64 v1, v1, v7, s[0:1]
	v_cndmask_b32_e32 v37, v2, v4, vcc
	v_cmp_eq_u32_e32 vcc, 3, v32
	v_cndmask_b32_e32 v1, v1, v9, vcc
	v_cndmask_b32_e64 v37, v37, v6, s[0:1]
	v_cmp_eq_u32_e64 s[0:1], 4, v32
	v_cndmask_b32_e64 v1, v1, v11, s[0:1]
	v_cndmask_b32_e32 v37, v37, v8, vcc
	v_cmp_eq_u32_e32 vcc, 5, v32
	v_cndmask_b32_e32 v1, v1, v13, vcc
	v_cndmask_b32_e64 v37, v37, v10, s[0:1]
	;; [unrolled: 6-line block ×4, first 2 shown]
	v_cmp_eq_u32_e64 s[0:1], 10, v32
	ds_read_b64 v[35:36], v34
	v_cndmask_b32_e64 v1, v1, v23, s[0:1]
	v_cndmask_b32_e32 v37, v37, v20, vcc
	v_cmp_eq_u32_e32 vcc, 11, v32
	v_cndmask_b32_e32 v1, v1, v25, vcc
	v_cndmask_b32_e64 v37, v37, v22, s[0:1]
	v_cmp_eq_u32_e64 s[0:1], 12, v32
	v_cndmask_b32_e64 v1, v1, v27, s[0:1]
	v_cndmask_b32_e32 v37, v37, v24, vcc
	v_cmp_eq_u32_e32 vcc, 13, v32
	v_cndmask_b32_e32 v38, v1, v29, vcc
	v_cndmask_b32_e64 v1, v37, v26, s[0:1]
	v_cndmask_b32_e32 v37, v1, v28, vcc
	s_waitcnt lgkmcnt(0)
	v_fma_f64 v[30:31], v[37:38], v[35:36], v[30:31]
	v_add_co_u32_e32 v32, vcc, 1, v32
	v_addc_co_u32_e32 v33, vcc, 0, v33, vcc
	v_add_u32_e32 v1, -1, v32
	v_cmp_lt_u32_e32 vcc, 11, v1
	s_or_b64 s[4:5], vcc, s[4:5]
	v_add_u32_e32 v34, 8, v34
	s_andn2_b64 exec, exec, s[4:5]
	s_cbranch_execnz .LBB13_75
; %bb.76:
	s_or_b64 exec, exec, s[4:5]
	v_mov_b32_e32 v1, 0
	ds_read_b64 v[28:29], v1 offset:104
	s_waitcnt lgkmcnt(0)
	v_mul_f64 v[28:29], v[30:31], v[28:29]
.LBB13_77:
	s_or_b64 exec, exec, s[2:3]
	; wave barrier
	s_cbranch_execnz .LBB13_15
	s_branch .LBB13_16
.LBB13_78:
	v_mov_b32_e32 v1, 0x70
	v_lshl_add_u32 v1, v0, 3, v1
	v_cmp_eq_u32_e32 vcc, 13, v0
	s_and_saveexec_b64 s[0:1], vcc
	s_cbranch_execz .LBB13_80
; %bb.79:
	v_mov_b32_e32 v54, 0
	v_mov_b32_e32 v30, v2
	;; [unrolled: 1-line block ×28, first 2 shown]
	ds_write_b64 v1, v[26:27]
	v_mov_b32_e32 v2, v30
	v_mov_b32_e32 v3, v31
	;; [unrolled: 1-line block ×32, first 2 shown]
.LBB13_80:
	s_or_b64 exec, exec, s[0:1]
	v_mov_b32_e32 v52, 0
	s_waitcnt lgkmcnt(0)
	; wave barrier
	ds_read_b64 v[34:35], v52 offset:216
	v_cmp_lt_u32_e32 vcc, 11, v0
	s_waitcnt lgkmcnt(0)
	v_fma_f64 v[34:35], v[28:29], v[34:35], 0
	v_add_f64 v[26:27], v[26:27], -v[34:35]
	s_and_saveexec_b64 s[0:1], vcc
	s_cbranch_execz .LBB13_82
; %bb.81:
	v_mov_b32_e32 v30, v2
	v_mov_b32_e32 v31, v3
	;; [unrolled: 1-line block ×27, first 2 shown]
	ds_write_b64 v1, v[24:25]
	v_mov_b32_e32 v2, v30
	v_mov_b32_e32 v3, v31
	v_mov_b32_e32 v4, v32
	v_mov_b32_e32 v5, v33
	v_mov_b32_e32 v6, v34
	v_mov_b32_e32 v7, v35
	v_mov_b32_e32 v8, v36
	v_mov_b32_e32 v9, v37
	v_mov_b32_e32 v10, v38
	v_mov_b32_e32 v11, v39
	v_mov_b32_e32 v12, v40
	v_mov_b32_e32 v13, v41
	v_mov_b32_e32 v14, v42
	v_mov_b32_e32 v15, v43
	v_mov_b32_e32 v16, v44
	v_mov_b32_e32 v17, v45
	v_mov_b32_e32 v18, v46
	v_mov_b32_e32 v19, v47
	v_mov_b32_e32 v20, v48
	v_mov_b32_e32 v21, v49
	v_mov_b32_e32 v22, v50
	v_mov_b32_e32 v23, v51
	v_mov_b32_e32 v24, v52
	v_mov_b32_e32 v25, v53
	v_mov_b32_e32 v26, v54
	v_mov_b32_e32 v27, v55
	v_mov_b32_e32 v28, v56
	v_mov_b32_e32 v29, v57
	v_mov_b32_e32 v30, v58
	v_mov_b32_e32 v31, v59
	v_mov_b32_e32 v32, v60
	v_mov_b32_e32 v33, v61
.LBB13_82:
	s_or_b64 exec, exec, s[0:1]
	s_waitcnt lgkmcnt(0)
	; wave barrier
	ds_read_b128 v[34:37], v52 offset:208
	v_cmp_lt_u32_e32 vcc, 10, v0
	s_waitcnt lgkmcnt(0)
	v_fma_f64 v[34:35], v[26:27], v[34:35], 0
	v_fma_f64 v[34:35], v[28:29], v[36:37], v[34:35]
	v_add_f64 v[24:25], v[24:25], -v[34:35]
	s_and_saveexec_b64 s[0:1], vcc
	s_cbranch_execz .LBB13_84
; %bb.83:
	v_mov_b32_e32 v50, 0
	v_mov_b32_e32 v30, v2
	v_mov_b32_e32 v31, v3
	v_mov_b32_e32 v32, v4
	v_mov_b32_e32 v33, v5
	v_mov_b32_e32 v34, v6
	v_mov_b32_e32 v35, v7
	v_mov_b32_e32 v36, v8
	v_mov_b32_e32 v37, v9
	v_mov_b32_e32 v38, v10
	v_mov_b32_e32 v39, v11
	v_mov_b32_e32 v40, v12
	v_mov_b32_e32 v41, v13
	v_mov_b32_e32 v42, v14
	v_mov_b32_e32 v43, v15
	v_mov_b32_e32 v44, v16
	v_mov_b32_e32 v45, v17
	v_mov_b32_e32 v46, v18
	v_mov_b32_e32 v47, v19
	v_mov_b32_e32 v48, v20
	v_mov_b32_e32 v49, v21
	v_mov_b32_e32 v51, v50
	v_mov_b32_e32 v52, v24
	v_mov_b32_e32 v53, v25
	v_mov_b32_e32 v54, v26
	v_mov_b32_e32 v55, v27
	v_mov_b32_e32 v56, v28
	v_mov_b32_e32 v57, v29
	ds_write_b64 v1, v[22:23]
	v_mov_b32_e32 v2, v30
	v_mov_b32_e32 v3, v31
	;; [unrolled: 1-line block ×32, first 2 shown]
.LBB13_84:
	s_or_b64 exec, exec, s[0:1]
	v_mov_b32_e32 v48, 0
	s_waitcnt lgkmcnt(0)
	; wave barrier
	ds_read2_b64 v[34:37], v48 offset0:25 offset1:26
	ds_read_b64 v[38:39], v48 offset:216
	v_cmp_lt_u32_e32 vcc, 9, v0
	s_waitcnt lgkmcnt(1)
	v_fma_f64 v[34:35], v[24:25], v[34:35], 0
	v_fma_f64 v[34:35], v[26:27], v[36:37], v[34:35]
	s_waitcnt lgkmcnt(0)
	v_fma_f64 v[34:35], v[28:29], v[38:39], v[34:35]
	v_add_f64 v[22:23], v[22:23], -v[34:35]
	s_and_saveexec_b64 s[0:1], vcc
	s_cbranch_execz .LBB13_86
; %bb.85:
	v_mov_b32_e32 v30, v2
	v_mov_b32_e32 v31, v3
	;; [unrolled: 1-line block ×27, first 2 shown]
	ds_write_b64 v1, v[20:21]
	v_mov_b32_e32 v2, v30
	v_mov_b32_e32 v3, v31
	;; [unrolled: 1-line block ×32, first 2 shown]
.LBB13_86:
	s_or_b64 exec, exec, s[0:1]
	s_waitcnt lgkmcnt(0)
	; wave barrier
	ds_read_b128 v[34:37], v48 offset:192
	ds_read_b128 v[38:41], v48 offset:208
	v_cmp_lt_u32_e32 vcc, 8, v0
	s_waitcnt lgkmcnt(1)
	v_fma_f64 v[34:35], v[22:23], v[34:35], 0
	v_fma_f64 v[34:35], v[24:25], v[36:37], v[34:35]
	s_waitcnt lgkmcnt(0)
	v_fma_f64 v[34:35], v[26:27], v[38:39], v[34:35]
	v_fma_f64 v[34:35], v[28:29], v[40:41], v[34:35]
	v_add_f64 v[20:21], v[20:21], -v[34:35]
	s_and_saveexec_b64 s[0:1], vcc
	s_cbranch_execz .LBB13_88
; %bb.87:
	v_mov_b32_e32 v46, 0
	v_mov_b32_e32 v30, v2
	v_mov_b32_e32 v31, v3
	v_mov_b32_e32 v32, v4
	v_mov_b32_e32 v33, v5
	v_mov_b32_e32 v34, v6
	v_mov_b32_e32 v35, v7
	v_mov_b32_e32 v36, v8
	v_mov_b32_e32 v37, v9
	v_mov_b32_e32 v38, v10
	v_mov_b32_e32 v39, v11
	v_mov_b32_e32 v40, v12
	v_mov_b32_e32 v41, v13
	v_mov_b32_e32 v42, v14
	v_mov_b32_e32 v43, v15
	v_mov_b32_e32 v44, v16
	v_mov_b32_e32 v45, v17
	v_mov_b32_e32 v47, v46
	v_mov_b32_e32 v48, v20
	v_mov_b32_e32 v49, v21
	v_mov_b32_e32 v50, v22
	v_mov_b32_e32 v51, v23
	v_mov_b32_e32 v52, v24
	v_mov_b32_e32 v53, v25
	v_mov_b32_e32 v54, v26
	v_mov_b32_e32 v55, v27
	v_mov_b32_e32 v56, v28
	v_mov_b32_e32 v57, v29
	ds_write_b64 v1, v[18:19]
	v_mov_b32_e32 v2, v30
	v_mov_b32_e32 v3, v31
	;; [unrolled: 1-line block ×32, first 2 shown]
.LBB13_88:
	s_or_b64 exec, exec, s[0:1]
	v_mov_b32_e32 v44, 0
	s_waitcnt lgkmcnt(0)
	; wave barrier
	ds_read2_b64 v[34:37], v44 offset0:23 offset1:24
	ds_read2_b64 v[38:41], v44 offset0:25 offset1:26
	v_cmp_lt_u32_e32 vcc, 7, v0
	s_waitcnt lgkmcnt(1)
	v_fma_f64 v[34:35], v[20:21], v[34:35], 0
	v_fma_f64 v[34:35], v[22:23], v[36:37], v[34:35]
	ds_read_b64 v[36:37], v44 offset:216
	s_waitcnt lgkmcnt(1)
	v_fma_f64 v[34:35], v[24:25], v[38:39], v[34:35]
	v_fma_f64 v[34:35], v[26:27], v[40:41], v[34:35]
	s_waitcnt lgkmcnt(0)
	v_fma_f64 v[34:35], v[28:29], v[36:37], v[34:35]
	v_add_f64 v[18:19], v[18:19], -v[34:35]
	s_and_saveexec_b64 s[0:1], vcc
	s_cbranch_execz .LBB13_90
; %bb.89:
	v_mov_b32_e32 v30, v2
	v_mov_b32_e32 v31, v3
	;; [unrolled: 1-line block ×27, first 2 shown]
	ds_write_b64 v1, v[16:17]
	v_mov_b32_e32 v2, v30
	v_mov_b32_e32 v3, v31
	;; [unrolled: 1-line block ×32, first 2 shown]
.LBB13_90:
	s_or_b64 exec, exec, s[0:1]
	s_waitcnt lgkmcnt(0)
	; wave barrier
	ds_read_b128 v[34:37], v44 offset:176
	ds_read_b128 v[38:41], v44 offset:192
	v_cmp_lt_u32_e32 vcc, 6, v0
	s_waitcnt lgkmcnt(1)
	v_fma_f64 v[34:35], v[18:19], v[34:35], 0
	v_fma_f64 v[34:35], v[20:21], v[36:37], v[34:35]
	s_waitcnt lgkmcnt(0)
	v_fma_f64 v[34:35], v[22:23], v[38:39], v[34:35]
	v_fma_f64 v[38:39], v[24:25], v[40:41], v[34:35]
	ds_read_b128 v[34:37], v44 offset:208
	s_waitcnt lgkmcnt(0)
	v_fma_f64 v[34:35], v[26:27], v[34:35], v[38:39]
	v_fma_f64 v[34:35], v[28:29], v[36:37], v[34:35]
	v_add_f64 v[16:17], v[16:17], -v[34:35]
	s_and_saveexec_b64 s[0:1], vcc
	s_cbranch_execz .LBB13_92
; %bb.91:
	v_mov_b32_e32 v42, 0
	v_mov_b32_e32 v30, v2
	;; [unrolled: 1-line block ×28, first 2 shown]
	ds_write_b64 v1, v[14:15]
	v_mov_b32_e32 v2, v30
	v_mov_b32_e32 v3, v31
	;; [unrolled: 1-line block ×32, first 2 shown]
.LBB13_92:
	s_or_b64 exec, exec, s[0:1]
	v_mov_b32_e32 v40, 0
	s_waitcnt lgkmcnt(0)
	; wave barrier
	ds_read2_b64 v[34:37], v40 offset0:21 offset1:22
	ds_read2_b64 v[41:44], v40 offset0:23 offset1:24
	v_cmp_lt_u32_e32 vcc, 5, v0
	s_waitcnt lgkmcnt(1)
	v_fma_f64 v[34:35], v[16:17], v[34:35], 0
	v_fma_f64 v[34:35], v[18:19], v[36:37], v[34:35]
	s_waitcnt lgkmcnt(0)
	v_fma_f64 v[34:35], v[20:21], v[41:42], v[34:35]
	v_fma_f64 v[38:39], v[22:23], v[43:44], v[34:35]
	ds_read2_b64 v[34:37], v40 offset0:25 offset1:26
	ds_read_b64 v[41:42], v40 offset:216
	s_waitcnt lgkmcnt(1)
	v_fma_f64 v[34:35], v[24:25], v[34:35], v[38:39]
	v_fma_f64 v[34:35], v[26:27], v[36:37], v[34:35]
	s_waitcnt lgkmcnt(0)
	v_fma_f64 v[34:35], v[28:29], v[41:42], v[34:35]
	v_add_f64 v[14:15], v[14:15], -v[34:35]
	s_and_saveexec_b64 s[0:1], vcc
	s_cbranch_execz .LBB13_94
; %bb.93:
	v_mov_b32_e32 v30, v2
	v_mov_b32_e32 v31, v3
	v_mov_b32_e32 v32, v4
	v_mov_b32_e32 v33, v5
	v_mov_b32_e32 v34, v6
	v_mov_b32_e32 v35, v7
	v_mov_b32_e32 v36, v8
	v_mov_b32_e32 v37, v9
	v_mov_b32_e32 v38, v10
	v_mov_b32_e32 v39, v11
	v_mov_b32_e32 v41, v40
	v_mov_b32_e32 v42, v14
	v_mov_b32_e32 v43, v15
	v_mov_b32_e32 v44, v16
	v_mov_b32_e32 v45, v17
	v_mov_b32_e32 v46, v18
	v_mov_b32_e32 v47, v19
	v_mov_b32_e32 v48, v20
	v_mov_b32_e32 v49, v21
	v_mov_b32_e32 v50, v22
	v_mov_b32_e32 v51, v23
	v_mov_b32_e32 v52, v24
	v_mov_b32_e32 v53, v25
	v_mov_b32_e32 v54, v26
	v_mov_b32_e32 v55, v27
	v_mov_b32_e32 v56, v28
	v_mov_b32_e32 v57, v29
	ds_write_b64 v1, v[12:13]
	v_mov_b32_e32 v2, v30
	v_mov_b32_e32 v3, v31
	;; [unrolled: 1-line block ×32, first 2 shown]
.LBB13_94:
	s_or_b64 exec, exec, s[0:1]
	s_waitcnt lgkmcnt(0)
	; wave barrier
	ds_read_b128 v[34:37], v40 offset:160
	ds_read_b128 v[41:44], v40 offset:176
	v_cmp_lt_u32_e32 vcc, 4, v0
	s_waitcnt lgkmcnt(1)
	v_fma_f64 v[34:35], v[14:15], v[34:35], 0
	v_fma_f64 v[34:35], v[16:17], v[36:37], v[34:35]
	s_waitcnt lgkmcnt(0)
	v_fma_f64 v[34:35], v[18:19], v[41:42], v[34:35]
	v_fma_f64 v[42:43], v[20:21], v[43:44], v[34:35]
	ds_read_b128 v[34:37], v40 offset:192
	ds_read_b128 v[38:41], v40 offset:208
	s_waitcnt lgkmcnt(1)
	v_fma_f64 v[34:35], v[22:23], v[34:35], v[42:43]
	v_fma_f64 v[34:35], v[24:25], v[36:37], v[34:35]
	s_waitcnt lgkmcnt(0)
	v_fma_f64 v[34:35], v[26:27], v[38:39], v[34:35]
	v_fma_f64 v[34:35], v[28:29], v[40:41], v[34:35]
	v_add_f64 v[12:13], v[12:13], -v[34:35]
	s_and_saveexec_b64 s[0:1], vcc
	s_cbranch_execz .LBB13_96
; %bb.95:
	v_mov_b32_e32 v38, 0
	v_mov_b32_e32 v30, v2
	;; [unrolled: 1-line block ×28, first 2 shown]
	ds_write_b64 v1, v[10:11]
	v_mov_b32_e32 v2, v30
	v_mov_b32_e32 v3, v31
	;; [unrolled: 1-line block ×32, first 2 shown]
.LBB13_96:
	s_or_b64 exec, exec, s[0:1]
	v_mov_b32_e32 v36, 0
	s_waitcnt lgkmcnt(0)
	; wave barrier
	ds_read2_b64 v[37:40], v36 offset0:19 offset1:20
	ds_read2_b64 v[41:44], v36 offset0:21 offset1:22
	v_cmp_lt_u32_e32 vcc, 3, v0
	s_waitcnt lgkmcnt(1)
	v_fma_f64 v[34:35], v[12:13], v[37:38], 0
	v_fma_f64 v[34:35], v[14:15], v[39:40], v[34:35]
	s_waitcnt lgkmcnt(0)
	v_fma_f64 v[34:35], v[16:17], v[41:42], v[34:35]
	v_fma_f64 v[34:35], v[18:19], v[43:44], v[34:35]
	ds_read2_b64 v[37:40], v36 offset0:23 offset1:24
	ds_read2_b64 v[41:44], v36 offset0:25 offset1:26
	s_waitcnt lgkmcnt(1)
	v_fma_f64 v[34:35], v[20:21], v[37:38], v[34:35]
	ds_read_b64 v[37:38], v36 offset:216
	v_fma_f64 v[34:35], v[22:23], v[39:40], v[34:35]
	s_waitcnt lgkmcnt(1)
	v_fma_f64 v[34:35], v[24:25], v[41:42], v[34:35]
	v_fma_f64 v[34:35], v[26:27], v[43:44], v[34:35]
	s_waitcnt lgkmcnt(0)
	v_fma_f64 v[34:35], v[28:29], v[37:38], v[34:35]
	v_add_f64 v[10:11], v[10:11], -v[34:35]
	s_and_saveexec_b64 s[0:1], vcc
	s_cbranch_execz .LBB13_98
; %bb.97:
	v_mov_b32_e32 v30, v2
	v_mov_b32_e32 v31, v3
	;; [unrolled: 1-line block ×61, first 2 shown]
	ds_write_b64 v1, v[58:59]
.LBB13_98:
	s_or_b64 exec, exec, s[0:1]
	s_waitcnt lgkmcnt(0)
	; wave barrier
	ds_read_b128 v[37:40], v36 offset:144
	ds_read_b128 v[41:44], v36 offset:160
	v_cmp_lt_u32_e32 vcc, 2, v0
	s_waitcnt lgkmcnt(1)
	v_fma_f64 v[34:35], v[10:11], v[37:38], 0
	v_fma_f64 v[34:35], v[12:13], v[39:40], v[34:35]
	s_waitcnt lgkmcnt(0)
	v_fma_f64 v[34:35], v[14:15], v[41:42], v[34:35]
	v_fma_f64 v[34:35], v[16:17], v[43:44], v[34:35]
	ds_read_b128 v[37:40], v36 offset:176
	ds_read_b128 v[41:44], v36 offset:192
	s_waitcnt lgkmcnt(1)
	v_fma_f64 v[34:35], v[18:19], v[37:38], v[34:35]
	v_fma_f64 v[34:35], v[20:21], v[39:40], v[34:35]
	s_waitcnt lgkmcnt(0)
	v_fma_f64 v[34:35], v[22:23], v[41:42], v[34:35]
	v_fma_f64 v[38:39], v[24:25], v[43:44], v[34:35]
	ds_read_b128 v[34:37], v36 offset:208
	s_waitcnt lgkmcnt(0)
	v_fma_f64 v[34:35], v[26:27], v[34:35], v[38:39]
	v_fma_f64 v[34:35], v[28:29], v[36:37], v[34:35]
	v_add_f64 v[8:9], v[8:9], -v[34:35]
	s_and_saveexec_b64 s[0:1], vcc
	s_cbranch_execz .LBB13_100
; %bb.99:
	v_mov_b32_e32 v34, 0
	v_mov_b32_e32 v30, v2
	;; [unrolled: 1-line block ×62, first 2 shown]
	ds_write_b64 v1, v[58:59]
.LBB13_100:
	s_or_b64 exec, exec, s[0:1]
	v_mov_b32_e32 v34, 0
	s_waitcnt lgkmcnt(0)
	; wave barrier
	ds_read2_b64 v[35:38], v34 offset0:17 offset1:18
	ds_read2_b64 v[39:42], v34 offset0:19 offset1:20
	v_cmp_lt_u32_e32 vcc, 1, v0
	s_waitcnt lgkmcnt(1)
	v_fma_f64 v[35:36], v[8:9], v[35:36], 0
	v_fma_f64 v[35:36], v[10:11], v[37:38], v[35:36]
	s_waitcnt lgkmcnt(0)
	v_fma_f64 v[35:36], v[12:13], v[39:40], v[35:36]
	v_fma_f64 v[43:44], v[14:15], v[41:42], v[35:36]
	ds_read2_b64 v[35:38], v34 offset0:21 offset1:22
	ds_read2_b64 v[39:42], v34 offset0:23 offset1:24
	s_waitcnt lgkmcnt(1)
	v_fma_f64 v[35:36], v[16:17], v[35:36], v[43:44]
	v_fma_f64 v[35:36], v[18:19], v[37:38], v[35:36]
	s_waitcnt lgkmcnt(0)
	v_fma_f64 v[35:36], v[20:21], v[39:40], v[35:36]
	v_fma_f64 v[39:40], v[22:23], v[41:42], v[35:36]
	ds_read2_b64 v[35:38], v34 offset0:25 offset1:26
	ds_read_b64 v[41:42], v34 offset:216
	s_waitcnt lgkmcnt(1)
	v_fma_f64 v[35:36], v[24:25], v[35:36], v[39:40]
	v_fma_f64 v[35:36], v[26:27], v[37:38], v[35:36]
	s_waitcnt lgkmcnt(0)
	v_fma_f64 v[35:36], v[28:29], v[41:42], v[35:36]
	v_add_f64 v[6:7], v[6:7], -v[35:36]
	s_and_saveexec_b64 s[0:1], vcc
	s_cbranch_execz .LBB13_102
; %bb.101:
	v_mov_b32_e32 v32, v2
	v_mov_b32_e32 v33, v3
	;; [unrolled: 1-line block ×61, first 2 shown]
	ds_write_b64 v1, v[88:89]
.LBB13_102:
	s_or_b64 exec, exec, s[0:1]
	s_waitcnt lgkmcnt(0)
	; wave barrier
	ds_read_b128 v[35:38], v34 offset:128
	ds_read_b128 v[39:42], v34 offset:144
	v_cmp_ne_u32_e32 vcc, 0, v0
	s_waitcnt lgkmcnt(1)
	v_fma_f64 v[35:36], v[6:7], v[35:36], 0
	v_fma_f64 v[35:36], v[8:9], v[37:38], v[35:36]
	s_waitcnt lgkmcnt(0)
	v_fma_f64 v[35:36], v[10:11], v[39:40], v[35:36]
	v_fma_f64 v[43:44], v[12:13], v[41:42], v[35:36]
	ds_read_b128 v[35:38], v34 offset:160
	ds_read_b128 v[39:42], v34 offset:176
	s_waitcnt lgkmcnt(1)
	v_fma_f64 v[35:36], v[14:15], v[35:36], v[43:44]
	v_fma_f64 v[35:36], v[16:17], v[37:38], v[35:36]
	s_waitcnt lgkmcnt(0)
	v_fma_f64 v[35:36], v[18:19], v[39:40], v[35:36]
	v_fma_f64 v[43:44], v[20:21], v[41:42], v[35:36]
	ds_read_b128 v[35:38], v34 offset:192
	ds_read_b128 v[39:42], v34 offset:208
	s_waitcnt lgkmcnt(1)
	v_fma_f64 v[34:35], v[22:23], v[35:36], v[43:44]
	v_fma_f64 v[34:35], v[24:25], v[37:38], v[34:35]
	s_waitcnt lgkmcnt(0)
	v_fma_f64 v[34:35], v[26:27], v[39:40], v[34:35]
	v_fma_f64 v[34:35], v[28:29], v[41:42], v[34:35]
	v_add_f64 v[4:5], v[4:5], -v[34:35]
	s_and_saveexec_b64 s[0:1], vcc
	s_cbranch_execz .LBB13_104
; %bb.103:
	v_mov_b32_e32 v30, 0
	v_mov_b32_e32 v31, v30
	;; [unrolled: 1-line block ×62, first 2 shown]
	ds_write_b64 v1, v[58:59]
.LBB13_104:
	s_or_b64 exec, exec, s[0:1]
	v_mov_b32_e32 v0, 0
	s_waitcnt lgkmcnt(0)
	; wave barrier
	ds_read2_b64 v[34:37], v0 offset0:15 offset1:16
	ds_read2_b64 v[38:41], v0 offset0:17 offset1:18
	s_and_b64 vcc, exec, s[42:43]
	s_waitcnt lgkmcnt(1)
	v_fma_f64 v[34:35], v[4:5], v[34:35], 0
	v_fma_f64 v[34:35], v[6:7], v[36:37], v[34:35]
	s_waitcnt lgkmcnt(0)
	v_fma_f64 v[34:35], v[8:9], v[38:39], v[34:35]
	v_fma_f64 v[42:43], v[10:11], v[40:41], v[34:35]
	ds_read2_b64 v[34:37], v0 offset0:19 offset1:20
	ds_read2_b64 v[38:41], v0 offset0:21 offset1:22
	s_waitcnt lgkmcnt(1)
	v_fma_f64 v[34:35], v[12:13], v[34:35], v[42:43]
	v_fma_f64 v[34:35], v[14:15], v[36:37], v[34:35]
	s_waitcnt lgkmcnt(0)
	v_fma_f64 v[34:35], v[16:17], v[38:39], v[34:35]
	v_fma_f64 v[42:43], v[18:19], v[40:41], v[34:35]
	ds_read2_b64 v[34:37], v0 offset0:23 offset1:24
	ds_read2_b64 v[38:41], v0 offset0:25 offset1:26
	s_waitcnt lgkmcnt(1)
	v_fma_f64 v[34:35], v[20:21], v[34:35], v[42:43]
	v_fma_f64 v[34:35], v[22:23], v[36:37], v[34:35]
	ds_read_b64 v[36:37], v0 offset:216
	s_waitcnt lgkmcnt(1)
	v_fma_f64 v[34:35], v[24:25], v[38:39], v[34:35]
	v_fma_f64 v[34:35], v[26:27], v[40:41], v[34:35]
	s_waitcnt lgkmcnt(0)
	v_fma_f64 v[34:35], v[28:29], v[36:37], v[34:35]
	v_add_f64 v[2:3], v[2:3], -v[34:35]
	s_cbranch_vccz .LBB13_131
; %bb.105:
	global_load_dword v0, v0, s[40:41] offset:48
	s_waitcnt vmcnt(0)
	v_readfirstlane_b32 s0, v0
	s_add_i32 s0, s0, -1
	s_cmp_lg_u32 s0, 12
	s_cbranch_scc0 .LBB13_107
; %bb.106:
	s_lshl_b32 s0, s0, 1
	s_set_gpr_idx_on s0, gpr_idx(SRC0)
	v_mov_b32_e32 v0, v3
	v_mov_b32_e32 v1, v2
	s_set_gpr_idx_off
	v_mov_b32_e32 v59, v33
	v_mov_b32_e32 v53, v27
	;; [unrolled: 1-line block ×34, first 2 shown]
	s_set_gpr_idx_on s0, gpr_idx(DST)
	v_mov_b32_e32 v28, v26
	v_mov_b32_e32 v29, v27
	s_set_gpr_idx_off
	v_mov_b32_e32 v2, v28
	v_mov_b32_e32 v3, v29
	;; [unrolled: 1-line block ×32, first 2 shown]
.LBB13_107:
	v_mov_b32_e32 v0, 0
	global_load_dword v1, v0, s[40:41] offset:44
	s_waitcnt vmcnt(0)
	v_readfirstlane_b32 s0, v1
	s_add_i32 s0, s0, -1
	s_cmp_eq_u32 s0, 11
	s_cbranch_scc1 .LBB13_109
; %bb.108:
	s_lshl_b32 s0, s0, 1
	s_set_gpr_idx_on s0, gpr_idx(SRC0)
	v_mov_b32_e32 v1, v3
	v_mov_b32_e32 v58, v2
	s_set_gpr_idx_off
	v_mov_b32_e32 v57, v33
	v_mov_b32_e32 v49, v25
	;; [unrolled: 1-line block ×34, first 2 shown]
	s_set_gpr_idx_on s0, gpr_idx(DST)
	v_mov_b32_e32 v26, v24
	v_mov_b32_e32 v27, v25
	s_set_gpr_idx_off
	v_mov_b32_e32 v2, v26
	v_mov_b32_e32 v3, v27
	;; [unrolled: 1-line block ×32, first 2 shown]
.LBB13_109:
	global_load_dword v0, v0, s[40:41] offset:40
	s_waitcnt vmcnt(0)
	v_readfirstlane_b32 s0, v0
	s_add_i32 s0, s0, -1
	s_cmp_eq_u32 s0, 10
	s_cbranch_scc1 .LBB13_111
; %bb.110:
	s_lshl_b32 s0, s0, 1
	s_set_gpr_idx_on s0, gpr_idx(SRC0)
	v_mov_b32_e32 v0, v3
	v_mov_b32_e32 v1, v2
	s_set_gpr_idx_off
	v_mov_b32_e32 v55, v33
	v_mov_b32_e32 v45, v23
	;; [unrolled: 1-line block ×34, first 2 shown]
	s_set_gpr_idx_on s0, gpr_idx(DST)
	v_mov_b32_e32 v24, v22
	v_mov_b32_e32 v25, v23
	s_set_gpr_idx_off
	v_mov_b32_e32 v2, v24
	v_mov_b32_e32 v3, v25
	;; [unrolled: 1-line block ×32, first 2 shown]
.LBB13_111:
	v_mov_b32_e32 v0, 0
	global_load_dword v1, v0, s[40:41] offset:36
	s_waitcnt vmcnt(0)
	v_readfirstlane_b32 s0, v1
	s_add_i32 s0, s0, -1
	s_cmp_eq_u32 s0, 9
	s_cbranch_scc1 .LBB13_113
; %bb.112:
	s_lshl_b32 s0, s0, 1
	s_set_gpr_idx_on s0, gpr_idx(SRC0)
	v_mov_b32_e32 v1, v3
	v_mov_b32_e32 v54, v2
	s_set_gpr_idx_off
	v_mov_b32_e32 v53, v33
	v_mov_b32_e32 v41, v21
	;; [unrolled: 1-line block ×34, first 2 shown]
	s_set_gpr_idx_on s0, gpr_idx(DST)
	v_mov_b32_e32 v22, v20
	v_mov_b32_e32 v23, v21
	s_set_gpr_idx_off
	v_mov_b32_e32 v2, v22
	v_mov_b32_e32 v3, v23
	;; [unrolled: 1-line block ×32, first 2 shown]
.LBB13_113:
	global_load_dword v0, v0, s[40:41] offset:32
	s_waitcnt vmcnt(0)
	v_readfirstlane_b32 s0, v0
	s_add_i32 s0, s0, -1
	s_cmp_eq_u32 s0, 8
	s_cbranch_scc1 .LBB13_115
; %bb.114:
	s_lshl_b32 s0, s0, 1
	s_set_gpr_idx_on s0, gpr_idx(SRC0)
	v_mov_b32_e32 v0, v3
	v_mov_b32_e32 v1, v2
	s_set_gpr_idx_off
	v_mov_b32_e32 v51, v33
	v_mov_b32_e32 v37, v19
	;; [unrolled: 1-line block ×34, first 2 shown]
	s_set_gpr_idx_on s0, gpr_idx(DST)
	v_mov_b32_e32 v20, v18
	v_mov_b32_e32 v21, v19
	s_set_gpr_idx_off
	v_mov_b32_e32 v2, v20
	v_mov_b32_e32 v3, v21
	;; [unrolled: 1-line block ×32, first 2 shown]
.LBB13_115:
	v_mov_b32_e32 v0, 0
	global_load_dword v1, v0, s[40:41] offset:28
	s_waitcnt vmcnt(0)
	v_readfirstlane_b32 s0, v1
	s_add_i32 s0, s0, -1
	s_cmp_eq_u32 s0, 7
	s_cbranch_scc1 .LBB13_117
; %bb.116:
	s_lshl_b32 s0, s0, 1
	s_set_gpr_idx_on s0, gpr_idx(SRC0)
	v_mov_b32_e32 v1, v3
	v_mov_b32_e32 v50, v2
	s_set_gpr_idx_off
	v_mov_b32_e32 v49, v33
	v_mov_b32_e32 v48, v32
	;; [unrolled: 1-line block ×34, first 2 shown]
	s_set_gpr_idx_on s0, gpr_idx(DST)
	v_mov_b32_e32 v18, v16
	v_mov_b32_e32 v19, v17
	s_set_gpr_idx_off
	v_mov_b32_e32 v2, v18
	v_mov_b32_e32 v3, v19
	v_mov_b32_e32 v4, v20
	v_mov_b32_e32 v5, v21
	v_mov_b32_e32 v6, v22
	v_mov_b32_e32 v7, v23
	v_mov_b32_e32 v8, v24
	v_mov_b32_e32 v9, v25
	v_mov_b32_e32 v10, v26
	v_mov_b32_e32 v11, v27
	v_mov_b32_e32 v12, v28
	v_mov_b32_e32 v13, v29
	v_mov_b32_e32 v14, v30
	v_mov_b32_e32 v15, v31
	v_mov_b32_e32 v16, v32
	v_mov_b32_e32 v17, v33
	v_mov_b32_e32 v18, v34
	v_mov_b32_e32 v19, v35
	v_mov_b32_e32 v20, v36
	v_mov_b32_e32 v21, v37
	v_mov_b32_e32 v22, v38
	v_mov_b32_e32 v23, v39
	v_mov_b32_e32 v24, v40
	v_mov_b32_e32 v25, v41
	v_mov_b32_e32 v26, v42
	v_mov_b32_e32 v27, v43
	v_mov_b32_e32 v28, v44
	v_mov_b32_e32 v29, v45
	v_mov_b32_e32 v30, v46
	v_mov_b32_e32 v31, v47
	v_mov_b32_e32 v32, v48
	v_mov_b32_e32 v33, v49
.LBB13_117:
	global_load_dword v0, v0, s[40:41] offset:24
	s_waitcnt vmcnt(0)
	v_readfirstlane_b32 s0, v0
	s_add_i32 s0, s0, -1
	s_cmp_eq_u32 s0, 6
	s_cbranch_scc1 .LBB13_119
; %bb.118:
	s_lshl_b32 s0, s0, 1
	s_set_gpr_idx_on s0, gpr_idx(SRC0)
	v_mov_b32_e32 v0, v3
	v_mov_b32_e32 v1, v2
	s_set_gpr_idx_off
	v_mov_b32_e32 v47, v33
	v_mov_b32_e32 v46, v32
	v_mov_b32_e32 v45, v31
	v_mov_b32_e32 v44, v30
	v_mov_b32_e32 v43, v29
	v_mov_b32_e32 v42, v28
	v_mov_b32_e32 v41, v27
	v_mov_b32_e32 v40, v26
	v_mov_b32_e32 v39, v25
	v_mov_b32_e32 v38, v24
	v_mov_b32_e32 v37, v23
	v_mov_b32_e32 v36, v22
	v_mov_b32_e32 v35, v21
	v_mov_b32_e32 v34, v20
	v_mov_b32_e32 v33, v19
	v_mov_b32_e32 v32, v18
	v_mov_b32_e32 v31, v17
	v_mov_b32_e32 v30, v16
	v_mov_b32_e32 v29, v15
	v_mov_b32_e32 v28, v14
	v_mov_b32_e32 v27, v13
	v_mov_b32_e32 v26, v12
	v_mov_b32_e32 v25, v11
	v_mov_b32_e32 v24, v10
	v_mov_b32_e32 v23, v9
	v_mov_b32_e32 v22, v8
	v_mov_b32_e32 v21, v7
	v_mov_b32_e32 v20, v6
	v_mov_b32_e32 v19, v5
	v_mov_b32_e32 v18, v4
	v_mov_b32_e32 v17, v3
	v_mov_b32_e32 v16, v2
	v_mov_b32_e32 v28, v1
	v_mov_b32_e32 v29, v0
	s_set_gpr_idx_on s0, gpr_idx(DST)
	v_mov_b32_e32 v16, v14
	v_mov_b32_e32 v17, v15
	s_set_gpr_idx_off
	v_mov_b32_e32 v2, v16
	v_mov_b32_e32 v3, v17
	;; [unrolled: 1-line block ×32, first 2 shown]
.LBB13_119:
	v_mov_b32_e32 v0, 0
	global_load_dword v1, v0, s[40:41] offset:20
	s_waitcnt vmcnt(0)
	v_readfirstlane_b32 s0, v1
	s_add_i32 s0, s0, -1
	s_cmp_eq_u32 s0, 5
	s_cbranch_scc1 .LBB13_121
; %bb.120:
	s_lshl_b32 s0, s0, 1
	s_set_gpr_idx_on s0, gpr_idx(SRC0)
	v_mov_b32_e32 v1, v3
	v_mov_b32_e32 v46, v2
	s_set_gpr_idx_off
	v_mov_b32_e32 v45, v33
	v_mov_b32_e32 v44, v32
	;; [unrolled: 1-line block ×34, first 2 shown]
	s_set_gpr_idx_on s0, gpr_idx(DST)
	v_mov_b32_e32 v14, v12
	v_mov_b32_e32 v15, v13
	s_set_gpr_idx_off
	v_mov_b32_e32 v2, v14
	v_mov_b32_e32 v3, v15
	v_mov_b32_e32 v4, v16
	v_mov_b32_e32 v5, v17
	v_mov_b32_e32 v6, v18
	v_mov_b32_e32 v7, v19
	v_mov_b32_e32 v8, v20
	v_mov_b32_e32 v9, v21
	v_mov_b32_e32 v10, v22
	v_mov_b32_e32 v11, v23
	v_mov_b32_e32 v12, v24
	v_mov_b32_e32 v13, v25
	v_mov_b32_e32 v14, v26
	v_mov_b32_e32 v15, v27
	v_mov_b32_e32 v16, v28
	v_mov_b32_e32 v17, v29
	v_mov_b32_e32 v18, v30
	v_mov_b32_e32 v19, v31
	v_mov_b32_e32 v20, v32
	v_mov_b32_e32 v21, v33
	v_mov_b32_e32 v22, v34
	v_mov_b32_e32 v23, v35
	v_mov_b32_e32 v24, v36
	v_mov_b32_e32 v25, v37
	v_mov_b32_e32 v26, v38
	v_mov_b32_e32 v27, v39
	v_mov_b32_e32 v28, v40
	v_mov_b32_e32 v29, v41
	v_mov_b32_e32 v30, v42
	v_mov_b32_e32 v31, v43
	v_mov_b32_e32 v32, v44
	v_mov_b32_e32 v33, v45
.LBB13_121:
	global_load_dword v0, v0, s[40:41] offset:16
	s_waitcnt vmcnt(0)
	v_readfirstlane_b32 s0, v0
	s_add_i32 s0, s0, -1
	s_cmp_eq_u32 s0, 4
	s_cbranch_scc1 .LBB13_123
; %bb.122:
	s_lshl_b32 s0, s0, 1
	s_set_gpr_idx_on s0, gpr_idx(SRC0)
	v_mov_b32_e32 v0, v3
	v_mov_b32_e32 v1, v2
	s_set_gpr_idx_off
	v_mov_b32_e32 v43, v33
	v_mov_b32_e32 v42, v32
	;; [unrolled: 1-line block ×34, first 2 shown]
	s_set_gpr_idx_on s0, gpr_idx(DST)
	v_mov_b32_e32 v12, v10
	v_mov_b32_e32 v13, v11
	s_set_gpr_idx_off
	v_mov_b32_e32 v2, v12
	v_mov_b32_e32 v3, v13
	v_mov_b32_e32 v4, v14
	v_mov_b32_e32 v5, v15
	v_mov_b32_e32 v6, v16
	v_mov_b32_e32 v7, v17
	v_mov_b32_e32 v8, v18
	v_mov_b32_e32 v9, v19
	v_mov_b32_e32 v10, v20
	v_mov_b32_e32 v11, v21
	v_mov_b32_e32 v12, v22
	v_mov_b32_e32 v13, v23
	v_mov_b32_e32 v14, v24
	v_mov_b32_e32 v15, v25
	v_mov_b32_e32 v16, v26
	v_mov_b32_e32 v17, v27
	v_mov_b32_e32 v18, v28
	v_mov_b32_e32 v19, v29
	v_mov_b32_e32 v20, v30
	v_mov_b32_e32 v21, v31
	v_mov_b32_e32 v22, v32
	v_mov_b32_e32 v23, v33
	v_mov_b32_e32 v24, v34
	v_mov_b32_e32 v25, v35
	v_mov_b32_e32 v26, v36
	v_mov_b32_e32 v27, v37
	v_mov_b32_e32 v28, v38
	v_mov_b32_e32 v29, v39
	v_mov_b32_e32 v30, v40
	v_mov_b32_e32 v31, v41
	v_mov_b32_e32 v32, v42
	v_mov_b32_e32 v33, v43
.LBB13_123:
	v_mov_b32_e32 v0, 0
	global_load_dword v1, v0, s[40:41] offset:12
	s_waitcnt vmcnt(0)
	v_readfirstlane_b32 s0, v1
	s_add_i32 s0, s0, -1
	s_cmp_eq_u32 s0, 3
	s_cbranch_scc1 .LBB13_125
; %bb.124:
	s_lshl_b32 s0, s0, 1
	s_set_gpr_idx_on s0, gpr_idx(SRC0)
	v_mov_b32_e32 v1, v3
	v_mov_b32_e32 v42, v2
	s_set_gpr_idx_off
	v_mov_b32_e32 v41, v33
	v_mov_b32_e32 v40, v32
	;; [unrolled: 1-line block ×34, first 2 shown]
	s_set_gpr_idx_on s0, gpr_idx(DST)
	v_mov_b32_e32 v10, v8
	v_mov_b32_e32 v11, v9
	s_set_gpr_idx_off
	v_mov_b32_e32 v2, v10
	v_mov_b32_e32 v3, v11
	;; [unrolled: 1-line block ×32, first 2 shown]
.LBB13_125:
	global_load_dword v0, v0, s[40:41] offset:8
	s_waitcnt vmcnt(0)
	v_readfirstlane_b32 s0, v0
	s_add_i32 s0, s0, -1
	s_cmp_eq_u32 s0, 2
	s_cbranch_scc1 .LBB13_127
; %bb.126:
	s_lshl_b32 s0, s0, 1
	s_set_gpr_idx_on s0, gpr_idx(SRC0)
	v_mov_b32_e32 v0, v3
	v_mov_b32_e32 v1, v2
	s_set_gpr_idx_off
	v_mov_b32_e32 v39, v33
	v_mov_b32_e32 v38, v32
	;; [unrolled: 1-line block ×34, first 2 shown]
	s_set_gpr_idx_on s0, gpr_idx(DST)
	v_mov_b32_e32 v8, v6
	v_mov_b32_e32 v9, v7
	s_set_gpr_idx_off
	v_mov_b32_e32 v2, v8
	v_mov_b32_e32 v3, v9
	;; [unrolled: 1-line block ×32, first 2 shown]
.LBB13_127:
	v_mov_b32_e32 v0, 0
	global_load_dword v1, v0, s[40:41] offset:4
	s_waitcnt vmcnt(0)
	v_readfirstlane_b32 s0, v1
	s_add_i32 s0, s0, -1
	s_cmp_eq_u32 s0, 1
	s_cbranch_scc1 .LBB13_129
; %bb.128:
	s_lshl_b32 s0, s0, 1
	s_set_gpr_idx_on s0, gpr_idx(SRC0)
	v_mov_b32_e32 v1, v3
	v_mov_b32_e32 v38, v2
	s_set_gpr_idx_off
	v_mov_b32_e32 v37, v33
	v_mov_b32_e32 v36, v32
	;; [unrolled: 1-line block ×34, first 2 shown]
	s_set_gpr_idx_on s0, gpr_idx(DST)
	v_mov_b32_e32 v6, v4
	v_mov_b32_e32 v7, v5
	s_set_gpr_idx_off
	v_mov_b32_e32 v2, v6
	v_mov_b32_e32 v3, v7
	;; [unrolled: 1-line block ×32, first 2 shown]
.LBB13_129:
	global_load_dword v0, v0, s[40:41]
	s_waitcnt vmcnt(0)
	v_readfirstlane_b32 s0, v0
	s_add_i32 s0, s0, -1
	s_cmp_eq_u32 s0, 0
	s_cbranch_scc1 .LBB13_131
; %bb.130:
	s_lshl_b32 s0, s0, 1
	s_set_gpr_idx_on s0, gpr_idx(SRC0)
	v_mov_b32_e32 v0, v3
	v_mov_b32_e32 v1, v2
	s_set_gpr_idx_off
	v_mov_b32_e32 v35, v33
	v_mov_b32_e32 v34, v32
	;; [unrolled: 1-line block ×34, first 2 shown]
	s_set_gpr_idx_on s0, gpr_idx(DST)
	v_mov_b32_e32 v4, v2
	v_mov_b32_e32 v5, v3
	s_set_gpr_idx_off
	v_mov_b32_e32 v2, v4
	v_mov_b32_e32 v3, v5
	;; [unrolled: 1-line block ×32, first 2 shown]
.LBB13_131:
	v_mov_b32_e32 v0, v2
	v_mov_b32_e32 v1, v3
	global_store_dwordx2 v[84:85], v[0:1], off
	v_mov_b32_e32 v0, v4
	v_mov_b32_e32 v1, v5
	global_store_dwordx2 v[86:87], v[0:1], off
	v_mov_b32_e32 v0, v6
	v_mov_b32_e32 v1, v7
	global_store_dwordx2 v[60:61], v[0:1], off
	v_mov_b32_e32 v0, v8
	v_mov_b32_e32 v1, v9
	global_store_dwordx2 v[62:63], v[0:1], off
	v_mov_b32_e32 v0, v10
	v_mov_b32_e32 v1, v11
	global_store_dwordx2 v[64:65], v[0:1], off
	v_mov_b32_e32 v0, v12
	v_mov_b32_e32 v1, v13
	global_store_dwordx2 v[66:67], v[0:1], off
	v_mov_b32_e32 v0, v14
	v_mov_b32_e32 v1, v15
	global_store_dwordx2 v[68:69], v[0:1], off
	v_mov_b32_e32 v0, v16
	v_mov_b32_e32 v1, v17
	global_store_dwordx2 v[70:71], v[0:1], off
	v_mov_b32_e32 v0, v18
	v_mov_b32_e32 v1, v19
	global_store_dwordx2 v[72:73], v[0:1], off
	v_mov_b32_e32 v0, v20
	v_mov_b32_e32 v1, v21
	global_store_dwordx2 v[74:75], v[0:1], off
	v_mov_b32_e32 v0, v22
	v_mov_b32_e32 v1, v23
	global_store_dwordx2 v[76:77], v[0:1], off
	v_mov_b32_e32 v0, v24
	v_mov_b32_e32 v1, v25
	global_store_dwordx2 v[78:79], v[0:1], off
	v_mov_b32_e32 v0, v26
	v_mov_b32_e32 v1, v27
	global_store_dwordx2 v[80:81], v[0:1], off
	v_mov_b32_e32 v0, v28
	v_mov_b32_e32 v1, v29
	global_store_dwordx2 v[82:83], v[0:1], off
	s_endpgm
	.section	.rodata,"a",@progbits
	.p2align	6, 0x0
	.amdhsa_kernel _ZN9rocsolver6v33100L18getri_kernel_smallILi14EdPdEEvT1_iilPiilS4_bb
		.amdhsa_group_segment_fixed_size 232
		.amdhsa_private_segment_fixed_size 0
		.amdhsa_kernarg_size 60
		.amdhsa_user_sgpr_count 6
		.amdhsa_user_sgpr_private_segment_buffer 1
		.amdhsa_user_sgpr_dispatch_ptr 0
		.amdhsa_user_sgpr_queue_ptr 0
		.amdhsa_user_sgpr_kernarg_segment_ptr 1
		.amdhsa_user_sgpr_dispatch_id 0
		.amdhsa_user_sgpr_flat_scratch_init 0
		.amdhsa_user_sgpr_private_segment_size 0
		.amdhsa_uses_dynamic_stack 0
		.amdhsa_system_sgpr_private_segment_wavefront_offset 0
		.amdhsa_system_sgpr_workgroup_id_x 1
		.amdhsa_system_sgpr_workgroup_id_y 0
		.amdhsa_system_sgpr_workgroup_id_z 0
		.amdhsa_system_sgpr_workgroup_info 0
		.amdhsa_system_vgpr_workitem_id 0
		.amdhsa_next_free_vgpr 90
		.amdhsa_next_free_sgpr 50
		.amdhsa_reserve_vcc 1
		.amdhsa_reserve_flat_scratch 0
		.amdhsa_float_round_mode_32 0
		.amdhsa_float_round_mode_16_64 0
		.amdhsa_float_denorm_mode_32 3
		.amdhsa_float_denorm_mode_16_64 3
		.amdhsa_dx10_clamp 1
		.amdhsa_ieee_mode 1
		.amdhsa_fp16_overflow 0
		.amdhsa_exception_fp_ieee_invalid_op 0
		.amdhsa_exception_fp_denorm_src 0
		.amdhsa_exception_fp_ieee_div_zero 0
		.amdhsa_exception_fp_ieee_overflow 0
		.amdhsa_exception_fp_ieee_underflow 0
		.amdhsa_exception_fp_ieee_inexact 0
		.amdhsa_exception_int_div_zero 0
	.end_amdhsa_kernel
	.section	.text._ZN9rocsolver6v33100L18getri_kernel_smallILi14EdPdEEvT1_iilPiilS4_bb,"axG",@progbits,_ZN9rocsolver6v33100L18getri_kernel_smallILi14EdPdEEvT1_iilPiilS4_bb,comdat
.Lfunc_end13:
	.size	_ZN9rocsolver6v33100L18getri_kernel_smallILi14EdPdEEvT1_iilPiilS4_bb, .Lfunc_end13-_ZN9rocsolver6v33100L18getri_kernel_smallILi14EdPdEEvT1_iilPiilS4_bb
                                        ; -- End function
	.set _ZN9rocsolver6v33100L18getri_kernel_smallILi14EdPdEEvT1_iilPiilS4_bb.num_vgpr, 90
	.set _ZN9rocsolver6v33100L18getri_kernel_smallILi14EdPdEEvT1_iilPiilS4_bb.num_agpr, 0
	.set _ZN9rocsolver6v33100L18getri_kernel_smallILi14EdPdEEvT1_iilPiilS4_bb.numbered_sgpr, 50
	.set _ZN9rocsolver6v33100L18getri_kernel_smallILi14EdPdEEvT1_iilPiilS4_bb.num_named_barrier, 0
	.set _ZN9rocsolver6v33100L18getri_kernel_smallILi14EdPdEEvT1_iilPiilS4_bb.private_seg_size, 0
	.set _ZN9rocsolver6v33100L18getri_kernel_smallILi14EdPdEEvT1_iilPiilS4_bb.uses_vcc, 1
	.set _ZN9rocsolver6v33100L18getri_kernel_smallILi14EdPdEEvT1_iilPiilS4_bb.uses_flat_scratch, 0
	.set _ZN9rocsolver6v33100L18getri_kernel_smallILi14EdPdEEvT1_iilPiilS4_bb.has_dyn_sized_stack, 0
	.set _ZN9rocsolver6v33100L18getri_kernel_smallILi14EdPdEEvT1_iilPiilS4_bb.has_recursion, 0
	.set _ZN9rocsolver6v33100L18getri_kernel_smallILi14EdPdEEvT1_iilPiilS4_bb.has_indirect_call, 0
	.section	.AMDGPU.csdata,"",@progbits
; Kernel info:
; codeLenInByte = 18264
; TotalNumSgprs: 54
; NumVgprs: 90
; ScratchSize: 0
; MemoryBound: 0
; FloatMode: 240
; IeeeMode: 1
; LDSByteSize: 232 bytes/workgroup (compile time only)
; SGPRBlocks: 6
; VGPRBlocks: 22
; NumSGPRsForWavesPerEU: 54
; NumVGPRsForWavesPerEU: 90
; Occupancy: 2
; WaveLimiterHint : 0
; COMPUTE_PGM_RSRC2:SCRATCH_EN: 0
; COMPUTE_PGM_RSRC2:USER_SGPR: 6
; COMPUTE_PGM_RSRC2:TRAP_HANDLER: 0
; COMPUTE_PGM_RSRC2:TGID_X_EN: 1
; COMPUTE_PGM_RSRC2:TGID_Y_EN: 0
; COMPUTE_PGM_RSRC2:TGID_Z_EN: 0
; COMPUTE_PGM_RSRC2:TIDIG_COMP_CNT: 0
	.section	.text._ZN9rocsolver6v33100L18getri_kernel_smallILi15EdPdEEvT1_iilPiilS4_bb,"axG",@progbits,_ZN9rocsolver6v33100L18getri_kernel_smallILi15EdPdEEvT1_iilPiilS4_bb,comdat
	.globl	_ZN9rocsolver6v33100L18getri_kernel_smallILi15EdPdEEvT1_iilPiilS4_bb ; -- Begin function _ZN9rocsolver6v33100L18getri_kernel_smallILi15EdPdEEvT1_iilPiilS4_bb
	.p2align	8
	.type	_ZN9rocsolver6v33100L18getri_kernel_smallILi15EdPdEEvT1_iilPiilS4_bb,@function
_ZN9rocsolver6v33100L18getri_kernel_smallILi15EdPdEEvT1_iilPiilS4_bb: ; @_ZN9rocsolver6v33100L18getri_kernel_smallILi15EdPdEEvT1_iilPiilS4_bb
; %bb.0:
	v_cmp_gt_u32_e32 vcc, 15, v0
	s_and_saveexec_b64 s[0:1], vcc
	s_cbranch_execz .LBB14_16
; %bb.1:
	s_load_dword s0, s[4:5], 0x38
	s_load_dwordx4 s[8:11], s[4:5], 0x10
	s_load_dwordx4 s[36:39], s[4:5], 0x28
                                        ; implicit-def: $sgpr40_sgpr41
	s_waitcnt lgkmcnt(0)
	s_bitcmp1_b32 s0, 8
	s_cselect_b64 s[42:43], -1, 0
	s_ashr_i32 s7, s6, 31
	s_bfe_u32 s0, s0, 0x10008
	s_cmp_eq_u32 s0, 0
	s_cbranch_scc1 .LBB14_3
; %bb.2:
	s_load_dword s0, s[4:5], 0x20
	s_mul_i32 s1, s36, s7
	s_mul_hi_u32 s2, s36, s6
	s_mul_i32 s3, s37, s6
	s_add_i32 s2, s2, s1
	s_add_i32 s3, s2, s3
	s_mul_i32 s2, s36, s6
	s_waitcnt lgkmcnt(0)
	s_ashr_i32 s1, s0, 31
	s_lshl_b64 s[2:3], s[2:3], 2
	s_add_u32 s2, s10, s2
	s_addc_u32 s3, s11, s3
	s_lshl_b64 s[0:1], s[0:1], 2
	s_add_u32 s40, s2, s0
	s_addc_u32 s41, s3, s1
.LBB14_3:
	s_load_dwordx4 s[0:3], s[4:5], 0x0
	s_load_dword s10, s[4:5], 0x38
	s_mul_i32 s11, s8, s7
	s_mul_hi_u32 s12, s8, s6
	s_mul_i32 s9, s9, s6
	s_waitcnt lgkmcnt(0)
	s_ashr_i32 s5, s2, 31
	s_mov_b32 s4, s2
	s_add_i32 s2, s12, s11
	s_add_i32 s9, s2, s9
	s_mul_i32 s8, s8, s6
	s_lshl_b64 s[8:9], s[8:9], 3
	s_add_u32 s2, s0, s8
	s_addc_u32 s8, s1, s9
	s_lshl_b64 s[0:1], s[4:5], 3
	s_add_u32 s0, s2, s0
	s_addc_u32 s1, s8, s1
	s_add_i32 s2, s3, s3
	v_add_u32_e32 v1, s2, v0
	v_ashrrev_i32_e32 v2, 31, v1
	v_lshlrev_b64 v[2:3], 3, v[1:2]
	v_add_u32_e32 v1, s3, v1
	v_mov_b32_e32 v4, s1
	v_add_co_u32_e32 v64, vcc, s0, v2
	v_ashrrev_i32_e32 v2, 31, v1
	v_addc_co_u32_e32 v65, vcc, v4, v3, vcc
	v_lshlrev_b64 v[2:3], 3, v[1:2]
	v_add_u32_e32 v1, s3, v1
	v_add_co_u32_e32 v66, vcc, s0, v2
	v_ashrrev_i32_e32 v2, 31, v1
	v_addc_co_u32_e32 v67, vcc, v4, v3, vcc
	v_lshlrev_b64 v[2:3], 3, v[1:2]
	v_add_u32_e32 v1, s3, v1
	;; [unrolled: 5-line block ×11, first 2 shown]
	v_add_co_u32_e32 v86, vcc, s0, v2
	v_ashrrev_i32_e32 v2, 31, v1
	v_lshlrev_b64 v[1:2], 3, v[1:2]
	v_addc_co_u32_e32 v87, vcc, v4, v3, vcc
	v_mov_b32_e32 v3, s1
	v_add_co_u32_e32 v88, vcc, s0, v1
	v_addc_co_u32_e32 v89, vcc, v3, v2, vcc
	v_lshlrev_b32_e32 v34, 3, v0
	v_mov_b32_e32 v1, s1
	v_add_co_u32_e32 v90, vcc, s0, v34
	s_ashr_i32 s5, s3, 31
	s_mov_b32 s4, s3
	v_addc_co_u32_e32 v91, vcc, 0, v1, vcc
	s_lshl_b64 s[2:3], s[4:5], 3
	v_mov_b32_e32 v1, s3
	v_add_co_u32_e32 v92, vcc, s2, v90
	v_addc_co_u32_e32 v93, vcc, v91, v1, vcc
	global_load_dwordx2 v[2:3], v34, s[0:1]
	global_load_dwordx2 v[4:5], v[92:93], off
	global_load_dwordx2 v[6:7], v[64:65], off
	;; [unrolled: 1-line block ×14, first 2 shown]
	v_mov_b32_e32 v1, 0
	s_bitcmp0_b32 s10, 0
	s_mov_b64 s[0:1], -1
	s_cbranch_scc1 .LBB14_14
; %bb.4:
	v_cmp_eq_u32_e64 s[0:1], 0, v0
	s_and_saveexec_b64 s[2:3], s[0:1]
; %bb.5:
	v_mov_b32_e32 v32, 0
	ds_write_b32 v32, v32 offset:120
; %bb.6:
	s_or_b64 exec, exec, s[2:3]
	v_cmp_eq_u32_e32 vcc, 1, v0
	s_waitcnt vmcnt(13)
	v_cndmask_b32_e32 v32, v3, v5, vcc
	v_cmp_eq_u32_e64 s[2:3], 2, v0
	s_waitcnt vmcnt(12)
	v_cndmask_b32_e64 v32, v32, v7, s[2:3]
	v_cmp_eq_u32_e64 s[4:5], 3, v0
	s_waitcnt vmcnt(11)
	v_cndmask_b32_e64 v32, v32, v9, s[4:5]
	;; [unrolled: 3-line block ×13, first 2 shown]
	v_cndmask_b32_e32 v32, v2, v4, vcc
	v_cndmask_b32_e64 v32, v32, v6, s[2:3]
	v_cndmask_b32_e64 v32, v32, v8, s[4:5]
	v_cndmask_b32_e64 v32, v32, v10, s[8:9]
	v_cndmask_b32_e64 v32, v32, v12, s[10:11]
	v_cndmask_b32_e64 v32, v32, v14, s[12:13]
	v_cndmask_b32_e64 v32, v32, v16, s[14:15]
	v_cndmask_b32_e64 v32, v32, v18, s[16:17]
	v_cndmask_b32_e64 v32, v32, v20, s[18:19]
	v_cndmask_b32_e64 v32, v32, v22, s[20:21]
	v_cndmask_b32_e64 v32, v32, v24, s[22:23]
	v_cndmask_b32_e64 v32, v32, v26, s[24:25]
	v_cndmask_b32_e64 v32, v32, v28, s[26:27]
	v_cndmask_b32_e64 v32, v32, v30, s[28:29]
	v_cmp_eq_f64_e32 vcc, 0, v[32:33]
	s_waitcnt lgkmcnt(0)
	; wave barrier
	s_and_saveexec_b64 s[4:5], vcc
	s_cbranch_execz .LBB14_10
; %bb.7:
	v_mov_b32_e32 v35, 0
	ds_read_b32 v37, v35 offset:120
	v_add_u32_e32 v36, 1, v0
	s_waitcnt lgkmcnt(0)
	v_readfirstlane_b32 s2, v37
	s_cmp_eq_u32 s2, 0
	s_cselect_b64 s[8:9], -1, 0
	v_cmp_gt_i32_e32 vcc, s2, v36
	s_or_b64 s[8:9], s[8:9], vcc
	s_and_b64 exec, exec, s[8:9]
	s_cbranch_execz .LBB14_10
; %bb.8:
	s_mov_b64 s[8:9], 0
	v_mov_b32_e32 v37, s2
.LBB14_9:                               ; =>This Inner Loop Header: Depth=1
	ds_cmpst_rtn_b32 v37, v35, v37, v36 offset:120
	s_waitcnt lgkmcnt(0)
	v_cmp_ne_u32_e32 vcc, 0, v37
	v_cmp_le_i32_e64 s[2:3], v37, v36
	s_and_b64 s[2:3], vcc, s[2:3]
	s_and_b64 s[2:3], exec, s[2:3]
	s_or_b64 s[8:9], s[2:3], s[8:9]
	s_andn2_b64 exec, exec, s[8:9]
	s_cbranch_execnz .LBB14_9
.LBB14_10:
	s_or_b64 exec, exec, s[4:5]
	v_mov_b32_e32 v36, 0
	; wave barrier
	ds_read_b32 v35, v36 offset:120
	s_and_saveexec_b64 s[2:3], s[0:1]
	s_cbranch_execz .LBB14_12
; %bb.11:
	s_lshl_b64 s[4:5], s[6:7], 2
	s_add_u32 s4, s38, s4
	s_addc_u32 s5, s39, s5
	s_waitcnt lgkmcnt(0)
	global_store_dword v36, v35, s[4:5]
.LBB14_12:
	s_or_b64 exec, exec, s[2:3]
	s_waitcnt lgkmcnt(0)
	v_cmp_ne_u32_e32 vcc, 0, v35
	s_cbranch_vccz .LBB14_17
; %bb.13:
	s_mov_b64 s[0:1], 0
                                        ; implicit-def: $vgpr2_vgpr3_vgpr4_vgpr5_vgpr6_vgpr7_vgpr8_vgpr9_vgpr10_vgpr11_vgpr12_vgpr13_vgpr14_vgpr15_vgpr16_vgpr17_vgpr18_vgpr19_vgpr20_vgpr21_vgpr22_vgpr23_vgpr24_vgpr25_vgpr26_vgpr27_vgpr28_vgpr29_vgpr30_vgpr31_vgpr32_vgpr33
.LBB14_14:
	s_and_b64 vcc, exec, s[0:1]
	s_cbranch_vccz .LBB14_16
.LBB14_15:
	s_lshl_b64 s[0:1], s[6:7], 2
	s_add_u32 s0, s38, s0
	s_addc_u32 s1, s39, s1
	v_mov_b32_e32 v1, 0
	global_load_dword v1, v1, s[0:1]
	s_waitcnt vmcnt(0)
	v_cmp_ne_u32_e32 vcc, 0, v1
	s_cbranch_vccz .LBB14_82
.LBB14_16:
	s_endpgm
.LBB14_17:
	v_div_scale_f64 v[35:36], s[2:3], v[32:33], v[32:33], 1.0
	v_rcp_f64_e32 v[37:38], v[35:36]
	v_fma_f64 v[39:40], -v[35:36], v[37:38], 1.0
	v_fma_f64 v[37:38], v[37:38], v[39:40], v[37:38]
	v_div_scale_f64 v[39:40], vcc, 1.0, v[32:33], 1.0
	v_fma_f64 v[41:42], -v[35:36], v[37:38], 1.0
	v_fma_f64 v[37:38], v[37:38], v[41:42], v[37:38]
	v_mul_f64 v[41:42], v[39:40], v[37:38]
	v_fma_f64 v[35:36], -v[35:36], v[41:42], v[39:40]
	v_div_fmas_f64 v[35:36], v[35:36], v[37:38], v[41:42]
	v_cmp_eq_u32_e32 vcc, 14, v0
	v_div_fixup_f64 v[32:33], v[35:36], v[32:33], 1.0
	v_add_u32_e32 v36, 0x80, v34
	v_cndmask_b32_e32 v31, v31, v33, vcc
	v_cndmask_b32_e32 v30, v30, v32, vcc
	v_cmp_eq_u32_e32 vcc, 13, v0
	v_cndmask_b32_e32 v29, v29, v33, vcc
	v_cndmask_b32_e32 v28, v28, v32, vcc
	v_cmp_eq_u32_e32 vcc, 12, v0
	;; [unrolled: 3-line block ×14, first 2 shown]
	v_cndmask_b32_e32 v3, v3, v33, vcc
	v_cndmask_b32_e32 v2, v2, v32, vcc
	v_xor_b32_e32 v38, 0x80000000, v33
	v_mov_b32_e32 v37, v32
	ds_write2_b64 v34, v[37:38], v[4:5] offset1:16
	s_waitcnt lgkmcnt(0)
	; wave barrier
	s_and_saveexec_b64 s[2:3], s[0:1]
	s_cbranch_execz .LBB14_19
; %bb.18:
	ds_read_b64 v[4:5], v36
	v_mov_b32_e32 v34, 0
	ds_read_b64 v[34:35], v34 offset:8
	s_waitcnt lgkmcnt(1)
	v_fma_f64 v[4:5], v[32:33], v[4:5], 0
	s_waitcnt lgkmcnt(0)
	v_mul_f64 v[4:5], v[4:5], v[34:35]
.LBB14_19:
	s_or_b64 exec, exec, s[2:3]
	v_cmp_gt_u32_e32 vcc, 2, v0
	; wave barrier
	ds_write_b64 v36, v[6:7]
	s_waitcnt lgkmcnt(0)
	; wave barrier
	s_and_saveexec_b64 s[34:35], vcc
	s_cbranch_execz .LBB14_21
; %bb.20:
	v_cmp_eq_u32_e64 s[2:3], 1, v0
	v_cndmask_b32_e64 v32, v3, v5, s[2:3]
	v_cmp_eq_u32_e64 s[4:5], 2, v0
	v_cndmask_b32_e64 v7, v32, v7, s[4:5]
	v_cndmask_b32_e64 v32, v2, v4, s[2:3]
	v_cmp_eq_u32_e64 s[8:9], 3, v0
	v_cndmask_b32_e64 v6, v32, v6, s[4:5]
	;; [unrolled: 3-line block ×10, first 2 shown]
	ds_read_b64 v[32:33], v36
	v_cndmask_b32_e64 v7, v7, v25, s[24:25]
	v_cmp_eq_u32_e64 s[26:27], 12, v0
	v_cndmask_b32_e64 v6, v6, v24, s[24:25]
	v_cndmask_b32_e64 v7, v7, v27, s[26:27]
	v_cmp_eq_u32_e64 s[28:29], 13, v0
	v_cndmask_b32_e64 v6, v6, v26, s[26:27]
	;; [unrolled: 3-line block ×3, first 2 shown]
	v_cndmask_b32_e64 v7, v7, v31, s[30:31]
	v_cndmask_b32_e64 v6, v6, v30, s[30:31]
	s_waitcnt lgkmcnt(0)
	v_fma_f64 v[6:7], v[6:7], v[32:33], 0
	v_mov_b32_e32 v32, 0
	ds_read2_b64 v[32:35], v32 offset0:2 offset1:17
	s_waitcnt lgkmcnt(0)
	v_fma_f64 v[34:35], v[4:5], v[34:35], v[6:7]
	v_cndmask_b32_e64 v7, v7, v35, s[0:1]
	v_cndmask_b32_e64 v6, v6, v34, s[0:1]
	v_mul_f64 v[6:7], v[6:7], v[32:33]
.LBB14_21:
	s_or_b64 exec, exec, s[34:35]
	v_cmp_gt_u32_e64 s[2:3], 3, v0
	; wave barrier
	ds_write_b64 v36, v[8:9]
	s_waitcnt lgkmcnt(0)
	; wave barrier
	s_and_saveexec_b64 s[8:9], s[2:3]
	s_cbranch_execz .LBB14_25
; %bb.22:
	v_mov_b32_e32 v32, 0x80
	v_lshl_add_u32 v37, v0, 3, v32
	v_mov_b32_e32 v32, 0
	v_mov_b32_e32 v35, v1
	;; [unrolled: 1-line block ×3, first 2 shown]
	s_mov_b64 s[10:11], 0
	v_mov_b32_e32 v34, v0
.LBB14_23:                              ; =>This Inner Loop Header: Depth=1
	v_cmp_eq_u32_e64 s[2:3], 1, v34
	v_cndmask_b32_e64 v40, v3, v5, s[2:3]
	v_cmp_eq_u32_e64 s[4:5], 2, v34
	v_cndmask_b32_e64 v40, v40, v7, s[4:5]
	v_cndmask_b32_e64 v41, v2, v4, s[2:3]
	v_cmp_eq_u32_e64 s[2:3], 3, v34
	v_cndmask_b32_e64 v40, v40, v9, s[2:3]
	;; [unrolled: 3-line block ×9, first 2 shown]
	v_cndmask_b32_e64 v41, v41, v20, s[2:3]
	v_cmp_eq_u32_e64 s[2:3], 11, v34
	ds_read_b64 v[38:39], v37
	v_cndmask_b32_e64 v40, v40, v25, s[2:3]
	v_cndmask_b32_e64 v41, v41, v22, s[4:5]
	v_cmp_eq_u32_e64 s[4:5], 12, v34
	v_cndmask_b32_e64 v40, v40, v27, s[4:5]
	v_cndmask_b32_e64 v41, v41, v24, s[2:3]
	v_cmp_eq_u32_e64 s[2:3], 13, v34
	;; [unrolled: 3-line block ×3, first 2 shown]
	v_cndmask_b32_e64 v41, v40, v31, s[4:5]
	v_cndmask_b32_e64 v40, v42, v28, s[2:3]
	;; [unrolled: 1-line block ×3, first 2 shown]
	s_waitcnt lgkmcnt(0)
	v_fma_f64 v[32:33], v[40:41], v[38:39], v[32:33]
	v_add_co_u32_e64 v34, s[2:3], 1, v34
	v_addc_co_u32_e64 v35, s[2:3], 0, v35, s[2:3]
	v_add_u32_e32 v38, -1, v34
	v_cmp_lt_u32_e64 s[2:3], 1, v38
	s_or_b64 s[10:11], s[2:3], s[10:11]
	v_add_u32_e32 v37, 8, v37
	s_andn2_b64 exec, exec, s[10:11]
	s_cbranch_execnz .LBB14_23
; %bb.24:
	s_or_b64 exec, exec, s[10:11]
	v_mov_b32_e32 v8, 0
	ds_read_b64 v[8:9], v8 offset:24
	s_waitcnt lgkmcnt(0)
	v_mul_f64 v[8:9], v[32:33], v[8:9]
.LBB14_25:
	s_or_b64 exec, exec, s[8:9]
	v_cmp_gt_u32_e64 s[2:3], 4, v0
	; wave barrier
	ds_write_b64 v36, v[10:11]
	s_waitcnt lgkmcnt(0)
	; wave barrier
	s_and_saveexec_b64 s[10:11], s[2:3]
	s_cbranch_execz .LBB14_29
; %bb.26:
	v_mov_b32_e32 v32, 0x80
	v_lshl_add_u32 v37, v0, 3, v32
	v_mov_b32_e32 v32, 0
	v_mov_b32_e32 v35, v1
	;; [unrolled: 1-line block ×3, first 2 shown]
	s_mov_b64 s[12:13], 0
	v_mov_b32_e32 v34, v0
.LBB14_27:                              ; =>This Inner Loop Header: Depth=1
	v_cmp_eq_u32_e64 s[4:5], 1, v34
	v_cndmask_b32_e64 v40, v3, v5, s[4:5]
	v_cmp_eq_u32_e64 s[8:9], 2, v34
	v_cndmask_b32_e64 v40, v40, v7, s[8:9]
	v_cndmask_b32_e64 v41, v2, v4, s[4:5]
	v_cmp_eq_u32_e64 s[4:5], 3, v34
	v_cndmask_b32_e64 v40, v40, v9, s[4:5]
	;; [unrolled: 3-line block ×9, first 2 shown]
	v_cndmask_b32_e64 v41, v41, v20, s[4:5]
	v_cmp_eq_u32_e64 s[4:5], 11, v34
	ds_read_b64 v[38:39], v37
	v_cndmask_b32_e64 v40, v40, v25, s[4:5]
	v_cndmask_b32_e64 v41, v41, v22, s[8:9]
	v_cmp_eq_u32_e64 s[8:9], 12, v34
	v_cndmask_b32_e64 v40, v40, v27, s[8:9]
	v_cndmask_b32_e64 v41, v41, v24, s[4:5]
	v_cmp_eq_u32_e64 s[4:5], 13, v34
	;; [unrolled: 3-line block ×3, first 2 shown]
	v_cndmask_b32_e64 v41, v40, v31, s[8:9]
	v_cndmask_b32_e64 v40, v42, v28, s[4:5]
	;; [unrolled: 1-line block ×3, first 2 shown]
	s_waitcnt lgkmcnt(0)
	v_fma_f64 v[32:33], v[40:41], v[38:39], v[32:33]
	v_add_co_u32_e64 v34, s[4:5], 1, v34
	v_addc_co_u32_e64 v35, s[4:5], 0, v35, s[4:5]
	v_add_u32_e32 v38, -1, v34
	v_cmp_lt_u32_e64 s[4:5], 2, v38
	s_or_b64 s[12:13], s[4:5], s[12:13]
	v_add_u32_e32 v37, 8, v37
	s_andn2_b64 exec, exec, s[12:13]
	s_cbranch_execnz .LBB14_27
; %bb.28:
	s_or_b64 exec, exec, s[12:13]
	v_mov_b32_e32 v10, 0
	ds_read_b64 v[10:11], v10 offset:32
	s_waitcnt lgkmcnt(0)
	v_mul_f64 v[10:11], v[32:33], v[10:11]
.LBB14_29:
	s_or_b64 exec, exec, s[10:11]
	v_cmp_gt_u32_e64 s[4:5], 5, v0
	; wave barrier
	ds_write_b64 v36, v[12:13]
	s_waitcnt lgkmcnt(0)
	; wave barrier
	s_and_saveexec_b64 s[10:11], s[4:5]
	s_cbranch_execz .LBB14_33
; %bb.30:
	v_mov_b32_e32 v32, 0x80
	v_lshl_add_u32 v37, v0, 3, v32
	v_mov_b32_e32 v32, 0
	v_mov_b32_e32 v35, v1
	;; [unrolled: 1-line block ×3, first 2 shown]
	s_mov_b64 s[12:13], 0
	v_mov_b32_e32 v34, v0
.LBB14_31:                              ; =>This Inner Loop Header: Depth=1
	v_cmp_eq_u32_e64 s[4:5], 1, v34
	v_cndmask_b32_e64 v40, v3, v5, s[4:5]
	v_cmp_eq_u32_e64 s[8:9], 2, v34
	v_cndmask_b32_e64 v40, v40, v7, s[8:9]
	v_cndmask_b32_e64 v41, v2, v4, s[4:5]
	v_cmp_eq_u32_e64 s[4:5], 3, v34
	v_cndmask_b32_e64 v40, v40, v9, s[4:5]
	;; [unrolled: 3-line block ×9, first 2 shown]
	v_cndmask_b32_e64 v41, v41, v20, s[4:5]
	v_cmp_eq_u32_e64 s[4:5], 11, v34
	ds_read_b64 v[38:39], v37
	v_cndmask_b32_e64 v40, v40, v25, s[4:5]
	v_cndmask_b32_e64 v41, v41, v22, s[8:9]
	v_cmp_eq_u32_e64 s[8:9], 12, v34
	v_cndmask_b32_e64 v40, v40, v27, s[8:9]
	v_cndmask_b32_e64 v41, v41, v24, s[4:5]
	v_cmp_eq_u32_e64 s[4:5], 13, v34
	v_cndmask_b32_e64 v40, v40, v29, s[4:5]
	v_cndmask_b32_e64 v42, v41, v26, s[8:9]
	v_cmp_eq_u32_e64 s[8:9], 14, v34
	v_cndmask_b32_e64 v41, v40, v31, s[8:9]
	v_cndmask_b32_e64 v40, v42, v28, s[4:5]
	;; [unrolled: 1-line block ×3, first 2 shown]
	s_waitcnt lgkmcnt(0)
	v_fma_f64 v[32:33], v[40:41], v[38:39], v[32:33]
	v_add_co_u32_e64 v34, s[4:5], 1, v34
	v_addc_co_u32_e64 v35, s[4:5], 0, v35, s[4:5]
	v_add_u32_e32 v38, -1, v34
	v_cmp_lt_u32_e64 s[4:5], 3, v38
	s_or_b64 s[12:13], s[4:5], s[12:13]
	v_add_u32_e32 v37, 8, v37
	s_andn2_b64 exec, exec, s[12:13]
	s_cbranch_execnz .LBB14_31
; %bb.32:
	s_or_b64 exec, exec, s[12:13]
	v_mov_b32_e32 v12, 0
	ds_read_b64 v[12:13], v12 offset:40
	s_waitcnt lgkmcnt(0)
	v_mul_f64 v[12:13], v[32:33], v[12:13]
.LBB14_33:
	s_or_b64 exec, exec, s[10:11]
	v_cmp_gt_u32_e64 s[4:5], 6, v0
	; wave barrier
	ds_write_b64 v36, v[14:15]
	s_waitcnt lgkmcnt(0)
	; wave barrier
	s_and_saveexec_b64 s[12:13], s[4:5]
	s_cbranch_execz .LBB14_37
; %bb.34:
	v_mov_b32_e32 v32, 0x80
	v_lshl_add_u32 v37, v0, 3, v32
	v_mov_b32_e32 v32, 0
	v_mov_b32_e32 v35, v1
	;; [unrolled: 1-line block ×3, first 2 shown]
	s_mov_b64 s[14:15], 0
	v_mov_b32_e32 v34, v0
.LBB14_35:                              ; =>This Inner Loop Header: Depth=1
	v_cmp_eq_u32_e64 s[8:9], 1, v34
	v_cndmask_b32_e64 v40, v3, v5, s[8:9]
	v_cmp_eq_u32_e64 s[10:11], 2, v34
	v_cndmask_b32_e64 v40, v40, v7, s[10:11]
	v_cndmask_b32_e64 v41, v2, v4, s[8:9]
	v_cmp_eq_u32_e64 s[8:9], 3, v34
	v_cndmask_b32_e64 v40, v40, v9, s[8:9]
	;; [unrolled: 3-line block ×9, first 2 shown]
	v_cndmask_b32_e64 v41, v41, v20, s[8:9]
	v_cmp_eq_u32_e64 s[8:9], 11, v34
	ds_read_b64 v[38:39], v37
	v_cndmask_b32_e64 v40, v40, v25, s[8:9]
	v_cndmask_b32_e64 v41, v41, v22, s[10:11]
	v_cmp_eq_u32_e64 s[10:11], 12, v34
	v_cndmask_b32_e64 v40, v40, v27, s[10:11]
	v_cndmask_b32_e64 v41, v41, v24, s[8:9]
	v_cmp_eq_u32_e64 s[8:9], 13, v34
	;; [unrolled: 3-line block ×3, first 2 shown]
	v_cndmask_b32_e64 v41, v40, v31, s[10:11]
	v_cndmask_b32_e64 v40, v42, v28, s[8:9]
	;; [unrolled: 1-line block ×3, first 2 shown]
	s_waitcnt lgkmcnt(0)
	v_fma_f64 v[32:33], v[40:41], v[38:39], v[32:33]
	v_add_co_u32_e64 v34, s[8:9], 1, v34
	v_addc_co_u32_e64 v35, s[8:9], 0, v35, s[8:9]
	v_add_u32_e32 v38, -1, v34
	v_cmp_lt_u32_e64 s[8:9], 4, v38
	s_or_b64 s[14:15], s[8:9], s[14:15]
	v_add_u32_e32 v37, 8, v37
	s_andn2_b64 exec, exec, s[14:15]
	s_cbranch_execnz .LBB14_35
; %bb.36:
	s_or_b64 exec, exec, s[14:15]
	v_mov_b32_e32 v14, 0
	ds_read_b64 v[14:15], v14 offset:48
	s_waitcnt lgkmcnt(0)
	v_mul_f64 v[14:15], v[32:33], v[14:15]
.LBB14_37:
	s_or_b64 exec, exec, s[12:13]
	v_cmp_gt_u32_e64 s[8:9], 7, v0
	; wave barrier
	ds_write_b64 v36, v[16:17]
	s_waitcnt lgkmcnt(0)
	; wave barrier
	s_and_saveexec_b64 s[12:13], s[8:9]
	s_cbranch_execz .LBB14_41
; %bb.38:
	v_mov_b32_e32 v32, 0x80
	v_lshl_add_u32 v37, v0, 3, v32
	v_mov_b32_e32 v32, 0
	v_mov_b32_e32 v35, v1
	;; [unrolled: 1-line block ×3, first 2 shown]
	s_mov_b64 s[14:15], 0
	v_mov_b32_e32 v34, v0
.LBB14_39:                              ; =>This Inner Loop Header: Depth=1
	v_cmp_eq_u32_e64 s[8:9], 1, v34
	v_cndmask_b32_e64 v40, v3, v5, s[8:9]
	v_cmp_eq_u32_e64 s[10:11], 2, v34
	v_cndmask_b32_e64 v40, v40, v7, s[10:11]
	v_cndmask_b32_e64 v41, v2, v4, s[8:9]
	v_cmp_eq_u32_e64 s[8:9], 3, v34
	v_cndmask_b32_e64 v40, v40, v9, s[8:9]
	;; [unrolled: 3-line block ×9, first 2 shown]
	v_cndmask_b32_e64 v41, v41, v20, s[8:9]
	v_cmp_eq_u32_e64 s[8:9], 11, v34
	ds_read_b64 v[38:39], v37
	v_cndmask_b32_e64 v40, v40, v25, s[8:9]
	v_cndmask_b32_e64 v41, v41, v22, s[10:11]
	v_cmp_eq_u32_e64 s[10:11], 12, v34
	v_cndmask_b32_e64 v40, v40, v27, s[10:11]
	v_cndmask_b32_e64 v41, v41, v24, s[8:9]
	v_cmp_eq_u32_e64 s[8:9], 13, v34
	;; [unrolled: 3-line block ×3, first 2 shown]
	v_cndmask_b32_e64 v41, v40, v31, s[10:11]
	v_cndmask_b32_e64 v40, v42, v28, s[8:9]
	;; [unrolled: 1-line block ×3, first 2 shown]
	s_waitcnt lgkmcnt(0)
	v_fma_f64 v[32:33], v[40:41], v[38:39], v[32:33]
	v_add_co_u32_e64 v34, s[8:9], 1, v34
	v_addc_co_u32_e64 v35, s[8:9], 0, v35, s[8:9]
	v_add_u32_e32 v38, -1, v34
	v_cmp_lt_u32_e64 s[8:9], 5, v38
	s_or_b64 s[14:15], s[8:9], s[14:15]
	v_add_u32_e32 v37, 8, v37
	s_andn2_b64 exec, exec, s[14:15]
	s_cbranch_execnz .LBB14_39
; %bb.40:
	s_or_b64 exec, exec, s[14:15]
	v_mov_b32_e32 v16, 0
	ds_read_b64 v[16:17], v16 offset:56
	s_waitcnt lgkmcnt(0)
	v_mul_f64 v[16:17], v[32:33], v[16:17]
.LBB14_41:
	s_or_b64 exec, exec, s[12:13]
	v_cmp_gt_u32_e64 s[8:9], 8, v0
	; wave barrier
	ds_write_b64 v36, v[18:19]
	s_waitcnt lgkmcnt(0)
	; wave barrier
	s_and_saveexec_b64 s[44:45], s[8:9]
	s_cbranch_execz .LBB14_57
; %bb.42:
	v_cmp_eq_u32_e64 s[8:9], 1, v0
	v_cndmask_b32_e64 v32, v3, v5, s[8:9]
	v_cmp_eq_u32_e64 s[10:11], 2, v0
	v_cndmask_b32_e64 v32, v32, v7, s[10:11]
	;; [unrolled: 2-line block ×14, first 2 shown]
	v_cndmask_b32_e64 v32, v2, v4, s[8:9]
	v_cndmask_b32_e64 v32, v32, v6, s[10:11]
	;; [unrolled: 1-line block ×10, first 2 shown]
	ds_read_b64 v[34:35], v36
	v_cndmask_b32_e64 v32, v32, v24, s[28:29]
	v_cndmask_b32_e64 v32, v32, v26, s[30:31]
	;; [unrolled: 1-line block ×4, first 2 shown]
	s_waitcnt lgkmcnt(0)
	v_fma_f64 v[32:33], v[32:33], v[34:35], 0
	v_cmp_ne_u32_e64 s[8:9], 7, v0
	s_and_saveexec_b64 s[46:47], s[8:9]
	s_cbranch_execz .LBB14_56
; %bb.43:
	v_add_u32_e32 v34, 1, v0
	v_cmp_eq_u32_e64 s[8:9], 1, v34
	v_cndmask_b32_e64 v35, v3, v5, s[8:9]
	v_cmp_eq_u32_e64 s[10:11], 2, v34
	v_cmp_eq_u32_e64 s[12:13], 3, v34
	;; [unrolled: 1-line block ×13, first 2 shown]
	v_cndmask_b32_e64 v34, v2, v4, s[8:9]
	v_cndmask_b32_e64 v35, v35, v7, s[10:11]
	;; [unrolled: 1-line block ×19, first 2 shown]
	ds_read_b64 v[37:38], v36 offset:8
	v_cndmask_b32_e64 v35, v35, v25, s[28:29]
	v_cndmask_b32_e64 v34, v34, v24, s[28:29]
	;; [unrolled: 1-line block ×8, first 2 shown]
	s_waitcnt lgkmcnt(0)
	v_fma_f64 v[32:33], v[34:35], v[37:38], v[32:33]
	s_and_saveexec_b64 s[36:37], s[4:5]
	s_cbranch_execz .LBB14_55
; %bb.44:
	v_add_u32_e32 v34, 2, v0
	v_cmp_eq_u32_e64 s[4:5], 1, v34
	v_cndmask_b32_e64 v35, v3, v5, s[4:5]
	v_cmp_eq_u32_e64 s[8:9], 2, v34
	v_cmp_eq_u32_e64 s[10:11], 3, v34
	;; [unrolled: 1-line block ×13, first 2 shown]
	v_cndmask_b32_e64 v34, v2, v4, s[4:5]
	v_cndmask_b32_e64 v35, v35, v7, s[8:9]
	;; [unrolled: 1-line block ×19, first 2 shown]
	ds_read_b64 v[37:38], v36 offset:16
	v_cndmask_b32_e64 v35, v35, v25, s[26:27]
	v_cndmask_b32_e64 v34, v34, v24, s[26:27]
	;; [unrolled: 1-line block ×8, first 2 shown]
	s_waitcnt lgkmcnt(0)
	v_fma_f64 v[32:33], v[34:35], v[37:38], v[32:33]
	v_cmp_ne_u32_e64 s[4:5], 5, v0
	s_and_saveexec_b64 s[48:49], s[4:5]
	s_cbranch_execz .LBB14_54
; %bb.45:
	v_add_u32_e32 v34, 3, v0
	v_cmp_eq_u32_e64 s[4:5], 1, v34
	v_cndmask_b32_e64 v35, v3, v5, s[4:5]
	v_cmp_eq_u32_e64 s[8:9], 2, v34
	v_cmp_eq_u32_e64 s[10:11], 3, v34
	;; [unrolled: 1-line block ×13, first 2 shown]
	v_cndmask_b32_e64 v34, v2, v4, s[4:5]
	v_cndmask_b32_e64 v35, v35, v7, s[8:9]
	;; [unrolled: 1-line block ×19, first 2 shown]
	ds_read_b64 v[37:38], v36 offset:24
	v_cndmask_b32_e64 v35, v35, v25, s[26:27]
	v_cndmask_b32_e64 v34, v34, v24, s[26:27]
	;; [unrolled: 1-line block ×8, first 2 shown]
	s_waitcnt lgkmcnt(0)
	v_fma_f64 v[32:33], v[34:35], v[37:38], v[32:33]
	s_and_saveexec_b64 s[34:35], s[2:3]
	s_cbranch_execz .LBB14_53
; %bb.46:
	v_or_b32_e32 v34, 4, v0
	v_cmp_eq_u32_e64 s[2:3], 1, v34
	v_cndmask_b32_e64 v35, v3, v5, s[2:3]
	v_cmp_eq_u32_e64 s[4:5], 2, v34
	v_cmp_eq_u32_e64 s[8:9], 3, v34
	;; [unrolled: 1-line block ×13, first 2 shown]
	v_cndmask_b32_e64 v34, v2, v4, s[2:3]
	v_cndmask_b32_e64 v35, v35, v7, s[4:5]
	;; [unrolled: 1-line block ×19, first 2 shown]
	ds_read_b64 v[37:38], v36 offset:32
	v_cndmask_b32_e64 v35, v35, v25, s[24:25]
	v_cndmask_b32_e64 v34, v34, v24, s[24:25]
	;; [unrolled: 1-line block ×8, first 2 shown]
	s_waitcnt lgkmcnt(0)
	v_fma_f64 v[32:33], v[34:35], v[37:38], v[32:33]
	v_cmp_ne_u32_e64 s[2:3], 3, v0
	s_and_saveexec_b64 s[50:51], s[2:3]
	s_cbranch_execz .LBB14_52
; %bb.47:
	v_add_u32_e32 v34, 5, v0
	v_cmp_eq_u32_e64 s[2:3], 1, v34
	v_cndmask_b32_e64 v35, v3, v5, s[2:3]
	v_cmp_eq_u32_e64 s[4:5], 2, v34
	v_cmp_eq_u32_e64 s[8:9], 3, v34
	;; [unrolled: 1-line block ×13, first 2 shown]
	v_cndmask_b32_e64 v34, v2, v4, s[2:3]
	v_cndmask_b32_e64 v35, v35, v7, s[4:5]
	;; [unrolled: 1-line block ×19, first 2 shown]
	ds_read_b64 v[37:38], v36 offset:40
	v_cndmask_b32_e64 v35, v35, v25, s[24:25]
	v_cndmask_b32_e64 v34, v34, v24, s[24:25]
	;; [unrolled: 1-line block ×8, first 2 shown]
	s_waitcnt lgkmcnt(0)
	v_fma_f64 v[32:33], v[34:35], v[37:38], v[32:33]
	s_and_saveexec_b64 s[30:31], vcc
	s_cbranch_execz .LBB14_51
; %bb.48:
	v_or_b32_e32 v34, 6, v0
	v_cmp_eq_u32_e32 vcc, 1, v34
	v_cndmask_b32_e32 v35, v3, v5, vcc
	v_cmp_eq_u32_e64 s[2:3], 2, v34
	v_cmp_eq_u32_e64 s[4:5], 3, v34
	;; [unrolled: 1-line block ×13, first 2 shown]
	v_cndmask_b32_e32 v34, v2, v4, vcc
	v_cndmask_b32_e64 v35, v35, v7, s[2:3]
	v_cndmask_b32_e64 v34, v34, v6, s[2:3]
	;; [unrolled: 1-line block ×18, first 2 shown]
	ds_read_b64 v[34:35], v36 offset:48
	v_cndmask_b32_e64 v19, v19, v25, s[22:23]
	v_cndmask_b32_e64 v18, v18, v24, s[22:23]
	;; [unrolled: 1-line block ×8, first 2 shown]
	s_waitcnt lgkmcnt(0)
	v_fma_f64 v[32:33], v[18:19], v[34:35], v[32:33]
	s_and_saveexec_b64 s[2:3], s[0:1]
	s_cbranch_execz .LBB14_50
; %bb.49:
	ds_read_b64 v[18:19], v36 offset:56
	s_waitcnt lgkmcnt(0)
	v_fma_f64 v[32:33], v[16:17], v[18:19], v[32:33]
.LBB14_50:
	s_or_b64 exec, exec, s[2:3]
.LBB14_51:
	s_or_b64 exec, exec, s[30:31]
.LBB14_52:
	s_or_b64 exec, exec, s[50:51]
.LBB14_53:
	s_or_b64 exec, exec, s[34:35]
.LBB14_54:
	s_or_b64 exec, exec, s[48:49]
.LBB14_55:
	s_or_b64 exec, exec, s[36:37]
.LBB14_56:
	s_or_b64 exec, exec, s[46:47]
	v_mov_b32_e32 v18, 0
	ds_read_b64 v[18:19], v18 offset:64
	s_waitcnt lgkmcnt(0)
	v_mul_f64 v[18:19], v[32:33], v[18:19]
.LBB14_57:
	s_or_b64 exec, exec, s[44:45]
	v_cmp_gt_u32_e32 vcc, 9, v0
	; wave barrier
	ds_write_b64 v36, v[20:21]
	s_waitcnt lgkmcnt(0)
	; wave barrier
	s_and_saveexec_b64 s[2:3], vcc
	s_cbranch_execz .LBB14_61
; %bb.58:
	v_mov_b32_e32 v32, 0x80
	v_lshl_add_u32 v37, v0, 3, v32
	v_mov_b32_e32 v32, 0
	v_mov_b32_e32 v35, v1
	;; [unrolled: 1-line block ×3, first 2 shown]
	s_mov_b64 s[4:5], 0
	v_mov_b32_e32 v34, v0
.LBB14_59:                              ; =>This Inner Loop Header: Depth=1
	v_cmp_eq_u32_e32 vcc, 1, v34
	v_cndmask_b32_e32 v40, v3, v5, vcc
	v_cmp_eq_u32_e64 s[0:1], 2, v34
	v_cndmask_b32_e64 v40, v40, v7, s[0:1]
	v_cndmask_b32_e32 v41, v2, v4, vcc
	v_cmp_eq_u32_e32 vcc, 3, v34
	v_cndmask_b32_e32 v40, v40, v9, vcc
	v_cndmask_b32_e64 v41, v41, v6, s[0:1]
	v_cmp_eq_u32_e64 s[0:1], 4, v34
	v_cndmask_b32_e64 v40, v40, v11, s[0:1]
	v_cndmask_b32_e32 v41, v41, v8, vcc
	v_cmp_eq_u32_e32 vcc, 5, v34
	v_cndmask_b32_e32 v40, v40, v13, vcc
	v_cndmask_b32_e64 v41, v41, v10, s[0:1]
	v_cmp_eq_u32_e64 s[0:1], 6, v34
	v_cndmask_b32_e64 v40, v40, v15, s[0:1]
	v_cndmask_b32_e32 v41, v41, v12, vcc
	v_cmp_eq_u32_e32 vcc, 7, v34
	v_cndmask_b32_e32 v40, v40, v17, vcc
	v_cndmask_b32_e64 v41, v41, v14, s[0:1]
	v_cmp_eq_u32_e64 s[0:1], 8, v34
	v_cndmask_b32_e64 v40, v40, v19, s[0:1]
	v_cndmask_b32_e32 v41, v41, v16, vcc
	v_cmp_eq_u32_e32 vcc, 9, v34
	v_cndmask_b32_e32 v40, v40, v21, vcc
	v_cndmask_b32_e64 v41, v41, v18, s[0:1]
	v_cmp_eq_u32_e64 s[0:1], 10, v34
	v_cndmask_b32_e64 v40, v40, v23, s[0:1]
	v_cndmask_b32_e32 v41, v41, v20, vcc
	v_cmp_eq_u32_e32 vcc, 11, v34
	ds_read_b64 v[38:39], v37
	v_cndmask_b32_e32 v40, v40, v25, vcc
	v_cndmask_b32_e64 v41, v41, v22, s[0:1]
	v_cmp_eq_u32_e64 s[0:1], 12, v34
	v_cndmask_b32_e64 v40, v40, v27, s[0:1]
	v_cndmask_b32_e32 v41, v41, v24, vcc
	v_cmp_eq_u32_e32 vcc, 13, v34
	v_cndmask_b32_e32 v40, v40, v29, vcc
	v_cndmask_b32_e64 v42, v41, v26, s[0:1]
	v_cmp_eq_u32_e64 s[0:1], 14, v34
	v_cndmask_b32_e64 v41, v40, v31, s[0:1]
	v_cndmask_b32_e32 v40, v42, v28, vcc
	v_cndmask_b32_e64 v40, v40, v30, s[0:1]
	s_waitcnt lgkmcnt(0)
	v_fma_f64 v[32:33], v[40:41], v[38:39], v[32:33]
	v_add_co_u32_e32 v34, vcc, 1, v34
	v_addc_co_u32_e32 v35, vcc, 0, v35, vcc
	v_add_u32_e32 v38, -1, v34
	v_cmp_lt_u32_e32 vcc, 7, v38
	s_or_b64 s[4:5], vcc, s[4:5]
	v_add_u32_e32 v37, 8, v37
	s_andn2_b64 exec, exec, s[4:5]
	s_cbranch_execnz .LBB14_59
; %bb.60:
	s_or_b64 exec, exec, s[4:5]
	v_mov_b32_e32 v20, 0
	ds_read_b64 v[20:21], v20 offset:72
	s_waitcnt lgkmcnt(0)
	v_mul_f64 v[20:21], v[32:33], v[20:21]
.LBB14_61:
	s_or_b64 exec, exec, s[2:3]
	v_cmp_gt_u32_e32 vcc, 10, v0
	; wave barrier
	ds_write_b64 v36, v[22:23]
	s_waitcnt lgkmcnt(0)
	; wave barrier
	s_and_saveexec_b64 s[2:3], vcc
	s_cbranch_execz .LBB14_65
; %bb.62:
	v_mov_b32_e32 v32, 0x80
	v_lshl_add_u32 v37, v0, 3, v32
	v_mov_b32_e32 v32, 0
	v_mov_b32_e32 v35, v1
	;; [unrolled: 1-line block ×3, first 2 shown]
	s_mov_b64 s[4:5], 0
	v_mov_b32_e32 v34, v0
.LBB14_63:                              ; =>This Inner Loop Header: Depth=1
	v_cmp_eq_u32_e32 vcc, 1, v34
	v_cndmask_b32_e32 v40, v3, v5, vcc
	v_cmp_eq_u32_e64 s[0:1], 2, v34
	v_cndmask_b32_e64 v40, v40, v7, s[0:1]
	v_cndmask_b32_e32 v41, v2, v4, vcc
	v_cmp_eq_u32_e32 vcc, 3, v34
	v_cndmask_b32_e32 v40, v40, v9, vcc
	v_cndmask_b32_e64 v41, v41, v6, s[0:1]
	v_cmp_eq_u32_e64 s[0:1], 4, v34
	v_cndmask_b32_e64 v40, v40, v11, s[0:1]
	v_cndmask_b32_e32 v41, v41, v8, vcc
	v_cmp_eq_u32_e32 vcc, 5, v34
	v_cndmask_b32_e32 v40, v40, v13, vcc
	v_cndmask_b32_e64 v41, v41, v10, s[0:1]
	;; [unrolled: 6-line block ×4, first 2 shown]
	v_cmp_eq_u32_e64 s[0:1], 10, v34
	v_cndmask_b32_e64 v40, v40, v23, s[0:1]
	v_cndmask_b32_e32 v41, v41, v20, vcc
	v_cmp_eq_u32_e32 vcc, 11, v34
	ds_read_b64 v[38:39], v37
	v_cndmask_b32_e32 v40, v40, v25, vcc
	v_cndmask_b32_e64 v41, v41, v22, s[0:1]
	v_cmp_eq_u32_e64 s[0:1], 12, v34
	v_cndmask_b32_e64 v40, v40, v27, s[0:1]
	v_cndmask_b32_e32 v41, v41, v24, vcc
	v_cmp_eq_u32_e32 vcc, 13, v34
	v_cndmask_b32_e32 v40, v40, v29, vcc
	v_cndmask_b32_e64 v42, v41, v26, s[0:1]
	v_cmp_eq_u32_e64 s[0:1], 14, v34
	v_cndmask_b32_e64 v41, v40, v31, s[0:1]
	v_cndmask_b32_e32 v40, v42, v28, vcc
	v_cndmask_b32_e64 v40, v40, v30, s[0:1]
	s_waitcnt lgkmcnt(0)
	v_fma_f64 v[32:33], v[40:41], v[38:39], v[32:33]
	v_add_co_u32_e32 v34, vcc, 1, v34
	v_addc_co_u32_e32 v35, vcc, 0, v35, vcc
	v_add_u32_e32 v38, -1, v34
	v_cmp_lt_u32_e32 vcc, 8, v38
	s_or_b64 s[4:5], vcc, s[4:5]
	v_add_u32_e32 v37, 8, v37
	s_andn2_b64 exec, exec, s[4:5]
	s_cbranch_execnz .LBB14_63
; %bb.64:
	s_or_b64 exec, exec, s[4:5]
	v_mov_b32_e32 v22, 0
	ds_read_b64 v[22:23], v22 offset:80
	s_waitcnt lgkmcnt(0)
	v_mul_f64 v[22:23], v[32:33], v[22:23]
.LBB14_65:
	s_or_b64 exec, exec, s[2:3]
	v_cmp_gt_u32_e32 vcc, 11, v0
	; wave barrier
	ds_write_b64 v36, v[24:25]
	s_waitcnt lgkmcnt(0)
	; wave barrier
	s_and_saveexec_b64 s[2:3], vcc
	s_cbranch_execz .LBB14_69
; %bb.66:
	v_mov_b32_e32 v32, 0x80
	v_lshl_add_u32 v37, v0, 3, v32
	v_mov_b32_e32 v32, 0
	v_mov_b32_e32 v35, v1
	;; [unrolled: 1-line block ×3, first 2 shown]
	s_mov_b64 s[4:5], 0
	v_mov_b32_e32 v34, v0
.LBB14_67:                              ; =>This Inner Loop Header: Depth=1
	v_cmp_eq_u32_e32 vcc, 1, v34
	v_cndmask_b32_e32 v40, v3, v5, vcc
	v_cmp_eq_u32_e64 s[0:1], 2, v34
	v_cndmask_b32_e64 v40, v40, v7, s[0:1]
	v_cndmask_b32_e32 v41, v2, v4, vcc
	v_cmp_eq_u32_e32 vcc, 3, v34
	v_cndmask_b32_e32 v40, v40, v9, vcc
	v_cndmask_b32_e64 v41, v41, v6, s[0:1]
	v_cmp_eq_u32_e64 s[0:1], 4, v34
	v_cndmask_b32_e64 v40, v40, v11, s[0:1]
	v_cndmask_b32_e32 v41, v41, v8, vcc
	v_cmp_eq_u32_e32 vcc, 5, v34
	v_cndmask_b32_e32 v40, v40, v13, vcc
	v_cndmask_b32_e64 v41, v41, v10, s[0:1]
	;; [unrolled: 6-line block ×4, first 2 shown]
	v_cmp_eq_u32_e64 s[0:1], 10, v34
	v_cndmask_b32_e64 v40, v40, v23, s[0:1]
	v_cndmask_b32_e32 v41, v41, v20, vcc
	v_cmp_eq_u32_e32 vcc, 11, v34
	ds_read_b64 v[38:39], v37
	v_cndmask_b32_e32 v40, v40, v25, vcc
	v_cndmask_b32_e64 v41, v41, v22, s[0:1]
	v_cmp_eq_u32_e64 s[0:1], 12, v34
	v_cndmask_b32_e64 v40, v40, v27, s[0:1]
	v_cndmask_b32_e32 v41, v41, v24, vcc
	v_cmp_eq_u32_e32 vcc, 13, v34
	v_cndmask_b32_e32 v40, v40, v29, vcc
	v_cndmask_b32_e64 v42, v41, v26, s[0:1]
	v_cmp_eq_u32_e64 s[0:1], 14, v34
	v_cndmask_b32_e64 v41, v40, v31, s[0:1]
	v_cndmask_b32_e32 v40, v42, v28, vcc
	v_cndmask_b32_e64 v40, v40, v30, s[0:1]
	s_waitcnt lgkmcnt(0)
	v_fma_f64 v[32:33], v[40:41], v[38:39], v[32:33]
	v_add_co_u32_e32 v34, vcc, 1, v34
	v_addc_co_u32_e32 v35, vcc, 0, v35, vcc
	v_add_u32_e32 v38, -1, v34
	v_cmp_lt_u32_e32 vcc, 9, v38
	s_or_b64 s[4:5], vcc, s[4:5]
	v_add_u32_e32 v37, 8, v37
	s_andn2_b64 exec, exec, s[4:5]
	s_cbranch_execnz .LBB14_67
; %bb.68:
	s_or_b64 exec, exec, s[4:5]
	v_mov_b32_e32 v24, 0
	ds_read_b64 v[24:25], v24 offset:88
	s_waitcnt lgkmcnt(0)
	v_mul_f64 v[24:25], v[32:33], v[24:25]
.LBB14_69:
	s_or_b64 exec, exec, s[2:3]
	v_cmp_gt_u32_e32 vcc, 12, v0
	; wave barrier
	ds_write_b64 v36, v[26:27]
	s_waitcnt lgkmcnt(0)
	; wave barrier
	s_and_saveexec_b64 s[2:3], vcc
	s_cbranch_execz .LBB14_73
; %bb.70:
	v_mov_b32_e32 v32, 0x80
	v_lshl_add_u32 v37, v0, 3, v32
	v_mov_b32_e32 v32, 0
	v_mov_b32_e32 v35, v1
	;; [unrolled: 1-line block ×3, first 2 shown]
	s_mov_b64 s[4:5], 0
	v_mov_b32_e32 v34, v0
.LBB14_71:                              ; =>This Inner Loop Header: Depth=1
	v_cmp_eq_u32_e32 vcc, 1, v34
	v_cndmask_b32_e32 v40, v3, v5, vcc
	v_cmp_eq_u32_e64 s[0:1], 2, v34
	v_cndmask_b32_e64 v40, v40, v7, s[0:1]
	v_cndmask_b32_e32 v41, v2, v4, vcc
	v_cmp_eq_u32_e32 vcc, 3, v34
	v_cndmask_b32_e32 v40, v40, v9, vcc
	v_cndmask_b32_e64 v41, v41, v6, s[0:1]
	v_cmp_eq_u32_e64 s[0:1], 4, v34
	v_cndmask_b32_e64 v40, v40, v11, s[0:1]
	v_cndmask_b32_e32 v41, v41, v8, vcc
	v_cmp_eq_u32_e32 vcc, 5, v34
	v_cndmask_b32_e32 v40, v40, v13, vcc
	v_cndmask_b32_e64 v41, v41, v10, s[0:1]
	;; [unrolled: 6-line block ×4, first 2 shown]
	v_cmp_eq_u32_e64 s[0:1], 10, v34
	v_cndmask_b32_e64 v40, v40, v23, s[0:1]
	v_cndmask_b32_e32 v41, v41, v20, vcc
	v_cmp_eq_u32_e32 vcc, 11, v34
	ds_read_b64 v[38:39], v37
	v_cndmask_b32_e32 v40, v40, v25, vcc
	v_cndmask_b32_e64 v41, v41, v22, s[0:1]
	v_cmp_eq_u32_e64 s[0:1], 12, v34
	v_cndmask_b32_e64 v40, v40, v27, s[0:1]
	v_cndmask_b32_e32 v41, v41, v24, vcc
	v_cmp_eq_u32_e32 vcc, 13, v34
	v_cndmask_b32_e32 v40, v40, v29, vcc
	v_cndmask_b32_e64 v42, v41, v26, s[0:1]
	v_cmp_eq_u32_e64 s[0:1], 14, v34
	v_cndmask_b32_e64 v41, v40, v31, s[0:1]
	v_cndmask_b32_e32 v40, v42, v28, vcc
	v_cndmask_b32_e64 v40, v40, v30, s[0:1]
	s_waitcnt lgkmcnt(0)
	v_fma_f64 v[32:33], v[40:41], v[38:39], v[32:33]
	v_add_co_u32_e32 v34, vcc, 1, v34
	v_addc_co_u32_e32 v35, vcc, 0, v35, vcc
	v_add_u32_e32 v38, -1, v34
	v_cmp_lt_u32_e32 vcc, 10, v38
	s_or_b64 s[4:5], vcc, s[4:5]
	v_add_u32_e32 v37, 8, v37
	s_andn2_b64 exec, exec, s[4:5]
	s_cbranch_execnz .LBB14_71
; %bb.72:
	s_or_b64 exec, exec, s[4:5]
	v_mov_b32_e32 v26, 0
	ds_read_b64 v[26:27], v26 offset:96
	s_waitcnt lgkmcnt(0)
	v_mul_f64 v[26:27], v[32:33], v[26:27]
.LBB14_73:
	s_or_b64 exec, exec, s[2:3]
	v_cmp_gt_u32_e32 vcc, 13, v0
	; wave barrier
	ds_write_b64 v36, v[28:29]
	s_waitcnt lgkmcnt(0)
	; wave barrier
	s_and_saveexec_b64 s[2:3], vcc
	s_cbranch_execz .LBB14_77
; %bb.74:
	v_mov_b32_e32 v32, 0x80
	v_lshl_add_u32 v37, v0, 3, v32
	v_mov_b32_e32 v32, 0
	v_mov_b32_e32 v35, v1
	;; [unrolled: 1-line block ×3, first 2 shown]
	s_mov_b64 s[4:5], 0
	v_mov_b32_e32 v34, v0
.LBB14_75:                              ; =>This Inner Loop Header: Depth=1
	v_cmp_eq_u32_e32 vcc, 1, v34
	v_cndmask_b32_e32 v40, v3, v5, vcc
	v_cmp_eq_u32_e64 s[0:1], 2, v34
	v_cndmask_b32_e64 v40, v40, v7, s[0:1]
	v_cndmask_b32_e32 v41, v2, v4, vcc
	v_cmp_eq_u32_e32 vcc, 3, v34
	v_cndmask_b32_e32 v40, v40, v9, vcc
	v_cndmask_b32_e64 v41, v41, v6, s[0:1]
	v_cmp_eq_u32_e64 s[0:1], 4, v34
	v_cndmask_b32_e64 v40, v40, v11, s[0:1]
	v_cndmask_b32_e32 v41, v41, v8, vcc
	v_cmp_eq_u32_e32 vcc, 5, v34
	v_cndmask_b32_e32 v40, v40, v13, vcc
	v_cndmask_b32_e64 v41, v41, v10, s[0:1]
	v_cmp_eq_u32_e64 s[0:1], 6, v34
	v_cndmask_b32_e64 v40, v40, v15, s[0:1]
	v_cndmask_b32_e32 v41, v41, v12, vcc
	v_cmp_eq_u32_e32 vcc, 7, v34
	v_cndmask_b32_e32 v40, v40, v17, vcc
	v_cndmask_b32_e64 v41, v41, v14, s[0:1]
	v_cmp_eq_u32_e64 s[0:1], 8, v34
	v_cndmask_b32_e64 v40, v40, v19, s[0:1]
	v_cndmask_b32_e32 v41, v41, v16, vcc
	v_cmp_eq_u32_e32 vcc, 9, v34
	v_cndmask_b32_e32 v40, v40, v21, vcc
	v_cndmask_b32_e64 v41, v41, v18, s[0:1]
	v_cmp_eq_u32_e64 s[0:1], 10, v34
	v_cndmask_b32_e64 v40, v40, v23, s[0:1]
	v_cndmask_b32_e32 v41, v41, v20, vcc
	v_cmp_eq_u32_e32 vcc, 11, v34
	ds_read_b64 v[38:39], v37
	v_cndmask_b32_e32 v40, v40, v25, vcc
	v_cndmask_b32_e64 v41, v41, v22, s[0:1]
	v_cmp_eq_u32_e64 s[0:1], 12, v34
	v_cndmask_b32_e64 v40, v40, v27, s[0:1]
	v_cndmask_b32_e32 v41, v41, v24, vcc
	v_cmp_eq_u32_e32 vcc, 13, v34
	v_cndmask_b32_e32 v40, v40, v29, vcc
	v_cndmask_b32_e64 v42, v41, v26, s[0:1]
	v_cmp_eq_u32_e64 s[0:1], 14, v34
	v_cndmask_b32_e64 v41, v40, v31, s[0:1]
	v_cndmask_b32_e32 v40, v42, v28, vcc
	v_cndmask_b32_e64 v40, v40, v30, s[0:1]
	s_waitcnt lgkmcnt(0)
	v_fma_f64 v[32:33], v[40:41], v[38:39], v[32:33]
	v_add_co_u32_e32 v34, vcc, 1, v34
	v_addc_co_u32_e32 v35, vcc, 0, v35, vcc
	v_add_u32_e32 v38, -1, v34
	v_cmp_lt_u32_e32 vcc, 11, v38
	s_or_b64 s[4:5], vcc, s[4:5]
	v_add_u32_e32 v37, 8, v37
	s_andn2_b64 exec, exec, s[4:5]
	s_cbranch_execnz .LBB14_75
; %bb.76:
	s_or_b64 exec, exec, s[4:5]
	v_mov_b32_e32 v28, 0
	ds_read_b64 v[28:29], v28 offset:104
	s_waitcnt lgkmcnt(0)
	v_mul_f64 v[28:29], v[32:33], v[28:29]
.LBB14_77:
	s_or_b64 exec, exec, s[2:3]
	v_cmp_ne_u32_e32 vcc, 14, v0
	; wave barrier
	ds_write_b64 v36, v[30:31]
	s_waitcnt lgkmcnt(0)
	; wave barrier
	s_and_saveexec_b64 s[2:3], vcc
	s_cbranch_execz .LBB14_81
; %bb.78:
	v_mov_b32_e32 v32, 0x80
	v_lshl_add_u32 v36, v0, 3, v32
	v_mov_b32_e32 v32, 0
	v_mov_b32_e32 v35, v1
	;; [unrolled: 1-line block ×3, first 2 shown]
	s_mov_b64 s[4:5], 0
	v_mov_b32_e32 v34, v0
.LBB14_79:                              ; =>This Inner Loop Header: Depth=1
	v_cmp_eq_u32_e32 vcc, 1, v34
	v_cndmask_b32_e32 v1, v3, v5, vcc
	v_cmp_eq_u32_e64 s[0:1], 2, v34
	v_cndmask_b32_e64 v1, v1, v7, s[0:1]
	v_cndmask_b32_e32 v39, v2, v4, vcc
	v_cmp_eq_u32_e32 vcc, 3, v34
	v_cndmask_b32_e32 v1, v1, v9, vcc
	v_cndmask_b32_e64 v39, v39, v6, s[0:1]
	v_cmp_eq_u32_e64 s[0:1], 4, v34
	v_cndmask_b32_e64 v1, v1, v11, s[0:1]
	v_cndmask_b32_e32 v39, v39, v8, vcc
	v_cmp_eq_u32_e32 vcc, 5, v34
	v_cndmask_b32_e32 v1, v1, v13, vcc
	v_cndmask_b32_e64 v39, v39, v10, s[0:1]
	;; [unrolled: 6-line block ×4, first 2 shown]
	v_cmp_eq_u32_e64 s[0:1], 10, v34
	v_cndmask_b32_e64 v1, v1, v23, s[0:1]
	v_cndmask_b32_e32 v39, v39, v20, vcc
	v_cmp_eq_u32_e32 vcc, 11, v34
	ds_read_b64 v[37:38], v36
	v_cndmask_b32_e32 v1, v1, v25, vcc
	v_cndmask_b32_e64 v39, v39, v22, s[0:1]
	v_cmp_eq_u32_e64 s[0:1], 12, v34
	v_cndmask_b32_e64 v1, v1, v27, s[0:1]
	v_cndmask_b32_e32 v39, v39, v24, vcc
	v_cmp_eq_u32_e32 vcc, 13, v34
	v_cndmask_b32_e32 v1, v1, v29, vcc
	v_cndmask_b32_e64 v39, v39, v26, s[0:1]
	v_cmp_eq_u32_e64 s[0:1], 14, v34
	v_cndmask_b32_e64 v40, v1, v31, s[0:1]
	v_cndmask_b32_e32 v1, v39, v28, vcc
	v_cndmask_b32_e64 v39, v1, v30, s[0:1]
	s_waitcnt lgkmcnt(0)
	v_fma_f64 v[32:33], v[39:40], v[37:38], v[32:33]
	v_add_co_u32_e32 v34, vcc, 1, v34
	v_addc_co_u32_e32 v35, vcc, 0, v35, vcc
	v_add_u32_e32 v1, -1, v34
	v_cmp_lt_u32_e32 vcc, 12, v1
	s_or_b64 s[4:5], vcc, s[4:5]
	v_add_u32_e32 v36, 8, v36
	s_andn2_b64 exec, exec, s[4:5]
	s_cbranch_execnz .LBB14_79
; %bb.80:
	s_or_b64 exec, exec, s[4:5]
	v_mov_b32_e32 v1, 0
	ds_read_b64 v[30:31], v1 offset:112
	s_waitcnt lgkmcnt(0)
	v_mul_f64 v[30:31], v[32:33], v[30:31]
.LBB14_81:
	s_or_b64 exec, exec, s[2:3]
	; wave barrier
	s_cbranch_execnz .LBB14_15
	s_branch .LBB14_16
.LBB14_82:
	v_mov_b32_e32 v1, 0x80
	v_lshl_add_u32 v1, v0, 3, v1
	v_cmp_eq_u32_e32 vcc, 14, v0
	s_and_saveexec_b64 s[0:1], vcc
	s_cbranch_execz .LBB14_84
; %bb.83:
	v_mov_b32_e32 v58, 0
	v_mov_b32_e32 v32, v2
	;; [unrolled: 1-line block ×30, first 2 shown]
	ds_write_b64 v1, v[28:29]
	v_mov_b32_e32 v2, v32
	v_mov_b32_e32 v3, v33
	;; [unrolled: 1-line block ×32, first 2 shown]
.LBB14_84:
	s_or_b64 exec, exec, s[0:1]
	v_mov_b32_e32 v56, 0
	s_waitcnt lgkmcnt(0)
	; wave barrier
	ds_read_b64 v[34:35], v56 offset:240
	v_cmp_lt_u32_e32 vcc, 12, v0
	s_waitcnt lgkmcnt(0)
	v_fma_f64 v[34:35], v[30:31], v[34:35], 0
	v_add_f64 v[28:29], v[28:29], -v[34:35]
	s_and_saveexec_b64 s[0:1], vcc
	s_cbranch_execz .LBB14_86
; %bb.85:
	v_mov_b32_e32 v32, v2
	v_mov_b32_e32 v33, v3
	;; [unrolled: 1-line block ×29, first 2 shown]
	ds_write_b64 v1, v[26:27]
	v_mov_b32_e32 v2, v32
	v_mov_b32_e32 v3, v33
	;; [unrolled: 1-line block ×32, first 2 shown]
.LBB14_86:
	s_or_b64 exec, exec, s[0:1]
	s_waitcnt lgkmcnt(0)
	; wave barrier
	ds_read2_b64 v[34:37], v56 offset0:29 offset1:30
	v_cmp_lt_u32_e32 vcc, 11, v0
	s_waitcnt lgkmcnt(0)
	v_fma_f64 v[34:35], v[28:29], v[34:35], 0
	v_fma_f64 v[34:35], v[30:31], v[36:37], v[34:35]
	v_add_f64 v[26:27], v[26:27], -v[34:35]
	s_and_saveexec_b64 s[0:1], vcc
	s_cbranch_execz .LBB14_88
; %bb.87:
	v_mov_b32_e32 v54, 0
	v_mov_b32_e32 v32, v2
	;; [unrolled: 1-line block ×30, first 2 shown]
	ds_write_b64 v1, v[24:25]
	v_mov_b32_e32 v2, v32
	v_mov_b32_e32 v3, v33
	;; [unrolled: 1-line block ×32, first 2 shown]
.LBB14_88:
	s_or_b64 exec, exec, s[0:1]
	v_mov_b32_e32 v52, 0
	s_waitcnt lgkmcnt(0)
	; wave barrier
	ds_read_b128 v[34:37], v52 offset:224
	ds_read_b64 v[38:39], v52 offset:240
	v_cmp_lt_u32_e32 vcc, 10, v0
	s_waitcnt lgkmcnt(1)
	v_fma_f64 v[34:35], v[26:27], v[34:35], 0
	v_fma_f64 v[34:35], v[28:29], v[36:37], v[34:35]
	s_waitcnt lgkmcnt(0)
	v_fma_f64 v[34:35], v[30:31], v[38:39], v[34:35]
	v_add_f64 v[24:25], v[24:25], -v[34:35]
	s_and_saveexec_b64 s[0:1], vcc
	s_cbranch_execz .LBB14_90
; %bb.89:
	v_mov_b32_e32 v32, v2
	v_mov_b32_e32 v33, v3
	;; [unrolled: 1-line block ×29, first 2 shown]
	ds_write_b64 v1, v[22:23]
	v_mov_b32_e32 v2, v32
	v_mov_b32_e32 v3, v33
	;; [unrolled: 1-line block ×32, first 2 shown]
.LBB14_90:
	s_or_b64 exec, exec, s[0:1]
	s_waitcnt lgkmcnt(0)
	; wave barrier
	ds_read2_b64 v[34:37], v52 offset0:27 offset1:28
	ds_read2_b64 v[38:41], v52 offset0:29 offset1:30
	v_cmp_lt_u32_e32 vcc, 9, v0
	s_waitcnt lgkmcnt(1)
	v_fma_f64 v[34:35], v[24:25], v[34:35], 0
	v_fma_f64 v[34:35], v[26:27], v[36:37], v[34:35]
	s_waitcnt lgkmcnt(0)
	v_fma_f64 v[34:35], v[28:29], v[38:39], v[34:35]
	v_fma_f64 v[34:35], v[30:31], v[40:41], v[34:35]
	v_add_f64 v[22:23], v[22:23], -v[34:35]
	s_and_saveexec_b64 s[0:1], vcc
	s_cbranch_execz .LBB14_92
; %bb.91:
	v_mov_b32_e32 v50, 0
	v_mov_b32_e32 v32, v2
	v_mov_b32_e32 v33, v3
	v_mov_b32_e32 v34, v4
	v_mov_b32_e32 v35, v5
	v_mov_b32_e32 v36, v6
	v_mov_b32_e32 v37, v7
	v_mov_b32_e32 v38, v8
	v_mov_b32_e32 v39, v9
	v_mov_b32_e32 v40, v10
	v_mov_b32_e32 v41, v11
	v_mov_b32_e32 v42, v12
	v_mov_b32_e32 v43, v13
	v_mov_b32_e32 v44, v14
	v_mov_b32_e32 v45, v15
	v_mov_b32_e32 v46, v16
	v_mov_b32_e32 v47, v17
	v_mov_b32_e32 v48, v18
	v_mov_b32_e32 v49, v19
	v_mov_b32_e32 v51, v50
	v_mov_b32_e32 v52, v22
	v_mov_b32_e32 v53, v23
	v_mov_b32_e32 v54, v24
	v_mov_b32_e32 v55, v25
	v_mov_b32_e32 v56, v26
	v_mov_b32_e32 v57, v27
	v_mov_b32_e32 v58, v28
	v_mov_b32_e32 v59, v29
	v_mov_b32_e32 v60, v30
	v_mov_b32_e32 v61, v31
	ds_write_b64 v1, v[20:21]
	v_mov_b32_e32 v2, v32
	v_mov_b32_e32 v3, v33
	v_mov_b32_e32 v4, v34
	v_mov_b32_e32 v5, v35
	v_mov_b32_e32 v6, v36
	v_mov_b32_e32 v7, v37
	v_mov_b32_e32 v8, v38
	v_mov_b32_e32 v9, v39
	v_mov_b32_e32 v10, v40
	v_mov_b32_e32 v11, v41
	v_mov_b32_e32 v12, v42
	v_mov_b32_e32 v13, v43
	v_mov_b32_e32 v14, v44
	v_mov_b32_e32 v15, v45
	v_mov_b32_e32 v16, v46
	v_mov_b32_e32 v17, v47
	v_mov_b32_e32 v18, v48
	v_mov_b32_e32 v19, v49
	v_mov_b32_e32 v20, v50
	v_mov_b32_e32 v21, v51
	v_mov_b32_e32 v22, v52
	v_mov_b32_e32 v23, v53
	v_mov_b32_e32 v24, v54
	v_mov_b32_e32 v25, v55
	v_mov_b32_e32 v26, v56
	v_mov_b32_e32 v27, v57
	v_mov_b32_e32 v28, v58
	v_mov_b32_e32 v29, v59
	v_mov_b32_e32 v30, v60
	v_mov_b32_e32 v31, v61
	v_mov_b32_e32 v32, v62
	v_mov_b32_e32 v33, v63
.LBB14_92:
	s_or_b64 exec, exec, s[0:1]
	v_mov_b32_e32 v48, 0
	s_waitcnt lgkmcnt(0)
	; wave barrier
	ds_read_b128 v[34:37], v48 offset:208
	ds_read_b128 v[38:41], v48 offset:224
	v_cmp_lt_u32_e32 vcc, 8, v0
	s_waitcnt lgkmcnt(1)
	v_fma_f64 v[34:35], v[22:23], v[34:35], 0
	v_fma_f64 v[34:35], v[24:25], v[36:37], v[34:35]
	ds_read_b64 v[36:37], v48 offset:240
	s_waitcnt lgkmcnt(1)
	v_fma_f64 v[34:35], v[26:27], v[38:39], v[34:35]
	v_fma_f64 v[34:35], v[28:29], v[40:41], v[34:35]
	s_waitcnt lgkmcnt(0)
	v_fma_f64 v[34:35], v[30:31], v[36:37], v[34:35]
	v_add_f64 v[20:21], v[20:21], -v[34:35]
	s_and_saveexec_b64 s[0:1], vcc
	s_cbranch_execz .LBB14_94
; %bb.93:
	v_mov_b32_e32 v32, v2
	v_mov_b32_e32 v33, v3
	;; [unrolled: 1-line block ×29, first 2 shown]
	ds_write_b64 v1, v[18:19]
	v_mov_b32_e32 v2, v32
	v_mov_b32_e32 v3, v33
	;; [unrolled: 1-line block ×32, first 2 shown]
.LBB14_94:
	s_or_b64 exec, exec, s[0:1]
	s_waitcnt lgkmcnt(0)
	; wave barrier
	ds_read2_b64 v[34:37], v48 offset0:25 offset1:26
	ds_read2_b64 v[38:41], v48 offset0:27 offset1:28
	v_cmp_lt_u32_e32 vcc, 7, v0
	s_waitcnt lgkmcnt(1)
	v_fma_f64 v[34:35], v[20:21], v[34:35], 0
	v_fma_f64 v[34:35], v[22:23], v[36:37], v[34:35]
	s_waitcnt lgkmcnt(0)
	v_fma_f64 v[34:35], v[24:25], v[38:39], v[34:35]
	v_fma_f64 v[38:39], v[26:27], v[40:41], v[34:35]
	ds_read2_b64 v[34:37], v48 offset0:29 offset1:30
	s_waitcnt lgkmcnt(0)
	v_fma_f64 v[34:35], v[28:29], v[34:35], v[38:39]
	v_fma_f64 v[34:35], v[30:31], v[36:37], v[34:35]
	v_add_f64 v[18:19], v[18:19], -v[34:35]
	s_and_saveexec_b64 s[0:1], vcc
	s_cbranch_execz .LBB14_96
; %bb.95:
	v_mov_b32_e32 v46, 0
	v_mov_b32_e32 v32, v2
	;; [unrolled: 1-line block ×30, first 2 shown]
	ds_write_b64 v1, v[16:17]
	v_mov_b32_e32 v2, v32
	v_mov_b32_e32 v3, v33
	;; [unrolled: 1-line block ×32, first 2 shown]
.LBB14_96:
	s_or_b64 exec, exec, s[0:1]
	v_mov_b32_e32 v44, 0
	s_waitcnt lgkmcnt(0)
	; wave barrier
	ds_read_b128 v[34:37], v44 offset:192
	ds_read_b128 v[38:41], v44 offset:208
	v_cmp_lt_u32_e32 vcc, 6, v0
	s_waitcnt lgkmcnt(1)
	v_fma_f64 v[34:35], v[18:19], v[34:35], 0
	v_fma_f64 v[34:35], v[20:21], v[36:37], v[34:35]
	s_waitcnt lgkmcnt(0)
	v_fma_f64 v[34:35], v[22:23], v[38:39], v[34:35]
	v_fma_f64 v[38:39], v[24:25], v[40:41], v[34:35]
	ds_read_b128 v[34:37], v44 offset:224
	ds_read_b64 v[40:41], v44 offset:240
	s_waitcnt lgkmcnt(1)
	v_fma_f64 v[34:35], v[26:27], v[34:35], v[38:39]
	v_fma_f64 v[34:35], v[28:29], v[36:37], v[34:35]
	s_waitcnt lgkmcnt(0)
	v_fma_f64 v[34:35], v[30:31], v[40:41], v[34:35]
	v_add_f64 v[16:17], v[16:17], -v[34:35]
	s_and_saveexec_b64 s[0:1], vcc
	s_cbranch_execz .LBB14_98
; %bb.97:
	v_mov_b32_e32 v32, v2
	v_mov_b32_e32 v33, v3
	;; [unrolled: 1-line block ×29, first 2 shown]
	ds_write_b64 v1, v[14:15]
	v_mov_b32_e32 v2, v32
	v_mov_b32_e32 v3, v33
	;; [unrolled: 1-line block ×32, first 2 shown]
.LBB14_98:
	s_or_b64 exec, exec, s[0:1]
	s_waitcnt lgkmcnt(0)
	; wave barrier
	ds_read2_b64 v[34:37], v44 offset0:23 offset1:24
	ds_read2_b64 v[38:41], v44 offset0:25 offset1:26
	v_cmp_lt_u32_e32 vcc, 5, v0
	s_waitcnt lgkmcnt(1)
	v_fma_f64 v[34:35], v[16:17], v[34:35], 0
	v_fma_f64 v[34:35], v[18:19], v[36:37], v[34:35]
	s_waitcnt lgkmcnt(0)
	v_fma_f64 v[34:35], v[20:21], v[38:39], v[34:35]
	v_fma_f64 v[42:43], v[22:23], v[40:41], v[34:35]
	ds_read2_b64 v[34:37], v44 offset0:27 offset1:28
	ds_read2_b64 v[38:41], v44 offset0:29 offset1:30
	s_waitcnt lgkmcnt(1)
	v_fma_f64 v[34:35], v[24:25], v[34:35], v[42:43]
	v_fma_f64 v[34:35], v[26:27], v[36:37], v[34:35]
	s_waitcnt lgkmcnt(0)
	v_fma_f64 v[34:35], v[28:29], v[38:39], v[34:35]
	v_fma_f64 v[34:35], v[30:31], v[40:41], v[34:35]
	v_add_f64 v[14:15], v[14:15], -v[34:35]
	s_and_saveexec_b64 s[0:1], vcc
	s_cbranch_execz .LBB14_100
; %bb.99:
	v_mov_b32_e32 v42, 0
	v_mov_b32_e32 v32, v2
	;; [unrolled: 1-line block ×64, first 2 shown]
	ds_write_b64 v1, v[62:63]
.LBB14_100:
	s_or_b64 exec, exec, s[0:1]
	v_mov_b32_e32 v40, 0
	s_waitcnt lgkmcnt(0)
	; wave barrier
	ds_read_b128 v[34:37], v40 offset:176
	ds_read_b128 v[41:44], v40 offset:192
	v_cmp_lt_u32_e32 vcc, 4, v0
	s_waitcnt lgkmcnt(1)
	v_fma_f64 v[34:35], v[14:15], v[34:35], 0
	v_fma_f64 v[34:35], v[16:17], v[36:37], v[34:35]
	s_waitcnt lgkmcnt(0)
	v_fma_f64 v[34:35], v[18:19], v[41:42], v[34:35]
	v_fma_f64 v[38:39], v[20:21], v[43:44], v[34:35]
	ds_read_b128 v[34:37], v40 offset:208
	ds_read_b128 v[41:44], v40 offset:224
	s_waitcnt lgkmcnt(1)
	v_fma_f64 v[34:35], v[22:23], v[34:35], v[38:39]
	v_fma_f64 v[34:35], v[24:25], v[36:37], v[34:35]
	ds_read_b64 v[36:37], v40 offset:240
	s_waitcnt lgkmcnt(1)
	v_fma_f64 v[34:35], v[26:27], v[41:42], v[34:35]
	v_fma_f64 v[34:35], v[28:29], v[43:44], v[34:35]
	s_waitcnt lgkmcnt(0)
	v_fma_f64 v[34:35], v[30:31], v[36:37], v[34:35]
	v_add_f64 v[12:13], v[12:13], -v[34:35]
	s_and_saveexec_b64 s[0:1], vcc
	s_cbranch_execz .LBB14_102
; %bb.101:
	v_mov_b32_e32 v32, v2
	v_mov_b32_e32 v33, v3
	;; [unrolled: 1-line block ×63, first 2 shown]
	ds_write_b64 v1, v[62:63]
.LBB14_102:
	s_or_b64 exec, exec, s[0:1]
	s_waitcnt lgkmcnt(0)
	; wave barrier
	ds_read2_b64 v[34:37], v40 offset0:21 offset1:22
	ds_read2_b64 v[41:44], v40 offset0:23 offset1:24
	v_cmp_lt_u32_e32 vcc, 3, v0
	s_waitcnt lgkmcnt(1)
	v_fma_f64 v[34:35], v[12:13], v[34:35], 0
	v_fma_f64 v[34:35], v[14:15], v[36:37], v[34:35]
	s_waitcnt lgkmcnt(0)
	v_fma_f64 v[34:35], v[16:17], v[41:42], v[34:35]
	v_fma_f64 v[38:39], v[18:19], v[43:44], v[34:35]
	ds_read2_b64 v[34:37], v40 offset0:25 offset1:26
	ds_read2_b64 v[41:44], v40 offset0:27 offset1:28
	s_waitcnt lgkmcnt(1)
	v_fma_f64 v[34:35], v[20:21], v[34:35], v[38:39]
	v_fma_f64 v[34:35], v[22:23], v[36:37], v[34:35]
	s_waitcnt lgkmcnt(0)
	v_fma_f64 v[34:35], v[24:25], v[41:42], v[34:35]
	v_fma_f64 v[38:39], v[26:27], v[43:44], v[34:35]
	ds_read2_b64 v[34:37], v40 offset0:29 offset1:30
	s_waitcnt lgkmcnt(0)
	v_fma_f64 v[34:35], v[28:29], v[34:35], v[38:39]
	v_fma_f64 v[34:35], v[30:31], v[36:37], v[34:35]
	v_add_f64 v[10:11], v[10:11], -v[34:35]
	s_and_saveexec_b64 s[0:1], vcc
	s_cbranch_execz .LBB14_104
; %bb.103:
	v_mov_b32_e32 v38, 0
	v_mov_b32_e32 v32, v2
	;; [unrolled: 1-line block ×64, first 2 shown]
	ds_write_b64 v1, v[62:63]
.LBB14_104:
	s_or_b64 exec, exec, s[0:1]
	v_mov_b32_e32 v36, 0
	s_waitcnt lgkmcnt(0)
	; wave barrier
	ds_read_b128 v[37:40], v36 offset:160
	ds_read_b128 v[41:44], v36 offset:176
	v_cmp_lt_u32_e32 vcc, 2, v0
	s_waitcnt lgkmcnt(1)
	v_fma_f64 v[34:35], v[10:11], v[37:38], 0
	v_fma_f64 v[34:35], v[12:13], v[39:40], v[34:35]
	s_waitcnt lgkmcnt(0)
	v_fma_f64 v[34:35], v[14:15], v[41:42], v[34:35]
	v_fma_f64 v[34:35], v[16:17], v[43:44], v[34:35]
	ds_read_b128 v[37:40], v36 offset:192
	ds_read_b128 v[41:44], v36 offset:208
	s_waitcnt lgkmcnt(1)
	v_fma_f64 v[34:35], v[18:19], v[37:38], v[34:35]
	v_fma_f64 v[34:35], v[20:21], v[39:40], v[34:35]
	s_waitcnt lgkmcnt(0)
	v_fma_f64 v[34:35], v[22:23], v[41:42], v[34:35]
	ds_read_b128 v[37:40], v36 offset:224
	ds_read_b64 v[41:42], v36 offset:240
	v_fma_f64 v[34:35], v[24:25], v[43:44], v[34:35]
	s_waitcnt lgkmcnt(1)
	v_fma_f64 v[34:35], v[26:27], v[37:38], v[34:35]
	v_fma_f64 v[34:35], v[28:29], v[39:40], v[34:35]
	s_waitcnt lgkmcnt(0)
	v_fma_f64 v[34:35], v[30:31], v[41:42], v[34:35]
	v_add_f64 v[8:9], v[8:9], -v[34:35]
	s_and_saveexec_b64 s[0:1], vcc
	s_cbranch_execz .LBB14_106
; %bb.105:
	v_mov_b32_e32 v32, v2
	v_mov_b32_e32 v33, v3
	;; [unrolled: 1-line block ×63, first 2 shown]
	ds_write_b64 v1, v[62:63]
.LBB14_106:
	s_or_b64 exec, exec, s[0:1]
	s_waitcnt lgkmcnt(0)
	; wave barrier
	ds_read2_b64 v[37:40], v36 offset0:19 offset1:20
	ds_read2_b64 v[41:44], v36 offset0:21 offset1:22
	v_cmp_lt_u32_e32 vcc, 1, v0
	s_waitcnt lgkmcnt(1)
	v_fma_f64 v[34:35], v[8:9], v[37:38], 0
	v_fma_f64 v[34:35], v[10:11], v[39:40], v[34:35]
	s_waitcnt lgkmcnt(0)
	v_fma_f64 v[34:35], v[12:13], v[41:42], v[34:35]
	v_fma_f64 v[34:35], v[14:15], v[43:44], v[34:35]
	ds_read2_b64 v[37:40], v36 offset0:23 offset1:24
	ds_read2_b64 v[41:44], v36 offset0:25 offset1:26
	s_waitcnt lgkmcnt(1)
	v_fma_f64 v[34:35], v[16:17], v[37:38], v[34:35]
	v_fma_f64 v[34:35], v[18:19], v[39:40], v[34:35]
	s_waitcnt lgkmcnt(0)
	v_fma_f64 v[34:35], v[20:21], v[41:42], v[34:35]
	v_fma_f64 v[34:35], v[22:23], v[43:44], v[34:35]
	ds_read2_b64 v[37:40], v36 offset0:27 offset1:28
	ds_read2_b64 v[41:44], v36 offset0:29 offset1:30
	s_waitcnt lgkmcnt(1)
	v_fma_f64 v[34:35], v[24:25], v[37:38], v[34:35]
	v_fma_f64 v[34:35], v[26:27], v[39:40], v[34:35]
	s_waitcnt lgkmcnt(0)
	v_fma_f64 v[34:35], v[28:29], v[41:42], v[34:35]
	v_fma_f64 v[34:35], v[30:31], v[43:44], v[34:35]
	v_add_f64 v[6:7], v[6:7], -v[34:35]
	s_and_saveexec_b64 s[0:1], vcc
	s_cbranch_execz .LBB14_108
; %bb.107:
	v_mov_b32_e32 v34, 0
	v_mov_b32_e32 v32, v2
	;; [unrolled: 1-line block ×64, first 2 shown]
	ds_write_b64 v1, v[62:63]
.LBB14_108:
	s_or_b64 exec, exec, s[0:1]
	v_mov_b32_e32 v34, 0
	s_waitcnt lgkmcnt(0)
	; wave barrier
	ds_read_b128 v[35:38], v34 offset:144
	ds_read_b128 v[39:42], v34 offset:160
	v_cmp_ne_u32_e32 vcc, 0, v0
	s_waitcnt lgkmcnt(1)
	v_fma_f64 v[35:36], v[6:7], v[35:36], 0
	v_fma_f64 v[35:36], v[8:9], v[37:38], v[35:36]
	s_waitcnt lgkmcnt(0)
	v_fma_f64 v[35:36], v[10:11], v[39:40], v[35:36]
	v_fma_f64 v[43:44], v[12:13], v[41:42], v[35:36]
	ds_read_b128 v[35:38], v34 offset:176
	ds_read_b128 v[39:42], v34 offset:192
	s_waitcnt lgkmcnt(1)
	v_fma_f64 v[35:36], v[14:15], v[35:36], v[43:44]
	v_fma_f64 v[35:36], v[16:17], v[37:38], v[35:36]
	s_waitcnt lgkmcnt(0)
	v_fma_f64 v[35:36], v[18:19], v[39:40], v[35:36]
	v_fma_f64 v[43:44], v[20:21], v[41:42], v[35:36]
	ds_read_b128 v[35:38], v34 offset:208
	ds_read_b128 v[39:42], v34 offset:224
	s_waitcnt lgkmcnt(1)
	v_fma_f64 v[35:36], v[22:23], v[35:36], v[43:44]
	v_fma_f64 v[35:36], v[24:25], v[37:38], v[35:36]
	ds_read_b64 v[37:38], v34 offset:240
	s_waitcnt lgkmcnt(1)
	v_fma_f64 v[35:36], v[26:27], v[39:40], v[35:36]
	v_fma_f64 v[35:36], v[28:29], v[41:42], v[35:36]
	s_waitcnt lgkmcnt(0)
	v_fma_f64 v[35:36], v[30:31], v[37:38], v[35:36]
	v_add_f64 v[4:5], v[4:5], -v[35:36]
	s_and_saveexec_b64 s[0:1], vcc
	s_cbranch_execz .LBB14_110
; %bb.109:
	v_mov_b32_e32 v35, v34
	v_mov_b32_e32 v36, v4
	;; [unrolled: 1-line block ×63, first 2 shown]
	ds_write_b64 v1, v[94:95]
.LBB14_110:
	s_or_b64 exec, exec, s[0:1]
	s_waitcnt lgkmcnt(0)
	; wave barrier
	ds_read2_b64 v[35:38], v34 offset0:17 offset1:18
	ds_read2_b64 v[39:42], v34 offset0:19 offset1:20
	s_and_b64 vcc, exec, s[42:43]
	s_waitcnt lgkmcnt(1)
	v_fma_f64 v[0:1], v[4:5], v[35:36], 0
	v_fma_f64 v[0:1], v[6:7], v[37:38], v[0:1]
	s_waitcnt lgkmcnt(0)
	v_fma_f64 v[0:1], v[8:9], v[39:40], v[0:1]
	v_fma_f64 v[0:1], v[10:11], v[41:42], v[0:1]
	ds_read2_b64 v[35:38], v34 offset0:21 offset1:22
	ds_read2_b64 v[39:42], v34 offset0:23 offset1:24
	s_waitcnt lgkmcnt(1)
	v_fma_f64 v[0:1], v[12:13], v[35:36], v[0:1]
	v_fma_f64 v[0:1], v[14:15], v[37:38], v[0:1]
	s_waitcnt lgkmcnt(0)
	v_fma_f64 v[0:1], v[16:17], v[39:40], v[0:1]
	v_fma_f64 v[0:1], v[18:19], v[41:42], v[0:1]
	ds_read2_b64 v[35:38], v34 offset0:25 offset1:26
	ds_read2_b64 v[39:42], v34 offset0:27 offset1:28
	s_waitcnt lgkmcnt(1)
	v_fma_f64 v[0:1], v[20:21], v[35:36], v[0:1]
	v_fma_f64 v[0:1], v[22:23], v[37:38], v[0:1]
	ds_read2_b64 v[34:37], v34 offset0:29 offset1:30
	s_waitcnt lgkmcnt(1)
	v_fma_f64 v[0:1], v[24:25], v[39:40], v[0:1]
	v_fma_f64 v[0:1], v[26:27], v[41:42], v[0:1]
	s_waitcnt lgkmcnt(0)
	v_fma_f64 v[0:1], v[28:29], v[34:35], v[0:1]
	v_fma_f64 v[0:1], v[30:31], v[36:37], v[0:1]
	v_add_f64 v[2:3], v[2:3], -v[0:1]
	s_cbranch_vccz .LBB14_139
; %bb.111:
	v_mov_b32_e32 v0, 0
	global_load_dword v1, v0, s[40:41] offset:52
	s_waitcnt vmcnt(0)
	v_readfirstlane_b32 s0, v1
	s_add_i32 s0, s0, -1
	s_cmp_lg_u32 s0, 13
	s_cbranch_scc0 .LBB14_113
; %bb.112:
	s_lshl_b32 s0, s0, 1
	s_set_gpr_idx_on s0, gpr_idx(SRC0)
	v_mov_b32_e32 v1, v3
	v_mov_b32_e32 v62, v2
	s_set_gpr_idx_off
	v_mov_b32_e32 v61, v33
	v_mov_b32_e32 v57, v29
	;; [unrolled: 1-line block ×34, first 2 shown]
	s_set_gpr_idx_on s0, gpr_idx(DST)
	v_mov_b32_e32 v30, v28
	v_mov_b32_e32 v31, v29
	s_set_gpr_idx_off
	v_mov_b32_e32 v2, v30
	v_mov_b32_e32 v3, v31
	;; [unrolled: 1-line block ×32, first 2 shown]
.LBB14_113:
	global_load_dword v0, v0, s[40:41] offset:48
	s_waitcnt vmcnt(0)
	v_readfirstlane_b32 s0, v0
	s_add_i32 s0, s0, -1
	s_cmp_eq_u32 s0, 12
	s_cbranch_scc1 .LBB14_115
; %bb.114:
	s_lshl_b32 s0, s0, 1
	s_set_gpr_idx_on s0, gpr_idx(SRC0)
	v_mov_b32_e32 v0, v3
	v_mov_b32_e32 v1, v2
	s_set_gpr_idx_off
	v_mov_b32_e32 v59, v33
	v_mov_b32_e32 v53, v27
	;; [unrolled: 1-line block ×34, first 2 shown]
	s_set_gpr_idx_on s0, gpr_idx(DST)
	v_mov_b32_e32 v28, v26
	v_mov_b32_e32 v29, v27
	s_set_gpr_idx_off
	v_mov_b32_e32 v2, v28
	v_mov_b32_e32 v3, v29
	;; [unrolled: 1-line block ×32, first 2 shown]
.LBB14_115:
	v_mov_b32_e32 v0, 0
	global_load_dword v1, v0, s[40:41] offset:44
	s_waitcnt vmcnt(0)
	v_readfirstlane_b32 s0, v1
	s_add_i32 s0, s0, -1
	s_cmp_eq_u32 s0, 11
	s_cbranch_scc1 .LBB14_117
; %bb.116:
	s_lshl_b32 s0, s0, 1
	s_set_gpr_idx_on s0, gpr_idx(SRC0)
	v_mov_b32_e32 v1, v3
	v_mov_b32_e32 v58, v2
	s_set_gpr_idx_off
	v_mov_b32_e32 v57, v33
	v_mov_b32_e32 v49, v25
	;; [unrolled: 1-line block ×34, first 2 shown]
	s_set_gpr_idx_on s0, gpr_idx(DST)
	v_mov_b32_e32 v26, v24
	v_mov_b32_e32 v27, v25
	s_set_gpr_idx_off
	v_mov_b32_e32 v2, v26
	v_mov_b32_e32 v3, v27
	;; [unrolled: 1-line block ×32, first 2 shown]
.LBB14_117:
	global_load_dword v0, v0, s[40:41] offset:40
	s_waitcnt vmcnt(0)
	v_readfirstlane_b32 s0, v0
	s_add_i32 s0, s0, -1
	s_cmp_eq_u32 s0, 10
	s_cbranch_scc1 .LBB14_119
; %bb.118:
	s_lshl_b32 s0, s0, 1
	s_set_gpr_idx_on s0, gpr_idx(SRC0)
	v_mov_b32_e32 v0, v3
	v_mov_b32_e32 v1, v2
	s_set_gpr_idx_off
	v_mov_b32_e32 v55, v33
	v_mov_b32_e32 v45, v23
	;; [unrolled: 1-line block ×34, first 2 shown]
	s_set_gpr_idx_on s0, gpr_idx(DST)
	v_mov_b32_e32 v24, v22
	v_mov_b32_e32 v25, v23
	s_set_gpr_idx_off
	v_mov_b32_e32 v2, v24
	v_mov_b32_e32 v3, v25
	;; [unrolled: 1-line block ×32, first 2 shown]
.LBB14_119:
	v_mov_b32_e32 v0, 0
	global_load_dword v1, v0, s[40:41] offset:36
	s_waitcnt vmcnt(0)
	v_readfirstlane_b32 s0, v1
	s_add_i32 s0, s0, -1
	s_cmp_eq_u32 s0, 9
	s_cbranch_scc1 .LBB14_121
; %bb.120:
	s_lshl_b32 s0, s0, 1
	s_set_gpr_idx_on s0, gpr_idx(SRC0)
	v_mov_b32_e32 v1, v3
	v_mov_b32_e32 v54, v2
	s_set_gpr_idx_off
	v_mov_b32_e32 v53, v33
	v_mov_b32_e32 v41, v21
	;; [unrolled: 1-line block ×34, first 2 shown]
	s_set_gpr_idx_on s0, gpr_idx(DST)
	v_mov_b32_e32 v22, v20
	v_mov_b32_e32 v23, v21
	s_set_gpr_idx_off
	v_mov_b32_e32 v2, v22
	v_mov_b32_e32 v3, v23
	;; [unrolled: 1-line block ×32, first 2 shown]
.LBB14_121:
	global_load_dword v0, v0, s[40:41] offset:32
	s_waitcnt vmcnt(0)
	v_readfirstlane_b32 s0, v0
	s_add_i32 s0, s0, -1
	s_cmp_eq_u32 s0, 8
	s_cbranch_scc1 .LBB14_123
; %bb.122:
	s_lshl_b32 s0, s0, 1
	s_set_gpr_idx_on s0, gpr_idx(SRC0)
	v_mov_b32_e32 v0, v3
	v_mov_b32_e32 v1, v2
	s_set_gpr_idx_off
	v_mov_b32_e32 v51, v33
	v_mov_b32_e32 v37, v19
	;; [unrolled: 1-line block ×34, first 2 shown]
	s_set_gpr_idx_on s0, gpr_idx(DST)
	v_mov_b32_e32 v20, v18
	v_mov_b32_e32 v21, v19
	s_set_gpr_idx_off
	v_mov_b32_e32 v2, v20
	v_mov_b32_e32 v3, v21
	;; [unrolled: 1-line block ×32, first 2 shown]
.LBB14_123:
	v_mov_b32_e32 v0, 0
	global_load_dword v1, v0, s[40:41] offset:28
	s_waitcnt vmcnt(0)
	v_readfirstlane_b32 s0, v1
	s_add_i32 s0, s0, -1
	s_cmp_eq_u32 s0, 7
	s_cbranch_scc1 .LBB14_125
; %bb.124:
	s_lshl_b32 s0, s0, 1
	s_set_gpr_idx_on s0, gpr_idx(SRC0)
	v_mov_b32_e32 v1, v3
	v_mov_b32_e32 v50, v2
	s_set_gpr_idx_off
	v_mov_b32_e32 v49, v33
	v_mov_b32_e32 v48, v32
	;; [unrolled: 1-line block ×34, first 2 shown]
	s_set_gpr_idx_on s0, gpr_idx(DST)
	v_mov_b32_e32 v18, v16
	v_mov_b32_e32 v19, v17
	s_set_gpr_idx_off
	v_mov_b32_e32 v2, v18
	v_mov_b32_e32 v3, v19
	;; [unrolled: 1-line block ×32, first 2 shown]
.LBB14_125:
	global_load_dword v0, v0, s[40:41] offset:24
	s_waitcnt vmcnt(0)
	v_readfirstlane_b32 s0, v0
	s_add_i32 s0, s0, -1
	s_cmp_eq_u32 s0, 6
	s_cbranch_scc1 .LBB14_127
; %bb.126:
	s_lshl_b32 s0, s0, 1
	s_set_gpr_idx_on s0, gpr_idx(SRC0)
	v_mov_b32_e32 v0, v3
	v_mov_b32_e32 v1, v2
	s_set_gpr_idx_off
	v_mov_b32_e32 v47, v33
	v_mov_b32_e32 v46, v32
	v_mov_b32_e32 v45, v31
	v_mov_b32_e32 v44, v30
	v_mov_b32_e32 v43, v29
	v_mov_b32_e32 v42, v28
	v_mov_b32_e32 v41, v27
	v_mov_b32_e32 v40, v26
	v_mov_b32_e32 v39, v25
	v_mov_b32_e32 v38, v24
	v_mov_b32_e32 v37, v23
	v_mov_b32_e32 v36, v22
	v_mov_b32_e32 v35, v21
	v_mov_b32_e32 v34, v20
	v_mov_b32_e32 v33, v19
	v_mov_b32_e32 v32, v18
	v_mov_b32_e32 v31, v17
	v_mov_b32_e32 v30, v16
	v_mov_b32_e32 v29, v15
	v_mov_b32_e32 v28, v14
	v_mov_b32_e32 v27, v13
	v_mov_b32_e32 v26, v12
	v_mov_b32_e32 v25, v11
	v_mov_b32_e32 v24, v10
	v_mov_b32_e32 v23, v9
	v_mov_b32_e32 v22, v8
	v_mov_b32_e32 v21, v7
	v_mov_b32_e32 v20, v6
	v_mov_b32_e32 v19, v5
	v_mov_b32_e32 v18, v4
	v_mov_b32_e32 v17, v3
	v_mov_b32_e32 v16, v2
	v_mov_b32_e32 v28, v1
	v_mov_b32_e32 v29, v0
	s_set_gpr_idx_on s0, gpr_idx(DST)
	v_mov_b32_e32 v16, v14
	v_mov_b32_e32 v17, v15
	s_set_gpr_idx_off
	v_mov_b32_e32 v2, v16
	v_mov_b32_e32 v3, v17
	;; [unrolled: 1-line block ×32, first 2 shown]
.LBB14_127:
	v_mov_b32_e32 v0, 0
	global_load_dword v1, v0, s[40:41] offset:20
	s_waitcnt vmcnt(0)
	v_readfirstlane_b32 s0, v1
	s_add_i32 s0, s0, -1
	s_cmp_eq_u32 s0, 5
	s_cbranch_scc1 .LBB14_129
; %bb.128:
	s_lshl_b32 s0, s0, 1
	s_set_gpr_idx_on s0, gpr_idx(SRC0)
	v_mov_b32_e32 v1, v3
	v_mov_b32_e32 v46, v2
	s_set_gpr_idx_off
	v_mov_b32_e32 v45, v33
	v_mov_b32_e32 v44, v32
	;; [unrolled: 1-line block ×34, first 2 shown]
	s_set_gpr_idx_on s0, gpr_idx(DST)
	v_mov_b32_e32 v14, v12
	v_mov_b32_e32 v15, v13
	s_set_gpr_idx_off
	v_mov_b32_e32 v2, v14
	v_mov_b32_e32 v3, v15
	;; [unrolled: 1-line block ×32, first 2 shown]
.LBB14_129:
	global_load_dword v0, v0, s[40:41] offset:16
	s_waitcnt vmcnt(0)
	v_readfirstlane_b32 s0, v0
	s_add_i32 s0, s0, -1
	s_cmp_eq_u32 s0, 4
	s_cbranch_scc1 .LBB14_131
; %bb.130:
	s_lshl_b32 s0, s0, 1
	s_set_gpr_idx_on s0, gpr_idx(SRC0)
	v_mov_b32_e32 v0, v3
	v_mov_b32_e32 v1, v2
	s_set_gpr_idx_off
	v_mov_b32_e32 v43, v33
	v_mov_b32_e32 v42, v32
	v_mov_b32_e32 v41, v31
	v_mov_b32_e32 v40, v30
	v_mov_b32_e32 v39, v29
	v_mov_b32_e32 v38, v28
	v_mov_b32_e32 v37, v27
	v_mov_b32_e32 v36, v26
	v_mov_b32_e32 v35, v25
	v_mov_b32_e32 v34, v24
	v_mov_b32_e32 v33, v23
	v_mov_b32_e32 v32, v22
	v_mov_b32_e32 v31, v21
	v_mov_b32_e32 v30, v20
	v_mov_b32_e32 v29, v19
	v_mov_b32_e32 v28, v18
	v_mov_b32_e32 v27, v17
	v_mov_b32_e32 v26, v16
	v_mov_b32_e32 v25, v15
	v_mov_b32_e32 v24, v14
	v_mov_b32_e32 v23, v13
	v_mov_b32_e32 v22, v12
	v_mov_b32_e32 v21, v11
	v_mov_b32_e32 v20, v10
	v_mov_b32_e32 v19, v9
	v_mov_b32_e32 v18, v8
	v_mov_b32_e32 v17, v7
	v_mov_b32_e32 v16, v6
	v_mov_b32_e32 v15, v5
	v_mov_b32_e32 v14, v4
	v_mov_b32_e32 v13, v3
	v_mov_b32_e32 v12, v2
	v_mov_b32_e32 v20, v1
	v_mov_b32_e32 v21, v0
	s_set_gpr_idx_on s0, gpr_idx(DST)
	v_mov_b32_e32 v12, v10
	v_mov_b32_e32 v13, v11
	s_set_gpr_idx_off
	v_mov_b32_e32 v2, v12
	v_mov_b32_e32 v3, v13
	;; [unrolled: 1-line block ×32, first 2 shown]
.LBB14_131:
	v_mov_b32_e32 v0, 0
	global_load_dword v1, v0, s[40:41] offset:12
	s_waitcnt vmcnt(0)
	v_readfirstlane_b32 s0, v1
	s_add_i32 s0, s0, -1
	s_cmp_eq_u32 s0, 3
	s_cbranch_scc1 .LBB14_133
; %bb.132:
	s_lshl_b32 s0, s0, 1
	s_set_gpr_idx_on s0, gpr_idx(SRC0)
	v_mov_b32_e32 v1, v3
	v_mov_b32_e32 v42, v2
	s_set_gpr_idx_off
	v_mov_b32_e32 v41, v33
	v_mov_b32_e32 v40, v32
	;; [unrolled: 1-line block ×34, first 2 shown]
	s_set_gpr_idx_on s0, gpr_idx(DST)
	v_mov_b32_e32 v10, v8
	v_mov_b32_e32 v11, v9
	s_set_gpr_idx_off
	v_mov_b32_e32 v2, v10
	v_mov_b32_e32 v3, v11
	;; [unrolled: 1-line block ×32, first 2 shown]
.LBB14_133:
	global_load_dword v0, v0, s[40:41] offset:8
	s_waitcnt vmcnt(0)
	v_readfirstlane_b32 s0, v0
	s_add_i32 s0, s0, -1
	s_cmp_eq_u32 s0, 2
	s_cbranch_scc1 .LBB14_135
; %bb.134:
	s_lshl_b32 s0, s0, 1
	s_set_gpr_idx_on s0, gpr_idx(SRC0)
	v_mov_b32_e32 v0, v3
	v_mov_b32_e32 v1, v2
	s_set_gpr_idx_off
	v_mov_b32_e32 v39, v33
	v_mov_b32_e32 v38, v32
	;; [unrolled: 1-line block ×34, first 2 shown]
	s_set_gpr_idx_on s0, gpr_idx(DST)
	v_mov_b32_e32 v8, v6
	v_mov_b32_e32 v9, v7
	s_set_gpr_idx_off
	v_mov_b32_e32 v2, v8
	v_mov_b32_e32 v3, v9
	;; [unrolled: 1-line block ×32, first 2 shown]
.LBB14_135:
	v_mov_b32_e32 v0, 0
	global_load_dword v1, v0, s[40:41] offset:4
	s_waitcnt vmcnt(0)
	v_readfirstlane_b32 s0, v1
	s_add_i32 s0, s0, -1
	s_cmp_eq_u32 s0, 1
	s_cbranch_scc1 .LBB14_137
; %bb.136:
	s_lshl_b32 s0, s0, 1
	s_set_gpr_idx_on s0, gpr_idx(SRC0)
	v_mov_b32_e32 v1, v3
	v_mov_b32_e32 v38, v2
	s_set_gpr_idx_off
	v_mov_b32_e32 v37, v33
	v_mov_b32_e32 v36, v32
	;; [unrolled: 1-line block ×34, first 2 shown]
	s_set_gpr_idx_on s0, gpr_idx(DST)
	v_mov_b32_e32 v6, v4
	v_mov_b32_e32 v7, v5
	s_set_gpr_idx_off
	v_mov_b32_e32 v2, v6
	v_mov_b32_e32 v3, v7
	;; [unrolled: 1-line block ×32, first 2 shown]
.LBB14_137:
	global_load_dword v0, v0, s[40:41]
	s_waitcnt vmcnt(0)
	v_readfirstlane_b32 s0, v0
	s_add_i32 s0, s0, -1
	s_cmp_eq_u32 s0, 0
	s_cbranch_scc1 .LBB14_139
; %bb.138:
	s_lshl_b32 s0, s0, 1
	s_set_gpr_idx_on s0, gpr_idx(SRC0)
	v_mov_b32_e32 v0, v3
	v_mov_b32_e32 v1, v2
	s_set_gpr_idx_off
	v_mov_b32_e32 v35, v33
	v_mov_b32_e32 v34, v32
	;; [unrolled: 1-line block ×34, first 2 shown]
	s_set_gpr_idx_on s0, gpr_idx(DST)
	v_mov_b32_e32 v4, v2
	v_mov_b32_e32 v5, v3
	s_set_gpr_idx_off
	v_mov_b32_e32 v2, v4
	v_mov_b32_e32 v3, v5
	v_mov_b32_e32 v4, v6
	v_mov_b32_e32 v5, v7
	v_mov_b32_e32 v6, v8
	v_mov_b32_e32 v7, v9
	v_mov_b32_e32 v8, v10
	v_mov_b32_e32 v9, v11
	v_mov_b32_e32 v10, v12
	v_mov_b32_e32 v11, v13
	v_mov_b32_e32 v12, v14
	v_mov_b32_e32 v13, v15
	v_mov_b32_e32 v14, v16
	v_mov_b32_e32 v15, v17
	v_mov_b32_e32 v16, v18
	v_mov_b32_e32 v17, v19
	v_mov_b32_e32 v18, v20
	v_mov_b32_e32 v19, v21
	v_mov_b32_e32 v20, v22
	v_mov_b32_e32 v21, v23
	v_mov_b32_e32 v22, v24
	v_mov_b32_e32 v23, v25
	v_mov_b32_e32 v24, v26
	v_mov_b32_e32 v25, v27
	v_mov_b32_e32 v26, v28
	v_mov_b32_e32 v27, v29
	v_mov_b32_e32 v28, v30
	v_mov_b32_e32 v29, v31
	v_mov_b32_e32 v30, v32
	v_mov_b32_e32 v31, v33
	v_mov_b32_e32 v32, v34
	v_mov_b32_e32 v33, v35
.LBB14_139:
	v_mov_b32_e32 v0, v2
	v_mov_b32_e32 v1, v3
	global_store_dwordx2 v[90:91], v[0:1], off
	v_mov_b32_e32 v0, v4
	v_mov_b32_e32 v1, v5
	global_store_dwordx2 v[92:93], v[0:1], off
	;; [unrolled: 3-line block ×15, first 2 shown]
	s_endpgm
	.section	.rodata,"a",@progbits
	.p2align	6, 0x0
	.amdhsa_kernel _ZN9rocsolver6v33100L18getri_kernel_smallILi15EdPdEEvT1_iilPiilS4_bb
		.amdhsa_group_segment_fixed_size 248
		.amdhsa_private_segment_fixed_size 0
		.amdhsa_kernarg_size 60
		.amdhsa_user_sgpr_count 6
		.amdhsa_user_sgpr_private_segment_buffer 1
		.amdhsa_user_sgpr_dispatch_ptr 0
		.amdhsa_user_sgpr_queue_ptr 0
		.amdhsa_user_sgpr_kernarg_segment_ptr 1
		.amdhsa_user_sgpr_dispatch_id 0
		.amdhsa_user_sgpr_flat_scratch_init 0
		.amdhsa_user_sgpr_private_segment_size 0
		.amdhsa_uses_dynamic_stack 0
		.amdhsa_system_sgpr_private_segment_wavefront_offset 0
		.amdhsa_system_sgpr_workgroup_id_x 1
		.amdhsa_system_sgpr_workgroup_id_y 0
		.amdhsa_system_sgpr_workgroup_id_z 0
		.amdhsa_system_sgpr_workgroup_info 0
		.amdhsa_system_vgpr_workitem_id 0
		.amdhsa_next_free_vgpr 96
		.amdhsa_next_free_sgpr 52
		.amdhsa_reserve_vcc 1
		.amdhsa_reserve_flat_scratch 0
		.amdhsa_float_round_mode_32 0
		.amdhsa_float_round_mode_16_64 0
		.amdhsa_float_denorm_mode_32 3
		.amdhsa_float_denorm_mode_16_64 3
		.amdhsa_dx10_clamp 1
		.amdhsa_ieee_mode 1
		.amdhsa_fp16_overflow 0
		.amdhsa_exception_fp_ieee_invalid_op 0
		.amdhsa_exception_fp_denorm_src 0
		.amdhsa_exception_fp_ieee_div_zero 0
		.amdhsa_exception_fp_ieee_overflow 0
		.amdhsa_exception_fp_ieee_underflow 0
		.amdhsa_exception_fp_ieee_inexact 0
		.amdhsa_exception_int_div_zero 0
	.end_amdhsa_kernel
	.section	.text._ZN9rocsolver6v33100L18getri_kernel_smallILi15EdPdEEvT1_iilPiilS4_bb,"axG",@progbits,_ZN9rocsolver6v33100L18getri_kernel_smallILi15EdPdEEvT1_iilPiilS4_bb,comdat
.Lfunc_end14:
	.size	_ZN9rocsolver6v33100L18getri_kernel_smallILi15EdPdEEvT1_iilPiilS4_bb, .Lfunc_end14-_ZN9rocsolver6v33100L18getri_kernel_smallILi15EdPdEEvT1_iilPiilS4_bb
                                        ; -- End function
	.set _ZN9rocsolver6v33100L18getri_kernel_smallILi15EdPdEEvT1_iilPiilS4_bb.num_vgpr, 96
	.set _ZN9rocsolver6v33100L18getri_kernel_smallILi15EdPdEEvT1_iilPiilS4_bb.num_agpr, 0
	.set _ZN9rocsolver6v33100L18getri_kernel_smallILi15EdPdEEvT1_iilPiilS4_bb.numbered_sgpr, 52
	.set _ZN9rocsolver6v33100L18getri_kernel_smallILi15EdPdEEvT1_iilPiilS4_bb.num_named_barrier, 0
	.set _ZN9rocsolver6v33100L18getri_kernel_smallILi15EdPdEEvT1_iilPiilS4_bb.private_seg_size, 0
	.set _ZN9rocsolver6v33100L18getri_kernel_smallILi15EdPdEEvT1_iilPiilS4_bb.uses_vcc, 1
	.set _ZN9rocsolver6v33100L18getri_kernel_smallILi15EdPdEEvT1_iilPiilS4_bb.uses_flat_scratch, 0
	.set _ZN9rocsolver6v33100L18getri_kernel_smallILi15EdPdEEvT1_iilPiilS4_bb.has_dyn_sized_stack, 0
	.set _ZN9rocsolver6v33100L18getri_kernel_smallILi15EdPdEEvT1_iilPiilS4_bb.has_recursion, 0
	.set _ZN9rocsolver6v33100L18getri_kernel_smallILi15EdPdEEvT1_iilPiilS4_bb.has_indirect_call, 0
	.section	.AMDGPU.csdata,"",@progbits
; Kernel info:
; codeLenInByte = 20108
; TotalNumSgprs: 56
; NumVgprs: 96
; ScratchSize: 0
; MemoryBound: 0
; FloatMode: 240
; IeeeMode: 1
; LDSByteSize: 248 bytes/workgroup (compile time only)
; SGPRBlocks: 6
; VGPRBlocks: 23
; NumSGPRsForWavesPerEU: 56
; NumVGPRsForWavesPerEU: 96
; Occupancy: 2
; WaveLimiterHint : 0
; COMPUTE_PGM_RSRC2:SCRATCH_EN: 0
; COMPUTE_PGM_RSRC2:USER_SGPR: 6
; COMPUTE_PGM_RSRC2:TRAP_HANDLER: 0
; COMPUTE_PGM_RSRC2:TGID_X_EN: 1
; COMPUTE_PGM_RSRC2:TGID_Y_EN: 0
; COMPUTE_PGM_RSRC2:TGID_Z_EN: 0
; COMPUTE_PGM_RSRC2:TIDIG_COMP_CNT: 0
	.section	.text._ZN9rocsolver6v33100L18getri_kernel_smallILi16EdPdEEvT1_iilPiilS4_bb,"axG",@progbits,_ZN9rocsolver6v33100L18getri_kernel_smallILi16EdPdEEvT1_iilPiilS4_bb,comdat
	.globl	_ZN9rocsolver6v33100L18getri_kernel_smallILi16EdPdEEvT1_iilPiilS4_bb ; -- Begin function _ZN9rocsolver6v33100L18getri_kernel_smallILi16EdPdEEvT1_iilPiilS4_bb
	.p2align	8
	.type	_ZN9rocsolver6v33100L18getri_kernel_smallILi16EdPdEEvT1_iilPiilS4_bb,@function
_ZN9rocsolver6v33100L18getri_kernel_smallILi16EdPdEEvT1_iilPiilS4_bb: ; @_ZN9rocsolver6v33100L18getri_kernel_smallILi16EdPdEEvT1_iilPiilS4_bb
; %bb.0:
	v_cmp_gt_u32_e32 vcc, 16, v0
	s_and_saveexec_b64 s[0:1], vcc
	s_cbranch_execz .LBB15_16
; %bb.1:
	s_load_dword s0, s[4:5], 0x38
	s_load_dwordx4 s[8:11], s[4:5], 0x10
	s_load_dwordx4 s[40:43], s[4:5], 0x28
                                        ; implicit-def: $sgpr44_sgpr45
	s_waitcnt lgkmcnt(0)
	s_bitcmp1_b32 s0, 8
	s_cselect_b64 s[46:47], -1, 0
	s_ashr_i32 s7, s6, 31
	s_bfe_u32 s0, s0, 0x10008
	s_cmp_eq_u32 s0, 0
	s_cbranch_scc1 .LBB15_3
; %bb.2:
	s_load_dword s0, s[4:5], 0x20
	s_mul_i32 s1, s40, s7
	s_mul_hi_u32 s2, s40, s6
	s_mul_i32 s3, s41, s6
	s_add_i32 s2, s2, s1
	s_add_i32 s3, s2, s3
	s_mul_i32 s2, s40, s6
	s_waitcnt lgkmcnt(0)
	s_ashr_i32 s1, s0, 31
	s_lshl_b64 s[2:3], s[2:3], 2
	s_add_u32 s2, s10, s2
	s_addc_u32 s3, s11, s3
	s_lshl_b64 s[0:1], s[0:1], 2
	s_add_u32 s44, s2, s0
	s_addc_u32 s45, s3, s1
.LBB15_3:
	s_load_dwordx4 s[0:3], s[4:5], 0x0
	s_load_dword s10, s[4:5], 0x38
	s_mul_i32 s11, s8, s7
	s_mul_hi_u32 s12, s8, s6
	s_mul_i32 s9, s9, s6
	s_waitcnt lgkmcnt(0)
	s_ashr_i32 s5, s2, 31
	s_mov_b32 s4, s2
	s_add_i32 s2, s12, s11
	s_add_i32 s9, s2, s9
	s_mul_i32 s8, s8, s6
	s_lshl_b64 s[8:9], s[8:9], 3
	s_add_u32 s2, s0, s8
	s_addc_u32 s8, s1, s9
	s_lshl_b64 s[0:1], s[4:5], 3
	s_add_u32 s0, s2, s0
	s_addc_u32 s1, s8, s1
	s_add_i32 s2, s3, s3
	v_add_u32_e32 v1, s2, v0
	v_ashrrev_i32_e32 v2, 31, v1
	v_lshlrev_b64 v[2:3], 3, v[1:2]
	v_add_u32_e32 v1, s3, v1
	v_mov_b32_e32 v4, s1
	v_add_co_u32_e32 v64, vcc, s0, v2
	v_ashrrev_i32_e32 v2, 31, v1
	v_addc_co_u32_e32 v65, vcc, v4, v3, vcc
	v_lshlrev_b64 v[2:3], 3, v[1:2]
	v_add_u32_e32 v1, s3, v1
	v_add_co_u32_e32 v66, vcc, s0, v2
	v_ashrrev_i32_e32 v2, 31, v1
	v_addc_co_u32_e32 v67, vcc, v4, v3, vcc
	v_lshlrev_b64 v[2:3], 3, v[1:2]
	v_add_u32_e32 v1, s3, v1
	;; [unrolled: 5-line block ×12, first 2 shown]
	v_add_co_u32_e32 v88, vcc, s0, v2
	v_ashrrev_i32_e32 v2, 31, v1
	v_lshlrev_b64 v[1:2], 3, v[1:2]
	v_addc_co_u32_e32 v89, vcc, v4, v3, vcc
	v_mov_b32_e32 v3, s1
	v_add_co_u32_e32 v90, vcc, s0, v1
	v_addc_co_u32_e32 v91, vcc, v3, v2, vcc
	v_lshlrev_b32_e32 v36, 3, v0
	v_mov_b32_e32 v1, s1
	v_add_co_u32_e32 v92, vcc, s0, v36
	s_ashr_i32 s5, s3, 31
	s_mov_b32 s4, s3
	v_addc_co_u32_e32 v93, vcc, 0, v1, vcc
	s_lshl_b64 s[2:3], s[4:5], 3
	v_mov_b32_e32 v1, s3
	v_add_co_u32_e32 v94, vcc, s2, v92
	v_addc_co_u32_e32 v95, vcc, v93, v1, vcc
	global_load_dwordx2 v[2:3], v36, s[0:1]
	global_load_dwordx2 v[4:5], v[94:95], off
	global_load_dwordx2 v[6:7], v[64:65], off
	;; [unrolled: 1-line block ×14, first 2 shown]
                                        ; kill: killed $sgpr0 killed $sgpr1
	global_load_dwordx2 v[32:33], v[90:91], off
	v_mov_b32_e32 v1, 0
	s_bitcmp0_b32 s10, 0
	s_mov_b64 s[0:1], -1
	s_cbranch_scc1 .LBB15_14
; %bb.4:
	v_cmp_eq_u32_e64 s[0:1], 0, v0
	s_and_saveexec_b64 s[2:3], s[0:1]
; %bb.5:
	v_mov_b32_e32 v34, 0
	ds_write_b32 v34, v34 offset:256
; %bb.6:
	s_or_b64 exec, exec, s[2:3]
	v_cmp_eq_u32_e32 vcc, 1, v0
	s_waitcnt vmcnt(14)
	v_cndmask_b32_e32 v34, v3, v5, vcc
	v_cmp_eq_u32_e64 s[2:3], 2, v0
	s_waitcnt vmcnt(13)
	v_cndmask_b32_e64 v34, v34, v7, s[2:3]
	v_cmp_eq_u32_e64 s[4:5], 3, v0
	s_waitcnt vmcnt(12)
	v_cndmask_b32_e64 v34, v34, v9, s[4:5]
	;; [unrolled: 3-line block ×14, first 2 shown]
	v_cndmask_b32_e32 v34, v2, v4, vcc
	v_cndmask_b32_e64 v34, v34, v6, s[2:3]
	v_cndmask_b32_e64 v34, v34, v8, s[4:5]
	;; [unrolled: 1-line block ×14, first 2 shown]
	v_cmp_eq_f64_e32 vcc, 0, v[34:35]
	s_waitcnt lgkmcnt(0)
	; wave barrier
	s_and_saveexec_b64 s[4:5], vcc
	s_cbranch_execz .LBB15_10
; %bb.7:
	v_mov_b32_e32 v37, 0
	ds_read_b32 v39, v37 offset:256
	v_add_u32_e32 v38, 1, v0
	s_waitcnt lgkmcnt(0)
	v_readfirstlane_b32 s2, v39
	s_cmp_eq_u32 s2, 0
	s_cselect_b64 s[8:9], -1, 0
	v_cmp_gt_i32_e32 vcc, s2, v38
	s_or_b64 s[8:9], s[8:9], vcc
	s_and_b64 exec, exec, s[8:9]
	s_cbranch_execz .LBB15_10
; %bb.8:
	s_mov_b64 s[8:9], 0
	v_mov_b32_e32 v39, s2
.LBB15_9:                               ; =>This Inner Loop Header: Depth=1
	ds_cmpst_rtn_b32 v39, v37, v39, v38 offset:256
	s_waitcnt lgkmcnt(0)
	v_cmp_ne_u32_e32 vcc, 0, v39
	v_cmp_le_i32_e64 s[2:3], v39, v38
	s_and_b64 s[2:3], vcc, s[2:3]
	s_and_b64 s[2:3], exec, s[2:3]
	s_or_b64 s[8:9], s[2:3], s[8:9]
	s_andn2_b64 exec, exec, s[8:9]
	s_cbranch_execnz .LBB15_9
.LBB15_10:
	s_or_b64 exec, exec, s[4:5]
	v_mov_b32_e32 v38, 0
	; wave barrier
	ds_read_b32 v37, v38 offset:256
	s_and_saveexec_b64 s[2:3], s[0:1]
	s_cbranch_execz .LBB15_12
; %bb.11:
	s_lshl_b64 s[4:5], s[6:7], 2
	s_add_u32 s4, s42, s4
	s_addc_u32 s5, s43, s5
	s_waitcnt lgkmcnt(0)
	global_store_dword v38, v37, s[4:5]
.LBB15_12:
	s_or_b64 exec, exec, s[2:3]
	s_waitcnt lgkmcnt(0)
	v_cmp_ne_u32_e32 vcc, 0, v37
	s_cbranch_vccz .LBB15_17
; %bb.13:
	s_mov_b64 s[0:1], 0
                                        ; implicit-def: $vgpr2_vgpr3_vgpr4_vgpr5_vgpr6_vgpr7_vgpr8_vgpr9_vgpr10_vgpr11_vgpr12_vgpr13_vgpr14_vgpr15_vgpr16_vgpr17_vgpr18_vgpr19_vgpr20_vgpr21_vgpr22_vgpr23_vgpr24_vgpr25_vgpr26_vgpr27_vgpr28_vgpr29_vgpr30_vgpr31_vgpr32_vgpr33
.LBB15_14:
	s_and_b64 vcc, exec, s[0:1]
	s_cbranch_vccz .LBB15_16
.LBB15_15:
	s_lshl_b64 s[0:1], s[6:7], 2
	s_add_u32 s0, s42, s0
	s_addc_u32 s1, s43, s1
	v_mov_b32_e32 v1, 0
	global_load_dword v1, v1, s[0:1]
	s_waitcnt vmcnt(0)
	v_cmp_ne_u32_e32 vcc, 0, v1
	s_cbranch_vccz .LBB15_86
.LBB15_16:
	s_endpgm
.LBB15_17:
	v_div_scale_f64 v[37:38], s[2:3], v[34:35], v[34:35], 1.0
	v_rcp_f64_e32 v[39:40], v[37:38]
	v_fma_f64 v[41:42], -v[37:38], v[39:40], 1.0
	v_fma_f64 v[39:40], v[39:40], v[41:42], v[39:40]
	v_div_scale_f64 v[41:42], vcc, 1.0, v[34:35], 1.0
	v_fma_f64 v[43:44], -v[37:38], v[39:40], 1.0
	v_fma_f64 v[39:40], v[39:40], v[43:44], v[39:40]
	v_mul_f64 v[43:44], v[41:42], v[39:40]
	v_fma_f64 v[37:38], -v[37:38], v[43:44], v[41:42]
	v_div_fmas_f64 v[37:38], v[37:38], v[39:40], v[43:44]
	v_cmp_eq_u32_e32 vcc, 15, v0
	v_div_fixup_f64 v[34:35], v[37:38], v[34:35], 1.0
	v_add_u32_e32 v38, 0x80, v36
	v_cndmask_b32_e32 v33, v33, v35, vcc
	v_cndmask_b32_e32 v32, v32, v34, vcc
	v_cmp_eq_u32_e32 vcc, 14, v0
	v_cndmask_b32_e32 v31, v31, v35, vcc
	v_cndmask_b32_e32 v30, v30, v34, vcc
	v_cmp_eq_u32_e32 vcc, 13, v0
	v_cndmask_b32_e32 v29, v29, v35, vcc
	v_cndmask_b32_e32 v28, v28, v34, vcc
	v_cmp_eq_u32_e32 vcc, 12, v0
	v_cndmask_b32_e32 v27, v27, v35, vcc
	v_cndmask_b32_e32 v26, v26, v34, vcc
	v_cmp_eq_u32_e32 vcc, 11, v0
	v_cndmask_b32_e32 v25, v25, v35, vcc
	v_cndmask_b32_e32 v24, v24, v34, vcc
	v_cmp_eq_u32_e32 vcc, 10, v0
	v_cndmask_b32_e32 v23, v23, v35, vcc
	v_cndmask_b32_e32 v22, v22, v34, vcc
	v_cmp_eq_u32_e32 vcc, 9, v0
	v_cndmask_b32_e32 v21, v21, v35, vcc
	v_cndmask_b32_e32 v20, v20, v34, vcc
	v_cmp_eq_u32_e32 vcc, 8, v0
	v_cndmask_b32_e32 v19, v19, v35, vcc
	v_cndmask_b32_e32 v18, v18, v34, vcc
	v_cmp_eq_u32_e32 vcc, 7, v0
	v_cndmask_b32_e32 v17, v17, v35, vcc
	v_cndmask_b32_e32 v16, v16, v34, vcc
	v_cmp_eq_u32_e32 vcc, 6, v0
	v_cndmask_b32_e32 v15, v15, v35, vcc
	v_cndmask_b32_e32 v14, v14, v34, vcc
	v_cmp_eq_u32_e32 vcc, 5, v0
	v_cndmask_b32_e32 v13, v13, v35, vcc
	v_cndmask_b32_e32 v12, v12, v34, vcc
	v_cmp_eq_u32_e32 vcc, 4, v0
	v_cndmask_b32_e32 v11, v11, v35, vcc
	v_cndmask_b32_e32 v10, v10, v34, vcc
	v_cmp_eq_u32_e32 vcc, 3, v0
	v_cndmask_b32_e32 v9, v9, v35, vcc
	v_cndmask_b32_e32 v8, v8, v34, vcc
	v_cmp_eq_u32_e32 vcc, 2, v0
	v_cndmask_b32_e32 v7, v7, v35, vcc
	v_cndmask_b32_e32 v6, v6, v34, vcc
	v_cmp_eq_u32_e32 vcc, 1, v0
	v_cndmask_b32_e32 v5, v5, v35, vcc
	v_cndmask_b32_e32 v4, v4, v34, vcc
	v_cmp_eq_u32_e32 vcc, 0, v0
	v_cndmask_b32_e32 v3, v3, v35, vcc
	v_cndmask_b32_e32 v2, v2, v34, vcc
	v_xor_b32_e32 v40, 0x80000000, v35
	v_mov_b32_e32 v39, v34
	ds_write2_b64 v36, v[39:40], v[4:5] offset1:16
	s_waitcnt lgkmcnt(0)
	; wave barrier
	s_and_saveexec_b64 s[2:3], s[0:1]
	s_cbranch_execz .LBB15_19
; %bb.18:
	ds_read_b64 v[4:5], v38
	v_mov_b32_e32 v36, 0
	ds_read_b64 v[36:37], v36 offset:8
	s_waitcnt lgkmcnt(1)
	v_fma_f64 v[4:5], v[34:35], v[4:5], 0
	s_waitcnt lgkmcnt(0)
	v_mul_f64 v[4:5], v[4:5], v[36:37]
.LBB15_19:
	s_or_b64 exec, exec, s[2:3]
	v_cmp_gt_u32_e32 vcc, 2, v0
	; wave barrier
	ds_write_b64 v38, v[6:7]
	s_waitcnt lgkmcnt(0)
	; wave barrier
	s_and_saveexec_b64 s[36:37], vcc
	s_cbranch_execz .LBB15_21
; %bb.20:
	v_cmp_eq_u32_e64 s[2:3], 1, v0
	v_cndmask_b32_e64 v34, v3, v5, s[2:3]
	v_cmp_eq_u32_e64 s[4:5], 2, v0
	v_cndmask_b32_e64 v7, v34, v7, s[4:5]
	v_cndmask_b32_e64 v34, v2, v4, s[2:3]
	v_cmp_eq_u32_e64 s[8:9], 3, v0
	v_cndmask_b32_e64 v6, v34, v6, s[4:5]
	;; [unrolled: 3-line block ×11, first 2 shown]
	ds_read_b64 v[34:35], v38
	v_cndmask_b32_e64 v7, v7, v27, s[26:27]
	v_cmp_eq_u32_e64 s[28:29], 13, v0
	v_cndmask_b32_e64 v6, v6, v26, s[26:27]
	v_cndmask_b32_e64 v7, v7, v29, s[28:29]
	v_cmp_eq_u32_e64 s[30:31], 14, v0
	v_cndmask_b32_e64 v6, v6, v28, s[28:29]
	;; [unrolled: 3-line block ×3, first 2 shown]
	v_cndmask_b32_e64 v7, v7, v33, s[34:35]
	v_cndmask_b32_e64 v6, v6, v32, s[34:35]
	s_waitcnt lgkmcnt(0)
	v_fma_f64 v[6:7], v[6:7], v[34:35], 0
	v_mov_b32_e32 v34, 0
	ds_read2_b64 v[34:37], v34 offset0:2 offset1:17
	s_waitcnt lgkmcnt(0)
	v_fma_f64 v[36:37], v[4:5], v[36:37], v[6:7]
	v_cndmask_b32_e64 v7, v7, v37, s[0:1]
	v_cndmask_b32_e64 v6, v6, v36, s[0:1]
	v_mul_f64 v[6:7], v[6:7], v[34:35]
.LBB15_21:
	s_or_b64 exec, exec, s[36:37]
	v_cmp_gt_u32_e64 s[2:3], 3, v0
	; wave barrier
	ds_write_b64 v38, v[8:9]
	s_waitcnt lgkmcnt(0)
	; wave barrier
	s_and_saveexec_b64 s[8:9], s[2:3]
	s_cbranch_execz .LBB15_25
; %bb.22:
	v_mov_b32_e32 v34, 0x80
	v_lshl_add_u32 v39, v0, 3, v34
	v_mov_b32_e32 v34, 0
	v_mov_b32_e32 v37, v1
	;; [unrolled: 1-line block ×3, first 2 shown]
	s_mov_b64 s[10:11], 0
	v_mov_b32_e32 v36, v0
.LBB15_23:                              ; =>This Inner Loop Header: Depth=1
	v_cmp_eq_u32_e64 s[2:3], 1, v36
	v_cndmask_b32_e64 v42, v3, v5, s[2:3]
	v_cmp_eq_u32_e64 s[4:5], 2, v36
	v_cndmask_b32_e64 v42, v42, v7, s[4:5]
	v_cndmask_b32_e64 v43, v2, v4, s[2:3]
	v_cmp_eq_u32_e64 s[2:3], 3, v36
	v_cndmask_b32_e64 v42, v42, v9, s[2:3]
	;; [unrolled: 3-line block ×10, first 2 shown]
	v_cndmask_b32_e64 v43, v43, v22, s[4:5]
	v_cmp_eq_u32_e64 s[4:5], 12, v36
	ds_read_b64 v[40:41], v39
	v_cndmask_b32_e64 v42, v42, v27, s[4:5]
	v_cndmask_b32_e64 v43, v43, v24, s[2:3]
	v_cmp_eq_u32_e64 s[2:3], 13, v36
	v_cndmask_b32_e64 v42, v42, v29, s[2:3]
	v_cndmask_b32_e64 v43, v43, v26, s[4:5]
	v_cmp_eq_u32_e64 s[4:5], 14, v36
	;; [unrolled: 3-line block ×3, first 2 shown]
	v_cndmask_b32_e64 v43, v42, v33, s[2:3]
	v_cndmask_b32_e64 v42, v44, v30, s[4:5]
	;; [unrolled: 1-line block ×3, first 2 shown]
	s_waitcnt lgkmcnt(0)
	v_fma_f64 v[34:35], v[42:43], v[40:41], v[34:35]
	v_add_co_u32_e64 v36, s[2:3], 1, v36
	v_addc_co_u32_e64 v37, s[2:3], 0, v37, s[2:3]
	v_add_u32_e32 v40, -1, v36
	v_cmp_lt_u32_e64 s[2:3], 1, v40
	s_or_b64 s[10:11], s[2:3], s[10:11]
	v_add_u32_e32 v39, 8, v39
	s_andn2_b64 exec, exec, s[10:11]
	s_cbranch_execnz .LBB15_23
; %bb.24:
	s_or_b64 exec, exec, s[10:11]
	v_mov_b32_e32 v8, 0
	ds_read_b64 v[8:9], v8 offset:24
	s_waitcnt lgkmcnt(0)
	v_mul_f64 v[8:9], v[34:35], v[8:9]
.LBB15_25:
	s_or_b64 exec, exec, s[8:9]
	v_cmp_gt_u32_e64 s[2:3], 4, v0
	; wave barrier
	ds_write_b64 v38, v[10:11]
	s_waitcnt lgkmcnt(0)
	; wave barrier
	s_and_saveexec_b64 s[10:11], s[2:3]
	s_cbranch_execz .LBB15_29
; %bb.26:
	v_mov_b32_e32 v34, 0x80
	v_lshl_add_u32 v39, v0, 3, v34
	v_mov_b32_e32 v34, 0
	v_mov_b32_e32 v37, v1
	;; [unrolled: 1-line block ×3, first 2 shown]
	s_mov_b64 s[12:13], 0
	v_mov_b32_e32 v36, v0
.LBB15_27:                              ; =>This Inner Loop Header: Depth=1
	v_cmp_eq_u32_e64 s[4:5], 1, v36
	v_cndmask_b32_e64 v42, v3, v5, s[4:5]
	v_cmp_eq_u32_e64 s[8:9], 2, v36
	v_cndmask_b32_e64 v42, v42, v7, s[8:9]
	v_cndmask_b32_e64 v43, v2, v4, s[4:5]
	v_cmp_eq_u32_e64 s[4:5], 3, v36
	v_cndmask_b32_e64 v42, v42, v9, s[4:5]
	;; [unrolled: 3-line block ×10, first 2 shown]
	v_cndmask_b32_e64 v43, v43, v22, s[8:9]
	v_cmp_eq_u32_e64 s[8:9], 12, v36
	ds_read_b64 v[40:41], v39
	v_cndmask_b32_e64 v42, v42, v27, s[8:9]
	v_cndmask_b32_e64 v43, v43, v24, s[4:5]
	v_cmp_eq_u32_e64 s[4:5], 13, v36
	v_cndmask_b32_e64 v42, v42, v29, s[4:5]
	v_cndmask_b32_e64 v43, v43, v26, s[8:9]
	v_cmp_eq_u32_e64 s[8:9], 14, v36
	;; [unrolled: 3-line block ×3, first 2 shown]
	v_cndmask_b32_e64 v43, v42, v33, s[4:5]
	v_cndmask_b32_e64 v42, v44, v30, s[8:9]
	;; [unrolled: 1-line block ×3, first 2 shown]
	s_waitcnt lgkmcnt(0)
	v_fma_f64 v[34:35], v[42:43], v[40:41], v[34:35]
	v_add_co_u32_e64 v36, s[4:5], 1, v36
	v_addc_co_u32_e64 v37, s[4:5], 0, v37, s[4:5]
	v_add_u32_e32 v40, -1, v36
	v_cmp_lt_u32_e64 s[4:5], 2, v40
	s_or_b64 s[12:13], s[4:5], s[12:13]
	v_add_u32_e32 v39, 8, v39
	s_andn2_b64 exec, exec, s[12:13]
	s_cbranch_execnz .LBB15_27
; %bb.28:
	s_or_b64 exec, exec, s[12:13]
	v_mov_b32_e32 v10, 0
	ds_read_b64 v[10:11], v10 offset:32
	s_waitcnt lgkmcnt(0)
	v_mul_f64 v[10:11], v[34:35], v[10:11]
.LBB15_29:
	s_or_b64 exec, exec, s[10:11]
	v_cmp_gt_u32_e64 s[4:5], 5, v0
	; wave barrier
	ds_write_b64 v38, v[12:13]
	s_waitcnt lgkmcnt(0)
	; wave barrier
	s_and_saveexec_b64 s[10:11], s[4:5]
	s_cbranch_execz .LBB15_33
; %bb.30:
	v_mov_b32_e32 v34, 0x80
	v_lshl_add_u32 v39, v0, 3, v34
	v_mov_b32_e32 v34, 0
	v_mov_b32_e32 v37, v1
	;; [unrolled: 1-line block ×3, first 2 shown]
	s_mov_b64 s[12:13], 0
	v_mov_b32_e32 v36, v0
.LBB15_31:                              ; =>This Inner Loop Header: Depth=1
	v_cmp_eq_u32_e64 s[4:5], 1, v36
	v_cndmask_b32_e64 v42, v3, v5, s[4:5]
	v_cmp_eq_u32_e64 s[8:9], 2, v36
	v_cndmask_b32_e64 v42, v42, v7, s[8:9]
	v_cndmask_b32_e64 v43, v2, v4, s[4:5]
	v_cmp_eq_u32_e64 s[4:5], 3, v36
	v_cndmask_b32_e64 v42, v42, v9, s[4:5]
	;; [unrolled: 3-line block ×10, first 2 shown]
	v_cndmask_b32_e64 v43, v43, v22, s[8:9]
	v_cmp_eq_u32_e64 s[8:9], 12, v36
	ds_read_b64 v[40:41], v39
	v_cndmask_b32_e64 v42, v42, v27, s[8:9]
	v_cndmask_b32_e64 v43, v43, v24, s[4:5]
	v_cmp_eq_u32_e64 s[4:5], 13, v36
	v_cndmask_b32_e64 v42, v42, v29, s[4:5]
	v_cndmask_b32_e64 v43, v43, v26, s[8:9]
	v_cmp_eq_u32_e64 s[8:9], 14, v36
	;; [unrolled: 3-line block ×3, first 2 shown]
	v_cndmask_b32_e64 v43, v42, v33, s[4:5]
	v_cndmask_b32_e64 v42, v44, v30, s[8:9]
	;; [unrolled: 1-line block ×3, first 2 shown]
	s_waitcnt lgkmcnt(0)
	v_fma_f64 v[34:35], v[42:43], v[40:41], v[34:35]
	v_add_co_u32_e64 v36, s[4:5], 1, v36
	v_addc_co_u32_e64 v37, s[4:5], 0, v37, s[4:5]
	v_add_u32_e32 v40, -1, v36
	v_cmp_lt_u32_e64 s[4:5], 3, v40
	s_or_b64 s[12:13], s[4:5], s[12:13]
	v_add_u32_e32 v39, 8, v39
	s_andn2_b64 exec, exec, s[12:13]
	s_cbranch_execnz .LBB15_31
; %bb.32:
	s_or_b64 exec, exec, s[12:13]
	v_mov_b32_e32 v12, 0
	ds_read_b64 v[12:13], v12 offset:40
	s_waitcnt lgkmcnt(0)
	v_mul_f64 v[12:13], v[34:35], v[12:13]
.LBB15_33:
	s_or_b64 exec, exec, s[10:11]
	v_cmp_gt_u32_e64 s[4:5], 6, v0
	; wave barrier
	ds_write_b64 v38, v[14:15]
	s_waitcnt lgkmcnt(0)
	; wave barrier
	s_and_saveexec_b64 s[12:13], s[4:5]
	s_cbranch_execz .LBB15_37
; %bb.34:
	v_mov_b32_e32 v34, 0x80
	v_lshl_add_u32 v39, v0, 3, v34
	v_mov_b32_e32 v34, 0
	v_mov_b32_e32 v37, v1
	;; [unrolled: 1-line block ×3, first 2 shown]
	s_mov_b64 s[14:15], 0
	v_mov_b32_e32 v36, v0
.LBB15_35:                              ; =>This Inner Loop Header: Depth=1
	v_cmp_eq_u32_e64 s[8:9], 1, v36
	v_cndmask_b32_e64 v42, v3, v5, s[8:9]
	v_cmp_eq_u32_e64 s[10:11], 2, v36
	v_cndmask_b32_e64 v42, v42, v7, s[10:11]
	v_cndmask_b32_e64 v43, v2, v4, s[8:9]
	v_cmp_eq_u32_e64 s[8:9], 3, v36
	v_cndmask_b32_e64 v42, v42, v9, s[8:9]
	;; [unrolled: 3-line block ×10, first 2 shown]
	v_cndmask_b32_e64 v43, v43, v22, s[10:11]
	v_cmp_eq_u32_e64 s[10:11], 12, v36
	ds_read_b64 v[40:41], v39
	v_cndmask_b32_e64 v42, v42, v27, s[10:11]
	v_cndmask_b32_e64 v43, v43, v24, s[8:9]
	v_cmp_eq_u32_e64 s[8:9], 13, v36
	v_cndmask_b32_e64 v42, v42, v29, s[8:9]
	v_cndmask_b32_e64 v43, v43, v26, s[10:11]
	v_cmp_eq_u32_e64 s[10:11], 14, v36
	;; [unrolled: 3-line block ×3, first 2 shown]
	v_cndmask_b32_e64 v43, v42, v33, s[8:9]
	v_cndmask_b32_e64 v42, v44, v30, s[10:11]
	;; [unrolled: 1-line block ×3, first 2 shown]
	s_waitcnt lgkmcnt(0)
	v_fma_f64 v[34:35], v[42:43], v[40:41], v[34:35]
	v_add_co_u32_e64 v36, s[8:9], 1, v36
	v_addc_co_u32_e64 v37, s[8:9], 0, v37, s[8:9]
	v_add_u32_e32 v40, -1, v36
	v_cmp_lt_u32_e64 s[8:9], 4, v40
	s_or_b64 s[14:15], s[8:9], s[14:15]
	v_add_u32_e32 v39, 8, v39
	s_andn2_b64 exec, exec, s[14:15]
	s_cbranch_execnz .LBB15_35
; %bb.36:
	s_or_b64 exec, exec, s[14:15]
	v_mov_b32_e32 v14, 0
	ds_read_b64 v[14:15], v14 offset:48
	s_waitcnt lgkmcnt(0)
	v_mul_f64 v[14:15], v[34:35], v[14:15]
.LBB15_37:
	s_or_b64 exec, exec, s[12:13]
	v_cmp_gt_u32_e64 s[8:9], 7, v0
	; wave barrier
	ds_write_b64 v38, v[16:17]
	s_waitcnt lgkmcnt(0)
	; wave barrier
	s_and_saveexec_b64 s[12:13], s[8:9]
	s_cbranch_execz .LBB15_41
; %bb.38:
	v_mov_b32_e32 v34, 0x80
	v_lshl_add_u32 v39, v0, 3, v34
	v_mov_b32_e32 v34, 0
	v_mov_b32_e32 v37, v1
	v_mov_b32_e32 v35, 0
	s_mov_b64 s[14:15], 0
	v_mov_b32_e32 v36, v0
.LBB15_39:                              ; =>This Inner Loop Header: Depth=1
	v_cmp_eq_u32_e64 s[8:9], 1, v36
	v_cndmask_b32_e64 v42, v3, v5, s[8:9]
	v_cmp_eq_u32_e64 s[10:11], 2, v36
	v_cndmask_b32_e64 v42, v42, v7, s[10:11]
	v_cndmask_b32_e64 v43, v2, v4, s[8:9]
	v_cmp_eq_u32_e64 s[8:9], 3, v36
	v_cndmask_b32_e64 v42, v42, v9, s[8:9]
	;; [unrolled: 3-line block ×10, first 2 shown]
	v_cndmask_b32_e64 v43, v43, v22, s[10:11]
	v_cmp_eq_u32_e64 s[10:11], 12, v36
	ds_read_b64 v[40:41], v39
	v_cndmask_b32_e64 v42, v42, v27, s[10:11]
	v_cndmask_b32_e64 v43, v43, v24, s[8:9]
	v_cmp_eq_u32_e64 s[8:9], 13, v36
	v_cndmask_b32_e64 v42, v42, v29, s[8:9]
	v_cndmask_b32_e64 v43, v43, v26, s[10:11]
	v_cmp_eq_u32_e64 s[10:11], 14, v36
	;; [unrolled: 3-line block ×3, first 2 shown]
	v_cndmask_b32_e64 v43, v42, v33, s[8:9]
	v_cndmask_b32_e64 v42, v44, v30, s[10:11]
	v_cndmask_b32_e64 v42, v42, v32, s[8:9]
	s_waitcnt lgkmcnt(0)
	v_fma_f64 v[34:35], v[42:43], v[40:41], v[34:35]
	v_add_co_u32_e64 v36, s[8:9], 1, v36
	v_addc_co_u32_e64 v37, s[8:9], 0, v37, s[8:9]
	v_add_u32_e32 v40, -1, v36
	v_cmp_lt_u32_e64 s[8:9], 5, v40
	s_or_b64 s[14:15], s[8:9], s[14:15]
	v_add_u32_e32 v39, 8, v39
	s_andn2_b64 exec, exec, s[14:15]
	s_cbranch_execnz .LBB15_39
; %bb.40:
	s_or_b64 exec, exec, s[14:15]
	v_mov_b32_e32 v16, 0
	ds_read_b64 v[16:17], v16 offset:56
	s_waitcnt lgkmcnt(0)
	v_mul_f64 v[16:17], v[34:35], v[16:17]
.LBB15_41:
	s_or_b64 exec, exec, s[12:13]
	v_cmp_gt_u32_e64 s[8:9], 8, v0
	; wave barrier
	ds_write_b64 v38, v[18:19]
	s_waitcnt lgkmcnt(0)
	; wave barrier
	s_and_saveexec_b64 s[40:41], s[8:9]
	s_cbranch_execz .LBB15_57
; %bb.42:
	v_cmp_eq_u32_e64 s[8:9], 1, v0
	v_cndmask_b32_e64 v34, v3, v5, s[8:9]
	v_cmp_eq_u32_e64 s[10:11], 2, v0
	v_cndmask_b32_e64 v34, v34, v7, s[10:11]
	v_cmp_eq_u32_e64 s[12:13], 3, v0
	v_cndmask_b32_e64 v34, v34, v9, s[12:13]
	v_cmp_eq_u32_e64 s[14:15], 4, v0
	v_cndmask_b32_e64 v34, v34, v11, s[14:15]
	v_cmp_eq_u32_e64 s[16:17], 5, v0
	v_cndmask_b32_e64 v34, v34, v13, s[16:17]
	v_cmp_eq_u32_e64 s[18:19], 6, v0
	v_cndmask_b32_e64 v34, v34, v15, s[18:19]
	v_cmp_eq_u32_e64 s[20:21], 7, v0
	v_cndmask_b32_e64 v34, v34, v17, s[20:21]
	v_cmp_eq_u32_e64 s[22:23], 8, v0
	v_cndmask_b32_e64 v34, v34, v19, s[22:23]
	v_cmp_eq_u32_e64 s[24:25], 9, v0
	v_cndmask_b32_e64 v34, v34, v21, s[24:25]
	v_cmp_eq_u32_e64 s[26:27], 10, v0
	v_cndmask_b32_e64 v34, v34, v23, s[26:27]
	v_cmp_eq_u32_e64 s[28:29], 11, v0
	v_cndmask_b32_e64 v34, v34, v25, s[28:29]
	v_cmp_eq_u32_e64 s[30:31], 12, v0
	v_cndmask_b32_e64 v34, v34, v27, s[30:31]
	v_cmp_eq_u32_e64 s[34:35], 13, v0
	v_cndmask_b32_e64 v34, v34, v29, s[34:35]
	v_cmp_eq_u32_e64 s[36:37], 14, v0
	v_cndmask_b32_e64 v34, v34, v31, s[36:37]
	v_cmp_eq_u32_e64 s[38:39], 15, v0
	v_cndmask_b32_e64 v35, v34, v33, s[38:39]
	v_cndmask_b32_e64 v34, v2, v4, s[8:9]
	v_cndmask_b32_e64 v34, v34, v6, s[10:11]
	;; [unrolled: 1-line block ×11, first 2 shown]
	ds_read_b64 v[36:37], v38
	v_cndmask_b32_e64 v34, v34, v26, s[30:31]
	v_cndmask_b32_e64 v34, v34, v28, s[34:35]
	;; [unrolled: 1-line block ×4, first 2 shown]
	s_waitcnt lgkmcnt(0)
	v_fma_f64 v[34:35], v[34:35], v[36:37], 0
	v_cmp_ne_u32_e64 s[8:9], 7, v0
	s_and_saveexec_b64 s[48:49], s[8:9]
	s_cbranch_execz .LBB15_56
; %bb.43:
	v_add_u32_e32 v36, 1, v0
	v_cmp_eq_u32_e64 s[8:9], 1, v36
	v_cndmask_b32_e64 v37, v3, v5, s[8:9]
	v_cmp_eq_u32_e64 s[10:11], 2, v36
	v_cmp_eq_u32_e64 s[12:13], 3, v36
	;; [unrolled: 1-line block ×14, first 2 shown]
	v_cndmask_b32_e64 v36, v2, v4, s[8:9]
	v_cndmask_b32_e64 v37, v37, v7, s[10:11]
	v_cndmask_b32_e64 v36, v36, v6, s[10:11]
	v_cndmask_b32_e64 v37, v37, v9, s[12:13]
	v_cndmask_b32_e64 v36, v36, v8, s[12:13]
	v_cndmask_b32_e64 v37, v37, v11, s[14:15]
	v_cndmask_b32_e64 v36, v36, v10, s[14:15]
	v_cndmask_b32_e64 v37, v37, v13, s[16:17]
	v_cndmask_b32_e64 v36, v36, v12, s[16:17]
	v_cndmask_b32_e64 v37, v37, v15, s[18:19]
	v_cndmask_b32_e64 v36, v36, v14, s[18:19]
	v_cndmask_b32_e64 v37, v37, v17, s[20:21]
	v_cndmask_b32_e64 v36, v36, v16, s[20:21]
	v_cndmask_b32_e64 v37, v37, v19, s[22:23]
	v_cndmask_b32_e64 v36, v36, v18, s[22:23]
	v_cndmask_b32_e64 v37, v37, v21, s[24:25]
	v_cndmask_b32_e64 v36, v36, v20, s[24:25]
	v_cndmask_b32_e64 v37, v37, v23, s[26:27]
	v_cndmask_b32_e64 v36, v36, v22, s[26:27]
	v_cndmask_b32_e64 v37, v37, v25, s[28:29]
	v_cndmask_b32_e64 v36, v36, v24, s[28:29]
	ds_read_b64 v[39:40], v38 offset:8
	v_cndmask_b32_e64 v37, v37, v27, s[30:31]
	v_cndmask_b32_e64 v36, v36, v26, s[30:31]
	;; [unrolled: 1-line block ×8, first 2 shown]
	s_waitcnt lgkmcnt(0)
	v_fma_f64 v[34:35], v[36:37], v[39:40], v[34:35]
	s_and_saveexec_b64 s[38:39], s[4:5]
	s_cbranch_execz .LBB15_55
; %bb.44:
	v_add_u32_e32 v36, 2, v0
	v_cmp_eq_u32_e64 s[4:5], 1, v36
	v_cndmask_b32_e64 v37, v3, v5, s[4:5]
	v_cmp_eq_u32_e64 s[8:9], 2, v36
	v_cmp_eq_u32_e64 s[10:11], 3, v36
	;; [unrolled: 1-line block ×14, first 2 shown]
	v_cndmask_b32_e64 v36, v2, v4, s[4:5]
	v_cndmask_b32_e64 v37, v37, v7, s[8:9]
	;; [unrolled: 1-line block ×21, first 2 shown]
	ds_read_b64 v[39:40], v38 offset:16
	v_cndmask_b32_e64 v37, v37, v27, s[28:29]
	v_cndmask_b32_e64 v36, v36, v26, s[28:29]
	;; [unrolled: 1-line block ×8, first 2 shown]
	s_waitcnt lgkmcnt(0)
	v_fma_f64 v[34:35], v[36:37], v[39:40], v[34:35]
	v_cmp_ne_u32_e64 s[4:5], 5, v0
	s_and_saveexec_b64 s[50:51], s[4:5]
	s_cbranch_execz .LBB15_54
; %bb.45:
	v_add_u32_e32 v36, 3, v0
	v_cmp_eq_u32_e64 s[4:5], 1, v36
	v_cndmask_b32_e64 v37, v3, v5, s[4:5]
	v_cmp_eq_u32_e64 s[8:9], 2, v36
	v_cmp_eq_u32_e64 s[10:11], 3, v36
	;; [unrolled: 1-line block ×14, first 2 shown]
	v_cndmask_b32_e64 v36, v2, v4, s[4:5]
	v_cndmask_b32_e64 v37, v37, v7, s[8:9]
	;; [unrolled: 1-line block ×21, first 2 shown]
	ds_read_b64 v[39:40], v38 offset:24
	v_cndmask_b32_e64 v37, v37, v27, s[28:29]
	v_cndmask_b32_e64 v36, v36, v26, s[28:29]
	;; [unrolled: 1-line block ×8, first 2 shown]
	s_waitcnt lgkmcnt(0)
	v_fma_f64 v[34:35], v[36:37], v[39:40], v[34:35]
	s_and_saveexec_b64 s[36:37], s[2:3]
	s_cbranch_execz .LBB15_53
; %bb.46:
	v_or_b32_e32 v36, 4, v0
	v_cmp_eq_u32_e64 s[2:3], 1, v36
	v_cndmask_b32_e64 v37, v3, v5, s[2:3]
	v_cmp_eq_u32_e64 s[4:5], 2, v36
	v_cmp_eq_u32_e64 s[8:9], 3, v36
	;; [unrolled: 1-line block ×14, first 2 shown]
	v_cndmask_b32_e64 v36, v2, v4, s[2:3]
	v_cndmask_b32_e64 v37, v37, v7, s[4:5]
	;; [unrolled: 1-line block ×21, first 2 shown]
	ds_read_b64 v[39:40], v38 offset:32
	v_cndmask_b32_e64 v37, v37, v27, s[26:27]
	v_cndmask_b32_e64 v36, v36, v26, s[26:27]
	;; [unrolled: 1-line block ×8, first 2 shown]
	s_waitcnt lgkmcnt(0)
	v_fma_f64 v[34:35], v[36:37], v[39:40], v[34:35]
	v_cmp_ne_u32_e64 s[2:3], 3, v0
	s_and_saveexec_b64 s[52:53], s[2:3]
	s_cbranch_execz .LBB15_52
; %bb.47:
	v_add_u32_e32 v36, 5, v0
	v_cmp_eq_u32_e64 s[2:3], 1, v36
	v_cndmask_b32_e64 v37, v3, v5, s[2:3]
	v_cmp_eq_u32_e64 s[4:5], 2, v36
	v_cmp_eq_u32_e64 s[8:9], 3, v36
	;; [unrolled: 1-line block ×14, first 2 shown]
	v_cndmask_b32_e64 v36, v2, v4, s[2:3]
	v_cndmask_b32_e64 v37, v37, v7, s[4:5]
	;; [unrolled: 1-line block ×21, first 2 shown]
	ds_read_b64 v[39:40], v38 offset:40
	v_cndmask_b32_e64 v37, v37, v27, s[26:27]
	v_cndmask_b32_e64 v36, v36, v26, s[26:27]
	v_cndmask_b32_e64 v37, v37, v29, s[28:29]
	v_cndmask_b32_e64 v36, v36, v28, s[28:29]
	v_cndmask_b32_e64 v37, v37, v31, s[30:31]
	v_cndmask_b32_e64 v36, v36, v30, s[30:31]
	v_cndmask_b32_e64 v37, v37, v33, s[34:35]
	v_cndmask_b32_e64 v36, v36, v32, s[34:35]
	s_waitcnt lgkmcnt(0)
	v_fma_f64 v[34:35], v[36:37], v[39:40], v[34:35]
	s_and_saveexec_b64 s[34:35], vcc
	s_cbranch_execz .LBB15_51
; %bb.48:
	v_or_b32_e32 v36, 6, v0
	v_cmp_eq_u32_e32 vcc, 1, v36
	v_cndmask_b32_e32 v37, v3, v5, vcc
	v_cmp_eq_u32_e64 s[2:3], 2, v36
	v_cmp_eq_u32_e64 s[4:5], 3, v36
	;; [unrolled: 1-line block ×14, first 2 shown]
	v_cndmask_b32_e32 v36, v2, v4, vcc
	v_cndmask_b32_e64 v37, v37, v7, s[2:3]
	v_cndmask_b32_e64 v36, v36, v6, s[2:3]
	;; [unrolled: 1-line block ×20, first 2 shown]
	ds_read_b64 v[36:37], v38 offset:48
	v_cndmask_b32_e64 v19, v19, v27, s[24:25]
	v_cndmask_b32_e64 v18, v18, v26, s[24:25]
	v_cndmask_b32_e64 v19, v19, v29, s[26:27]
	v_cndmask_b32_e64 v18, v18, v28, s[26:27]
	v_cndmask_b32_e64 v19, v19, v31, s[28:29]
	v_cndmask_b32_e64 v18, v18, v30, s[28:29]
	v_cndmask_b32_e64 v19, v19, v33, s[30:31]
	v_cndmask_b32_e64 v18, v18, v32, s[30:31]
	s_waitcnt lgkmcnt(0)
	v_fma_f64 v[34:35], v[18:19], v[36:37], v[34:35]
	s_and_saveexec_b64 s[2:3], s[0:1]
	s_cbranch_execz .LBB15_50
; %bb.49:
	ds_read_b64 v[18:19], v38 offset:56
	s_waitcnt lgkmcnt(0)
	v_fma_f64 v[34:35], v[16:17], v[18:19], v[34:35]
.LBB15_50:
	s_or_b64 exec, exec, s[2:3]
.LBB15_51:
	s_or_b64 exec, exec, s[34:35]
.LBB15_52:
	s_or_b64 exec, exec, s[52:53]
.LBB15_53:
	s_or_b64 exec, exec, s[36:37]
.LBB15_54:
	s_or_b64 exec, exec, s[50:51]
.LBB15_55:
	s_or_b64 exec, exec, s[38:39]
.LBB15_56:
	s_or_b64 exec, exec, s[48:49]
	v_mov_b32_e32 v18, 0
	ds_read_b64 v[18:19], v18 offset:64
	s_waitcnt lgkmcnt(0)
	v_mul_f64 v[18:19], v[34:35], v[18:19]
.LBB15_57:
	s_or_b64 exec, exec, s[40:41]
	v_cmp_gt_u32_e32 vcc, 9, v0
	; wave barrier
	ds_write_b64 v38, v[20:21]
	s_waitcnt lgkmcnt(0)
	; wave barrier
	s_and_saveexec_b64 s[2:3], vcc
	s_cbranch_execz .LBB15_61
; %bb.58:
	v_mov_b32_e32 v34, 0x80
	v_lshl_add_u32 v39, v0, 3, v34
	v_mov_b32_e32 v34, 0
	v_mov_b32_e32 v37, v1
	;; [unrolled: 1-line block ×3, first 2 shown]
	s_mov_b64 s[4:5], 0
	v_mov_b32_e32 v36, v0
.LBB15_59:                              ; =>This Inner Loop Header: Depth=1
	v_cmp_eq_u32_e32 vcc, 1, v36
	v_cndmask_b32_e32 v42, v3, v5, vcc
	v_cmp_eq_u32_e64 s[0:1], 2, v36
	v_cndmask_b32_e64 v42, v42, v7, s[0:1]
	v_cndmask_b32_e32 v43, v2, v4, vcc
	v_cmp_eq_u32_e32 vcc, 3, v36
	v_cndmask_b32_e32 v42, v42, v9, vcc
	v_cndmask_b32_e64 v43, v43, v6, s[0:1]
	v_cmp_eq_u32_e64 s[0:1], 4, v36
	v_cndmask_b32_e64 v42, v42, v11, s[0:1]
	v_cndmask_b32_e32 v43, v43, v8, vcc
	v_cmp_eq_u32_e32 vcc, 5, v36
	v_cndmask_b32_e32 v42, v42, v13, vcc
	v_cndmask_b32_e64 v43, v43, v10, s[0:1]
	;; [unrolled: 6-line block ×5, first 2 shown]
	v_cmp_eq_u32_e64 s[0:1], 12, v36
	ds_read_b64 v[40:41], v39
	v_cndmask_b32_e64 v42, v42, v27, s[0:1]
	v_cndmask_b32_e32 v43, v43, v24, vcc
	v_cmp_eq_u32_e32 vcc, 13, v36
	v_cndmask_b32_e32 v42, v42, v29, vcc
	v_cndmask_b32_e64 v43, v43, v26, s[0:1]
	v_cmp_eq_u32_e64 s[0:1], 14, v36
	v_cndmask_b32_e64 v42, v42, v31, s[0:1]
	v_cndmask_b32_e32 v44, v43, v28, vcc
	v_cmp_eq_u32_e32 vcc, 15, v36
	v_cndmask_b32_e32 v43, v42, v33, vcc
	v_cndmask_b32_e64 v42, v44, v30, s[0:1]
	v_cndmask_b32_e32 v42, v42, v32, vcc
	s_waitcnt lgkmcnt(0)
	v_fma_f64 v[34:35], v[42:43], v[40:41], v[34:35]
	v_add_co_u32_e32 v36, vcc, 1, v36
	v_addc_co_u32_e32 v37, vcc, 0, v37, vcc
	v_add_u32_e32 v40, -1, v36
	v_cmp_lt_u32_e32 vcc, 7, v40
	s_or_b64 s[4:5], vcc, s[4:5]
	v_add_u32_e32 v39, 8, v39
	s_andn2_b64 exec, exec, s[4:5]
	s_cbranch_execnz .LBB15_59
; %bb.60:
	s_or_b64 exec, exec, s[4:5]
	v_mov_b32_e32 v20, 0
	ds_read_b64 v[20:21], v20 offset:72
	s_waitcnt lgkmcnt(0)
	v_mul_f64 v[20:21], v[34:35], v[20:21]
.LBB15_61:
	s_or_b64 exec, exec, s[2:3]
	v_cmp_gt_u32_e32 vcc, 10, v0
	; wave barrier
	ds_write_b64 v38, v[22:23]
	s_waitcnt lgkmcnt(0)
	; wave barrier
	s_and_saveexec_b64 s[2:3], vcc
	s_cbranch_execz .LBB15_65
; %bb.62:
	v_mov_b32_e32 v34, 0x80
	v_lshl_add_u32 v39, v0, 3, v34
	v_mov_b32_e32 v34, 0
	v_mov_b32_e32 v37, v1
	;; [unrolled: 1-line block ×3, first 2 shown]
	s_mov_b64 s[4:5], 0
	v_mov_b32_e32 v36, v0
.LBB15_63:                              ; =>This Inner Loop Header: Depth=1
	v_cmp_eq_u32_e32 vcc, 1, v36
	v_cndmask_b32_e32 v42, v3, v5, vcc
	v_cmp_eq_u32_e64 s[0:1], 2, v36
	v_cndmask_b32_e64 v42, v42, v7, s[0:1]
	v_cndmask_b32_e32 v43, v2, v4, vcc
	v_cmp_eq_u32_e32 vcc, 3, v36
	v_cndmask_b32_e32 v42, v42, v9, vcc
	v_cndmask_b32_e64 v43, v43, v6, s[0:1]
	v_cmp_eq_u32_e64 s[0:1], 4, v36
	v_cndmask_b32_e64 v42, v42, v11, s[0:1]
	v_cndmask_b32_e32 v43, v43, v8, vcc
	v_cmp_eq_u32_e32 vcc, 5, v36
	v_cndmask_b32_e32 v42, v42, v13, vcc
	v_cndmask_b32_e64 v43, v43, v10, s[0:1]
	v_cmp_eq_u32_e64 s[0:1], 6, v36
	v_cndmask_b32_e64 v42, v42, v15, s[0:1]
	v_cndmask_b32_e32 v43, v43, v12, vcc
	v_cmp_eq_u32_e32 vcc, 7, v36
	v_cndmask_b32_e32 v42, v42, v17, vcc
	v_cndmask_b32_e64 v43, v43, v14, s[0:1]
	v_cmp_eq_u32_e64 s[0:1], 8, v36
	v_cndmask_b32_e64 v42, v42, v19, s[0:1]
	v_cndmask_b32_e32 v43, v43, v16, vcc
	v_cmp_eq_u32_e32 vcc, 9, v36
	v_cndmask_b32_e32 v42, v42, v21, vcc
	v_cndmask_b32_e64 v43, v43, v18, s[0:1]
	v_cmp_eq_u32_e64 s[0:1], 10, v36
	v_cndmask_b32_e64 v42, v42, v23, s[0:1]
	v_cndmask_b32_e32 v43, v43, v20, vcc
	v_cmp_eq_u32_e32 vcc, 11, v36
	v_cndmask_b32_e32 v42, v42, v25, vcc
	v_cndmask_b32_e64 v43, v43, v22, s[0:1]
	v_cmp_eq_u32_e64 s[0:1], 12, v36
	ds_read_b64 v[40:41], v39
	v_cndmask_b32_e64 v42, v42, v27, s[0:1]
	v_cndmask_b32_e32 v43, v43, v24, vcc
	v_cmp_eq_u32_e32 vcc, 13, v36
	v_cndmask_b32_e32 v42, v42, v29, vcc
	v_cndmask_b32_e64 v43, v43, v26, s[0:1]
	v_cmp_eq_u32_e64 s[0:1], 14, v36
	v_cndmask_b32_e64 v42, v42, v31, s[0:1]
	v_cndmask_b32_e32 v44, v43, v28, vcc
	v_cmp_eq_u32_e32 vcc, 15, v36
	v_cndmask_b32_e32 v43, v42, v33, vcc
	v_cndmask_b32_e64 v42, v44, v30, s[0:1]
	v_cndmask_b32_e32 v42, v42, v32, vcc
	s_waitcnt lgkmcnt(0)
	v_fma_f64 v[34:35], v[42:43], v[40:41], v[34:35]
	v_add_co_u32_e32 v36, vcc, 1, v36
	v_addc_co_u32_e32 v37, vcc, 0, v37, vcc
	v_add_u32_e32 v40, -1, v36
	v_cmp_lt_u32_e32 vcc, 8, v40
	s_or_b64 s[4:5], vcc, s[4:5]
	v_add_u32_e32 v39, 8, v39
	s_andn2_b64 exec, exec, s[4:5]
	s_cbranch_execnz .LBB15_63
; %bb.64:
	s_or_b64 exec, exec, s[4:5]
	v_mov_b32_e32 v22, 0
	ds_read_b64 v[22:23], v22 offset:80
	s_waitcnt lgkmcnt(0)
	v_mul_f64 v[22:23], v[34:35], v[22:23]
.LBB15_65:
	s_or_b64 exec, exec, s[2:3]
	v_cmp_gt_u32_e32 vcc, 11, v0
	; wave barrier
	ds_write_b64 v38, v[24:25]
	s_waitcnt lgkmcnt(0)
	; wave barrier
	s_and_saveexec_b64 s[2:3], vcc
	s_cbranch_execz .LBB15_69
; %bb.66:
	v_mov_b32_e32 v34, 0x80
	v_lshl_add_u32 v39, v0, 3, v34
	v_mov_b32_e32 v34, 0
	v_mov_b32_e32 v37, v1
	v_mov_b32_e32 v35, 0
	s_mov_b64 s[4:5], 0
	v_mov_b32_e32 v36, v0
.LBB15_67:                              ; =>This Inner Loop Header: Depth=1
	v_cmp_eq_u32_e32 vcc, 1, v36
	v_cndmask_b32_e32 v42, v3, v5, vcc
	v_cmp_eq_u32_e64 s[0:1], 2, v36
	v_cndmask_b32_e64 v42, v42, v7, s[0:1]
	v_cndmask_b32_e32 v43, v2, v4, vcc
	v_cmp_eq_u32_e32 vcc, 3, v36
	v_cndmask_b32_e32 v42, v42, v9, vcc
	v_cndmask_b32_e64 v43, v43, v6, s[0:1]
	v_cmp_eq_u32_e64 s[0:1], 4, v36
	v_cndmask_b32_e64 v42, v42, v11, s[0:1]
	v_cndmask_b32_e32 v43, v43, v8, vcc
	v_cmp_eq_u32_e32 vcc, 5, v36
	v_cndmask_b32_e32 v42, v42, v13, vcc
	v_cndmask_b32_e64 v43, v43, v10, s[0:1]
	;; [unrolled: 6-line block ×5, first 2 shown]
	v_cmp_eq_u32_e64 s[0:1], 12, v36
	ds_read_b64 v[40:41], v39
	v_cndmask_b32_e64 v42, v42, v27, s[0:1]
	v_cndmask_b32_e32 v43, v43, v24, vcc
	v_cmp_eq_u32_e32 vcc, 13, v36
	v_cndmask_b32_e32 v42, v42, v29, vcc
	v_cndmask_b32_e64 v43, v43, v26, s[0:1]
	v_cmp_eq_u32_e64 s[0:1], 14, v36
	v_cndmask_b32_e64 v42, v42, v31, s[0:1]
	v_cndmask_b32_e32 v44, v43, v28, vcc
	v_cmp_eq_u32_e32 vcc, 15, v36
	v_cndmask_b32_e32 v43, v42, v33, vcc
	v_cndmask_b32_e64 v42, v44, v30, s[0:1]
	v_cndmask_b32_e32 v42, v42, v32, vcc
	s_waitcnt lgkmcnt(0)
	v_fma_f64 v[34:35], v[42:43], v[40:41], v[34:35]
	v_add_co_u32_e32 v36, vcc, 1, v36
	v_addc_co_u32_e32 v37, vcc, 0, v37, vcc
	v_add_u32_e32 v40, -1, v36
	v_cmp_lt_u32_e32 vcc, 9, v40
	s_or_b64 s[4:5], vcc, s[4:5]
	v_add_u32_e32 v39, 8, v39
	s_andn2_b64 exec, exec, s[4:5]
	s_cbranch_execnz .LBB15_67
; %bb.68:
	s_or_b64 exec, exec, s[4:5]
	v_mov_b32_e32 v24, 0
	ds_read_b64 v[24:25], v24 offset:88
	s_waitcnt lgkmcnt(0)
	v_mul_f64 v[24:25], v[34:35], v[24:25]
.LBB15_69:
	s_or_b64 exec, exec, s[2:3]
	v_cmp_gt_u32_e32 vcc, 12, v0
	; wave barrier
	ds_write_b64 v38, v[26:27]
	s_waitcnt lgkmcnt(0)
	; wave barrier
	s_and_saveexec_b64 s[2:3], vcc
	s_cbranch_execz .LBB15_73
; %bb.70:
	v_mov_b32_e32 v34, 0x80
	v_lshl_add_u32 v39, v0, 3, v34
	v_mov_b32_e32 v34, 0
	v_mov_b32_e32 v37, v1
	;; [unrolled: 1-line block ×3, first 2 shown]
	s_mov_b64 s[4:5], 0
	v_mov_b32_e32 v36, v0
.LBB15_71:                              ; =>This Inner Loop Header: Depth=1
	v_cmp_eq_u32_e32 vcc, 1, v36
	v_cndmask_b32_e32 v42, v3, v5, vcc
	v_cmp_eq_u32_e64 s[0:1], 2, v36
	v_cndmask_b32_e64 v42, v42, v7, s[0:1]
	v_cndmask_b32_e32 v43, v2, v4, vcc
	v_cmp_eq_u32_e32 vcc, 3, v36
	v_cndmask_b32_e32 v42, v42, v9, vcc
	v_cndmask_b32_e64 v43, v43, v6, s[0:1]
	v_cmp_eq_u32_e64 s[0:1], 4, v36
	v_cndmask_b32_e64 v42, v42, v11, s[0:1]
	v_cndmask_b32_e32 v43, v43, v8, vcc
	v_cmp_eq_u32_e32 vcc, 5, v36
	v_cndmask_b32_e32 v42, v42, v13, vcc
	v_cndmask_b32_e64 v43, v43, v10, s[0:1]
	;; [unrolled: 6-line block ×5, first 2 shown]
	v_cmp_eq_u32_e64 s[0:1], 12, v36
	ds_read_b64 v[40:41], v39
	v_cndmask_b32_e64 v42, v42, v27, s[0:1]
	v_cndmask_b32_e32 v43, v43, v24, vcc
	v_cmp_eq_u32_e32 vcc, 13, v36
	v_cndmask_b32_e32 v42, v42, v29, vcc
	v_cndmask_b32_e64 v43, v43, v26, s[0:1]
	v_cmp_eq_u32_e64 s[0:1], 14, v36
	v_cndmask_b32_e64 v42, v42, v31, s[0:1]
	v_cndmask_b32_e32 v44, v43, v28, vcc
	v_cmp_eq_u32_e32 vcc, 15, v36
	v_cndmask_b32_e32 v43, v42, v33, vcc
	v_cndmask_b32_e64 v42, v44, v30, s[0:1]
	v_cndmask_b32_e32 v42, v42, v32, vcc
	s_waitcnt lgkmcnt(0)
	v_fma_f64 v[34:35], v[42:43], v[40:41], v[34:35]
	v_add_co_u32_e32 v36, vcc, 1, v36
	v_addc_co_u32_e32 v37, vcc, 0, v37, vcc
	v_add_u32_e32 v40, -1, v36
	v_cmp_lt_u32_e32 vcc, 10, v40
	s_or_b64 s[4:5], vcc, s[4:5]
	v_add_u32_e32 v39, 8, v39
	s_andn2_b64 exec, exec, s[4:5]
	s_cbranch_execnz .LBB15_71
; %bb.72:
	s_or_b64 exec, exec, s[4:5]
	v_mov_b32_e32 v26, 0
	ds_read_b64 v[26:27], v26 offset:96
	s_waitcnt lgkmcnt(0)
	v_mul_f64 v[26:27], v[34:35], v[26:27]
.LBB15_73:
	s_or_b64 exec, exec, s[2:3]
	v_cmp_gt_u32_e32 vcc, 13, v0
	; wave barrier
	ds_write_b64 v38, v[28:29]
	s_waitcnt lgkmcnt(0)
	; wave barrier
	s_and_saveexec_b64 s[2:3], vcc
	s_cbranch_execz .LBB15_77
; %bb.74:
	v_mov_b32_e32 v34, 0x80
	v_lshl_add_u32 v39, v0, 3, v34
	v_mov_b32_e32 v34, 0
	v_mov_b32_e32 v37, v1
	v_mov_b32_e32 v35, 0
	s_mov_b64 s[4:5], 0
	v_mov_b32_e32 v36, v0
.LBB15_75:                              ; =>This Inner Loop Header: Depth=1
	v_cmp_eq_u32_e32 vcc, 1, v36
	v_cndmask_b32_e32 v42, v3, v5, vcc
	v_cmp_eq_u32_e64 s[0:1], 2, v36
	v_cndmask_b32_e64 v42, v42, v7, s[0:1]
	v_cndmask_b32_e32 v43, v2, v4, vcc
	v_cmp_eq_u32_e32 vcc, 3, v36
	v_cndmask_b32_e32 v42, v42, v9, vcc
	v_cndmask_b32_e64 v43, v43, v6, s[0:1]
	v_cmp_eq_u32_e64 s[0:1], 4, v36
	v_cndmask_b32_e64 v42, v42, v11, s[0:1]
	v_cndmask_b32_e32 v43, v43, v8, vcc
	v_cmp_eq_u32_e32 vcc, 5, v36
	v_cndmask_b32_e32 v42, v42, v13, vcc
	v_cndmask_b32_e64 v43, v43, v10, s[0:1]
	;; [unrolled: 6-line block ×5, first 2 shown]
	v_cmp_eq_u32_e64 s[0:1], 12, v36
	ds_read_b64 v[40:41], v39
	v_cndmask_b32_e64 v42, v42, v27, s[0:1]
	v_cndmask_b32_e32 v43, v43, v24, vcc
	v_cmp_eq_u32_e32 vcc, 13, v36
	v_cndmask_b32_e32 v42, v42, v29, vcc
	v_cndmask_b32_e64 v43, v43, v26, s[0:1]
	v_cmp_eq_u32_e64 s[0:1], 14, v36
	v_cndmask_b32_e64 v42, v42, v31, s[0:1]
	v_cndmask_b32_e32 v44, v43, v28, vcc
	v_cmp_eq_u32_e32 vcc, 15, v36
	v_cndmask_b32_e32 v43, v42, v33, vcc
	v_cndmask_b32_e64 v42, v44, v30, s[0:1]
	v_cndmask_b32_e32 v42, v42, v32, vcc
	s_waitcnt lgkmcnt(0)
	v_fma_f64 v[34:35], v[42:43], v[40:41], v[34:35]
	v_add_co_u32_e32 v36, vcc, 1, v36
	v_addc_co_u32_e32 v37, vcc, 0, v37, vcc
	v_add_u32_e32 v40, -1, v36
	v_cmp_lt_u32_e32 vcc, 11, v40
	s_or_b64 s[4:5], vcc, s[4:5]
	v_add_u32_e32 v39, 8, v39
	s_andn2_b64 exec, exec, s[4:5]
	s_cbranch_execnz .LBB15_75
; %bb.76:
	s_or_b64 exec, exec, s[4:5]
	v_mov_b32_e32 v28, 0
	ds_read_b64 v[28:29], v28 offset:104
	s_waitcnt lgkmcnt(0)
	v_mul_f64 v[28:29], v[34:35], v[28:29]
.LBB15_77:
	s_or_b64 exec, exec, s[2:3]
	v_cmp_gt_u32_e32 vcc, 14, v0
	; wave barrier
	ds_write_b64 v38, v[30:31]
	s_waitcnt lgkmcnt(0)
	; wave barrier
	s_and_saveexec_b64 s[2:3], vcc
	s_cbranch_execz .LBB15_81
; %bb.78:
	v_mov_b32_e32 v34, 0x80
	v_lshl_add_u32 v39, v0, 3, v34
	v_mov_b32_e32 v34, 0
	v_mov_b32_e32 v37, v1
	v_mov_b32_e32 v35, 0
	s_mov_b64 s[4:5], 0
	v_mov_b32_e32 v36, v0
.LBB15_79:                              ; =>This Inner Loop Header: Depth=1
	v_cmp_eq_u32_e32 vcc, 1, v36
	v_cndmask_b32_e32 v42, v3, v5, vcc
	v_cmp_eq_u32_e64 s[0:1], 2, v36
	v_cndmask_b32_e64 v42, v42, v7, s[0:1]
	v_cndmask_b32_e32 v43, v2, v4, vcc
	v_cmp_eq_u32_e32 vcc, 3, v36
	v_cndmask_b32_e32 v42, v42, v9, vcc
	v_cndmask_b32_e64 v43, v43, v6, s[0:1]
	v_cmp_eq_u32_e64 s[0:1], 4, v36
	v_cndmask_b32_e64 v42, v42, v11, s[0:1]
	v_cndmask_b32_e32 v43, v43, v8, vcc
	v_cmp_eq_u32_e32 vcc, 5, v36
	v_cndmask_b32_e32 v42, v42, v13, vcc
	v_cndmask_b32_e64 v43, v43, v10, s[0:1]
	;; [unrolled: 6-line block ×5, first 2 shown]
	v_cmp_eq_u32_e64 s[0:1], 12, v36
	ds_read_b64 v[40:41], v39
	v_cndmask_b32_e64 v42, v42, v27, s[0:1]
	v_cndmask_b32_e32 v43, v43, v24, vcc
	v_cmp_eq_u32_e32 vcc, 13, v36
	v_cndmask_b32_e32 v42, v42, v29, vcc
	v_cndmask_b32_e64 v43, v43, v26, s[0:1]
	v_cmp_eq_u32_e64 s[0:1], 14, v36
	v_cndmask_b32_e64 v42, v42, v31, s[0:1]
	v_cndmask_b32_e32 v44, v43, v28, vcc
	v_cmp_eq_u32_e32 vcc, 15, v36
	v_cndmask_b32_e32 v43, v42, v33, vcc
	v_cndmask_b32_e64 v42, v44, v30, s[0:1]
	v_cndmask_b32_e32 v42, v42, v32, vcc
	s_waitcnt lgkmcnt(0)
	v_fma_f64 v[34:35], v[42:43], v[40:41], v[34:35]
	v_add_co_u32_e32 v36, vcc, 1, v36
	v_addc_co_u32_e32 v37, vcc, 0, v37, vcc
	v_add_u32_e32 v40, -1, v36
	v_cmp_lt_u32_e32 vcc, 12, v40
	s_or_b64 s[4:5], vcc, s[4:5]
	v_add_u32_e32 v39, 8, v39
	s_andn2_b64 exec, exec, s[4:5]
	s_cbranch_execnz .LBB15_79
; %bb.80:
	s_or_b64 exec, exec, s[4:5]
	v_mov_b32_e32 v30, 0
	ds_read_b64 v[30:31], v30 offset:112
	s_waitcnt lgkmcnt(0)
	v_mul_f64 v[30:31], v[34:35], v[30:31]
.LBB15_81:
	s_or_b64 exec, exec, s[2:3]
	v_cmp_ne_u32_e32 vcc, 15, v0
	; wave barrier
	ds_write_b64 v38, v[32:33]
	s_waitcnt lgkmcnt(0)
	; wave barrier
	s_and_saveexec_b64 s[2:3], vcc
	s_cbranch_execz .LBB15_85
; %bb.82:
	v_mov_b32_e32 v34, 0x80
	v_lshl_add_u32 v38, v0, 3, v34
	v_mov_b32_e32 v34, 0
	v_mov_b32_e32 v37, v1
	v_mov_b32_e32 v35, 0
	s_mov_b64 s[4:5], 0
	v_mov_b32_e32 v36, v0
.LBB15_83:                              ; =>This Inner Loop Header: Depth=1
	v_cmp_eq_u32_e32 vcc, 1, v36
	v_cndmask_b32_e32 v1, v3, v5, vcc
	v_cmp_eq_u32_e64 s[0:1], 2, v36
	v_cndmask_b32_e64 v1, v1, v7, s[0:1]
	v_cndmask_b32_e32 v41, v2, v4, vcc
	v_cmp_eq_u32_e32 vcc, 3, v36
	v_cndmask_b32_e32 v1, v1, v9, vcc
	v_cndmask_b32_e64 v41, v41, v6, s[0:1]
	v_cmp_eq_u32_e64 s[0:1], 4, v36
	v_cndmask_b32_e64 v1, v1, v11, s[0:1]
	v_cndmask_b32_e32 v41, v41, v8, vcc
	v_cmp_eq_u32_e32 vcc, 5, v36
	v_cndmask_b32_e32 v1, v1, v13, vcc
	v_cndmask_b32_e64 v41, v41, v10, s[0:1]
	;; [unrolled: 6-line block ×5, first 2 shown]
	v_cmp_eq_u32_e64 s[0:1], 12, v36
	ds_read_b64 v[39:40], v38
	v_cndmask_b32_e64 v1, v1, v27, s[0:1]
	v_cndmask_b32_e32 v41, v41, v24, vcc
	v_cmp_eq_u32_e32 vcc, 13, v36
	v_cndmask_b32_e32 v1, v1, v29, vcc
	v_cndmask_b32_e64 v41, v41, v26, s[0:1]
	v_cmp_eq_u32_e64 s[0:1], 14, v36
	v_cndmask_b32_e64 v1, v1, v31, s[0:1]
	v_cndmask_b32_e32 v41, v41, v28, vcc
	v_cmp_eq_u32_e32 vcc, 15, v36
	v_cndmask_b32_e32 v42, v1, v33, vcc
	v_cndmask_b32_e64 v1, v41, v30, s[0:1]
	v_cndmask_b32_e32 v41, v1, v32, vcc
	s_waitcnt lgkmcnt(0)
	v_fma_f64 v[34:35], v[41:42], v[39:40], v[34:35]
	v_add_co_u32_e32 v36, vcc, 1, v36
	v_addc_co_u32_e32 v37, vcc, 0, v37, vcc
	v_add_u32_e32 v1, -1, v36
	v_cmp_lt_u32_e32 vcc, 13, v1
	s_or_b64 s[4:5], vcc, s[4:5]
	v_add_u32_e32 v38, 8, v38
	s_andn2_b64 exec, exec, s[4:5]
	s_cbranch_execnz .LBB15_83
; %bb.84:
	s_or_b64 exec, exec, s[4:5]
	v_mov_b32_e32 v1, 0
	ds_read_b64 v[32:33], v1 offset:120
	s_waitcnt lgkmcnt(0)
	v_mul_f64 v[32:33], v[34:35], v[32:33]
.LBB15_85:
	s_or_b64 exec, exec, s[2:3]
	; wave barrier
	s_cbranch_execnz .LBB15_15
	s_branch .LBB15_16
.LBB15_86:
	v_mov_b32_e32 v1, 0x80
	v_lshl_add_u32 v1, v0, 3, v1
	v_cmp_eq_u32_e32 vcc, 15, v0
	s_and_saveexec_b64 s[0:1], vcc
	s_cbranch_execz .LBB15_88
; %bb.87:
	v_mov_b32_e32 v63, v33
	s_mov_b32 s2, 0
	v_mov_b32_e32 v62, v32
	v_mov_b32_e32 v61, v31
	;; [unrolled: 1-line block ×33, first 2 shown]
	ds_write_b64 v1, v[30:31]
	v_mov_b32_e32 v2, v32
	v_mov_b32_e32 v3, v33
	;; [unrolled: 1-line block ×32, first 2 shown]
.LBB15_88:
	s_or_b64 exec, exec, s[0:1]
	v_mov_b32_e32 v62, 0
	s_waitcnt lgkmcnt(0)
	; wave barrier
	ds_read_b64 v[34:35], v62 offset:248
	v_cmp_lt_u32_e32 vcc, 13, v0
	s_waitcnt lgkmcnt(0)
	v_fma_f64 v[34:35], v[32:33], v[34:35], 0
	v_add_f64 v[30:31], v[30:31], -v[34:35]
	s_and_saveexec_b64 s[0:1], vcc
	s_cbranch_execz .LBB15_90
; %bb.89:
	v_mov_b32_e32 v61, v33
	s_mov_b32 s2, 0
	v_mov_b32_e32 v60, v32
	v_mov_b32_e32 v59, v31
	;; [unrolled: 1-line block ×33, first 2 shown]
	ds_write_b64 v1, v[28:29]
	v_mov_b32_e32 v2, v30
	v_mov_b32_e32 v3, v31
	;; [unrolled: 1-line block ×32, first 2 shown]
.LBB15_90:
	s_or_b64 exec, exec, s[0:1]
	s_waitcnt lgkmcnt(0)
	; wave barrier
	ds_read_b128 v[34:37], v62 offset:240
	v_cmp_lt_u32_e32 vcc, 12, v0
	s_waitcnt lgkmcnt(0)
	v_fma_f64 v[34:35], v[30:31], v[34:35], 0
	v_fma_f64 v[34:35], v[32:33], v[36:37], v[34:35]
	v_add_f64 v[28:29], v[28:29], -v[34:35]
	s_and_saveexec_b64 s[0:1], vcc
	s_cbranch_execz .LBB15_92
; %bb.91:
	v_mov_b32_e32 v59, v33
	s_mov_b32 s2, 0
	v_mov_b32_e32 v58, v32
	v_mov_b32_e32 v57, v31
	;; [unrolled: 1-line block ×33, first 2 shown]
	ds_write_b64 v1, v[26:27]
	v_mov_b32_e32 v2, v28
	v_mov_b32_e32 v3, v29
	;; [unrolled: 1-line block ×32, first 2 shown]
.LBB15_92:
	s_or_b64 exec, exec, s[0:1]
	v_mov_b32_e32 v58, 0
	s_waitcnt lgkmcnt(0)
	; wave barrier
	ds_read2_b64 v[34:37], v58 offset0:29 offset1:30
	ds_read_b64 v[38:39], v58 offset:248
	v_cmp_lt_u32_e32 vcc, 11, v0
	s_waitcnt lgkmcnt(1)
	v_fma_f64 v[34:35], v[28:29], v[34:35], 0
	v_fma_f64 v[34:35], v[30:31], v[36:37], v[34:35]
	s_waitcnt lgkmcnt(0)
	v_fma_f64 v[34:35], v[32:33], v[38:39], v[34:35]
	v_add_f64 v[26:27], v[26:27], -v[34:35]
	s_and_saveexec_b64 s[0:1], vcc
	s_cbranch_execz .LBB15_94
; %bb.93:
	v_mov_b32_e32 v57, v33
	s_mov_b32 s2, 0
	v_mov_b32_e32 v56, v32
	v_mov_b32_e32 v55, v31
	;; [unrolled: 1-line block ×33, first 2 shown]
	ds_write_b64 v1, v[24:25]
	v_mov_b32_e32 v2, v26
	v_mov_b32_e32 v3, v27
	;; [unrolled: 1-line block ×32, first 2 shown]
.LBB15_94:
	s_or_b64 exec, exec, s[0:1]
	s_waitcnt lgkmcnt(0)
	; wave barrier
	ds_read_b128 v[34:37], v58 offset:224
	ds_read_b128 v[38:41], v58 offset:240
	v_cmp_lt_u32_e32 vcc, 10, v0
	s_waitcnt lgkmcnt(1)
	v_fma_f64 v[34:35], v[26:27], v[34:35], 0
	v_fma_f64 v[34:35], v[28:29], v[36:37], v[34:35]
	s_waitcnt lgkmcnt(0)
	v_fma_f64 v[34:35], v[30:31], v[38:39], v[34:35]
	v_fma_f64 v[34:35], v[32:33], v[40:41], v[34:35]
	v_add_f64 v[24:25], v[24:25], -v[34:35]
	s_and_saveexec_b64 s[0:1], vcc
	s_cbranch_execz .LBB15_96
; %bb.95:
	v_mov_b32_e32 v55, v33
	s_mov_b32 s2, 0
	v_mov_b32_e32 v54, v32
	v_mov_b32_e32 v53, v31
	v_mov_b32_e32 v52, v30
	v_mov_b32_e32 v51, v29
	v_mov_b32_e32 v50, v28
	v_mov_b32_e32 v49, v27
	v_mov_b32_e32 v48, v26
	v_mov_b32_e32 v47, v25
	v_mov_b32_e32 v46, v24
	v_mov_b32_e32 v45, v23
	v_mov_b32_e32 v44, v22
	v_mov_b32_e32 v43, v21
	v_mov_b32_e32 v42, v20
	v_mov_b32_e32 v41, v19
	v_mov_b32_e32 v40, v18
	v_mov_b32_e32 v39, v17
	v_mov_b32_e32 v38, v16
	v_mov_b32_e32 v37, v15
	v_mov_b32_e32 v36, v14
	v_mov_b32_e32 v35, v13
	v_mov_b32_e32 v34, v12
	v_mov_b32_e32 v33, v11
	v_mov_b32_e32 v32, v10
	v_mov_b32_e32 v31, v9
	v_mov_b32_e32 v30, v8
	v_mov_b32_e32 v29, v7
	v_mov_b32_e32 v28, v6
	v_mov_b32_e32 v27, v5
	v_mov_b32_e32 v26, v4
	v_mov_b32_e32 v25, v3
	v_mov_b32_e32 v24, v2
	v_mov_b32_e32 v44, s2
	v_mov_b32_e32 v45, s2
	ds_write_b64 v1, v[22:23]
	v_mov_b32_e32 v2, v24
	v_mov_b32_e32 v3, v25
	;; [unrolled: 1-line block ×32, first 2 shown]
.LBB15_96:
	s_or_b64 exec, exec, s[0:1]
	v_mov_b32_e32 v54, 0
	s_waitcnt lgkmcnt(0)
	; wave barrier
	ds_read2_b64 v[34:37], v54 offset0:27 offset1:28
	ds_read2_b64 v[38:41], v54 offset0:29 offset1:30
	v_cmp_lt_u32_e32 vcc, 9, v0
	s_waitcnt lgkmcnt(1)
	v_fma_f64 v[34:35], v[24:25], v[34:35], 0
	v_fma_f64 v[34:35], v[26:27], v[36:37], v[34:35]
	ds_read_b64 v[36:37], v54 offset:248
	s_waitcnt lgkmcnt(1)
	v_fma_f64 v[34:35], v[28:29], v[38:39], v[34:35]
	v_fma_f64 v[34:35], v[30:31], v[40:41], v[34:35]
	s_waitcnt lgkmcnt(0)
	v_fma_f64 v[34:35], v[32:33], v[36:37], v[34:35]
	v_add_f64 v[22:23], v[22:23], -v[34:35]
	s_and_saveexec_b64 s[0:1], vcc
	s_cbranch_execz .LBB15_98
; %bb.97:
	v_mov_b32_e32 v53, v33
	s_mov_b32 s2, 0
	v_mov_b32_e32 v52, v32
	v_mov_b32_e32 v51, v31
	;; [unrolled: 1-line block ×33, first 2 shown]
	ds_write_b64 v1, v[20:21]
	v_mov_b32_e32 v2, v22
	v_mov_b32_e32 v3, v23
	;; [unrolled: 1-line block ×32, first 2 shown]
.LBB15_98:
	s_or_b64 exec, exec, s[0:1]
	s_waitcnt lgkmcnt(0)
	; wave barrier
	ds_read_b128 v[34:37], v54 offset:208
	ds_read_b128 v[38:41], v54 offset:224
	v_cmp_lt_u32_e32 vcc, 8, v0
	s_waitcnt lgkmcnt(1)
	v_fma_f64 v[34:35], v[22:23], v[34:35], 0
	v_fma_f64 v[34:35], v[24:25], v[36:37], v[34:35]
	s_waitcnt lgkmcnt(0)
	v_fma_f64 v[34:35], v[26:27], v[38:39], v[34:35]
	v_fma_f64 v[38:39], v[28:29], v[40:41], v[34:35]
	ds_read_b128 v[34:37], v54 offset:240
	s_waitcnt lgkmcnt(0)
	v_fma_f64 v[34:35], v[30:31], v[34:35], v[38:39]
	v_fma_f64 v[34:35], v[32:33], v[36:37], v[34:35]
	v_add_f64 v[20:21], v[20:21], -v[34:35]
	s_and_saveexec_b64 s[0:1], vcc
	s_cbranch_execz .LBB15_100
; %bb.99:
	v_mov_b32_e32 v51, v33
	s_mov_b32 s2, 0
	v_mov_b32_e32 v50, v32
	v_mov_b32_e32 v49, v31
	;; [unrolled: 1-line block ×33, first 2 shown]
	ds_write_b64 v1, v[18:19]
	v_mov_b32_e32 v2, v20
	v_mov_b32_e32 v3, v21
	;; [unrolled: 1-line block ×32, first 2 shown]
.LBB15_100:
	s_or_b64 exec, exec, s[0:1]
	v_mov_b32_e32 v50, 0
	s_waitcnt lgkmcnt(0)
	; wave barrier
	ds_read2_b64 v[34:37], v50 offset0:25 offset1:26
	ds_read2_b64 v[38:41], v50 offset0:27 offset1:28
	v_cmp_lt_u32_e32 vcc, 7, v0
	s_waitcnt lgkmcnt(1)
	v_fma_f64 v[34:35], v[20:21], v[34:35], 0
	v_fma_f64 v[34:35], v[22:23], v[36:37], v[34:35]
	s_waitcnt lgkmcnt(0)
	v_fma_f64 v[34:35], v[24:25], v[38:39], v[34:35]
	v_fma_f64 v[38:39], v[26:27], v[40:41], v[34:35]
	ds_read2_b64 v[34:37], v50 offset0:29 offset1:30
	ds_read_b64 v[40:41], v50 offset:248
	s_waitcnt lgkmcnt(1)
	v_fma_f64 v[34:35], v[28:29], v[34:35], v[38:39]
	v_fma_f64 v[34:35], v[30:31], v[36:37], v[34:35]
	s_waitcnt lgkmcnt(0)
	v_fma_f64 v[34:35], v[32:33], v[40:41], v[34:35]
	v_add_f64 v[18:19], v[18:19], -v[34:35]
	s_and_saveexec_b64 s[0:1], vcc
	s_cbranch_execz .LBB15_102
; %bb.101:
	v_mov_b32_e32 v49, v33
	s_mov_b32 s2, 0
	v_mov_b32_e32 v48, v32
	v_mov_b32_e32 v47, v31
	;; [unrolled: 1-line block ×33, first 2 shown]
	ds_write_b64 v1, v[16:17]
	v_mov_b32_e32 v2, v18
	v_mov_b32_e32 v3, v19
	;; [unrolled: 1-line block ×32, first 2 shown]
.LBB15_102:
	s_or_b64 exec, exec, s[0:1]
	s_waitcnt lgkmcnt(0)
	; wave barrier
	ds_read_b128 v[34:37], v50 offset:192
	ds_read_b128 v[38:41], v50 offset:208
	v_cmp_lt_u32_e32 vcc, 6, v0
	s_waitcnt lgkmcnt(1)
	v_fma_f64 v[34:35], v[18:19], v[34:35], 0
	v_fma_f64 v[34:35], v[20:21], v[36:37], v[34:35]
	s_waitcnt lgkmcnt(0)
	v_fma_f64 v[34:35], v[22:23], v[38:39], v[34:35]
	v_fma_f64 v[42:43], v[24:25], v[40:41], v[34:35]
	ds_read_b128 v[34:37], v50 offset:224
	ds_read_b128 v[38:41], v50 offset:240
	s_waitcnt lgkmcnt(1)
	v_fma_f64 v[34:35], v[26:27], v[34:35], v[42:43]
	v_fma_f64 v[34:35], v[28:29], v[36:37], v[34:35]
	s_waitcnt lgkmcnt(0)
	v_fma_f64 v[34:35], v[30:31], v[38:39], v[34:35]
	v_fma_f64 v[34:35], v[32:33], v[40:41], v[34:35]
	v_add_f64 v[16:17], v[16:17], -v[34:35]
	s_and_saveexec_b64 s[0:1], vcc
	s_cbranch_execz .LBB15_104
; %bb.103:
	v_mov_b32_e32 v47, v33
	s_mov_b32 s2, 0
	v_mov_b32_e32 v46, v32
	v_mov_b32_e32 v45, v31
	v_mov_b32_e32 v44, v30
	v_mov_b32_e32 v43, v29
	v_mov_b32_e32 v42, v28
	v_mov_b32_e32 v41, v27
	v_mov_b32_e32 v40, v26
	v_mov_b32_e32 v39, v25
	v_mov_b32_e32 v38, v24
	v_mov_b32_e32 v37, v23
	v_mov_b32_e32 v36, v22
	v_mov_b32_e32 v35, v21
	v_mov_b32_e32 v34, v20
	v_mov_b32_e32 v33, v19
	v_mov_b32_e32 v32, v18
	v_mov_b32_e32 v31, v17
	v_mov_b32_e32 v30, v16
	v_mov_b32_e32 v29, v15
	v_mov_b32_e32 v28, v14
	v_mov_b32_e32 v27, v13
	v_mov_b32_e32 v26, v12
	v_mov_b32_e32 v25, v11
	v_mov_b32_e32 v24, v10
	v_mov_b32_e32 v23, v9
	v_mov_b32_e32 v22, v8
	v_mov_b32_e32 v21, v7
	v_mov_b32_e32 v20, v6
	v_mov_b32_e32 v19, v5
	v_mov_b32_e32 v18, v4
	v_mov_b32_e32 v17, v3
	v_mov_b32_e32 v16, v2
	v_mov_b32_e32 v28, s2
	v_mov_b32_e32 v29, s2
	ds_write_b64 v1, v[14:15]
	v_mov_b32_e32 v2, v16
	v_mov_b32_e32 v3, v17
	;; [unrolled: 1-line block ×32, first 2 shown]
.LBB15_104:
	s_or_b64 exec, exec, s[0:1]
	v_mov_b32_e32 v46, 0
	s_waitcnt lgkmcnt(0)
	; wave barrier
	ds_read2_b64 v[34:37], v46 offset0:23 offset1:24
	ds_read2_b64 v[38:41], v46 offset0:25 offset1:26
	v_cmp_lt_u32_e32 vcc, 5, v0
	s_waitcnt lgkmcnt(1)
	v_fma_f64 v[34:35], v[16:17], v[34:35], 0
	v_fma_f64 v[34:35], v[18:19], v[36:37], v[34:35]
	s_waitcnt lgkmcnt(0)
	v_fma_f64 v[34:35], v[20:21], v[38:39], v[34:35]
	v_fma_f64 v[42:43], v[22:23], v[40:41], v[34:35]
	ds_read2_b64 v[34:37], v46 offset0:27 offset1:28
	ds_read2_b64 v[38:41], v46 offset0:29 offset1:30
	s_waitcnt lgkmcnt(1)
	v_fma_f64 v[34:35], v[24:25], v[34:35], v[42:43]
	v_fma_f64 v[34:35], v[26:27], v[36:37], v[34:35]
	ds_read_b64 v[36:37], v46 offset:248
	s_waitcnt lgkmcnt(1)
	v_fma_f64 v[34:35], v[28:29], v[38:39], v[34:35]
	v_fma_f64 v[34:35], v[30:31], v[40:41], v[34:35]
	s_waitcnt lgkmcnt(0)
	v_fma_f64 v[34:35], v[32:33], v[36:37], v[34:35]
	v_add_f64 v[14:15], v[14:15], -v[34:35]
	s_and_saveexec_b64 s[0:1], vcc
	s_cbranch_execz .LBB15_106
; %bb.105:
	v_mov_b32_e32 v45, v33
	s_mov_b32 s2, 0
	v_mov_b32_e32 v44, v32
	v_mov_b32_e32 v43, v31
	;; [unrolled: 1-line block ×33, first 2 shown]
	ds_write_b64 v1, v[12:13]
	v_mov_b32_e32 v2, v14
	v_mov_b32_e32 v3, v15
	;; [unrolled: 1-line block ×32, first 2 shown]
.LBB15_106:
	s_or_b64 exec, exec, s[0:1]
	s_waitcnt lgkmcnt(0)
	; wave barrier
	ds_read_b128 v[34:37], v46 offset:176
	ds_read_b128 v[38:41], v46 offset:192
	v_cmp_lt_u32_e32 vcc, 4, v0
	s_waitcnt lgkmcnt(1)
	v_fma_f64 v[34:35], v[14:15], v[34:35], 0
	v_fma_f64 v[34:35], v[16:17], v[36:37], v[34:35]
	s_waitcnt lgkmcnt(0)
	v_fma_f64 v[34:35], v[18:19], v[38:39], v[34:35]
	v_fma_f64 v[42:43], v[20:21], v[40:41], v[34:35]
	ds_read_b128 v[34:37], v46 offset:208
	ds_read_b128 v[38:41], v46 offset:224
	s_waitcnt lgkmcnt(1)
	v_fma_f64 v[34:35], v[22:23], v[34:35], v[42:43]
	v_fma_f64 v[34:35], v[24:25], v[36:37], v[34:35]
	s_waitcnt lgkmcnt(0)
	v_fma_f64 v[34:35], v[26:27], v[38:39], v[34:35]
	v_fma_f64 v[38:39], v[28:29], v[40:41], v[34:35]
	ds_read_b128 v[34:37], v46 offset:240
	s_waitcnt lgkmcnt(0)
	v_fma_f64 v[34:35], v[30:31], v[34:35], v[38:39]
	v_fma_f64 v[34:35], v[32:33], v[36:37], v[34:35]
	v_add_f64 v[12:13], v[12:13], -v[34:35]
	s_and_saveexec_b64 s[0:1], vcc
	s_cbranch_execz .LBB15_108
; %bb.107:
	v_mov_b32_e32 v43, v33
	s_mov_b32 s2, 0
	v_mov_b32_e32 v42, v32
	v_mov_b32_e32 v41, v31
	;; [unrolled: 1-line block ×33, first 2 shown]
	ds_write_b64 v1, v[10:11]
	v_mov_b32_e32 v2, v12
	v_mov_b32_e32 v3, v13
	;; [unrolled: 1-line block ×32, first 2 shown]
.LBB15_108:
	s_or_b64 exec, exec, s[0:1]
	v_mov_b32_e32 v42, 0
	s_waitcnt lgkmcnt(0)
	; wave barrier
	ds_read2_b64 v[34:37], v42 offset0:21 offset1:22
	ds_read2_b64 v[38:41], v42 offset0:23 offset1:24
	v_cmp_lt_u32_e32 vcc, 3, v0
	s_waitcnt lgkmcnt(1)
	v_fma_f64 v[34:35], v[12:13], v[34:35], 0
	v_fma_f64 v[34:35], v[14:15], v[36:37], v[34:35]
	s_waitcnt lgkmcnt(0)
	v_fma_f64 v[34:35], v[16:17], v[38:39], v[34:35]
	v_fma_f64 v[43:44], v[18:19], v[40:41], v[34:35]
	ds_read2_b64 v[34:37], v42 offset0:25 offset1:26
	ds_read2_b64 v[38:41], v42 offset0:27 offset1:28
	s_waitcnt lgkmcnt(1)
	v_fma_f64 v[34:35], v[20:21], v[34:35], v[43:44]
	v_fma_f64 v[34:35], v[22:23], v[36:37], v[34:35]
	s_waitcnt lgkmcnt(0)
	v_fma_f64 v[34:35], v[24:25], v[38:39], v[34:35]
	v_fma_f64 v[38:39], v[26:27], v[40:41], v[34:35]
	ds_read2_b64 v[34:37], v42 offset0:29 offset1:30
	ds_read_b64 v[40:41], v42 offset:248
	s_waitcnt lgkmcnt(1)
	v_fma_f64 v[34:35], v[28:29], v[34:35], v[38:39]
	v_fma_f64 v[34:35], v[30:31], v[36:37], v[34:35]
	s_waitcnt lgkmcnt(0)
	v_fma_f64 v[34:35], v[32:33], v[40:41], v[34:35]
	v_add_f64 v[10:11], v[10:11], -v[34:35]
	s_and_saveexec_b64 s[0:1], vcc
	s_cbranch_execz .LBB15_110
; %bb.109:
	v_mov_b32_e32 v41, v33
	s_mov_b32 s2, 0
	v_mov_b32_e32 v40, v32
	v_mov_b32_e32 v39, v31
	;; [unrolled: 1-line block ×33, first 2 shown]
	ds_write_b64 v1, v[8:9]
	v_mov_b32_e32 v2, v10
	v_mov_b32_e32 v3, v11
	;; [unrolled: 1-line block ×32, first 2 shown]
.LBB15_110:
	s_or_b64 exec, exec, s[0:1]
	s_waitcnt lgkmcnt(0)
	; wave barrier
	ds_read_b128 v[34:37], v42 offset:160
	ds_read_b128 v[38:41], v42 offset:176
	v_cmp_lt_u32_e32 vcc, 2, v0
	s_waitcnt lgkmcnt(1)
	v_fma_f64 v[34:35], v[10:11], v[34:35], 0
	v_fma_f64 v[34:35], v[12:13], v[36:37], v[34:35]
	s_waitcnt lgkmcnt(0)
	v_fma_f64 v[34:35], v[14:15], v[38:39], v[34:35]
	v_fma_f64 v[43:44], v[16:17], v[40:41], v[34:35]
	ds_read_b128 v[34:37], v42 offset:192
	ds_read_b128 v[38:41], v42 offset:208
	s_waitcnt lgkmcnt(1)
	v_fma_f64 v[34:35], v[18:19], v[34:35], v[43:44]
	v_fma_f64 v[34:35], v[20:21], v[36:37], v[34:35]
	s_waitcnt lgkmcnt(0)
	v_fma_f64 v[34:35], v[22:23], v[38:39], v[34:35]
	v_fma_f64 v[43:44], v[24:25], v[40:41], v[34:35]
	ds_read_b128 v[34:37], v42 offset:224
	ds_read_b128 v[38:41], v42 offset:240
	s_waitcnt lgkmcnt(1)
	v_fma_f64 v[34:35], v[26:27], v[34:35], v[43:44]
	v_fma_f64 v[34:35], v[28:29], v[36:37], v[34:35]
	s_waitcnt lgkmcnt(0)
	v_fma_f64 v[34:35], v[30:31], v[38:39], v[34:35]
	v_fma_f64 v[34:35], v[32:33], v[40:41], v[34:35]
	v_add_f64 v[8:9], v[8:9], -v[34:35]
	s_and_saveexec_b64 s[0:1], vcc
	s_cbranch_execz .LBB15_112
; %bb.111:
	v_mov_b32_e32 v39, v33
	s_mov_b32 s2, 0
	v_mov_b32_e32 v38, v32
	v_mov_b32_e32 v37, v31
	;; [unrolled: 1-line block ×33, first 2 shown]
	ds_write_b64 v1, v[6:7]
	v_mov_b32_e32 v2, v8
	v_mov_b32_e32 v3, v9
	;; [unrolled: 1-line block ×32, first 2 shown]
.LBB15_112:
	s_or_b64 exec, exec, s[0:1]
	v_mov_b32_e32 v38, 0
	s_waitcnt lgkmcnt(0)
	; wave barrier
	ds_read2_b64 v[34:37], v38 offset0:19 offset1:20
	ds_read2_b64 v[39:42], v38 offset0:21 offset1:22
	v_cmp_lt_u32_e32 vcc, 1, v0
	s_waitcnt lgkmcnt(1)
	v_fma_f64 v[34:35], v[8:9], v[34:35], 0
	v_fma_f64 v[34:35], v[10:11], v[36:37], v[34:35]
	s_waitcnt lgkmcnt(0)
	v_fma_f64 v[34:35], v[12:13], v[39:40], v[34:35]
	v_fma_f64 v[43:44], v[14:15], v[41:42], v[34:35]
	ds_read2_b64 v[34:37], v38 offset0:23 offset1:24
	ds_read2_b64 v[39:42], v38 offset0:25 offset1:26
	s_waitcnt lgkmcnt(1)
	v_fma_f64 v[34:35], v[16:17], v[34:35], v[43:44]
	v_fma_f64 v[34:35], v[18:19], v[36:37], v[34:35]
	s_waitcnt lgkmcnt(0)
	v_fma_f64 v[34:35], v[20:21], v[39:40], v[34:35]
	v_fma_f64 v[43:44], v[22:23], v[41:42], v[34:35]
	ds_read2_b64 v[34:37], v38 offset0:27 offset1:28
	ds_read2_b64 v[39:42], v38 offset0:29 offset1:30
	s_waitcnt lgkmcnt(1)
	v_fma_f64 v[34:35], v[24:25], v[34:35], v[43:44]
	v_fma_f64 v[34:35], v[26:27], v[36:37], v[34:35]
	ds_read_b64 v[36:37], v38 offset:248
	s_waitcnt lgkmcnt(1)
	v_fma_f64 v[34:35], v[28:29], v[39:40], v[34:35]
	v_fma_f64 v[34:35], v[30:31], v[41:42], v[34:35]
	s_waitcnt lgkmcnt(0)
	v_fma_f64 v[34:35], v[32:33], v[36:37], v[34:35]
	v_add_f64 v[6:7], v[6:7], -v[34:35]
	s_and_saveexec_b64 s[0:1], vcc
	s_cbranch_execz .LBB15_114
; %bb.113:
	v_mov_b32_e32 v37, v33
	s_mov_b32 s2, 0
	v_mov_b32_e32 v36, v32
	v_mov_b32_e32 v35, v31
	;; [unrolled: 1-line block ×33, first 2 shown]
	ds_write_b64 v1, v[4:5]
	v_mov_b32_e32 v2, v6
	v_mov_b32_e32 v3, v7
	;; [unrolled: 1-line block ×32, first 2 shown]
.LBB15_114:
	s_or_b64 exec, exec, s[0:1]
	s_waitcnt lgkmcnt(0)
	; wave barrier
	ds_read_b128 v[34:37], v38 offset:144
	ds_read_b128 v[39:42], v38 offset:160
	s_mov_b32 s2, 0
	v_cmp_ne_u32_e32 vcc, 0, v0
	s_waitcnt lgkmcnt(1)
	v_fma_f64 v[34:35], v[6:7], v[34:35], 0
	v_fma_f64 v[34:35], v[8:9], v[36:37], v[34:35]
	s_waitcnt lgkmcnt(0)
	v_fma_f64 v[34:35], v[10:11], v[39:40], v[34:35]
	v_fma_f64 v[43:44], v[12:13], v[41:42], v[34:35]
	ds_read_b128 v[34:37], v38 offset:176
	ds_read_b128 v[39:42], v38 offset:192
	s_waitcnt lgkmcnt(1)
	v_fma_f64 v[34:35], v[14:15], v[34:35], v[43:44]
	v_fma_f64 v[34:35], v[16:17], v[36:37], v[34:35]
	s_waitcnt lgkmcnt(0)
	v_fma_f64 v[34:35], v[18:19], v[39:40], v[34:35]
	v_fma_f64 v[43:44], v[20:21], v[41:42], v[34:35]
	ds_read_b128 v[34:37], v38 offset:208
	ds_read_b128 v[39:42], v38 offset:224
	s_waitcnt lgkmcnt(1)
	v_fma_f64 v[34:35], v[22:23], v[34:35], v[43:44]
	v_fma_f64 v[34:35], v[24:25], v[36:37], v[34:35]
	s_waitcnt lgkmcnt(0)
	v_fma_f64 v[34:35], v[26:27], v[39:40], v[34:35]
	v_fma_f64 v[39:40], v[28:29], v[41:42], v[34:35]
	ds_read_b128 v[34:37], v38 offset:240
	s_waitcnt lgkmcnt(0)
	v_fma_f64 v[34:35], v[30:31], v[34:35], v[39:40]
	v_fma_f64 v[34:35], v[32:33], v[36:37], v[34:35]
	v_add_f64 v[4:5], v[4:5], -v[34:35]
	s_and_saveexec_b64 s[0:1], vcc
	s_cbranch_execz .LBB15_116
; %bb.115:
	v_mov_b32_e32 v35, v33
	v_mov_b32_e32 v34, v32
	;; [unrolled: 1-line block ×34, first 2 shown]
	ds_write_b64 v1, v[2:3]
	v_mov_b32_e32 v2, v4
	v_mov_b32_e32 v3, v5
	;; [unrolled: 1-line block ×32, first 2 shown]
.LBB15_116:
	s_or_b64 exec, exec, s[0:1]
	v_mov_b32_e32 v0, 0
	s_waitcnt lgkmcnt(0)
	; wave barrier
	ds_read2_b64 v[34:37], v0 offset0:17 offset1:18
	ds_read2_b64 v[38:41], v0 offset0:19 offset1:20
	s_and_b64 vcc, exec, s[46:47]
	s_waitcnt lgkmcnt(1)
	v_fma_f64 v[34:35], v[4:5], v[34:35], 0
	v_fma_f64 v[34:35], v[6:7], v[36:37], v[34:35]
	s_waitcnt lgkmcnt(0)
	v_fma_f64 v[34:35], v[8:9], v[38:39], v[34:35]
	v_fma_f64 v[42:43], v[10:11], v[40:41], v[34:35]
	ds_read2_b64 v[34:37], v0 offset0:21 offset1:22
	ds_read2_b64 v[38:41], v0 offset0:23 offset1:24
	s_waitcnt lgkmcnt(1)
	v_fma_f64 v[34:35], v[12:13], v[34:35], v[42:43]
	v_fma_f64 v[34:35], v[14:15], v[36:37], v[34:35]
	s_waitcnt lgkmcnt(0)
	v_fma_f64 v[34:35], v[16:17], v[38:39], v[34:35]
	v_fma_f64 v[42:43], v[18:19], v[40:41], v[34:35]
	ds_read2_b64 v[34:37], v0 offset0:25 offset1:26
	ds_read2_b64 v[38:41], v0 offset0:27 offset1:28
	s_waitcnt lgkmcnt(1)
	v_fma_f64 v[34:35], v[20:21], v[34:35], v[42:43]
	v_fma_f64 v[34:35], v[22:23], v[36:37], v[34:35]
	s_waitcnt lgkmcnt(0)
	v_fma_f64 v[34:35], v[24:25], v[38:39], v[34:35]
	v_fma_f64 v[38:39], v[26:27], v[40:41], v[34:35]
	ds_read2_b64 v[34:37], v0 offset0:29 offset1:30
	ds_read_b64 v[40:41], v0 offset:248
	s_waitcnt lgkmcnt(1)
	v_fma_f64 v[34:35], v[28:29], v[34:35], v[38:39]
	v_fma_f64 v[34:35], v[30:31], v[36:37], v[34:35]
	s_waitcnt lgkmcnt(0)
	v_fma_f64 v[34:35], v[32:33], v[40:41], v[34:35]
	v_add_f64 v[2:3], v[2:3], -v[34:35]
	s_cbranch_vccz .LBB15_147
; %bb.117:
	global_load_dword v0, v0, s[44:45] offset:56
	s_waitcnt vmcnt(0)
	v_readfirstlane_b32 s0, v0
	s_add_i32 s0, s0, -1
	s_cmp_lg_u32 s0, 14
	s_cbranch_scc0 .LBB15_119
; %bb.118:
	s_lshl_b32 s0, s0, 1
	s_set_gpr_idx_on s0, gpr_idx(SRC0)
	v_mov_b32_e32 v0, v3
	v_mov_b32_e32 v1, v2
	s_set_gpr_idx_off
	v_mov_b32_e32 v63, v33
	v_mov_b32_e32 v61, v31
	;; [unrolled: 1-line block ×34, first 2 shown]
	s_set_gpr_idx_on s0, gpr_idx(DST)
	v_mov_b32_e32 v32, v30
	v_mov_b32_e32 v33, v31
	s_set_gpr_idx_off
	v_mov_b32_e32 v2, v32
	v_mov_b32_e32 v3, v33
	v_mov_b32_e32 v4, v34
	v_mov_b32_e32 v5, v35
	v_mov_b32_e32 v6, v36
	v_mov_b32_e32 v7, v37
	v_mov_b32_e32 v8, v38
	v_mov_b32_e32 v9, v39
	v_mov_b32_e32 v10, v40
	v_mov_b32_e32 v11, v41
	v_mov_b32_e32 v12, v42
	v_mov_b32_e32 v13, v43
	v_mov_b32_e32 v14, v44
	v_mov_b32_e32 v15, v45
	v_mov_b32_e32 v16, v46
	v_mov_b32_e32 v17, v47
	v_mov_b32_e32 v18, v48
	v_mov_b32_e32 v19, v49
	v_mov_b32_e32 v20, v50
	v_mov_b32_e32 v21, v51
	v_mov_b32_e32 v22, v52
	v_mov_b32_e32 v23, v53
	v_mov_b32_e32 v24, v54
	v_mov_b32_e32 v25, v55
	v_mov_b32_e32 v26, v56
	v_mov_b32_e32 v27, v57
	v_mov_b32_e32 v28, v58
	v_mov_b32_e32 v29, v59
	v_mov_b32_e32 v30, v60
	v_mov_b32_e32 v31, v61
	v_mov_b32_e32 v32, v62
	v_mov_b32_e32 v33, v63
.LBB15_119:
	v_mov_b32_e32 v0, 0
	global_load_dword v1, v0, s[44:45] offset:52
	s_waitcnt vmcnt(0)
	v_readfirstlane_b32 s0, v1
	s_add_i32 s0, s0, -1
	s_cmp_eq_u32 s0, 13
	s_cbranch_scc1 .LBB15_121
; %bb.120:
	s_lshl_b32 s0, s0, 1
	s_set_gpr_idx_on s0, gpr_idx(SRC0)
	v_mov_b32_e32 v1, v3
	v_mov_b32_e32 v62, v2
	s_set_gpr_idx_off
	v_mov_b32_e32 v61, v33
	v_mov_b32_e32 v57, v29
	;; [unrolled: 1-line block ×34, first 2 shown]
	s_set_gpr_idx_on s0, gpr_idx(DST)
	v_mov_b32_e32 v30, v28
	v_mov_b32_e32 v31, v29
	s_set_gpr_idx_off
	v_mov_b32_e32 v2, v30
	v_mov_b32_e32 v3, v31
	;; [unrolled: 1-line block ×32, first 2 shown]
.LBB15_121:
	global_load_dword v0, v0, s[44:45] offset:48
	s_waitcnt vmcnt(0)
	v_readfirstlane_b32 s0, v0
	s_add_i32 s0, s0, -1
	s_cmp_eq_u32 s0, 12
	s_cbranch_scc1 .LBB15_123
; %bb.122:
	s_lshl_b32 s0, s0, 1
	s_set_gpr_idx_on s0, gpr_idx(SRC0)
	v_mov_b32_e32 v0, v3
	v_mov_b32_e32 v1, v2
	s_set_gpr_idx_off
	v_mov_b32_e32 v59, v33
	v_mov_b32_e32 v53, v27
	;; [unrolled: 1-line block ×34, first 2 shown]
	s_set_gpr_idx_on s0, gpr_idx(DST)
	v_mov_b32_e32 v28, v26
	v_mov_b32_e32 v29, v27
	s_set_gpr_idx_off
	v_mov_b32_e32 v2, v28
	v_mov_b32_e32 v3, v29
	;; [unrolled: 1-line block ×32, first 2 shown]
.LBB15_123:
	v_mov_b32_e32 v0, 0
	global_load_dword v1, v0, s[44:45] offset:44
	s_waitcnt vmcnt(0)
	v_readfirstlane_b32 s0, v1
	s_add_i32 s0, s0, -1
	s_cmp_eq_u32 s0, 11
	s_cbranch_scc1 .LBB15_125
; %bb.124:
	s_lshl_b32 s0, s0, 1
	s_set_gpr_idx_on s0, gpr_idx(SRC0)
	v_mov_b32_e32 v1, v3
	v_mov_b32_e32 v58, v2
	s_set_gpr_idx_off
	v_mov_b32_e32 v57, v33
	v_mov_b32_e32 v49, v25
	;; [unrolled: 1-line block ×34, first 2 shown]
	s_set_gpr_idx_on s0, gpr_idx(DST)
	v_mov_b32_e32 v26, v24
	v_mov_b32_e32 v27, v25
	s_set_gpr_idx_off
	v_mov_b32_e32 v2, v26
	v_mov_b32_e32 v3, v27
	v_mov_b32_e32 v4, v28
	v_mov_b32_e32 v5, v29
	v_mov_b32_e32 v6, v30
	v_mov_b32_e32 v7, v31
	v_mov_b32_e32 v8, v32
	v_mov_b32_e32 v9, v33
	v_mov_b32_e32 v10, v34
	v_mov_b32_e32 v11, v35
	v_mov_b32_e32 v12, v36
	v_mov_b32_e32 v13, v37
	v_mov_b32_e32 v14, v38
	v_mov_b32_e32 v15, v39
	v_mov_b32_e32 v16, v40
	v_mov_b32_e32 v17, v41
	v_mov_b32_e32 v18, v42
	v_mov_b32_e32 v19, v43
	v_mov_b32_e32 v20, v44
	v_mov_b32_e32 v21, v45
	v_mov_b32_e32 v22, v46
	v_mov_b32_e32 v23, v47
	v_mov_b32_e32 v24, v48
	v_mov_b32_e32 v25, v49
	v_mov_b32_e32 v26, v50
	v_mov_b32_e32 v27, v51
	v_mov_b32_e32 v28, v52
	v_mov_b32_e32 v29, v53
	v_mov_b32_e32 v30, v54
	v_mov_b32_e32 v31, v55
	v_mov_b32_e32 v32, v56
	v_mov_b32_e32 v33, v57
.LBB15_125:
	global_load_dword v0, v0, s[44:45] offset:40
	s_waitcnt vmcnt(0)
	v_readfirstlane_b32 s0, v0
	s_add_i32 s0, s0, -1
	s_cmp_eq_u32 s0, 10
	s_cbranch_scc1 .LBB15_127
; %bb.126:
	s_lshl_b32 s0, s0, 1
	s_set_gpr_idx_on s0, gpr_idx(SRC0)
	v_mov_b32_e32 v0, v3
	v_mov_b32_e32 v1, v2
	s_set_gpr_idx_off
	v_mov_b32_e32 v55, v33
	v_mov_b32_e32 v45, v23
	;; [unrolled: 1-line block ×34, first 2 shown]
	s_set_gpr_idx_on s0, gpr_idx(DST)
	v_mov_b32_e32 v24, v22
	v_mov_b32_e32 v25, v23
	s_set_gpr_idx_off
	v_mov_b32_e32 v2, v24
	v_mov_b32_e32 v3, v25
	;; [unrolled: 1-line block ×32, first 2 shown]
.LBB15_127:
	v_mov_b32_e32 v0, 0
	global_load_dword v1, v0, s[44:45] offset:36
	s_waitcnt vmcnt(0)
	v_readfirstlane_b32 s0, v1
	s_add_i32 s0, s0, -1
	s_cmp_eq_u32 s0, 9
	s_cbranch_scc1 .LBB15_129
; %bb.128:
	s_lshl_b32 s0, s0, 1
	s_set_gpr_idx_on s0, gpr_idx(SRC0)
	v_mov_b32_e32 v1, v3
	v_mov_b32_e32 v54, v2
	s_set_gpr_idx_off
	v_mov_b32_e32 v53, v33
	v_mov_b32_e32 v41, v21
	;; [unrolled: 1-line block ×34, first 2 shown]
	s_set_gpr_idx_on s0, gpr_idx(DST)
	v_mov_b32_e32 v22, v20
	v_mov_b32_e32 v23, v21
	s_set_gpr_idx_off
	v_mov_b32_e32 v2, v22
	v_mov_b32_e32 v3, v23
	;; [unrolled: 1-line block ×32, first 2 shown]
.LBB15_129:
	global_load_dword v0, v0, s[44:45] offset:32
	s_waitcnt vmcnt(0)
	v_readfirstlane_b32 s0, v0
	s_add_i32 s0, s0, -1
	s_cmp_eq_u32 s0, 8
	s_cbranch_scc1 .LBB15_131
; %bb.130:
	s_lshl_b32 s0, s0, 1
	s_set_gpr_idx_on s0, gpr_idx(SRC0)
	v_mov_b32_e32 v0, v3
	v_mov_b32_e32 v1, v2
	s_set_gpr_idx_off
	v_mov_b32_e32 v51, v33
	v_mov_b32_e32 v37, v19
	;; [unrolled: 1-line block ×34, first 2 shown]
	s_set_gpr_idx_on s0, gpr_idx(DST)
	v_mov_b32_e32 v20, v18
	v_mov_b32_e32 v21, v19
	s_set_gpr_idx_off
	v_mov_b32_e32 v2, v20
	v_mov_b32_e32 v3, v21
	;; [unrolled: 1-line block ×32, first 2 shown]
.LBB15_131:
	v_mov_b32_e32 v0, 0
	global_load_dword v1, v0, s[44:45] offset:28
	s_waitcnt vmcnt(0)
	v_readfirstlane_b32 s0, v1
	s_add_i32 s0, s0, -1
	s_cmp_eq_u32 s0, 7
	s_cbranch_scc1 .LBB15_133
; %bb.132:
	s_lshl_b32 s0, s0, 1
	s_set_gpr_idx_on s0, gpr_idx(SRC0)
	v_mov_b32_e32 v1, v3
	v_mov_b32_e32 v50, v2
	s_set_gpr_idx_off
	v_mov_b32_e32 v49, v33
	v_mov_b32_e32 v48, v32
	;; [unrolled: 1-line block ×34, first 2 shown]
	s_set_gpr_idx_on s0, gpr_idx(DST)
	v_mov_b32_e32 v18, v16
	v_mov_b32_e32 v19, v17
	s_set_gpr_idx_off
	v_mov_b32_e32 v2, v18
	v_mov_b32_e32 v3, v19
	;; [unrolled: 1-line block ×32, first 2 shown]
.LBB15_133:
	global_load_dword v0, v0, s[44:45] offset:24
	s_waitcnt vmcnt(0)
	v_readfirstlane_b32 s0, v0
	s_add_i32 s0, s0, -1
	s_cmp_eq_u32 s0, 6
	s_cbranch_scc1 .LBB15_135
; %bb.134:
	s_lshl_b32 s0, s0, 1
	s_set_gpr_idx_on s0, gpr_idx(SRC0)
	v_mov_b32_e32 v0, v3
	v_mov_b32_e32 v1, v2
	s_set_gpr_idx_off
	v_mov_b32_e32 v47, v33
	v_mov_b32_e32 v46, v32
	;; [unrolled: 1-line block ×34, first 2 shown]
	s_set_gpr_idx_on s0, gpr_idx(DST)
	v_mov_b32_e32 v16, v14
	v_mov_b32_e32 v17, v15
	s_set_gpr_idx_off
	v_mov_b32_e32 v2, v16
	v_mov_b32_e32 v3, v17
	;; [unrolled: 1-line block ×32, first 2 shown]
.LBB15_135:
	v_mov_b32_e32 v0, 0
	global_load_dword v1, v0, s[44:45] offset:20
	s_waitcnt vmcnt(0)
	v_readfirstlane_b32 s0, v1
	s_add_i32 s0, s0, -1
	s_cmp_eq_u32 s0, 5
	s_cbranch_scc1 .LBB15_137
; %bb.136:
	s_lshl_b32 s0, s0, 1
	s_set_gpr_idx_on s0, gpr_idx(SRC0)
	v_mov_b32_e32 v1, v3
	v_mov_b32_e32 v46, v2
	s_set_gpr_idx_off
	v_mov_b32_e32 v45, v33
	v_mov_b32_e32 v44, v32
	;; [unrolled: 1-line block ×34, first 2 shown]
	s_set_gpr_idx_on s0, gpr_idx(DST)
	v_mov_b32_e32 v14, v12
	v_mov_b32_e32 v15, v13
	s_set_gpr_idx_off
	v_mov_b32_e32 v2, v14
	v_mov_b32_e32 v3, v15
	;; [unrolled: 1-line block ×32, first 2 shown]
.LBB15_137:
	global_load_dword v0, v0, s[44:45] offset:16
	s_waitcnt vmcnt(0)
	v_readfirstlane_b32 s0, v0
	s_add_i32 s0, s0, -1
	s_cmp_eq_u32 s0, 4
	s_cbranch_scc1 .LBB15_139
; %bb.138:
	s_lshl_b32 s0, s0, 1
	s_set_gpr_idx_on s0, gpr_idx(SRC0)
	v_mov_b32_e32 v0, v3
	v_mov_b32_e32 v1, v2
	s_set_gpr_idx_off
	v_mov_b32_e32 v43, v33
	v_mov_b32_e32 v42, v32
	;; [unrolled: 1-line block ×34, first 2 shown]
	s_set_gpr_idx_on s0, gpr_idx(DST)
	v_mov_b32_e32 v12, v10
	v_mov_b32_e32 v13, v11
	s_set_gpr_idx_off
	v_mov_b32_e32 v2, v12
	v_mov_b32_e32 v3, v13
	;; [unrolled: 1-line block ×32, first 2 shown]
.LBB15_139:
	v_mov_b32_e32 v0, 0
	global_load_dword v1, v0, s[44:45] offset:12
	s_waitcnt vmcnt(0)
	v_readfirstlane_b32 s0, v1
	s_add_i32 s0, s0, -1
	s_cmp_eq_u32 s0, 3
	s_cbranch_scc1 .LBB15_141
; %bb.140:
	s_lshl_b32 s0, s0, 1
	s_set_gpr_idx_on s0, gpr_idx(SRC0)
	v_mov_b32_e32 v1, v3
	v_mov_b32_e32 v42, v2
	s_set_gpr_idx_off
	v_mov_b32_e32 v41, v33
	v_mov_b32_e32 v40, v32
	;; [unrolled: 1-line block ×34, first 2 shown]
	s_set_gpr_idx_on s0, gpr_idx(DST)
	v_mov_b32_e32 v10, v8
	v_mov_b32_e32 v11, v9
	s_set_gpr_idx_off
	v_mov_b32_e32 v2, v10
	v_mov_b32_e32 v3, v11
	;; [unrolled: 1-line block ×32, first 2 shown]
.LBB15_141:
	global_load_dword v0, v0, s[44:45] offset:8
	s_waitcnt vmcnt(0)
	v_readfirstlane_b32 s0, v0
	s_add_i32 s0, s0, -1
	s_cmp_eq_u32 s0, 2
	s_cbranch_scc1 .LBB15_143
; %bb.142:
	s_lshl_b32 s0, s0, 1
	s_set_gpr_idx_on s0, gpr_idx(SRC0)
	v_mov_b32_e32 v0, v3
	v_mov_b32_e32 v1, v2
	s_set_gpr_idx_off
	v_mov_b32_e32 v39, v33
	v_mov_b32_e32 v38, v32
	;; [unrolled: 1-line block ×34, first 2 shown]
	s_set_gpr_idx_on s0, gpr_idx(DST)
	v_mov_b32_e32 v8, v6
	v_mov_b32_e32 v9, v7
	s_set_gpr_idx_off
	v_mov_b32_e32 v2, v8
	v_mov_b32_e32 v3, v9
	;; [unrolled: 1-line block ×32, first 2 shown]
.LBB15_143:
	v_mov_b32_e32 v0, 0
	global_load_dword v1, v0, s[44:45] offset:4
	s_waitcnt vmcnt(0)
	v_readfirstlane_b32 s0, v1
	s_add_i32 s0, s0, -1
	s_cmp_eq_u32 s0, 1
	s_cbranch_scc1 .LBB15_145
; %bb.144:
	s_lshl_b32 s0, s0, 1
	s_set_gpr_idx_on s0, gpr_idx(SRC0)
	v_mov_b32_e32 v1, v3
	v_mov_b32_e32 v38, v2
	s_set_gpr_idx_off
	v_mov_b32_e32 v37, v33
	v_mov_b32_e32 v36, v32
	;; [unrolled: 1-line block ×34, first 2 shown]
	s_set_gpr_idx_on s0, gpr_idx(DST)
	v_mov_b32_e32 v6, v4
	v_mov_b32_e32 v7, v5
	s_set_gpr_idx_off
	v_mov_b32_e32 v2, v6
	v_mov_b32_e32 v3, v7
	;; [unrolled: 1-line block ×32, first 2 shown]
.LBB15_145:
	global_load_dword v0, v0, s[44:45]
	s_waitcnt vmcnt(0)
	v_readfirstlane_b32 s0, v0
	s_add_i32 s0, s0, -1
	s_cmp_eq_u32 s0, 0
	s_cbranch_scc1 .LBB15_147
; %bb.146:
	s_lshl_b32 s0, s0, 1
	s_set_gpr_idx_on s0, gpr_idx(SRC0)
	v_mov_b32_e32 v0, v3
	v_mov_b32_e32 v1, v2
	s_set_gpr_idx_off
	v_mov_b32_e32 v35, v33
	v_mov_b32_e32 v34, v32
	;; [unrolled: 1-line block ×34, first 2 shown]
	s_set_gpr_idx_on s0, gpr_idx(DST)
	v_mov_b32_e32 v4, v2
	v_mov_b32_e32 v5, v3
	s_set_gpr_idx_off
	v_mov_b32_e32 v2, v4
	v_mov_b32_e32 v3, v5
	;; [unrolled: 1-line block ×32, first 2 shown]
.LBB15_147:
	global_store_dwordx2 v[92:93], v[2:3], off
	global_store_dwordx2 v[94:95], v[4:5], off
	;; [unrolled: 1-line block ×16, first 2 shown]
	s_endpgm
	.section	.rodata,"a",@progbits
	.p2align	6, 0x0
	.amdhsa_kernel _ZN9rocsolver6v33100L18getri_kernel_smallILi16EdPdEEvT1_iilPiilS4_bb
		.amdhsa_group_segment_fixed_size 264
		.amdhsa_private_segment_fixed_size 0
		.amdhsa_kernarg_size 60
		.amdhsa_user_sgpr_count 6
		.amdhsa_user_sgpr_private_segment_buffer 1
		.amdhsa_user_sgpr_dispatch_ptr 0
		.amdhsa_user_sgpr_queue_ptr 0
		.amdhsa_user_sgpr_kernarg_segment_ptr 1
		.amdhsa_user_sgpr_dispatch_id 0
		.amdhsa_user_sgpr_flat_scratch_init 0
		.amdhsa_user_sgpr_private_segment_size 0
		.amdhsa_uses_dynamic_stack 0
		.amdhsa_system_sgpr_private_segment_wavefront_offset 0
		.amdhsa_system_sgpr_workgroup_id_x 1
		.amdhsa_system_sgpr_workgroup_id_y 0
		.amdhsa_system_sgpr_workgroup_id_z 0
		.amdhsa_system_sgpr_workgroup_info 0
		.amdhsa_system_vgpr_workitem_id 0
		.amdhsa_next_free_vgpr 96
		.amdhsa_next_free_sgpr 54
		.amdhsa_reserve_vcc 1
		.amdhsa_reserve_flat_scratch 0
		.amdhsa_float_round_mode_32 0
		.amdhsa_float_round_mode_16_64 0
		.amdhsa_float_denorm_mode_32 3
		.amdhsa_float_denorm_mode_16_64 3
		.amdhsa_dx10_clamp 1
		.amdhsa_ieee_mode 1
		.amdhsa_fp16_overflow 0
		.amdhsa_exception_fp_ieee_invalid_op 0
		.amdhsa_exception_fp_denorm_src 0
		.amdhsa_exception_fp_ieee_div_zero 0
		.amdhsa_exception_fp_ieee_overflow 0
		.amdhsa_exception_fp_ieee_underflow 0
		.amdhsa_exception_fp_ieee_inexact 0
		.amdhsa_exception_int_div_zero 0
	.end_amdhsa_kernel
	.section	.text._ZN9rocsolver6v33100L18getri_kernel_smallILi16EdPdEEvT1_iilPiilS4_bb,"axG",@progbits,_ZN9rocsolver6v33100L18getri_kernel_smallILi16EdPdEEvT1_iilPiilS4_bb,comdat
.Lfunc_end15:
	.size	_ZN9rocsolver6v33100L18getri_kernel_smallILi16EdPdEEvT1_iilPiilS4_bb, .Lfunc_end15-_ZN9rocsolver6v33100L18getri_kernel_smallILi16EdPdEEvT1_iilPiilS4_bb
                                        ; -- End function
	.set _ZN9rocsolver6v33100L18getri_kernel_smallILi16EdPdEEvT1_iilPiilS4_bb.num_vgpr, 96
	.set _ZN9rocsolver6v33100L18getri_kernel_smallILi16EdPdEEvT1_iilPiilS4_bb.num_agpr, 0
	.set _ZN9rocsolver6v33100L18getri_kernel_smallILi16EdPdEEvT1_iilPiilS4_bb.numbered_sgpr, 54
	.set _ZN9rocsolver6v33100L18getri_kernel_smallILi16EdPdEEvT1_iilPiilS4_bb.num_named_barrier, 0
	.set _ZN9rocsolver6v33100L18getri_kernel_smallILi16EdPdEEvT1_iilPiilS4_bb.private_seg_size, 0
	.set _ZN9rocsolver6v33100L18getri_kernel_smallILi16EdPdEEvT1_iilPiilS4_bb.uses_vcc, 1
	.set _ZN9rocsolver6v33100L18getri_kernel_smallILi16EdPdEEvT1_iilPiilS4_bb.uses_flat_scratch, 0
	.set _ZN9rocsolver6v33100L18getri_kernel_smallILi16EdPdEEvT1_iilPiilS4_bb.has_dyn_sized_stack, 0
	.set _ZN9rocsolver6v33100L18getri_kernel_smallILi16EdPdEEvT1_iilPiilS4_bb.has_recursion, 0
	.set _ZN9rocsolver6v33100L18getri_kernel_smallILi16EdPdEEvT1_iilPiilS4_bb.has_indirect_call, 0
	.section	.AMDGPU.csdata,"",@progbits
; Kernel info:
; codeLenInByte = 21972
; TotalNumSgprs: 58
; NumVgprs: 96
; ScratchSize: 0
; MemoryBound: 0
; FloatMode: 240
; IeeeMode: 1
; LDSByteSize: 264 bytes/workgroup (compile time only)
; SGPRBlocks: 7
; VGPRBlocks: 23
; NumSGPRsForWavesPerEU: 58
; NumVGPRsForWavesPerEU: 96
; Occupancy: 2
; WaveLimiterHint : 0
; COMPUTE_PGM_RSRC2:SCRATCH_EN: 0
; COMPUTE_PGM_RSRC2:USER_SGPR: 6
; COMPUTE_PGM_RSRC2:TRAP_HANDLER: 0
; COMPUTE_PGM_RSRC2:TGID_X_EN: 1
; COMPUTE_PGM_RSRC2:TGID_Y_EN: 0
; COMPUTE_PGM_RSRC2:TGID_Z_EN: 0
; COMPUTE_PGM_RSRC2:TIDIG_COMP_CNT: 0
	.section	.text._ZN9rocsolver6v33100L18getri_kernel_smallILi17EdPdEEvT1_iilPiilS4_bb,"axG",@progbits,_ZN9rocsolver6v33100L18getri_kernel_smallILi17EdPdEEvT1_iilPiilS4_bb,comdat
	.globl	_ZN9rocsolver6v33100L18getri_kernel_smallILi17EdPdEEvT1_iilPiilS4_bb ; -- Begin function _ZN9rocsolver6v33100L18getri_kernel_smallILi17EdPdEEvT1_iilPiilS4_bb
	.p2align	8
	.type	_ZN9rocsolver6v33100L18getri_kernel_smallILi17EdPdEEvT1_iilPiilS4_bb,@function
_ZN9rocsolver6v33100L18getri_kernel_smallILi17EdPdEEvT1_iilPiilS4_bb: ; @_ZN9rocsolver6v33100L18getri_kernel_smallILi17EdPdEEvT1_iilPiilS4_bb
; %bb.0:
	s_add_u32 s0, s0, s7
	s_addc_u32 s1, s1, 0
	v_cmp_gt_u32_e32 vcc, 17, v0
	s_and_saveexec_b64 s[8:9], vcc
	s_cbranch_execz .LBB16_76
; %bb.1:
	s_load_dword s12, s[4:5], 0x38
	s_load_dwordx4 s[16:19], s[4:5], 0x10
	s_load_dwordx4 s[8:11], s[4:5], 0x28
                                        ; implicit-def: $sgpr20_sgpr21
	s_waitcnt lgkmcnt(0)
	s_bitcmp1_b32 s12, 8
	s_cselect_b64 s[22:23], -1, 0
	s_ashr_i32 s7, s6, 31
	s_bfe_u32 s12, s12, 0x10008
	s_cmp_eq_u32 s12, 0
	s_cbranch_scc1 .LBB16_3
; %bb.2:
	s_load_dword s12, s[4:5], 0x20
	s_mul_i32 s13, s8, s7
	s_mul_hi_u32 s14, s8, s6
	s_mul_i32 s9, s9, s6
	s_add_i32 s14, s14, s13
	s_add_i32 s9, s14, s9
	s_mul_i32 s8, s8, s6
	s_waitcnt lgkmcnt(0)
	s_ashr_i32 s13, s12, 31
	s_lshl_b64 s[8:9], s[8:9], 2
	s_add_u32 s14, s18, s8
	s_addc_u32 s15, s19, s9
	s_lshl_b64 s[8:9], s[12:13], 2
	s_add_u32 s20, s14, s8
	s_addc_u32 s21, s15, s9
.LBB16_3:
	s_load_dwordx4 s[12:15], s[4:5], 0x0
	s_load_dword s8, s[4:5], 0x38
	s_mul_i32 s9, s16, s7
	s_mul_hi_u32 s18, s16, s6
	s_add_i32 s9, s18, s9
	s_waitcnt lgkmcnt(0)
	s_ashr_i32 s5, s14, 31
	s_mov_b32 s4, s14
	s_mul_i32 s14, s17, s6
	s_add_i32 s17, s9, s14
	s_mul_i32 s16, s16, s6
	s_lshl_b64 s[16:17], s[16:17], 3
	s_add_u32 s9, s12, s16
	s_addc_u32 s12, s13, s17
	s_lshl_b64 s[4:5], s[4:5], 3
	s_add_u32 s4, s9, s4
	s_addc_u32 s5, s12, s5
	s_add_i32 s9, s15, s15
	v_add_u32_e32 v3, s9, v0
	v_ashrrev_i32_e32 v4, 31, v3
	v_lshlrev_b64 v[1:2], 3, v[3:4]
	v_add_u32_e32 v5, s15, v3
	v_mov_b32_e32 v4, s5
	v_add_co_u32_e32 v1, vcc, s4, v1
	v_ashrrev_i32_e32 v6, 31, v5
	v_addc_co_u32_e32 v2, vcc, v4, v2, vcc
	v_lshlrev_b64 v[3:4], 3, v[5:6]
	v_add_u32_e32 v7, s15, v5
	v_mov_b32_e32 v6, s5
	v_add_co_u32_e32 v3, vcc, s4, v3
	v_ashrrev_i32_e32 v8, 31, v7
	v_addc_co_u32_e32 v4, vcc, v6, v4, vcc
	v_lshlrev_b64 v[5:6], 3, v[7:8]
	v_add_u32_e32 v9, s15, v7
	v_mov_b32_e32 v8, s5
	v_add_co_u32_e32 v5, vcc, s4, v5
	v_ashrrev_i32_e32 v10, 31, v9
	v_addc_co_u32_e32 v6, vcc, v8, v6, vcc
	v_lshlrev_b64 v[7:8], 3, v[9:10]
	v_add_u32_e32 v11, s15, v9
	v_mov_b32_e32 v10, s5
	v_add_co_u32_e32 v7, vcc, s4, v7
	v_ashrrev_i32_e32 v12, 31, v11
	v_addc_co_u32_e32 v8, vcc, v10, v8, vcc
	v_lshlrev_b64 v[9:10], 3, v[11:12]
	v_add_u32_e32 v13, s15, v11
	v_mov_b32_e32 v12, s5
	v_add_co_u32_e32 v9, vcc, s4, v9
	v_ashrrev_i32_e32 v14, 31, v13
	v_addc_co_u32_e32 v10, vcc, v12, v10, vcc
	v_lshlrev_b64 v[11:12], 3, v[13:14]
	v_add_u32_e32 v15, s15, v13
	v_mov_b32_e32 v14, s5
	v_add_co_u32_e32 v11, vcc, s4, v11
	v_ashrrev_i32_e32 v16, 31, v15
	v_addc_co_u32_e32 v12, vcc, v14, v12, vcc
	v_lshlrev_b64 v[13:14], 3, v[15:16]
	v_add_u32_e32 v17, s15, v15
	v_mov_b32_e32 v16, s5
	v_add_co_u32_e32 v13, vcc, s4, v13
	v_ashrrev_i32_e32 v18, 31, v17
	v_addc_co_u32_e32 v14, vcc, v16, v14, vcc
	v_lshlrev_b64 v[15:16], 3, v[17:18]
	v_add_u32_e32 v19, s15, v17
	v_mov_b32_e32 v18, s5
	v_add_co_u32_e32 v15, vcc, s4, v15
	v_ashrrev_i32_e32 v20, 31, v19
	v_addc_co_u32_e32 v16, vcc, v18, v16, vcc
	v_lshlrev_b64 v[17:18], 3, v[19:20]
	v_mov_b32_e32 v21, s5
	v_add_co_u32_e32 v17, vcc, s4, v17
	v_addc_co_u32_e32 v18, vcc, v21, v18, vcc
	v_add_u32_e32 v21, s15, v19
	v_ashrrev_i32_e32 v22, 31, v21
	v_lshlrev_b64 v[19:20], 3, v[21:22]
	v_mov_b32_e32 v23, s5
	v_add_co_u32_e32 v19, vcc, s4, v19
	v_addc_co_u32_e32 v20, vcc, v23, v20, vcc
	v_add_u32_e32 v23, s15, v21
	v_ashrrev_i32_e32 v24, 31, v23
	;; [unrolled: 6-line block ×4, first 2 shown]
	v_lshlrev_b64 v[25:26], 3, v[27:28]
	v_mov_b32_e32 v29, s5
	v_add_co_u32_e32 v25, vcc, s4, v25
	v_addc_co_u32_e32 v26, vcc, v29, v26, vcc
	v_lshlrev_b32_e32 v37, 3, v0
	v_add_u32_e32 v33, s15, v27
	v_mov_b32_e32 v28, s5
	v_add_co_u32_e32 v27, vcc, s4, v37
	s_ashr_i32 s13, s15, 31
	s_mov_b32 s12, s15
	v_addc_co_u32_e32 v28, vcc, 0, v28, vcc
	s_lshl_b64 s[12:13], s[12:13], 3
	v_ashrrev_i32_e32 v34, 31, v33
	v_mov_b32_e32 v30, s13
	v_add_co_u32_e32 v29, vcc, s12, v27
	v_lshlrev_b64 v[31:32], 3, v[33:34]
	v_addc_co_u32_e32 v30, vcc, v28, v30, vcc
	v_mov_b32_e32 v52, s5
	v_add_co_u32_e32 v31, vcc, s4, v31
	global_load_dwordx2 v[35:36], v37, s[4:5]
	global_load_dwordx2 v[38:39], v[29:30], off
	global_load_dwordx2 v[40:41], v[1:2], off
	;; [unrolled: 1-line block ×7, first 2 shown]
	v_addc_co_u32_e32 v32, vcc, v52, v32, vcc
	global_load_dwordx2 v[52:53], v[13:14], off
	global_load_dwordx2 v[54:55], v[15:16], off
	;; [unrolled: 1-line block ×8, first 2 shown]
	v_add_u32_e32 v33, s15, v33
	v_ashrrev_i32_e32 v34, 31, v33
	v_lshlrev_b64 v[33:34], 3, v[33:34]
	v_mov_b32_e32 v68, s5
	v_add_co_u32_e32 v33, vcc, s4, v33
	v_addc_co_u32_e32 v34, vcc, v68, v34, vcc
	global_load_dwordx2 v[68:69], v[33:34], off
	s_bitcmp0_b32 s8, 0
	s_mov_b64 s[8:9], -1
	s_waitcnt vmcnt(16)
	buffer_store_dword v36, off, s[0:3], 0 offset:4
	buffer_store_dword v35, off, s[0:3], 0
	s_waitcnt vmcnt(17)
	buffer_store_dword v39, off, s[0:3], 0 offset:12
	buffer_store_dword v38, off, s[0:3], 0 offset:8
	s_waitcnt vmcnt(18)
	buffer_store_dword v41, off, s[0:3], 0 offset:20
	buffer_store_dword v40, off, s[0:3], 0 offset:16
	;; [unrolled: 3-line block ×16, first 2 shown]
	s_cbranch_scc1 .LBB16_74
; %bb.4:
	v_cmp_eq_u32_e64 s[4:5], 0, v0
	s_and_saveexec_b64 s[8:9], s[4:5]
; %bb.5:
	v_mov_b32_e32 v35, 0
	ds_write_b32 v35, v35 offset:136
; %bb.6:
	s_or_b64 exec, exec, s[8:9]
	v_mov_b32_e32 v35, 0
	v_lshl_add_u32 v35, v0, 3, v35
	s_waitcnt lgkmcnt(0)
	; wave barrier
	buffer_load_dword v38, v35, s[0:3], 0 offen
	buffer_load_dword v39, v35, s[0:3], 0 offen offset:4
	s_waitcnt vmcnt(0)
	v_cmp_eq_f64_e32 vcc, 0, v[38:39]
	s_and_saveexec_b64 s[12:13], vcc
	s_cbranch_execz .LBB16_10
; %bb.7:
	v_mov_b32_e32 v36, 0
	ds_read_b32 v39, v36 offset:136
	v_add_u32_e32 v38, 1, v0
	s_waitcnt lgkmcnt(0)
	v_readfirstlane_b32 s8, v39
	s_cmp_eq_u32 s8, 0
	s_cselect_b64 s[14:15], -1, 0
	v_cmp_gt_i32_e32 vcc, s8, v38
	s_or_b64 s[14:15], s[14:15], vcc
	s_and_b64 exec, exec, s[14:15]
	s_cbranch_execz .LBB16_10
; %bb.8:
	s_mov_b64 s[14:15], 0
	v_mov_b32_e32 v39, s8
.LBB16_9:                               ; =>This Inner Loop Header: Depth=1
	ds_cmpst_rtn_b32 v39, v36, v39, v38 offset:136
	s_waitcnt lgkmcnt(0)
	v_cmp_ne_u32_e32 vcc, 0, v39
	v_cmp_le_i32_e64 s[8:9], v39, v38
	s_and_b64 s[8:9], vcc, s[8:9]
	s_and_b64 s[8:9], exec, s[8:9]
	s_or_b64 s[14:15], s[8:9], s[14:15]
	s_andn2_b64 exec, exec, s[14:15]
	s_cbranch_execnz .LBB16_9
.LBB16_10:
	s_or_b64 exec, exec, s[12:13]
	v_mov_b32_e32 v38, 0
	; wave barrier
	ds_read_b32 v36, v38 offset:136
	s_and_saveexec_b64 s[8:9], s[4:5]
	s_cbranch_execz .LBB16_12
; %bb.11:
	s_lshl_b64 s[12:13], s[6:7], 2
	s_add_u32 s12, s10, s12
	s_addc_u32 s13, s11, s13
	s_waitcnt lgkmcnt(0)
	global_store_dword v38, v36, s[12:13]
.LBB16_12:
	s_or_b64 exec, exec, s[8:9]
	s_waitcnt lgkmcnt(0)
	v_cmp_ne_u32_e32 vcc, 0, v36
	s_mov_b64 s[8:9], 0
	s_cbranch_vccnz .LBB16_74
; %bb.13:
	buffer_load_dword v38, v35, s[0:3], 0 offen
	buffer_load_dword v39, v35, s[0:3], 0 offen offset:4
	s_waitcnt vmcnt(0)
	v_div_scale_f64 v[40:41], s[8:9], v[38:39], v[38:39], 1.0
	v_rcp_f64_e32 v[42:43], v[40:41]
	v_fma_f64 v[44:45], -v[40:41], v[42:43], 1.0
	v_fma_f64 v[42:43], v[42:43], v[44:45], v[42:43]
	v_div_scale_f64 v[44:45], vcc, 1.0, v[38:39], 1.0
	v_fma_f64 v[46:47], -v[40:41], v[42:43], 1.0
	v_fma_f64 v[42:43], v[42:43], v[46:47], v[42:43]
	v_mul_f64 v[46:47], v[44:45], v[42:43]
	v_fma_f64 v[40:41], -v[40:41], v[46:47], v[44:45]
	v_div_fmas_f64 v[40:41], v[40:41], v[42:43], v[46:47]
	v_div_fixup_f64 v[39:40], v[40:41], v[38:39], 1.0
	v_add_u32_e32 v38, 0x90, v37
	buffer_store_dword v40, v35, s[0:3], 0 offen offset:4
	buffer_store_dword v39, v35, s[0:3], 0 offen
	buffer_load_dword v42, off, s[0:3], 0 offset:12
	buffer_load_dword v41, off, s[0:3], 0 offset:8
	v_xor_b32_e32 v40, 0x80000000, v40
	s_waitcnt vmcnt(0)
	ds_write2_b64 v37, v[39:40], v[41:42] offset1:18
	s_waitcnt lgkmcnt(0)
	; wave barrier
	s_and_saveexec_b64 s[8:9], s[4:5]
	s_cbranch_execz .LBB16_15
; %bb.14:
	buffer_load_dword v39, v35, s[0:3], 0 offen
	buffer_load_dword v40, v35, s[0:3], 0 offen offset:4
	ds_read_b64 v[41:42], v38
	v_mov_b32_e32 v36, 0
	ds_read_b64 v[43:44], v36 offset:8
	s_waitcnt vmcnt(0) lgkmcnt(1)
	v_fma_f64 v[39:40], v[39:40], v[41:42], 0
	s_waitcnt lgkmcnt(0)
	v_mul_f64 v[39:40], v[39:40], v[43:44]
	buffer_store_dword v39, off, s[0:3], 0 offset:8
	buffer_store_dword v40, off, s[0:3], 0 offset:12
.LBB16_15:
	s_or_b64 exec, exec, s[8:9]
	; wave barrier
	buffer_load_dword v39, off, s[0:3], 0 offset:16
	buffer_load_dword v40, off, s[0:3], 0 offset:20
	v_cmp_gt_u32_e32 vcc, 2, v0
	s_waitcnt vmcnt(0)
	ds_write_b64 v38, v[39:40]
	s_waitcnt lgkmcnt(0)
	; wave barrier
	s_and_saveexec_b64 s[8:9], vcc
	s_cbranch_execz .LBB16_17
; %bb.16:
	buffer_load_dword v39, v35, s[0:3], 0 offen
	buffer_load_dword v40, v35, s[0:3], 0 offen offset:4
                                        ; kill: killed $vgpr35
	s_nop 0
	buffer_load_dword v35, off, s[0:3], 0 offset:8
	buffer_load_dword v36, off, s[0:3], 0 offset:12
	ds_read_b64 v[41:42], v38
	s_waitcnt vmcnt(2) lgkmcnt(0)
	v_fma_f64 v[43:44], v[39:40], v[41:42], 0
	v_mov_b32_e32 v39, 0
	ds_read2_b64 v[39:42], v39 offset0:2 offset1:19
	s_waitcnt vmcnt(0) lgkmcnt(0)
	v_fma_f64 v[35:36], v[35:36], v[41:42], v[43:44]
	v_cndmask_b32_e64 v36, v44, v36, s[4:5]
	v_cndmask_b32_e64 v35, v43, v35, s[4:5]
	v_mul_f64 v[35:36], v[35:36], v[39:40]
	buffer_store_dword v36, off, s[0:3], 0 offset:20
	buffer_store_dword v35, off, s[0:3], 0 offset:16
.LBB16_17:
	s_or_b64 exec, exec, s[8:9]
	; wave barrier
	buffer_load_dword v35, off, s[0:3], 0 offset:24
	buffer_load_dword v36, off, s[0:3], 0 offset:28
	v_cmp_gt_u32_e32 vcc, 3, v0
	v_add_u32_e32 v39, -1, v0
	s_waitcnt vmcnt(0)
	ds_write_b64 v38, v[35:36]
	s_waitcnt lgkmcnt(0)
	; wave barrier
	s_and_saveexec_b64 s[4:5], vcc
	s_cbranch_execz .LBB16_21
; %bb.18:
	v_mov_b32_e32 v35, 0
	v_add_u32_e32 v40, -1, v0
	v_add_u32_e32 v41, 0x90, v37
	v_mov_b32_e32 v42, v37
	v_mov_b32_e32 v36, 0
	s_mov_b64 s[8:9], 0
.LBB16_19:                              ; =>This Inner Loop Header: Depth=1
	buffer_load_dword v43, v42, s[0:3], 0 offen
	buffer_load_dword v44, v42, s[0:3], 0 offen offset:4
	ds_read_b64 v[45:46], v41
	v_add_u32_e32 v40, 1, v40
	v_cmp_lt_u32_e32 vcc, 1, v40
	v_add_u32_e32 v41, 8, v41
	s_or_b64 s[8:9], vcc, s[8:9]
	v_add_u32_e32 v42, 8, v42
	s_waitcnt vmcnt(0) lgkmcnt(0)
	v_fma_f64 v[35:36], v[43:44], v[45:46], v[35:36]
	s_andn2_b64 exec, exec, s[8:9]
	s_cbranch_execnz .LBB16_19
; %bb.20:
	s_or_b64 exec, exec, s[8:9]
	v_mov_b32_e32 v40, 0
	ds_read_b64 v[40:41], v40 offset:24
	s_waitcnt lgkmcnt(0)
	v_mul_f64 v[35:36], v[35:36], v[40:41]
	buffer_store_dword v36, off, s[0:3], 0 offset:28
	buffer_store_dword v35, off, s[0:3], 0 offset:24
.LBB16_21:
	s_or_b64 exec, exec, s[4:5]
	; wave barrier
	buffer_load_dword v35, off, s[0:3], 0 offset:32
	buffer_load_dword v36, off, s[0:3], 0 offset:36
	v_cmp_gt_u32_e32 vcc, 4, v0
	s_waitcnt vmcnt(0)
	ds_write_b64 v38, v[35:36]
	s_waitcnt lgkmcnt(0)
	; wave barrier
	s_and_saveexec_b64 s[4:5], vcc
	s_cbranch_execz .LBB16_25
; %bb.22:
	v_mov_b32_e32 v35, 0
	v_add_u32_e32 v40, -1, v0
	v_add_u32_e32 v41, 0x90, v37
	v_mov_b32_e32 v42, v37
	v_mov_b32_e32 v36, 0
	s_mov_b64 s[8:9], 0
.LBB16_23:                              ; =>This Inner Loop Header: Depth=1
	buffer_load_dword v43, v42, s[0:3], 0 offen
	buffer_load_dword v44, v42, s[0:3], 0 offen offset:4
	ds_read_b64 v[45:46], v41
	v_add_u32_e32 v40, 1, v40
	v_cmp_lt_u32_e32 vcc, 2, v40
	v_add_u32_e32 v41, 8, v41
	s_or_b64 s[8:9], vcc, s[8:9]
	v_add_u32_e32 v42, 8, v42
	s_waitcnt vmcnt(0) lgkmcnt(0)
	v_fma_f64 v[35:36], v[43:44], v[45:46], v[35:36]
	s_andn2_b64 exec, exec, s[8:9]
	s_cbranch_execnz .LBB16_23
; %bb.24:
	s_or_b64 exec, exec, s[8:9]
	v_mov_b32_e32 v40, 0
	ds_read_b64 v[40:41], v40 offset:32
	s_waitcnt lgkmcnt(0)
	v_mul_f64 v[35:36], v[35:36], v[40:41]
	buffer_store_dword v36, off, s[0:3], 0 offset:36
	buffer_store_dword v35, off, s[0:3], 0 offset:32
.LBB16_25:
	s_or_b64 exec, exec, s[4:5]
	; wave barrier
	buffer_load_dword v35, off, s[0:3], 0 offset:40
	buffer_load_dword v36, off, s[0:3], 0 offset:44
	v_cmp_gt_u32_e32 vcc, 5, v0
	;; [unrolled: 40-line block ×12, first 2 shown]
	s_waitcnt vmcnt(0)
	ds_write_b64 v38, v[35:36]
	s_waitcnt lgkmcnt(0)
	; wave barrier
	s_and_saveexec_b64 s[4:5], vcc
	s_cbranch_execz .LBB16_69
; %bb.66:
	v_mov_b32_e32 v35, 0
	v_add_u32_e32 v40, -1, v0
	v_add_u32_e32 v41, 0x90, v37
	v_mov_b32_e32 v42, v37
	v_mov_b32_e32 v36, 0
	s_mov_b64 s[8:9], 0
.LBB16_67:                              ; =>This Inner Loop Header: Depth=1
	buffer_load_dword v43, v42, s[0:3], 0 offen
	buffer_load_dword v44, v42, s[0:3], 0 offen offset:4
	ds_read_b64 v[45:46], v41
	v_add_u32_e32 v40, 1, v40
	v_cmp_lt_u32_e32 vcc, 13, v40
	v_add_u32_e32 v41, 8, v41
	s_or_b64 s[8:9], vcc, s[8:9]
	v_add_u32_e32 v42, 8, v42
	s_waitcnt vmcnt(0) lgkmcnt(0)
	v_fma_f64 v[35:36], v[43:44], v[45:46], v[35:36]
	s_andn2_b64 exec, exec, s[8:9]
	s_cbranch_execnz .LBB16_67
; %bb.68:
	s_or_b64 exec, exec, s[8:9]
	v_mov_b32_e32 v40, 0
	ds_read_b64 v[40:41], v40 offset:120
	s_waitcnt lgkmcnt(0)
	v_mul_f64 v[35:36], v[35:36], v[40:41]
	buffer_store_dword v36, off, s[0:3], 0 offset:124
	buffer_store_dword v35, off, s[0:3], 0 offset:120
.LBB16_69:
	s_or_b64 exec, exec, s[4:5]
	; wave barrier
	buffer_load_dword v35, off, s[0:3], 0 offset:128
	buffer_load_dword v36, off, s[0:3], 0 offset:132
	v_cmp_ne_u32_e32 vcc, 16, v0
	s_waitcnt vmcnt(0)
	ds_write_b64 v38, v[35:36]
	s_waitcnt lgkmcnt(0)
	; wave barrier
	s_and_saveexec_b64 s[4:5], vcc
	s_cbranch_execz .LBB16_73
; %bb.70:
	v_mov_b32_e32 v35, 0
	v_add_u32_e32 v38, 0x90, v37
	v_mov_b32_e32 v36, 0
	s_mov_b64 s[8:9], 0
.LBB16_71:                              ; =>This Inner Loop Header: Depth=1
	buffer_load_dword v40, v37, s[0:3], 0 offen
	buffer_load_dword v41, v37, s[0:3], 0 offen offset:4
	ds_read_b64 v[42:43], v38
	v_add_u32_e32 v39, 1, v39
	v_cmp_lt_u32_e32 vcc, 14, v39
	v_add_u32_e32 v38, 8, v38
	s_or_b64 s[8:9], vcc, s[8:9]
	v_add_u32_e32 v37, 8, v37
	s_waitcnt vmcnt(0) lgkmcnt(0)
	v_fma_f64 v[35:36], v[40:41], v[42:43], v[35:36]
	s_andn2_b64 exec, exec, s[8:9]
	s_cbranch_execnz .LBB16_71
; %bb.72:
	s_or_b64 exec, exec, s[8:9]
	v_mov_b32_e32 v37, 0
	ds_read_b64 v[37:38], v37 offset:128
	s_waitcnt lgkmcnt(0)
	v_mul_f64 v[35:36], v[35:36], v[37:38]
	buffer_store_dword v36, off, s[0:3], 0 offset:132
	buffer_store_dword v35, off, s[0:3], 0 offset:128
.LBB16_73:
	s_or_b64 exec, exec, s[4:5]
	s_mov_b64 s[8:9], -1
	; wave barrier
.LBB16_74:
	s_and_b64 vcc, exec, s[8:9]
	s_cbranch_vccz .LBB16_76
; %bb.75:
	s_lshl_b64 s[4:5], s[6:7], 2
	s_add_u32 s4, s10, s4
	s_addc_u32 s5, s11, s5
	v_mov_b32_e32 v35, 0
	global_load_dword v35, v35, s[4:5]
	s_waitcnt vmcnt(0)
	v_cmp_ne_u32_e32 vcc, 0, v35
	s_cbranch_vccz .LBB16_77
.LBB16_76:
	s_endpgm
.LBB16_77:
	v_mov_b32_e32 v35, 0x90
	v_lshl_add_u32 v35, v0, 3, v35
	v_cmp_eq_u32_e32 vcc, 16, v0
	s_and_saveexec_b64 s[4:5], vcc
	s_cbranch_execz .LBB16_79
; %bb.78:
	buffer_load_dword v36, off, s[0:3], 0 offset:120
	buffer_load_dword v37, off, s[0:3], 0 offset:124
	v_mov_b32_e32 v38, 0
	buffer_store_dword v38, off, s[0:3], 0 offset:120
	buffer_store_dword v38, off, s[0:3], 0 offset:124
	s_waitcnt vmcnt(2)
	ds_write_b64 v35, v[36:37]
.LBB16_79:
	s_or_b64 exec, exec, s[4:5]
	s_waitcnt lgkmcnt(0)
	; wave barrier
	buffer_load_dword v37, off, s[0:3], 0 offset:128
	buffer_load_dword v38, off, s[0:3], 0 offset:132
	;; [unrolled: 1-line block ×4, first 2 shown]
	v_mov_b32_e32 v36, 0
	ds_read_b64 v[41:42], v36 offset:272
	v_cmp_lt_u32_e32 vcc, 14, v0
	s_waitcnt vmcnt(2) lgkmcnt(0)
	v_fma_f64 v[37:38], v[37:38], v[41:42], 0
	s_waitcnt vmcnt(0)
	v_add_f64 v[37:38], v[39:40], -v[37:38]
	buffer_store_dword v37, off, s[0:3], 0 offset:120
	buffer_store_dword v38, off, s[0:3], 0 offset:124
	s_and_saveexec_b64 s[4:5], vcc
	s_cbranch_execz .LBB16_81
; %bb.80:
	buffer_load_dword v37, off, s[0:3], 0 offset:112
	buffer_load_dword v38, off, s[0:3], 0 offset:116
	s_waitcnt vmcnt(0)
	ds_write_b64 v35, v[37:38]
	buffer_store_dword v36, off, s[0:3], 0 offset:112
	buffer_store_dword v36, off, s[0:3], 0 offset:116
.LBB16_81:
	s_or_b64 exec, exec, s[4:5]
	s_waitcnt lgkmcnt(0)
	; wave barrier
	buffer_load_dword v40, off, s[0:3], 0 offset:120
	buffer_load_dword v41, off, s[0:3], 0 offset:124
	;; [unrolled: 1-line block ×6, first 2 shown]
	ds_read2_b64 v[36:39], v36 offset0:33 offset1:34
	v_cmp_lt_u32_e32 vcc, 13, v0
	s_waitcnt vmcnt(4) lgkmcnt(0)
	v_fma_f64 v[36:37], v[40:41], v[36:37], 0
	s_waitcnt vmcnt(2)
	v_fma_f64 v[36:37], v[42:43], v[38:39], v[36:37]
	s_waitcnt vmcnt(0)
	v_add_f64 v[36:37], v[44:45], -v[36:37]
	buffer_store_dword v36, off, s[0:3], 0 offset:112
	buffer_store_dword v37, off, s[0:3], 0 offset:116
	s_and_saveexec_b64 s[4:5], vcc
	s_cbranch_execz .LBB16_83
; %bb.82:
	buffer_load_dword v36, off, s[0:3], 0 offset:104
	buffer_load_dword v37, off, s[0:3], 0 offset:108
	v_mov_b32_e32 v38, 0
	buffer_store_dword v38, off, s[0:3], 0 offset:104
	buffer_store_dword v38, off, s[0:3], 0 offset:108
	s_waitcnt vmcnt(2)
	ds_write_b64 v35, v[36:37]
.LBB16_83:
	s_or_b64 exec, exec, s[4:5]
	s_waitcnt lgkmcnt(0)
	; wave barrier
	buffer_load_dword v41, off, s[0:3], 0 offset:112
	buffer_load_dword v42, off, s[0:3], 0 offset:116
	;; [unrolled: 1-line block ×8, first 2 shown]
	v_mov_b32_e32 v36, 0
	ds_read_b128 v[37:40], v36 offset:256
	ds_read_b64 v[49:50], v36 offset:272
	v_cmp_lt_u32_e32 vcc, 12, v0
	s_waitcnt vmcnt(6) lgkmcnt(1)
	v_fma_f64 v[37:38], v[41:42], v[37:38], 0
	s_waitcnt vmcnt(4)
	v_fma_f64 v[37:38], v[43:44], v[39:40], v[37:38]
	s_waitcnt vmcnt(2) lgkmcnt(0)
	v_fma_f64 v[37:38], v[45:46], v[49:50], v[37:38]
	s_waitcnt vmcnt(0)
	v_add_f64 v[37:38], v[47:48], -v[37:38]
	buffer_store_dword v37, off, s[0:3], 0 offset:104
	buffer_store_dword v38, off, s[0:3], 0 offset:108
	s_and_saveexec_b64 s[4:5], vcc
	s_cbranch_execz .LBB16_85
; %bb.84:
	buffer_load_dword v37, off, s[0:3], 0 offset:96
	buffer_load_dword v38, off, s[0:3], 0 offset:100
	s_waitcnt vmcnt(0)
	ds_write_b64 v35, v[37:38]
	buffer_store_dword v36, off, s[0:3], 0 offset:96
	buffer_store_dword v36, off, s[0:3], 0 offset:100
.LBB16_85:
	s_or_b64 exec, exec, s[4:5]
	s_waitcnt lgkmcnt(0)
	; wave barrier
	buffer_load_dword v45, off, s[0:3], 0 offset:104
	buffer_load_dword v46, off, s[0:3], 0 offset:108
	;; [unrolled: 1-line block ×10, first 2 shown]
	ds_read2_b64 v[37:40], v36 offset0:31 offset1:32
	ds_read2_b64 v[41:44], v36 offset0:33 offset1:34
	v_cmp_lt_u32_e32 vcc, 11, v0
	s_waitcnt vmcnt(8) lgkmcnt(1)
	v_fma_f64 v[36:37], v[45:46], v[37:38], 0
	s_waitcnt vmcnt(6)
	v_fma_f64 v[36:37], v[47:48], v[39:40], v[36:37]
	s_waitcnt vmcnt(4) lgkmcnt(0)
	v_fma_f64 v[36:37], v[49:50], v[41:42], v[36:37]
	s_waitcnt vmcnt(2)
	v_fma_f64 v[36:37], v[51:52], v[43:44], v[36:37]
	s_waitcnt vmcnt(0)
	v_add_f64 v[36:37], v[53:54], -v[36:37]
	buffer_store_dword v36, off, s[0:3], 0 offset:96
	buffer_store_dword v37, off, s[0:3], 0 offset:100
	s_and_saveexec_b64 s[4:5], vcc
	s_cbranch_execz .LBB16_87
; %bb.86:
	buffer_load_dword v36, off, s[0:3], 0 offset:88
	buffer_load_dword v37, off, s[0:3], 0 offset:92
	v_mov_b32_e32 v38, 0
	buffer_store_dword v38, off, s[0:3], 0 offset:88
	buffer_store_dword v38, off, s[0:3], 0 offset:92
	s_waitcnt vmcnt(2)
	ds_write_b64 v35, v[36:37]
.LBB16_87:
	s_or_b64 exec, exec, s[4:5]
	s_waitcnt lgkmcnt(0)
	; wave barrier
	buffer_load_dword v45, off, s[0:3], 0 offset:96
	buffer_load_dword v46, off, s[0:3], 0 offset:100
	;; [unrolled: 1-line block ×12, first 2 shown]
	v_mov_b32_e32 v36, 0
	ds_read_b128 v[37:40], v36 offset:240
	ds_read_b128 v[41:44], v36 offset:256
	v_cmp_lt_u32_e32 vcc, 10, v0
	s_waitcnt vmcnt(10) lgkmcnt(1)
	v_fma_f64 v[37:38], v[45:46], v[37:38], 0
	s_waitcnt vmcnt(8)
	v_fma_f64 v[37:38], v[47:48], v[39:40], v[37:38]
	ds_read_b64 v[39:40], v36 offset:272
	s_waitcnt vmcnt(6) lgkmcnt(1)
	v_fma_f64 v[37:38], v[49:50], v[41:42], v[37:38]
	s_waitcnt vmcnt(4)
	v_fma_f64 v[37:38], v[51:52], v[43:44], v[37:38]
	s_waitcnt vmcnt(2) lgkmcnt(0)
	v_fma_f64 v[37:38], v[53:54], v[39:40], v[37:38]
	s_waitcnt vmcnt(0)
	v_add_f64 v[37:38], v[55:56], -v[37:38]
	buffer_store_dword v37, off, s[0:3], 0 offset:88
	buffer_store_dword v38, off, s[0:3], 0 offset:92
	s_and_saveexec_b64 s[4:5], vcc
	s_cbranch_execz .LBB16_89
; %bb.88:
	buffer_load_dword v37, off, s[0:3], 0 offset:80
	buffer_load_dword v38, off, s[0:3], 0 offset:84
	s_waitcnt vmcnt(0)
	ds_write_b64 v35, v[37:38]
	buffer_store_dword v36, off, s[0:3], 0 offset:80
	buffer_store_dword v36, off, s[0:3], 0 offset:84
.LBB16_89:
	s_or_b64 exec, exec, s[4:5]
	s_waitcnt lgkmcnt(0)
	; wave barrier
	buffer_load_dword v45, off, s[0:3], 0 offset:88
	buffer_load_dword v46, off, s[0:3], 0 offset:92
	;; [unrolled: 1-line block ×14, first 2 shown]
	ds_read2_b64 v[37:40], v36 offset0:29 offset1:30
	ds_read2_b64 v[41:44], v36 offset0:31 offset1:32
	v_cmp_lt_u32_e32 vcc, 9, v0
	s_waitcnt vmcnt(12) lgkmcnt(1)
	v_fma_f64 v[37:38], v[45:46], v[37:38], 0
	s_waitcnt vmcnt(10)
	v_fma_f64 v[37:38], v[47:48], v[39:40], v[37:38]
	s_waitcnt vmcnt(8) lgkmcnt(0)
	v_fma_f64 v[37:38], v[49:50], v[41:42], v[37:38]
	s_waitcnt vmcnt(6)
	v_fma_f64 v[40:41], v[51:52], v[43:44], v[37:38]
	ds_read2_b64 v[36:39], v36 offset0:33 offset1:34
	s_waitcnt vmcnt(4) lgkmcnt(0)
	v_fma_f64 v[36:37], v[53:54], v[36:37], v[40:41]
	s_waitcnt vmcnt(2)
	v_fma_f64 v[36:37], v[55:56], v[38:39], v[36:37]
	s_waitcnt vmcnt(0)
	v_add_f64 v[36:37], v[57:58], -v[36:37]
	buffer_store_dword v36, off, s[0:3], 0 offset:80
	buffer_store_dword v37, off, s[0:3], 0 offset:84
	s_and_saveexec_b64 s[4:5], vcc
	s_cbranch_execz .LBB16_91
; %bb.90:
	buffer_load_dword v36, off, s[0:3], 0 offset:72
	buffer_load_dword v37, off, s[0:3], 0 offset:76
	v_mov_b32_e32 v38, 0
	buffer_store_dword v38, off, s[0:3], 0 offset:72
	buffer_store_dword v38, off, s[0:3], 0 offset:76
	s_waitcnt vmcnt(2)
	ds_write_b64 v35, v[36:37]
.LBB16_91:
	s_or_b64 exec, exec, s[4:5]
	s_waitcnt lgkmcnt(0)
	; wave barrier
	buffer_load_dword v45, off, s[0:3], 0 offset:80
	buffer_load_dword v46, off, s[0:3], 0 offset:84
	;; [unrolled: 1-line block ×16, first 2 shown]
	v_mov_b32_e32 v36, 0
	ds_read_b128 v[37:40], v36 offset:224
	ds_read_b128 v[41:44], v36 offset:240
	v_cmp_lt_u32_e32 vcc, 8, v0
	s_waitcnt vmcnt(14) lgkmcnt(1)
	v_fma_f64 v[37:38], v[45:46], v[37:38], 0
	s_waitcnt vmcnt(12)
	v_fma_f64 v[37:38], v[47:48], v[39:40], v[37:38]
	s_waitcnt vmcnt(10) lgkmcnt(0)
	v_fma_f64 v[37:38], v[49:50], v[41:42], v[37:38]
	s_waitcnt vmcnt(8)
	v_fma_f64 v[41:42], v[51:52], v[43:44], v[37:38]
	ds_read_b128 v[37:40], v36 offset:256
	ds_read_b64 v[43:44], v36 offset:272
	s_waitcnt vmcnt(6) lgkmcnt(1)
	v_fma_f64 v[37:38], v[53:54], v[37:38], v[41:42]
	s_waitcnt vmcnt(4)
	v_fma_f64 v[37:38], v[55:56], v[39:40], v[37:38]
	s_waitcnt vmcnt(2) lgkmcnt(0)
	v_fma_f64 v[37:38], v[57:58], v[43:44], v[37:38]
	s_waitcnt vmcnt(0)
	v_add_f64 v[37:38], v[59:60], -v[37:38]
	buffer_store_dword v37, off, s[0:3], 0 offset:72
	buffer_store_dword v38, off, s[0:3], 0 offset:76
	s_and_saveexec_b64 s[4:5], vcc
	s_cbranch_execz .LBB16_93
; %bb.92:
	buffer_load_dword v37, off, s[0:3], 0 offset:64
	buffer_load_dword v38, off, s[0:3], 0 offset:68
	s_waitcnt vmcnt(0)
	ds_write_b64 v35, v[37:38]
	buffer_store_dword v36, off, s[0:3], 0 offset:64
	buffer_store_dword v36, off, s[0:3], 0 offset:68
.LBB16_93:
	s_or_b64 exec, exec, s[4:5]
	s_waitcnt lgkmcnt(0)
	; wave barrier
	buffer_load_dword v41, off, s[0:3], 0 offset:64
	buffer_load_dword v42, off, s[0:3], 0 offset:68
	;; [unrolled: 1-line block ×16, first 2 shown]
	ds_read2_b64 v[37:40], v36 offset0:27 offset1:28
	v_cmp_lt_u32_e32 vcc, 7, v0
	s_waitcnt vmcnt(12) lgkmcnt(0)
	v_fma_f64 v[37:38], v[43:44], v[37:38], 0
	s_waitcnt vmcnt(10)
	v_fma_f64 v[43:44], v[45:46], v[39:40], v[37:38]
	ds_read2_b64 v[37:40], v36 offset0:29 offset1:30
	s_waitcnt vmcnt(8) lgkmcnt(0)
	v_fma_f64 v[37:38], v[47:48], v[37:38], v[43:44]
	s_waitcnt vmcnt(6)
	v_fma_f64 v[43:44], v[49:50], v[39:40], v[37:38]
	ds_read2_b64 v[37:40], v36 offset0:31 offset1:32
	;; [unrolled: 5-line block ×3, first 2 shown]
	s_waitcnt vmcnt(0) lgkmcnt(0)
	v_fma_f64 v[36:37], v[55:56], v[36:37], v[43:44]
	buffer_load_dword v44, off, s[0:3], 0 offset:132
	buffer_load_dword v43, off, s[0:3], 0 offset:128
	s_waitcnt vmcnt(0)
	v_fma_f64 v[36:37], v[43:44], v[38:39], v[36:37]
	v_add_f64 v[36:37], v[41:42], -v[36:37]
	buffer_store_dword v36, off, s[0:3], 0 offset:64
	buffer_store_dword v37, off, s[0:3], 0 offset:68
	s_and_saveexec_b64 s[4:5], vcc
	s_cbranch_execz .LBB16_95
; %bb.94:
	buffer_load_dword v36, off, s[0:3], 0 offset:56
	buffer_load_dword v37, off, s[0:3], 0 offset:60
	v_mov_b32_e32 v38, 0
	buffer_store_dword v38, off, s[0:3], 0 offset:56
	buffer_store_dword v38, off, s[0:3], 0 offset:60
	s_waitcnt vmcnt(2)
	ds_write_b64 v35, v[36:37]
.LBB16_95:
	s_or_b64 exec, exec, s[4:5]
	s_waitcnt lgkmcnt(0)
	; wave barrier
	buffer_load_dword v41, off, s[0:3], 0 offset:64
	buffer_load_dword v42, off, s[0:3], 0 offset:68
	;; [unrolled: 1-line block ×20, first 2 shown]
	v_mov_b32_e32 v36, 0
	ds_read_b128 v[37:40], v36 offset:208
	v_cmp_lt_u32_e32 vcc, 6, v0
	s_waitcnt vmcnt(18) lgkmcnt(0)
	v_fma_f64 v[37:38], v[41:42], v[37:38], 0
	s_waitcnt vmcnt(16)
	v_fma_f64 v[41:42], v[43:44], v[39:40], v[37:38]
	ds_read_b128 v[37:40], v36 offset:224
	s_waitcnt vmcnt(14) lgkmcnt(0)
	v_fma_f64 v[37:38], v[45:46], v[37:38], v[41:42]
	s_waitcnt vmcnt(12)
	v_fma_f64 v[41:42], v[47:48], v[39:40], v[37:38]
	ds_read_b128 v[37:40], v36 offset:240
	;; [unrolled: 5-line block ×3, first 2 shown]
	s_waitcnt vmcnt(6) lgkmcnt(0)
	v_fma_f64 v[37:38], v[53:54], v[37:38], v[41:42]
	s_waitcnt vmcnt(4)
	v_fma_f64 v[37:38], v[55:56], v[39:40], v[37:38]
	ds_read_b64 v[39:40], v36 offset:272
	s_waitcnt vmcnt(2) lgkmcnt(0)
	v_fma_f64 v[37:38], v[57:58], v[39:40], v[37:38]
	s_waitcnt vmcnt(0)
	v_add_f64 v[37:38], v[59:60], -v[37:38]
	buffer_store_dword v37, off, s[0:3], 0 offset:56
	buffer_store_dword v38, off, s[0:3], 0 offset:60
	s_and_saveexec_b64 s[4:5], vcc
	s_cbranch_execz .LBB16_97
; %bb.96:
	buffer_load_dword v37, off, s[0:3], 0 offset:48
	buffer_load_dword v38, off, s[0:3], 0 offset:52
	s_waitcnt vmcnt(0)
	ds_write_b64 v35, v[37:38]
	buffer_store_dword v36, off, s[0:3], 0 offset:48
	buffer_store_dword v36, off, s[0:3], 0 offset:52
.LBB16_97:
	s_or_b64 exec, exec, s[4:5]
	s_waitcnt lgkmcnt(0)
	; wave barrier
	buffer_load_dword v41, off, s[0:3], 0 offset:56
	buffer_load_dword v42, off, s[0:3], 0 offset:60
	;; [unrolled: 1-line block ×20, first 2 shown]
	ds_read2_b64 v[37:40], v36 offset0:25 offset1:26
	buffer_load_dword v61, off, s[0:3], 0 offset:48
	buffer_load_dword v62, off, s[0:3], 0 offset:52
	v_cmp_lt_u32_e32 vcc, 5, v0
	s_waitcnt vmcnt(20) lgkmcnt(0)
	v_fma_f64 v[37:38], v[41:42], v[37:38], 0
	s_waitcnt vmcnt(18)
	v_fma_f64 v[41:42], v[43:44], v[39:40], v[37:38]
	ds_read2_b64 v[37:40], v36 offset0:27 offset1:28
	s_waitcnt vmcnt(16) lgkmcnt(0)
	v_fma_f64 v[37:38], v[45:46], v[37:38], v[41:42]
	s_waitcnt vmcnt(14)
	v_fma_f64 v[41:42], v[47:48], v[39:40], v[37:38]
	ds_read2_b64 v[37:40], v36 offset0:29 offset1:30
	;; [unrolled: 5-line block ×4, first 2 shown]
	s_waitcnt vmcnt(4) lgkmcnt(0)
	v_fma_f64 v[36:37], v[57:58], v[36:37], v[40:41]
	s_waitcnt vmcnt(2)
	v_fma_f64 v[36:37], v[59:60], v[38:39], v[36:37]
	s_waitcnt vmcnt(0)
	v_add_f64 v[36:37], v[61:62], -v[36:37]
	buffer_store_dword v36, off, s[0:3], 0 offset:48
	buffer_store_dword v37, off, s[0:3], 0 offset:52
	s_and_saveexec_b64 s[4:5], vcc
	s_cbranch_execz .LBB16_99
; %bb.98:
	buffer_load_dword v36, off, s[0:3], 0 offset:40
	buffer_load_dword v37, off, s[0:3], 0 offset:44
	v_mov_b32_e32 v38, 0
	buffer_store_dword v38, off, s[0:3], 0 offset:40
	buffer_store_dword v38, off, s[0:3], 0 offset:44
	s_waitcnt vmcnt(2)
	ds_write_b64 v35, v[36:37]
.LBB16_99:
	s_or_b64 exec, exec, s[4:5]
	s_waitcnt lgkmcnt(0)
	; wave barrier
	buffer_load_dword v45, off, s[0:3], 0 offset:48
	buffer_load_dword v46, off, s[0:3], 0 offset:52
	;; [unrolled: 1-line block ×21, first 2 shown]
	v_mov_b32_e32 v36, 0
	ds_read_b128 v[37:40], v36 offset:192
	ds_read_b128 v[41:44], v36 offset:208
	buffer_load_dword v62, off, s[0:3], 0 offset:132
	v_cmp_lt_u32_e32 vcc, 4, v0
	s_waitcnt vmcnt(20) lgkmcnt(1)
	v_fma_f64 v[37:38], v[45:46], v[37:38], 0
	buffer_load_dword v45, off, s[0:3], 0 offset:40
	buffer_load_dword v46, off, s[0:3], 0 offset:44
	s_waitcnt vmcnt(20)
	v_fma_f64 v[37:38], v[47:48], v[39:40], v[37:38]
	s_waitcnt vmcnt(18) lgkmcnt(0)
	v_fma_f64 v[37:38], v[49:50], v[41:42], v[37:38]
	s_waitcnt vmcnt(16)
	v_fma_f64 v[47:48], v[51:52], v[43:44], v[37:38]
	ds_read_b128 v[37:40], v36 offset:224
	ds_read_b128 v[41:44], v36 offset:240
	s_waitcnt vmcnt(14) lgkmcnt(1)
	v_fma_f64 v[37:38], v[53:54], v[37:38], v[47:48]
	s_waitcnt vmcnt(12)
	v_fma_f64 v[37:38], v[55:56], v[39:40], v[37:38]
	s_waitcnt vmcnt(10) lgkmcnt(0)
	v_fma_f64 v[37:38], v[57:58], v[41:42], v[37:38]
	s_waitcnt vmcnt(5)
	v_fma_f64 v[41:42], v[59:60], v[43:44], v[37:38]
	ds_read_b128 v[37:40], v36 offset:256
	ds_read_b64 v[43:44], v36 offset:272
	s_waitcnt vmcnt(4) lgkmcnt(1)
	v_fma_f64 v[37:38], v[65:66], v[37:38], v[41:42]
	s_waitcnt vmcnt(3)
	v_fma_f64 v[37:38], v[63:64], v[39:40], v[37:38]
	s_waitcnt vmcnt(2) lgkmcnt(0)
	v_fma_f64 v[37:38], v[61:62], v[43:44], v[37:38]
	s_waitcnt vmcnt(0)
	v_add_f64 v[37:38], v[45:46], -v[37:38]
	buffer_store_dword v38, off, s[0:3], 0 offset:44
	buffer_store_dword v37, off, s[0:3], 0 offset:40
	s_and_saveexec_b64 s[4:5], vcc
	s_cbranch_execz .LBB16_101
; %bb.100:
	buffer_load_dword v37, off, s[0:3], 0 offset:32
	buffer_load_dword v38, off, s[0:3], 0 offset:36
	s_waitcnt vmcnt(0)
	ds_write_b64 v35, v[37:38]
	buffer_store_dword v36, off, s[0:3], 0 offset:32
	buffer_store_dword v36, off, s[0:3], 0 offset:36
.LBB16_101:
	s_or_b64 exec, exec, s[4:5]
	s_waitcnt lgkmcnt(0)
	; wave barrier
	buffer_load_dword v45, off, s[0:3], 0 offset:40
	buffer_load_dword v46, off, s[0:3], 0 offset:44
	;; [unrolled: 1-line block ×21, first 2 shown]
	ds_read2_b64 v[37:40], v36 offset0:23 offset1:24
	ds_read2_b64 v[41:44], v36 offset0:25 offset1:26
	buffer_load_dword v62, off, s[0:3], 0 offset:124
	v_cmp_lt_u32_e32 vcc, 3, v0
	s_waitcnt vmcnt(20) lgkmcnt(1)
	v_fma_f64 v[37:38], v[45:46], v[37:38], 0
	buffer_load_dword v46, off, s[0:3], 0 offset:132
	buffer_load_dword v45, off, s[0:3], 0 offset:128
	s_waitcnt vmcnt(20)
	v_fma_f64 v[37:38], v[47:48], v[39:40], v[37:38]
	buffer_load_dword v47, off, s[0:3], 0 offset:32
	buffer_load_dword v48, off, s[0:3], 0 offset:36
	s_waitcnt vmcnt(20) lgkmcnt(0)
	v_fma_f64 v[37:38], v[49:50], v[41:42], v[37:38]
	s_waitcnt vmcnt(18)
	v_fma_f64 v[49:50], v[51:52], v[43:44], v[37:38]
	ds_read2_b64 v[37:40], v36 offset0:27 offset1:28
	ds_read2_b64 v[41:44], v36 offset0:29 offset1:30
	s_waitcnt vmcnt(16) lgkmcnt(1)
	v_fma_f64 v[37:38], v[53:54], v[37:38], v[49:50]
	s_waitcnt vmcnt(14)
	v_fma_f64 v[37:38], v[55:56], v[39:40], v[37:38]
	s_waitcnt vmcnt(12) lgkmcnt(0)
	v_fma_f64 v[37:38], v[57:58], v[41:42], v[37:38]
	s_waitcnt vmcnt(7)
	v_fma_f64 v[49:50], v[59:60], v[43:44], v[37:38]
	ds_read2_b64 v[37:40], v36 offset0:31 offset1:32
	ds_read2_b64 v[41:44], v36 offset0:33 offset1:34
	s_waitcnt vmcnt(6) lgkmcnt(1)
	v_fma_f64 v[36:37], v[65:66], v[37:38], v[49:50]
	s_waitcnt vmcnt(5)
	v_fma_f64 v[36:37], v[63:64], v[39:40], v[36:37]
	s_waitcnt vmcnt(4) lgkmcnt(0)
	v_fma_f64 v[36:37], v[61:62], v[41:42], v[36:37]
	s_waitcnt vmcnt(2)
	v_fma_f64 v[36:37], v[45:46], v[43:44], v[36:37]
	s_waitcnt vmcnt(0)
	v_add_f64 v[36:37], v[47:48], -v[36:37]
	buffer_store_dword v37, off, s[0:3], 0 offset:36
	buffer_store_dword v36, off, s[0:3], 0 offset:32
	s_and_saveexec_b64 s[4:5], vcc
	s_cbranch_execz .LBB16_103
; %bb.102:
	buffer_load_dword v36, off, s[0:3], 0 offset:24
	buffer_load_dword v37, off, s[0:3], 0 offset:28
	v_mov_b32_e32 v38, 0
	buffer_store_dword v38, off, s[0:3], 0 offset:24
	buffer_store_dword v38, off, s[0:3], 0 offset:28
	s_waitcnt vmcnt(2)
	ds_write_b64 v35, v[36:37]
.LBB16_103:
	s_or_b64 exec, exec, s[4:5]
	s_waitcnt lgkmcnt(0)
	; wave barrier
	buffer_load_dword v45, off, s[0:3], 0 offset:32
	buffer_load_dword v46, off, s[0:3], 0 offset:36
	;; [unrolled: 1-line block ×21, first 2 shown]
	v_mov_b32_e32 v36, 0
	ds_read_b128 v[37:40], v36 offset:176
	ds_read_b128 v[41:44], v36 offset:192
	buffer_load_dword v62, off, s[0:3], 0 offset:116
	v_cmp_lt_u32_e32 vcc, 2, v0
	s_waitcnt vmcnt(20) lgkmcnt(1)
	v_fma_f64 v[37:38], v[45:46], v[37:38], 0
	s_waitcnt vmcnt(18)
	v_fma_f64 v[37:38], v[47:48], v[39:40], v[37:38]
	buffer_load_dword v46, off, s[0:3], 0 offset:124
	buffer_load_dword v47, off, s[0:3], 0 offset:128
	;; [unrolled: 1-line block ×4, first 2 shown]
	s_waitcnt vmcnt(20) lgkmcnt(0)
	v_fma_f64 v[37:38], v[49:50], v[41:42], v[37:38]
	buffer_load_dword v49, off, s[0:3], 0 offset:24
	buffer_load_dword v50, off, s[0:3], 0 offset:28
	s_waitcnt vmcnt(20)
	v_fma_f64 v[51:52], v[51:52], v[43:44], v[37:38]
	ds_read_b128 v[37:40], v36 offset:208
	ds_read_b128 v[41:44], v36 offset:224
	s_waitcnt vmcnt(18) lgkmcnt(1)
	v_fma_f64 v[37:38], v[53:54], v[37:38], v[51:52]
	s_waitcnt vmcnt(16)
	v_fma_f64 v[37:38], v[55:56], v[39:40], v[37:38]
	s_waitcnt vmcnt(14) lgkmcnt(0)
	v_fma_f64 v[37:38], v[57:58], v[41:42], v[37:38]
	s_waitcnt vmcnt(9)
	v_fma_f64 v[51:52], v[59:60], v[43:44], v[37:38]
	ds_read_b128 v[37:40], v36 offset:240
	ds_read_b128 v[41:44], v36 offset:256
	s_waitcnt vmcnt(8) lgkmcnt(1)
	v_fma_f64 v[37:38], v[65:66], v[37:38], v[51:52]
	s_waitcnt vmcnt(7)
	v_fma_f64 v[37:38], v[63:64], v[39:40], v[37:38]
	ds_read_b64 v[39:40], v36 offset:272
	s_waitcnt vmcnt(6) lgkmcnt(1)
	v_fma_f64 v[37:38], v[61:62], v[41:42], v[37:38]
	s_waitcnt vmcnt(3)
	v_fma_f64 v[37:38], v[45:46], v[43:44], v[37:38]
	s_waitcnt vmcnt(2) lgkmcnt(0)
	v_fma_f64 v[37:38], v[47:48], v[39:40], v[37:38]
	s_waitcnt vmcnt(0)
	v_add_f64 v[37:38], v[49:50], -v[37:38]
	buffer_store_dword v38, off, s[0:3], 0 offset:28
	buffer_store_dword v37, off, s[0:3], 0 offset:24
	s_and_saveexec_b64 s[4:5], vcc
	s_cbranch_execz .LBB16_105
; %bb.104:
	buffer_load_dword v37, off, s[0:3], 0 offset:16
	buffer_load_dword v38, off, s[0:3], 0 offset:20
	s_waitcnt vmcnt(0)
	ds_write_b64 v35, v[37:38]
	buffer_store_dword v36, off, s[0:3], 0 offset:16
	buffer_store_dword v36, off, s[0:3], 0 offset:20
.LBB16_105:
	s_or_b64 exec, exec, s[4:5]
	s_waitcnt lgkmcnt(0)
	; wave barrier
	buffer_load_dword v45, off, s[0:3], 0 offset:24
	buffer_load_dword v46, off, s[0:3], 0 offset:28
	;; [unrolled: 1-line block ×22, first 2 shown]
	ds_read2_b64 v[37:40], v36 offset0:21 offset1:22
	ds_read2_b64 v[41:44], v36 offset0:23 offset1:24
	v_cmp_lt_u32_e32 vcc, 1, v0
	s_waitcnt vmcnt(20) lgkmcnt(1)
	v_fma_f64 v[37:38], v[45:46], v[37:38], 0
	s_waitcnt vmcnt(18)
	v_fma_f64 v[37:38], v[47:48], v[39:40], v[37:38]
	buffer_load_dword v46, off, s[0:3], 0 offset:116
	buffer_load_dword v47, off, s[0:3], 0 offset:128
	;; [unrolled: 1-line block ×6, first 2 shown]
	s_waitcnt vmcnt(22) lgkmcnt(0)
	v_fma_f64 v[37:38], v[49:50], v[41:42], v[37:38]
	s_waitcnt vmcnt(20)
	v_fma_f64 v[49:50], v[51:52], v[43:44], v[37:38]
	ds_read2_b64 v[37:40], v36 offset0:25 offset1:26
	buffer_load_dword v51, off, s[0:3], 0 offset:16
	buffer_load_dword v52, off, s[0:3], 0 offset:20
	ds_read2_b64 v[41:44], v36 offset0:27 offset1:28
	s_waitcnt vmcnt(20) lgkmcnt(1)
	v_fma_f64 v[37:38], v[53:54], v[37:38], v[49:50]
	s_waitcnt vmcnt(18)
	v_fma_f64 v[37:38], v[55:56], v[39:40], v[37:38]
	s_waitcnt vmcnt(16) lgkmcnt(0)
	v_fma_f64 v[37:38], v[57:58], v[41:42], v[37:38]
	s_waitcnt vmcnt(11)
	v_fma_f64 v[49:50], v[59:60], v[43:44], v[37:38]
	ds_read2_b64 v[37:40], v36 offset0:29 offset1:30
	ds_read2_b64 v[41:44], v36 offset0:31 offset1:32
	s_waitcnt vmcnt(10) lgkmcnt(1)
	v_fma_f64 v[37:38], v[65:66], v[37:38], v[49:50]
	s_waitcnt vmcnt(9)
	v_fma_f64 v[37:38], v[63:64], v[39:40], v[37:38]
	s_waitcnt vmcnt(8) lgkmcnt(0)
	v_fma_f64 v[37:38], v[61:62], v[41:42], v[37:38]
	s_waitcnt vmcnt(4)
	v_fma_f64 v[40:41], v[45:46], v[43:44], v[37:38]
	ds_read2_b64 v[36:39], v36 offset0:33 offset1:34
	s_waitcnt vmcnt(3) lgkmcnt(0)
	v_fma_f64 v[36:37], v[67:68], v[36:37], v[40:41]
	s_waitcnt vmcnt(2)
	v_fma_f64 v[36:37], v[47:48], v[38:39], v[36:37]
	s_waitcnt vmcnt(0)
	v_add_f64 v[36:37], v[51:52], -v[36:37]
	buffer_store_dword v37, off, s[0:3], 0 offset:20
	buffer_store_dword v36, off, s[0:3], 0 offset:16
	s_and_saveexec_b64 s[4:5], vcc
	s_cbranch_execz .LBB16_107
; %bb.106:
	buffer_load_dword v36, off, s[0:3], 0 offset:8
	buffer_load_dword v37, off, s[0:3], 0 offset:12
	v_mov_b32_e32 v38, 0
	buffer_store_dword v38, off, s[0:3], 0 offset:8
	buffer_store_dword v38, off, s[0:3], 0 offset:12
	s_waitcnt vmcnt(2)
	ds_write_b64 v35, v[36:37]
.LBB16_107:
	s_or_b64 exec, exec, s[4:5]
	s_waitcnt lgkmcnt(0)
	; wave barrier
	buffer_load_dword v45, off, s[0:3], 0 offset:16
	buffer_load_dword v46, off, s[0:3], 0 offset:20
	;; [unrolled: 1-line block ×22, first 2 shown]
	v_mov_b32_e32 v36, 0
	ds_read_b128 v[37:40], v36 offset:160
	ds_read_b128 v[41:44], v36 offset:176
	v_cmp_ne_u32_e32 vcc, 0, v0
	s_waitcnt vmcnt(20) lgkmcnt(1)
	v_fma_f64 v[37:38], v[45:46], v[37:38], 0
	s_waitcnt vmcnt(18)
	v_fma_f64 v[37:38], v[47:48], v[39:40], v[37:38]
	buffer_load_dword v46, off, s[0:3], 0 offset:108
	buffer_load_dword v47, off, s[0:3], 0 offset:128
	buffer_load_dword v67, off, s[0:3], 0 offset:120
	buffer_load_dword v69, off, s[0:3], 0 offset:112
	buffer_load_dword v45, off, s[0:3], 0 offset:104
	buffer_load_dword v70, off, s[0:3], 0 offset:116
	buffer_load_dword v68, off, s[0:3], 0 offset:124
	buffer_load_dword v48, off, s[0:3], 0 offset:132
	s_waitcnt vmcnt(24) lgkmcnt(0)
	v_fma_f64 v[37:38], v[49:50], v[41:42], v[37:38]
	s_waitcnt vmcnt(22)
	v_fma_f64 v[49:50], v[51:52], v[43:44], v[37:38]
	ds_read_b128 v[37:40], v36 offset:192
	ds_read_b128 v[41:44], v36 offset:208
	s_waitcnt vmcnt(20) lgkmcnt(1)
	v_fma_f64 v[37:38], v[53:54], v[37:38], v[49:50]
	buffer_load_dword v49, off, s[0:3], 0 offset:8
	buffer_load_dword v50, off, s[0:3], 0 offset:12
	s_waitcnt vmcnt(20)
	v_fma_f64 v[37:38], v[55:56], v[39:40], v[37:38]
	s_waitcnt vmcnt(18) lgkmcnt(0)
	v_fma_f64 v[37:38], v[57:58], v[41:42], v[37:38]
	s_waitcnt vmcnt(13)
	v_fma_f64 v[51:52], v[59:60], v[43:44], v[37:38]
	ds_read_b128 v[37:40], v36 offset:224
	ds_read_b128 v[41:44], v36 offset:240
	s_waitcnt vmcnt(12) lgkmcnt(1)
	v_fma_f64 v[37:38], v[65:66], v[37:38], v[51:52]
	s_waitcnt vmcnt(11)
	v_fma_f64 v[37:38], v[63:64], v[39:40], v[37:38]
	s_waitcnt vmcnt(10) lgkmcnt(0)
	v_fma_f64 v[37:38], v[61:62], v[41:42], v[37:38]
	s_waitcnt vmcnt(5)
	v_fma_f64 v[41:42], v[45:46], v[43:44], v[37:38]
	ds_read_b128 v[37:40], v36 offset:256
	ds_read_b64 v[43:44], v36 offset:272
	s_waitcnt vmcnt(4) lgkmcnt(1)
	v_fma_f64 v[37:38], v[69:70], v[37:38], v[41:42]
	s_waitcnt vmcnt(3)
	v_fma_f64 v[37:38], v[67:68], v[39:40], v[37:38]
	s_waitcnt vmcnt(2) lgkmcnt(0)
	v_fma_f64 v[37:38], v[47:48], v[43:44], v[37:38]
	s_waitcnt vmcnt(0)
	v_add_f64 v[37:38], v[49:50], -v[37:38]
	buffer_store_dword v38, off, s[0:3], 0 offset:12
	buffer_store_dword v37, off, s[0:3], 0 offset:8
	s_and_saveexec_b64 s[4:5], vcc
	s_cbranch_execz .LBB16_109
; %bb.108:
	buffer_load_dword v37, off, s[0:3], 0
	buffer_load_dword v38, off, s[0:3], 0 offset:4
	s_waitcnt vmcnt(0)
	ds_write_b64 v35, v[37:38]
	buffer_store_dword v36, off, s[0:3], 0
	buffer_store_dword v36, off, s[0:3], 0 offset:4
.LBB16_109:
	s_or_b64 exec, exec, s[4:5]
	s_waitcnt lgkmcnt(0)
	; wave barrier
	buffer_load_dword v45, off, s[0:3], 0 offset:8
	buffer_load_dword v46, off, s[0:3], 0 offset:12
	;; [unrolled: 1-line block ×22, first 2 shown]
	ds_read2_b64 v[37:40], v36 offset0:19 offset1:20
	ds_read2_b64 v[41:44], v36 offset0:21 offset1:22
	s_and_b64 vcc, exec, s[22:23]
	s_waitcnt vmcnt(20) lgkmcnt(1)
	v_fma_f64 v[37:38], v[45:46], v[37:38], 0
	s_waitcnt vmcnt(18)
	v_fma_f64 v[38:39], v[47:48], v[39:40], v[37:38]
	buffer_load_dword v48, off, s[0:3], 0 offset:100
	buffer_load_dword v37, off, s[0:3], 0 offset:120
	;; [unrolled: 1-line block ×7, first 2 shown]
	s_waitcnt vmcnt(23) lgkmcnt(0)
	v_fma_f64 v[38:39], v[49:50], v[41:42], v[38:39]
	s_waitcnt vmcnt(21)
	v_fma_f64 v[49:50], v[51:52], v[43:44], v[38:39]
	ds_read2_b64 v[39:42], v36 offset0:23 offset1:24
	ds_read2_b64 v[43:46], v36 offset0:25 offset1:26
	buffer_load_dword v38, off, s[0:3], 0 offset:124
	s_waitcnt vmcnt(20) lgkmcnt(1)
	v_fma_f64 v[39:40], v[53:54], v[39:40], v[49:50]
	buffer_load_dword v50, off, s[0:3], 0 offset:132
	buffer_load_dword v49, off, s[0:3], 0 offset:128
	buffer_load_dword v51, off, s[0:3], 0
	buffer_load_dword v52, off, s[0:3], 0 offset:4
	s_waitcnt vmcnt(22)
	v_fma_f64 v[39:40], v[55:56], v[41:42], v[39:40]
	s_waitcnt vmcnt(20) lgkmcnt(0)
	v_fma_f64 v[39:40], v[57:58], v[43:44], v[39:40]
	s_waitcnt vmcnt(15)
	v_fma_f64 v[53:54], v[59:60], v[45:46], v[39:40]
	ds_read2_b64 v[39:42], v36 offset0:27 offset1:28
	ds_read2_b64 v[43:46], v36 offset0:29 offset1:30
	s_waitcnt vmcnt(14) lgkmcnt(1)
	v_fma_f64 v[39:40], v[65:66], v[39:40], v[53:54]
	s_waitcnt vmcnt(13)
	v_fma_f64 v[39:40], v[63:64], v[41:42], v[39:40]
	s_waitcnt vmcnt(12) lgkmcnt(0)
	v_fma_f64 v[39:40], v[61:62], v[43:44], v[39:40]
	s_waitcnt vmcnt(7)
	v_fma_f64 v[47:48], v[47:48], v[45:46], v[39:40]
	ds_read2_b64 v[39:42], v36 offset0:31 offset1:32
	ds_read2_b64 v[43:46], v36 offset0:33 offset1:34
	s_waitcnt vmcnt(6) lgkmcnt(1)
	v_fma_f64 v[35:36], v[69:70], v[39:40], v[47:48]
	s_waitcnt vmcnt(5)
	v_fma_f64 v[35:36], v[67:68], v[41:42], v[35:36]
	s_waitcnt vmcnt(4) lgkmcnt(0)
	v_fma_f64 v[35:36], v[37:38], v[43:44], v[35:36]
	s_waitcnt vmcnt(2)
	v_fma_f64 v[35:36], v[49:50], v[45:46], v[35:36]
	s_waitcnt vmcnt(0)
	v_add_f64 v[35:36], v[51:52], -v[35:36]
	buffer_store_dword v36, off, s[0:3], 0 offset:4
	buffer_store_dword v35, off, s[0:3], 0
	s_cbranch_vccz .LBB16_142
; %bb.110:
	v_mov_b32_e32 v0, 0
	global_load_dword v35, v0, s[20:21] offset:60
	s_waitcnt vmcnt(0)
	v_add_u32_e32 v35, -1, v35
	v_cmp_ne_u32_e32 vcc, 15, v35
	s_cbranch_vccz .LBB16_112
; %bb.111:
	v_lshlrev_b32_e32 v35, 3, v35
	buffer_load_dword v36, v35, s[0:3], 0 offen
	buffer_load_dword v39, v35, s[0:3], 0 offen offset:4
	s_waitcnt vmcnt(1)
	buffer_store_dword v36, off, s[0:3], 0 offset:120
	s_waitcnt vmcnt(1)
	buffer_store_dword v39, off, s[0:3], 0 offset:124
	buffer_store_dword v37, v35, s[0:3], 0 offen
	buffer_store_dword v38, v35, s[0:3], 0 offen offset:4
.LBB16_112:
	global_load_dword v0, v0, s[20:21] offset:56
	s_waitcnt vmcnt(0)
	v_add_u32_e32 v0, -1, v0
	v_cmp_eq_u32_e32 vcc, 14, v0
	s_cbranch_vccnz .LBB16_114
; %bb.113:
	v_lshlrev_b32_e32 v0, 3, v0
	buffer_load_dword v35, v0, s[0:3], 0 offen
	buffer_load_dword v36, v0, s[0:3], 0 offen offset:4
	buffer_load_dword v37, off, s[0:3], 0 offset:116
	buffer_load_dword v38, off, s[0:3], 0 offset:112
	s_waitcnt vmcnt(3)
	buffer_store_dword v35, off, s[0:3], 0 offset:112
	s_waitcnt vmcnt(3)
	buffer_store_dword v36, off, s[0:3], 0 offset:116
	s_waitcnt vmcnt(3)
	buffer_store_dword v37, v0, s[0:3], 0 offen offset:4
	s_waitcnt vmcnt(3)
	buffer_store_dword v38, v0, s[0:3], 0 offen
.LBB16_114:
	v_mov_b32_e32 v0, 0
	global_load_dword v35, v0, s[20:21] offset:52
	s_waitcnt vmcnt(0)
	v_add_u32_e32 v35, -1, v35
	v_cmp_eq_u32_e32 vcc, 13, v35
	s_cbranch_vccnz .LBB16_116
; %bb.115:
	v_lshlrev_b32_e32 v35, 3, v35
	buffer_load_dword v36, v35, s[0:3], 0 offen
	buffer_load_dword v37, v35, s[0:3], 0 offen offset:4
	buffer_load_dword v38, off, s[0:3], 0 offset:104
	buffer_load_dword v39, off, s[0:3], 0 offset:108
	s_waitcnt vmcnt(3)
	buffer_store_dword v36, off, s[0:3], 0 offset:104
	s_waitcnt vmcnt(3)
	buffer_store_dword v37, off, s[0:3], 0 offset:108
	s_waitcnt vmcnt(3)
	buffer_store_dword v38, v35, s[0:3], 0 offen
	s_waitcnt vmcnt(3)
	buffer_store_dword v39, v35, s[0:3], 0 offen offset:4
.LBB16_116:
	global_load_dword v0, v0, s[20:21] offset:48
	s_waitcnt vmcnt(0)
	v_add_u32_e32 v0, -1, v0
	v_cmp_eq_u32_e32 vcc, 12, v0
	s_cbranch_vccnz .LBB16_118
; %bb.117:
	v_lshlrev_b32_e32 v0, 3, v0
	buffer_load_dword v35, v0, s[0:3], 0 offen
	buffer_load_dword v36, v0, s[0:3], 0 offen offset:4
	buffer_load_dword v37, off, s[0:3], 0 offset:100
	buffer_load_dword v38, off, s[0:3], 0 offset:96
	s_waitcnt vmcnt(3)
	buffer_store_dword v35, off, s[0:3], 0 offset:96
	s_waitcnt vmcnt(3)
	buffer_store_dword v36, off, s[0:3], 0 offset:100
	s_waitcnt vmcnt(3)
	buffer_store_dword v37, v0, s[0:3], 0 offen offset:4
	s_waitcnt vmcnt(3)
	buffer_store_dword v38, v0, s[0:3], 0 offen
.LBB16_118:
	v_mov_b32_e32 v0, 0
	global_load_dword v35, v0, s[20:21] offset:44
	s_waitcnt vmcnt(0)
	v_add_u32_e32 v35, -1, v35
	v_cmp_eq_u32_e32 vcc, 11, v35
	s_cbranch_vccnz .LBB16_120
; %bb.119:
	v_lshlrev_b32_e32 v35, 3, v35
	buffer_load_dword v36, v35, s[0:3], 0 offen
	buffer_load_dword v37, v35, s[0:3], 0 offen offset:4
	buffer_load_dword v38, off, s[0:3], 0 offset:88
	buffer_load_dword v39, off, s[0:3], 0 offset:92
	s_waitcnt vmcnt(3)
	buffer_store_dword v36, off, s[0:3], 0 offset:88
	s_waitcnt vmcnt(3)
	buffer_store_dword v37, off, s[0:3], 0 offset:92
	s_waitcnt vmcnt(3)
	buffer_store_dword v38, v35, s[0:3], 0 offen
	s_waitcnt vmcnt(3)
	buffer_store_dword v39, v35, s[0:3], 0 offen offset:4
.LBB16_120:
	;; [unrolled: 41-line block ×7, first 2 shown]
	global_load_dword v0, v0, s[20:21]
	s_nop 0
	buffer_load_dword v35, off, s[0:3], 0
	buffer_load_dword v36, off, s[0:3], 0 offset:4
	s_waitcnt vmcnt(2)
	v_add_u32_e32 v0, -1, v0
	v_cmp_eq_u32_e32 vcc, 0, v0
	s_cbranch_vccnz .LBB16_142
; %bb.141:
	v_lshlrev_b32_e32 v0, 3, v0
	buffer_load_dword v37, v0, s[0:3], 0 offen offset:4
	buffer_load_dword v38, v0, s[0:3], 0 offen
	s_waitcnt vmcnt(1)
	buffer_store_dword v37, off, s[0:3], 0 offset:4
	s_waitcnt vmcnt(1)
	buffer_store_dword v38, off, s[0:3], 0
	buffer_store_dword v36, v0, s[0:3], 0 offen offset:4
	buffer_store_dword v35, v0, s[0:3], 0 offen
	buffer_load_dword v35, off, s[0:3], 0
	s_nop 0
	buffer_load_dword v36, off, s[0:3], 0 offset:4
.LBB16_142:
	buffer_load_dword v37, off, s[0:3], 0 offset:8
	buffer_load_dword v38, off, s[0:3], 0 offset:12
	;; [unrolled: 1-line block ×32, first 2 shown]
	s_waitcnt vmcnt(32)
	global_store_dwordx2 v[27:28], v[35:36], off
	s_waitcnt vmcnt(31)
	global_store_dwordx2 v[29:30], v[37:38], off
	;; [unrolled: 2-line block ×17, first 2 shown]
	s_endpgm
	.section	.rodata,"a",@progbits
	.p2align	6, 0x0
	.amdhsa_kernel _ZN9rocsolver6v33100L18getri_kernel_smallILi17EdPdEEvT1_iilPiilS4_bb
		.amdhsa_group_segment_fixed_size 280
		.amdhsa_private_segment_fixed_size 144
		.amdhsa_kernarg_size 60
		.amdhsa_user_sgpr_count 6
		.amdhsa_user_sgpr_private_segment_buffer 1
		.amdhsa_user_sgpr_dispatch_ptr 0
		.amdhsa_user_sgpr_queue_ptr 0
		.amdhsa_user_sgpr_kernarg_segment_ptr 1
		.amdhsa_user_sgpr_dispatch_id 0
		.amdhsa_user_sgpr_flat_scratch_init 0
		.amdhsa_user_sgpr_private_segment_size 0
		.amdhsa_uses_dynamic_stack 0
		.amdhsa_system_sgpr_private_segment_wavefront_offset 1
		.amdhsa_system_sgpr_workgroup_id_x 1
		.amdhsa_system_sgpr_workgroup_id_y 0
		.amdhsa_system_sgpr_workgroup_id_z 0
		.amdhsa_system_sgpr_workgroup_info 0
		.amdhsa_system_vgpr_workitem_id 0
		.amdhsa_next_free_vgpr 71
		.amdhsa_next_free_sgpr 24
		.amdhsa_reserve_vcc 1
		.amdhsa_reserve_flat_scratch 0
		.amdhsa_float_round_mode_32 0
		.amdhsa_float_round_mode_16_64 0
		.amdhsa_float_denorm_mode_32 3
		.amdhsa_float_denorm_mode_16_64 3
		.amdhsa_dx10_clamp 1
		.amdhsa_ieee_mode 1
		.amdhsa_fp16_overflow 0
		.amdhsa_exception_fp_ieee_invalid_op 0
		.amdhsa_exception_fp_denorm_src 0
		.amdhsa_exception_fp_ieee_div_zero 0
		.amdhsa_exception_fp_ieee_overflow 0
		.amdhsa_exception_fp_ieee_underflow 0
		.amdhsa_exception_fp_ieee_inexact 0
		.amdhsa_exception_int_div_zero 0
	.end_amdhsa_kernel
	.section	.text._ZN9rocsolver6v33100L18getri_kernel_smallILi17EdPdEEvT1_iilPiilS4_bb,"axG",@progbits,_ZN9rocsolver6v33100L18getri_kernel_smallILi17EdPdEEvT1_iilPiilS4_bb,comdat
.Lfunc_end16:
	.size	_ZN9rocsolver6v33100L18getri_kernel_smallILi17EdPdEEvT1_iilPiilS4_bb, .Lfunc_end16-_ZN9rocsolver6v33100L18getri_kernel_smallILi17EdPdEEvT1_iilPiilS4_bb
                                        ; -- End function
	.set _ZN9rocsolver6v33100L18getri_kernel_smallILi17EdPdEEvT1_iilPiilS4_bb.num_vgpr, 71
	.set _ZN9rocsolver6v33100L18getri_kernel_smallILi17EdPdEEvT1_iilPiilS4_bb.num_agpr, 0
	.set _ZN9rocsolver6v33100L18getri_kernel_smallILi17EdPdEEvT1_iilPiilS4_bb.numbered_sgpr, 24
	.set _ZN9rocsolver6v33100L18getri_kernel_smallILi17EdPdEEvT1_iilPiilS4_bb.num_named_barrier, 0
	.set _ZN9rocsolver6v33100L18getri_kernel_smallILi17EdPdEEvT1_iilPiilS4_bb.private_seg_size, 144
	.set _ZN9rocsolver6v33100L18getri_kernel_smallILi17EdPdEEvT1_iilPiilS4_bb.uses_vcc, 1
	.set _ZN9rocsolver6v33100L18getri_kernel_smallILi17EdPdEEvT1_iilPiilS4_bb.uses_flat_scratch, 0
	.set _ZN9rocsolver6v33100L18getri_kernel_smallILi17EdPdEEvT1_iilPiilS4_bb.has_dyn_sized_stack, 0
	.set _ZN9rocsolver6v33100L18getri_kernel_smallILi17EdPdEEvT1_iilPiilS4_bb.has_recursion, 0
	.set _ZN9rocsolver6v33100L18getri_kernel_smallILi17EdPdEEvT1_iilPiilS4_bb.has_indirect_call, 0
	.section	.AMDGPU.csdata,"",@progbits
; Kernel info:
; codeLenInByte = 12872
; TotalNumSgprs: 28
; NumVgprs: 71
; ScratchSize: 144
; MemoryBound: 0
; FloatMode: 240
; IeeeMode: 1
; LDSByteSize: 280 bytes/workgroup (compile time only)
; SGPRBlocks: 3
; VGPRBlocks: 17
; NumSGPRsForWavesPerEU: 28
; NumVGPRsForWavesPerEU: 71
; Occupancy: 3
; WaveLimiterHint : 1
; COMPUTE_PGM_RSRC2:SCRATCH_EN: 1
; COMPUTE_PGM_RSRC2:USER_SGPR: 6
; COMPUTE_PGM_RSRC2:TRAP_HANDLER: 0
; COMPUTE_PGM_RSRC2:TGID_X_EN: 1
; COMPUTE_PGM_RSRC2:TGID_Y_EN: 0
; COMPUTE_PGM_RSRC2:TGID_Z_EN: 0
; COMPUTE_PGM_RSRC2:TIDIG_COMP_CNT: 0
	.section	.text._ZN9rocsolver6v33100L18getri_kernel_smallILi18EdPdEEvT1_iilPiilS4_bb,"axG",@progbits,_ZN9rocsolver6v33100L18getri_kernel_smallILi18EdPdEEvT1_iilPiilS4_bb,comdat
	.globl	_ZN9rocsolver6v33100L18getri_kernel_smallILi18EdPdEEvT1_iilPiilS4_bb ; -- Begin function _ZN9rocsolver6v33100L18getri_kernel_smallILi18EdPdEEvT1_iilPiilS4_bb
	.p2align	8
	.type	_ZN9rocsolver6v33100L18getri_kernel_smallILi18EdPdEEvT1_iilPiilS4_bb,@function
_ZN9rocsolver6v33100L18getri_kernel_smallILi18EdPdEEvT1_iilPiilS4_bb: ; @_ZN9rocsolver6v33100L18getri_kernel_smallILi18EdPdEEvT1_iilPiilS4_bb
; %bb.0:
	s_add_u32 s0, s0, s7
	s_addc_u32 s1, s1, 0
	v_cmp_gt_u32_e32 vcc, 18, v0
	s_and_saveexec_b64 s[8:9], vcc
	s_cbranch_execz .LBB17_80
; %bb.1:
	s_load_dword s12, s[4:5], 0x38
	s_load_dwordx4 s[16:19], s[4:5], 0x10
	s_load_dwordx4 s[8:11], s[4:5], 0x28
                                        ; implicit-def: $sgpr20_sgpr21
	s_waitcnt lgkmcnt(0)
	s_bitcmp1_b32 s12, 8
	s_cselect_b64 s[22:23], -1, 0
	s_ashr_i32 s7, s6, 31
	s_bfe_u32 s12, s12, 0x10008
	s_cmp_eq_u32 s12, 0
	s_cbranch_scc1 .LBB17_3
; %bb.2:
	s_load_dword s12, s[4:5], 0x20
	s_mul_i32 s13, s8, s7
	s_mul_hi_u32 s14, s8, s6
	s_mul_i32 s9, s9, s6
	s_add_i32 s14, s14, s13
	s_add_i32 s9, s14, s9
	s_mul_i32 s8, s8, s6
	s_waitcnt lgkmcnt(0)
	s_ashr_i32 s13, s12, 31
	s_lshl_b64 s[8:9], s[8:9], 2
	s_add_u32 s14, s18, s8
	s_addc_u32 s15, s19, s9
	s_lshl_b64 s[8:9], s[12:13], 2
	s_add_u32 s20, s14, s8
	s_addc_u32 s21, s15, s9
.LBB17_3:
	s_load_dwordx4 s[12:15], s[4:5], 0x0
	s_load_dword s8, s[4:5], 0x38
	s_mul_i32 s9, s16, s7
	s_mul_hi_u32 s18, s16, s6
	s_add_i32 s9, s18, s9
	s_waitcnt lgkmcnt(0)
	s_ashr_i32 s5, s14, 31
	s_mov_b32 s4, s14
	s_mul_i32 s14, s17, s6
	s_add_i32 s17, s9, s14
	s_mul_i32 s16, s16, s6
	s_lshl_b64 s[16:17], s[16:17], 3
	s_add_u32 s9, s12, s16
	s_addc_u32 s12, s13, s17
	s_lshl_b64 s[4:5], s[4:5], 3
	s_add_u32 s4, s9, s4
	s_addc_u32 s5, s12, s5
	s_add_i32 s9, s15, s15
	v_add_u32_e32 v3, s9, v0
	v_ashrrev_i32_e32 v4, 31, v3
	v_lshlrev_b64 v[1:2], 3, v[3:4]
	v_add_u32_e32 v5, s15, v3
	v_mov_b32_e32 v4, s5
	v_add_co_u32_e32 v1, vcc, s4, v1
	v_ashrrev_i32_e32 v6, 31, v5
	v_addc_co_u32_e32 v2, vcc, v4, v2, vcc
	v_lshlrev_b64 v[3:4], 3, v[5:6]
	v_add_u32_e32 v7, s15, v5
	v_mov_b32_e32 v6, s5
	v_add_co_u32_e32 v3, vcc, s4, v3
	v_ashrrev_i32_e32 v8, 31, v7
	v_addc_co_u32_e32 v4, vcc, v6, v4, vcc
	;; [unrolled: 6-line block ×8, first 2 shown]
	v_lshlrev_b64 v[17:18], 3, v[19:20]
	v_mov_b32_e32 v21, s5
	v_add_co_u32_e32 v17, vcc, s4, v17
	v_addc_co_u32_e32 v18, vcc, v21, v18, vcc
	v_add_u32_e32 v21, s15, v19
	v_ashrrev_i32_e32 v22, 31, v21
	v_lshlrev_b64 v[19:20], 3, v[21:22]
	v_mov_b32_e32 v23, s5
	v_add_co_u32_e32 v19, vcc, s4, v19
	v_addc_co_u32_e32 v20, vcc, v23, v20, vcc
	v_add_u32_e32 v23, s15, v21
	v_ashrrev_i32_e32 v24, 31, v23
	;; [unrolled: 6-line block ×4, first 2 shown]
	v_lshlrev_b64 v[25:26], 3, v[27:28]
	v_add_u32_e32 v33, s15, v27
	v_ashrrev_i32_e32 v34, 31, v33
	v_mov_b32_e32 v29, s5
	v_add_co_u32_e32 v25, vcc, s4, v25
	v_lshlrev_b64 v[27:28], 3, v[33:34]
	v_addc_co_u32_e32 v26, vcc, v29, v26, vcc
	v_add_co_u32_e32 v27, vcc, s4, v27
	v_addc_co_u32_e32 v28, vcc, v29, v28, vcc
	v_lshlrev_b32_e32 v39, 3, v0
	v_mov_b32_e32 v30, s5
	v_add_co_u32_e32 v29, vcc, s4, v39
	s_ashr_i32 s13, s15, 31
	s_mov_b32 s12, s15
	v_add_u32_e32 v35, s15, v33
	v_addc_co_u32_e32 v30, vcc, 0, v30, vcc
	s_lshl_b64 s[12:13], s[12:13], 3
	v_ashrrev_i32_e32 v36, 31, v35
	v_mov_b32_e32 v32, s13
	v_add_co_u32_e32 v31, vcc, s12, v29
	v_lshlrev_b64 v[33:34], 3, v[35:36]
	v_addc_co_u32_e32 v32, vcc, v30, v32, vcc
	v_mov_b32_e32 v56, s5
	v_add_co_u32_e32 v33, vcc, s4, v33
	global_load_dwordx2 v[37:38], v39, s[4:5]
	global_load_dwordx2 v[42:43], v[1:2], off
	global_load_dwordx2 v[44:45], v[3:4], off
	;; [unrolled: 1-line block ×8, first 2 shown]
	v_addc_co_u32_e32 v34, vcc, v56, v34, vcc
	global_load_dwordx2 v[56:57], v[15:16], off
	global_load_dwordx2 v[58:59], v[17:18], off
	;; [unrolled: 1-line block ×8, first 2 shown]
	v_add_u32_e32 v35, s15, v35
	v_ashrrev_i32_e32 v36, 31, v35
	v_lshlrev_b64 v[35:36], 3, v[35:36]
	v_mov_b32_e32 v72, s5
	v_add_co_u32_e32 v35, vcc, s4, v35
	v_addc_co_u32_e32 v36, vcc, v72, v36, vcc
	global_load_dwordx2 v[72:73], v[35:36], off
	s_bitcmp0_b32 s8, 0
	s_mov_b64 s[8:9], -1
	s_waitcnt vmcnt(17)
	buffer_store_dword v38, off, s[0:3], 0 offset:4
	buffer_store_dword v37, off, s[0:3], 0
	s_waitcnt vmcnt(15)
	buffer_store_dword v41, off, s[0:3], 0 offset:12
	buffer_store_dword v40, off, s[0:3], 0 offset:8
	buffer_store_dword v43, off, s[0:3], 0 offset:20
	buffer_store_dword v42, off, s[0:3], 0 offset:16
	buffer_store_dword v45, off, s[0:3], 0 offset:28
	buffer_store_dword v44, off, s[0:3], 0 offset:24
	buffer_store_dword v47, off, s[0:3], 0 offset:36
	buffer_store_dword v46, off, s[0:3], 0 offset:32
	s_waitcnt vmcnt(22)
	buffer_store_dword v49, off, s[0:3], 0 offset:44
	buffer_store_dword v48, off, s[0:3], 0 offset:40
	s_waitcnt vmcnt(23)
	buffer_store_dword v51, off, s[0:3], 0 offset:52
	buffer_store_dword v50, off, s[0:3], 0 offset:48
	;; [unrolled: 3-line block ×13, first 2 shown]
	s_cbranch_scc1 .LBB17_78
; %bb.4:
	v_cmp_eq_u32_e64 s[4:5], 0, v0
	s_and_saveexec_b64 s[8:9], s[4:5]
; %bb.5:
	v_mov_b32_e32 v37, 0
	ds_write_b32 v37, v37 offset:288
; %bb.6:
	s_or_b64 exec, exec, s[8:9]
	v_mov_b32_e32 v37, 0
	v_lshl_add_u32 v37, v0, 3, v37
	s_waitcnt lgkmcnt(0)
	; wave barrier
	buffer_load_dword v40, v37, s[0:3], 0 offen
	buffer_load_dword v41, v37, s[0:3], 0 offen offset:4
	s_waitcnt vmcnt(0)
	v_cmp_eq_f64_e32 vcc, 0, v[40:41]
	s_and_saveexec_b64 s[12:13], vcc
	s_cbranch_execz .LBB17_10
; %bb.7:
	v_mov_b32_e32 v38, 0
	ds_read_b32 v41, v38 offset:288
	v_add_u32_e32 v40, 1, v0
	s_waitcnt lgkmcnt(0)
	v_readfirstlane_b32 s8, v41
	s_cmp_eq_u32 s8, 0
	s_cselect_b64 s[14:15], -1, 0
	v_cmp_gt_i32_e32 vcc, s8, v40
	s_or_b64 s[14:15], s[14:15], vcc
	s_and_b64 exec, exec, s[14:15]
	s_cbranch_execz .LBB17_10
; %bb.8:
	s_mov_b64 s[14:15], 0
	v_mov_b32_e32 v41, s8
.LBB17_9:                               ; =>This Inner Loop Header: Depth=1
	ds_cmpst_rtn_b32 v41, v38, v41, v40 offset:288
	s_waitcnt lgkmcnt(0)
	v_cmp_ne_u32_e32 vcc, 0, v41
	v_cmp_le_i32_e64 s[8:9], v41, v40
	s_and_b64 s[8:9], vcc, s[8:9]
	s_and_b64 s[8:9], exec, s[8:9]
	s_or_b64 s[14:15], s[8:9], s[14:15]
	s_andn2_b64 exec, exec, s[14:15]
	s_cbranch_execnz .LBB17_9
.LBB17_10:
	s_or_b64 exec, exec, s[12:13]
	v_mov_b32_e32 v40, 0
	; wave barrier
	ds_read_b32 v38, v40 offset:288
	s_and_saveexec_b64 s[8:9], s[4:5]
	s_cbranch_execz .LBB17_12
; %bb.11:
	s_lshl_b64 s[12:13], s[6:7], 2
	s_add_u32 s12, s10, s12
	s_addc_u32 s13, s11, s13
	s_waitcnt lgkmcnt(0)
	global_store_dword v40, v38, s[12:13]
.LBB17_12:
	s_or_b64 exec, exec, s[8:9]
	s_waitcnt lgkmcnt(0)
	v_cmp_ne_u32_e32 vcc, 0, v38
	s_mov_b64 s[8:9], 0
	s_cbranch_vccnz .LBB17_78
; %bb.13:
	buffer_load_dword v40, v37, s[0:3], 0 offen
	buffer_load_dword v41, v37, s[0:3], 0 offen offset:4
	s_waitcnt vmcnt(0)
	v_div_scale_f64 v[42:43], s[8:9], v[40:41], v[40:41], 1.0
	v_rcp_f64_e32 v[44:45], v[42:43]
	v_fma_f64 v[46:47], -v[42:43], v[44:45], 1.0
	v_fma_f64 v[44:45], v[44:45], v[46:47], v[44:45]
	v_div_scale_f64 v[46:47], vcc, 1.0, v[40:41], 1.0
	v_fma_f64 v[48:49], -v[42:43], v[44:45], 1.0
	v_fma_f64 v[44:45], v[44:45], v[48:49], v[44:45]
	v_mul_f64 v[48:49], v[46:47], v[44:45]
	v_fma_f64 v[42:43], -v[42:43], v[48:49], v[46:47]
	v_div_fmas_f64 v[42:43], v[42:43], v[44:45], v[48:49]
	v_div_fixup_f64 v[41:42], v[42:43], v[40:41], 1.0
	v_add_u32_e32 v40, 0x90, v39
	buffer_store_dword v42, v37, s[0:3], 0 offen offset:4
	buffer_store_dword v41, v37, s[0:3], 0 offen
	buffer_load_dword v44, off, s[0:3], 0 offset:12
	buffer_load_dword v43, off, s[0:3], 0 offset:8
	v_xor_b32_e32 v42, 0x80000000, v42
	s_waitcnt vmcnt(0)
	ds_write2_b64 v39, v[41:42], v[43:44] offset1:18
	s_waitcnt lgkmcnt(0)
	; wave barrier
	s_and_saveexec_b64 s[8:9], s[4:5]
	s_cbranch_execz .LBB17_15
; %bb.14:
	buffer_load_dword v41, v37, s[0:3], 0 offen
	buffer_load_dword v42, v37, s[0:3], 0 offen offset:4
	ds_read_b64 v[43:44], v40
	v_mov_b32_e32 v38, 0
	ds_read_b64 v[45:46], v38 offset:8
	s_waitcnt vmcnt(0) lgkmcnt(1)
	v_fma_f64 v[41:42], v[41:42], v[43:44], 0
	s_waitcnt lgkmcnt(0)
	v_mul_f64 v[41:42], v[41:42], v[45:46]
	buffer_store_dword v41, off, s[0:3], 0 offset:8
	buffer_store_dword v42, off, s[0:3], 0 offset:12
.LBB17_15:
	s_or_b64 exec, exec, s[8:9]
	; wave barrier
	buffer_load_dword v41, off, s[0:3], 0 offset:16
	buffer_load_dword v42, off, s[0:3], 0 offset:20
	v_cmp_gt_u32_e32 vcc, 2, v0
	s_waitcnt vmcnt(0)
	ds_write_b64 v40, v[41:42]
	s_waitcnt lgkmcnt(0)
	; wave barrier
	s_and_saveexec_b64 s[8:9], vcc
	s_cbranch_execz .LBB17_17
; %bb.16:
	buffer_load_dword v41, v37, s[0:3], 0 offen
	buffer_load_dword v42, v37, s[0:3], 0 offen offset:4
                                        ; kill: killed $vgpr37
	s_nop 0
	buffer_load_dword v37, off, s[0:3], 0 offset:8
	buffer_load_dword v38, off, s[0:3], 0 offset:12
	ds_read_b64 v[43:44], v40
	s_waitcnt vmcnt(2) lgkmcnt(0)
	v_fma_f64 v[45:46], v[41:42], v[43:44], 0
	v_mov_b32_e32 v41, 0
	ds_read2_b64 v[41:44], v41 offset0:2 offset1:19
	s_waitcnt vmcnt(0) lgkmcnt(0)
	v_fma_f64 v[37:38], v[37:38], v[43:44], v[45:46]
	v_cndmask_b32_e64 v38, v46, v38, s[4:5]
	v_cndmask_b32_e64 v37, v45, v37, s[4:5]
	v_mul_f64 v[37:38], v[37:38], v[41:42]
	buffer_store_dword v38, off, s[0:3], 0 offset:20
	buffer_store_dword v37, off, s[0:3], 0 offset:16
.LBB17_17:
	s_or_b64 exec, exec, s[8:9]
	; wave barrier
	buffer_load_dword v37, off, s[0:3], 0 offset:24
	buffer_load_dword v38, off, s[0:3], 0 offset:28
	v_cmp_gt_u32_e32 vcc, 3, v0
	v_add_u32_e32 v41, -1, v0
	s_waitcnt vmcnt(0)
	ds_write_b64 v40, v[37:38]
	s_waitcnt lgkmcnt(0)
	; wave barrier
	s_and_saveexec_b64 s[4:5], vcc
	s_cbranch_execz .LBB17_21
; %bb.18:
	v_mov_b32_e32 v37, 0
	v_add_u32_e32 v42, -1, v0
	v_add_u32_e32 v43, 0x90, v39
	v_mov_b32_e32 v44, v39
	v_mov_b32_e32 v38, 0
	s_mov_b64 s[8:9], 0
.LBB17_19:                              ; =>This Inner Loop Header: Depth=1
	buffer_load_dword v45, v44, s[0:3], 0 offen
	buffer_load_dword v46, v44, s[0:3], 0 offen offset:4
	ds_read_b64 v[47:48], v43
	v_add_u32_e32 v42, 1, v42
	v_cmp_lt_u32_e32 vcc, 1, v42
	v_add_u32_e32 v43, 8, v43
	s_or_b64 s[8:9], vcc, s[8:9]
	v_add_u32_e32 v44, 8, v44
	s_waitcnt vmcnt(0) lgkmcnt(0)
	v_fma_f64 v[37:38], v[45:46], v[47:48], v[37:38]
	s_andn2_b64 exec, exec, s[8:9]
	s_cbranch_execnz .LBB17_19
; %bb.20:
	s_or_b64 exec, exec, s[8:9]
	v_mov_b32_e32 v42, 0
	ds_read_b64 v[42:43], v42 offset:24
	s_waitcnt lgkmcnt(0)
	v_mul_f64 v[37:38], v[37:38], v[42:43]
	buffer_store_dword v38, off, s[0:3], 0 offset:28
	buffer_store_dword v37, off, s[0:3], 0 offset:24
.LBB17_21:
	s_or_b64 exec, exec, s[4:5]
	; wave barrier
	buffer_load_dword v37, off, s[0:3], 0 offset:32
	buffer_load_dword v38, off, s[0:3], 0 offset:36
	v_cmp_gt_u32_e32 vcc, 4, v0
	s_waitcnt vmcnt(0)
	ds_write_b64 v40, v[37:38]
	s_waitcnt lgkmcnt(0)
	; wave barrier
	s_and_saveexec_b64 s[4:5], vcc
	s_cbranch_execz .LBB17_25
; %bb.22:
	v_mov_b32_e32 v37, 0
	v_add_u32_e32 v42, -1, v0
	v_add_u32_e32 v43, 0x90, v39
	v_mov_b32_e32 v44, v39
	v_mov_b32_e32 v38, 0
	s_mov_b64 s[8:9], 0
.LBB17_23:                              ; =>This Inner Loop Header: Depth=1
	buffer_load_dword v45, v44, s[0:3], 0 offen
	buffer_load_dword v46, v44, s[0:3], 0 offen offset:4
	ds_read_b64 v[47:48], v43
	v_add_u32_e32 v42, 1, v42
	v_cmp_lt_u32_e32 vcc, 2, v42
	v_add_u32_e32 v43, 8, v43
	s_or_b64 s[8:9], vcc, s[8:9]
	v_add_u32_e32 v44, 8, v44
	s_waitcnt vmcnt(0) lgkmcnt(0)
	v_fma_f64 v[37:38], v[45:46], v[47:48], v[37:38]
	s_andn2_b64 exec, exec, s[8:9]
	s_cbranch_execnz .LBB17_23
; %bb.24:
	s_or_b64 exec, exec, s[8:9]
	v_mov_b32_e32 v42, 0
	ds_read_b64 v[42:43], v42 offset:32
	s_waitcnt lgkmcnt(0)
	v_mul_f64 v[37:38], v[37:38], v[42:43]
	buffer_store_dword v38, off, s[0:3], 0 offset:36
	buffer_store_dword v37, off, s[0:3], 0 offset:32
.LBB17_25:
	s_or_b64 exec, exec, s[4:5]
	; wave barrier
	buffer_load_dword v37, off, s[0:3], 0 offset:40
	buffer_load_dword v38, off, s[0:3], 0 offset:44
	v_cmp_gt_u32_e32 vcc, 5, v0
	;; [unrolled: 40-line block ×13, first 2 shown]
	s_waitcnt vmcnt(0)
	ds_write_b64 v40, v[37:38]
	s_waitcnt lgkmcnt(0)
	; wave barrier
	s_and_saveexec_b64 s[4:5], vcc
	s_cbranch_execz .LBB17_73
; %bb.70:
	v_mov_b32_e32 v37, 0
	v_add_u32_e32 v42, -1, v0
	v_add_u32_e32 v43, 0x90, v39
	v_mov_b32_e32 v44, v39
	v_mov_b32_e32 v38, 0
	s_mov_b64 s[8:9], 0
.LBB17_71:                              ; =>This Inner Loop Header: Depth=1
	buffer_load_dword v45, v44, s[0:3], 0 offen
	buffer_load_dword v46, v44, s[0:3], 0 offen offset:4
	ds_read_b64 v[47:48], v43
	v_add_u32_e32 v42, 1, v42
	v_cmp_lt_u32_e32 vcc, 14, v42
	v_add_u32_e32 v43, 8, v43
	s_or_b64 s[8:9], vcc, s[8:9]
	v_add_u32_e32 v44, 8, v44
	s_waitcnt vmcnt(0) lgkmcnt(0)
	v_fma_f64 v[37:38], v[45:46], v[47:48], v[37:38]
	s_andn2_b64 exec, exec, s[8:9]
	s_cbranch_execnz .LBB17_71
; %bb.72:
	s_or_b64 exec, exec, s[8:9]
	v_mov_b32_e32 v42, 0
	ds_read_b64 v[42:43], v42 offset:128
	s_waitcnt lgkmcnt(0)
	v_mul_f64 v[37:38], v[37:38], v[42:43]
	buffer_store_dword v38, off, s[0:3], 0 offset:132
	buffer_store_dword v37, off, s[0:3], 0 offset:128
.LBB17_73:
	s_or_b64 exec, exec, s[4:5]
	; wave barrier
	buffer_load_dword v37, off, s[0:3], 0 offset:136
	buffer_load_dword v38, off, s[0:3], 0 offset:140
	v_cmp_ne_u32_e32 vcc, 17, v0
	s_waitcnt vmcnt(0)
	ds_write_b64 v40, v[37:38]
	s_waitcnt lgkmcnt(0)
	; wave barrier
	s_and_saveexec_b64 s[4:5], vcc
	s_cbranch_execz .LBB17_77
; %bb.74:
	v_mov_b32_e32 v37, 0
	v_add_u32_e32 v40, 0x90, v39
	v_mov_b32_e32 v38, 0
	s_mov_b64 s[8:9], 0
.LBB17_75:                              ; =>This Inner Loop Header: Depth=1
	buffer_load_dword v42, v39, s[0:3], 0 offen
	buffer_load_dword v43, v39, s[0:3], 0 offen offset:4
	ds_read_b64 v[44:45], v40
	v_add_u32_e32 v41, 1, v41
	v_cmp_lt_u32_e32 vcc, 15, v41
	v_add_u32_e32 v40, 8, v40
	s_or_b64 s[8:9], vcc, s[8:9]
	v_add_u32_e32 v39, 8, v39
	s_waitcnt vmcnt(0) lgkmcnt(0)
	v_fma_f64 v[37:38], v[42:43], v[44:45], v[37:38]
	s_andn2_b64 exec, exec, s[8:9]
	s_cbranch_execnz .LBB17_75
; %bb.76:
	s_or_b64 exec, exec, s[8:9]
	v_mov_b32_e32 v39, 0
	ds_read_b64 v[39:40], v39 offset:136
	s_waitcnt lgkmcnt(0)
	v_mul_f64 v[37:38], v[37:38], v[39:40]
	buffer_store_dword v38, off, s[0:3], 0 offset:140
	buffer_store_dword v37, off, s[0:3], 0 offset:136
.LBB17_77:
	s_or_b64 exec, exec, s[4:5]
	s_mov_b64 s[8:9], -1
	; wave barrier
.LBB17_78:
	s_and_b64 vcc, exec, s[8:9]
	s_cbranch_vccz .LBB17_80
; %bb.79:
	s_lshl_b64 s[4:5], s[6:7], 2
	s_add_u32 s4, s10, s4
	s_addc_u32 s5, s11, s5
	v_mov_b32_e32 v37, 0
	global_load_dword v37, v37, s[4:5]
	s_waitcnt vmcnt(0)
	v_cmp_ne_u32_e32 vcc, 0, v37
	s_cbranch_vccz .LBB17_81
.LBB17_80:
	s_endpgm
.LBB17_81:
	v_mov_b32_e32 v37, 0x90
	v_lshl_add_u32 v37, v0, 3, v37
	v_cmp_eq_u32_e32 vcc, 17, v0
	s_and_saveexec_b64 s[4:5], vcc
	s_cbranch_execz .LBB17_83
; %bb.82:
	buffer_load_dword v38, off, s[0:3], 0 offset:128
	buffer_load_dword v39, off, s[0:3], 0 offset:132
	v_mov_b32_e32 v40, 0
	buffer_store_dword v40, off, s[0:3], 0 offset:128
	buffer_store_dword v40, off, s[0:3], 0 offset:132
	s_waitcnt vmcnt(2)
	ds_write_b64 v37, v[38:39]
.LBB17_83:
	s_or_b64 exec, exec, s[4:5]
	s_waitcnt lgkmcnt(0)
	; wave barrier
	buffer_load_dword v39, off, s[0:3], 0 offset:136
	buffer_load_dword v40, off, s[0:3], 0 offset:140
	;; [unrolled: 1-line block ×4, first 2 shown]
	v_mov_b32_e32 v38, 0
	ds_read_b64 v[43:44], v38 offset:280
	v_cmp_lt_u32_e32 vcc, 15, v0
	s_waitcnt vmcnt(2) lgkmcnt(0)
	v_fma_f64 v[39:40], v[39:40], v[43:44], 0
	s_waitcnt vmcnt(0)
	v_add_f64 v[39:40], v[41:42], -v[39:40]
	buffer_store_dword v39, off, s[0:3], 0 offset:128
	buffer_store_dword v40, off, s[0:3], 0 offset:132
	s_and_saveexec_b64 s[4:5], vcc
	s_cbranch_execz .LBB17_85
; %bb.84:
	buffer_load_dword v39, off, s[0:3], 0 offset:120
	buffer_load_dword v40, off, s[0:3], 0 offset:124
	s_waitcnt vmcnt(0)
	ds_write_b64 v37, v[39:40]
	buffer_store_dword v38, off, s[0:3], 0 offset:120
	buffer_store_dword v38, off, s[0:3], 0 offset:124
.LBB17_85:
	s_or_b64 exec, exec, s[4:5]
	s_waitcnt lgkmcnt(0)
	; wave barrier
	buffer_load_dword v42, off, s[0:3], 0 offset:128
	buffer_load_dword v43, off, s[0:3], 0 offset:132
	;; [unrolled: 1-line block ×6, first 2 shown]
	ds_read_b128 v[38:41], v38 offset:272
	v_cmp_lt_u32_e32 vcc, 14, v0
	s_waitcnt vmcnt(4) lgkmcnt(0)
	v_fma_f64 v[38:39], v[42:43], v[38:39], 0
	s_waitcnt vmcnt(2)
	v_fma_f64 v[38:39], v[44:45], v[40:41], v[38:39]
	s_waitcnt vmcnt(0)
	v_add_f64 v[38:39], v[46:47], -v[38:39]
	buffer_store_dword v38, off, s[0:3], 0 offset:120
	buffer_store_dword v39, off, s[0:3], 0 offset:124
	s_and_saveexec_b64 s[4:5], vcc
	s_cbranch_execz .LBB17_87
; %bb.86:
	buffer_load_dword v38, off, s[0:3], 0 offset:112
	buffer_load_dword v39, off, s[0:3], 0 offset:116
	v_mov_b32_e32 v40, 0
	buffer_store_dword v40, off, s[0:3], 0 offset:112
	buffer_store_dword v40, off, s[0:3], 0 offset:116
	s_waitcnt vmcnt(2)
	ds_write_b64 v37, v[38:39]
.LBB17_87:
	s_or_b64 exec, exec, s[4:5]
	s_waitcnt lgkmcnt(0)
	; wave barrier
	buffer_load_dword v43, off, s[0:3], 0 offset:120
	buffer_load_dword v44, off, s[0:3], 0 offset:124
	;; [unrolled: 1-line block ×8, first 2 shown]
	v_mov_b32_e32 v38, 0
	ds_read2_b64 v[39:42], v38 offset0:33 offset1:34
	ds_read_b64 v[51:52], v38 offset:280
	v_cmp_lt_u32_e32 vcc, 13, v0
	s_waitcnt vmcnt(6) lgkmcnt(1)
	v_fma_f64 v[39:40], v[43:44], v[39:40], 0
	s_waitcnt vmcnt(4)
	v_fma_f64 v[39:40], v[45:46], v[41:42], v[39:40]
	s_waitcnt vmcnt(2) lgkmcnt(0)
	v_fma_f64 v[39:40], v[47:48], v[51:52], v[39:40]
	s_waitcnt vmcnt(0)
	v_add_f64 v[39:40], v[49:50], -v[39:40]
	buffer_store_dword v39, off, s[0:3], 0 offset:112
	buffer_store_dword v40, off, s[0:3], 0 offset:116
	s_and_saveexec_b64 s[4:5], vcc
	s_cbranch_execz .LBB17_89
; %bb.88:
	buffer_load_dword v39, off, s[0:3], 0 offset:104
	buffer_load_dword v40, off, s[0:3], 0 offset:108
	s_waitcnt vmcnt(0)
	ds_write_b64 v37, v[39:40]
	buffer_store_dword v38, off, s[0:3], 0 offset:104
	buffer_store_dword v38, off, s[0:3], 0 offset:108
.LBB17_89:
	s_or_b64 exec, exec, s[4:5]
	s_waitcnt lgkmcnt(0)
	; wave barrier
	buffer_load_dword v47, off, s[0:3], 0 offset:112
	buffer_load_dword v48, off, s[0:3], 0 offset:116
	;; [unrolled: 1-line block ×10, first 2 shown]
	ds_read_b128 v[39:42], v38 offset:256
	ds_read_b128 v[43:46], v38 offset:272
	v_cmp_lt_u32_e32 vcc, 12, v0
	s_waitcnt vmcnt(8) lgkmcnt(1)
	v_fma_f64 v[38:39], v[47:48], v[39:40], 0
	s_waitcnt vmcnt(6)
	v_fma_f64 v[38:39], v[49:50], v[41:42], v[38:39]
	s_waitcnt vmcnt(4) lgkmcnt(0)
	v_fma_f64 v[38:39], v[51:52], v[43:44], v[38:39]
	s_waitcnt vmcnt(2)
	v_fma_f64 v[38:39], v[53:54], v[45:46], v[38:39]
	s_waitcnt vmcnt(0)
	v_add_f64 v[38:39], v[55:56], -v[38:39]
	buffer_store_dword v38, off, s[0:3], 0 offset:104
	buffer_store_dword v39, off, s[0:3], 0 offset:108
	s_and_saveexec_b64 s[4:5], vcc
	s_cbranch_execz .LBB17_91
; %bb.90:
	buffer_load_dword v38, off, s[0:3], 0 offset:96
	buffer_load_dword v39, off, s[0:3], 0 offset:100
	v_mov_b32_e32 v40, 0
	buffer_store_dword v40, off, s[0:3], 0 offset:96
	buffer_store_dword v40, off, s[0:3], 0 offset:100
	s_waitcnt vmcnt(2)
	ds_write_b64 v37, v[38:39]
.LBB17_91:
	s_or_b64 exec, exec, s[4:5]
	s_waitcnt lgkmcnt(0)
	; wave barrier
	buffer_load_dword v47, off, s[0:3], 0 offset:104
	buffer_load_dword v48, off, s[0:3], 0 offset:108
	;; [unrolled: 1-line block ×12, first 2 shown]
	v_mov_b32_e32 v38, 0
	ds_read2_b64 v[39:42], v38 offset0:31 offset1:32
	ds_read2_b64 v[43:46], v38 offset0:33 offset1:34
	v_cmp_lt_u32_e32 vcc, 11, v0
	s_waitcnt vmcnt(10) lgkmcnt(1)
	v_fma_f64 v[39:40], v[47:48], v[39:40], 0
	s_waitcnt vmcnt(8)
	v_fma_f64 v[39:40], v[49:50], v[41:42], v[39:40]
	ds_read_b64 v[41:42], v38 offset:280
	s_waitcnt vmcnt(6) lgkmcnt(1)
	v_fma_f64 v[39:40], v[51:52], v[43:44], v[39:40]
	s_waitcnt vmcnt(4)
	v_fma_f64 v[39:40], v[53:54], v[45:46], v[39:40]
	s_waitcnt vmcnt(2) lgkmcnt(0)
	v_fma_f64 v[39:40], v[55:56], v[41:42], v[39:40]
	s_waitcnt vmcnt(0)
	v_add_f64 v[39:40], v[57:58], -v[39:40]
	buffer_store_dword v39, off, s[0:3], 0 offset:96
	buffer_store_dword v40, off, s[0:3], 0 offset:100
	s_and_saveexec_b64 s[4:5], vcc
	s_cbranch_execz .LBB17_93
; %bb.92:
	buffer_load_dword v39, off, s[0:3], 0 offset:88
	buffer_load_dword v40, off, s[0:3], 0 offset:92
	s_waitcnt vmcnt(0)
	ds_write_b64 v37, v[39:40]
	buffer_store_dword v38, off, s[0:3], 0 offset:88
	buffer_store_dword v38, off, s[0:3], 0 offset:92
.LBB17_93:
	s_or_b64 exec, exec, s[4:5]
	s_waitcnt lgkmcnt(0)
	; wave barrier
	buffer_load_dword v47, off, s[0:3], 0 offset:96
	buffer_load_dword v48, off, s[0:3], 0 offset:100
	;; [unrolled: 1-line block ×14, first 2 shown]
	ds_read_b128 v[39:42], v38 offset:240
	ds_read_b128 v[43:46], v38 offset:256
	v_cmp_lt_u32_e32 vcc, 10, v0
	s_waitcnt vmcnt(12) lgkmcnt(1)
	v_fma_f64 v[39:40], v[47:48], v[39:40], 0
	s_waitcnt vmcnt(10)
	v_fma_f64 v[39:40], v[49:50], v[41:42], v[39:40]
	s_waitcnt vmcnt(8) lgkmcnt(0)
	v_fma_f64 v[39:40], v[51:52], v[43:44], v[39:40]
	s_waitcnt vmcnt(6)
	v_fma_f64 v[42:43], v[53:54], v[45:46], v[39:40]
	ds_read_b128 v[38:41], v38 offset:272
	s_waitcnt vmcnt(4) lgkmcnt(0)
	v_fma_f64 v[38:39], v[55:56], v[38:39], v[42:43]
	s_waitcnt vmcnt(2)
	v_fma_f64 v[38:39], v[57:58], v[40:41], v[38:39]
	s_waitcnt vmcnt(0)
	v_add_f64 v[38:39], v[59:60], -v[38:39]
	buffer_store_dword v38, off, s[0:3], 0 offset:88
	buffer_store_dword v39, off, s[0:3], 0 offset:92
	s_and_saveexec_b64 s[4:5], vcc
	s_cbranch_execz .LBB17_95
; %bb.94:
	buffer_load_dword v38, off, s[0:3], 0 offset:80
	buffer_load_dword v39, off, s[0:3], 0 offset:84
	v_mov_b32_e32 v40, 0
	buffer_store_dword v40, off, s[0:3], 0 offset:80
	buffer_store_dword v40, off, s[0:3], 0 offset:84
	s_waitcnt vmcnt(2)
	ds_write_b64 v37, v[38:39]
.LBB17_95:
	s_or_b64 exec, exec, s[4:5]
	s_waitcnt lgkmcnt(0)
	; wave barrier
	buffer_load_dword v43, off, s[0:3], 0 offset:80
	buffer_load_dword v44, off, s[0:3], 0 offset:84
	;; [unrolled: 1-line block ×16, first 2 shown]
	v_mov_b32_e32 v38, 0
	ds_read2_b64 v[39:42], v38 offset0:29 offset1:30
	v_cmp_lt_u32_e32 vcc, 9, v0
	s_waitcnt vmcnt(12) lgkmcnt(0)
	v_fma_f64 v[39:40], v[45:46], v[39:40], 0
	s_waitcnt vmcnt(10)
	v_fma_f64 v[45:46], v[47:48], v[41:42], v[39:40]
	ds_read2_b64 v[39:42], v38 offset0:31 offset1:32
	s_waitcnt vmcnt(8) lgkmcnt(0)
	v_fma_f64 v[39:40], v[49:50], v[39:40], v[45:46]
	s_waitcnt vmcnt(6)
	v_fma_f64 v[45:46], v[51:52], v[41:42], v[39:40]
	ds_read2_b64 v[39:42], v38 offset0:33 offset1:34
	s_waitcnt vmcnt(4) lgkmcnt(0)
	v_fma_f64 v[39:40], v[53:54], v[39:40], v[45:46]
	s_waitcnt vmcnt(2)
	v_fma_f64 v[39:40], v[55:56], v[41:42], v[39:40]
	ds_read_b64 v[41:42], v38 offset:280
	s_waitcnt vmcnt(0) lgkmcnt(0)
	v_fma_f64 v[39:40], v[57:58], v[41:42], v[39:40]
	v_add_f64 v[39:40], v[43:44], -v[39:40]
	buffer_store_dword v39, off, s[0:3], 0 offset:80
	buffer_store_dword v40, off, s[0:3], 0 offset:84
	s_and_saveexec_b64 s[4:5], vcc
	s_cbranch_execz .LBB17_97
; %bb.96:
	buffer_load_dword v39, off, s[0:3], 0 offset:72
	buffer_load_dword v40, off, s[0:3], 0 offset:76
	s_waitcnt vmcnt(0)
	ds_write_b64 v37, v[39:40]
	buffer_store_dword v38, off, s[0:3], 0 offset:72
	buffer_store_dword v38, off, s[0:3], 0 offset:76
.LBB17_97:
	s_or_b64 exec, exec, s[4:5]
	s_waitcnt lgkmcnt(0)
	; wave barrier
	buffer_load_dword v43, off, s[0:3], 0 offset:80
	buffer_load_dword v44, off, s[0:3], 0 offset:84
	;; [unrolled: 1-line block ×18, first 2 shown]
	ds_read_b128 v[39:42], v38 offset:224
	v_cmp_lt_u32_e32 vcc, 8, v0
	s_waitcnt vmcnt(16) lgkmcnt(0)
	v_fma_f64 v[39:40], v[43:44], v[39:40], 0
	s_waitcnt vmcnt(14)
	v_fma_f64 v[43:44], v[45:46], v[41:42], v[39:40]
	ds_read_b128 v[39:42], v38 offset:240
	s_waitcnt vmcnt(12) lgkmcnt(0)
	v_fma_f64 v[39:40], v[47:48], v[39:40], v[43:44]
	s_waitcnt vmcnt(10)
	v_fma_f64 v[43:44], v[49:50], v[41:42], v[39:40]
	ds_read_b128 v[39:42], v38 offset:256
	;; [unrolled: 5-line block ×3, first 2 shown]
	s_waitcnt vmcnt(4) lgkmcnt(0)
	v_fma_f64 v[38:39], v[55:56], v[38:39], v[42:43]
	s_waitcnt vmcnt(2)
	v_fma_f64 v[38:39], v[57:58], v[40:41], v[38:39]
	s_waitcnt vmcnt(0)
	v_add_f64 v[38:39], v[59:60], -v[38:39]
	buffer_store_dword v38, off, s[0:3], 0 offset:72
	buffer_store_dword v39, off, s[0:3], 0 offset:76
	s_and_saveexec_b64 s[4:5], vcc
	s_cbranch_execz .LBB17_99
; %bb.98:
	buffer_load_dword v38, off, s[0:3], 0 offset:64
	buffer_load_dword v39, off, s[0:3], 0 offset:68
	v_mov_b32_e32 v40, 0
	buffer_store_dword v40, off, s[0:3], 0 offset:64
	buffer_store_dword v40, off, s[0:3], 0 offset:68
	s_waitcnt vmcnt(2)
	ds_write_b64 v37, v[38:39]
.LBB17_99:
	s_or_b64 exec, exec, s[4:5]
	s_waitcnt lgkmcnt(0)
	; wave barrier
	buffer_load_dword v43, off, s[0:3], 0 offset:72
	buffer_load_dword v44, off, s[0:3], 0 offset:76
	;; [unrolled: 1-line block ×20, first 2 shown]
	v_mov_b32_e32 v38, 0
	ds_read2_b64 v[39:42], v38 offset0:27 offset1:28
	v_cmp_lt_u32_e32 vcc, 7, v0
	s_waitcnt vmcnt(18) lgkmcnt(0)
	v_fma_f64 v[39:40], v[43:44], v[39:40], 0
	s_waitcnt vmcnt(16)
	v_fma_f64 v[43:44], v[45:46], v[41:42], v[39:40]
	ds_read2_b64 v[39:42], v38 offset0:29 offset1:30
	s_waitcnt vmcnt(14) lgkmcnt(0)
	v_fma_f64 v[39:40], v[47:48], v[39:40], v[43:44]
	s_waitcnt vmcnt(12)
	v_fma_f64 v[43:44], v[49:50], v[41:42], v[39:40]
	ds_read2_b64 v[39:42], v38 offset0:31 offset1:32
	;; [unrolled: 5-line block ×3, first 2 shown]
	s_waitcnt vmcnt(6) lgkmcnt(0)
	v_fma_f64 v[39:40], v[55:56], v[39:40], v[43:44]
	s_waitcnt vmcnt(4)
	v_fma_f64 v[39:40], v[57:58], v[41:42], v[39:40]
	ds_read_b64 v[41:42], v38 offset:280
	s_waitcnt vmcnt(2) lgkmcnt(0)
	v_fma_f64 v[39:40], v[59:60], v[41:42], v[39:40]
	s_waitcnt vmcnt(0)
	v_add_f64 v[39:40], v[61:62], -v[39:40]
	buffer_store_dword v39, off, s[0:3], 0 offset:64
	buffer_store_dword v40, off, s[0:3], 0 offset:68
	s_and_saveexec_b64 s[4:5], vcc
	s_cbranch_execz .LBB17_101
; %bb.100:
	buffer_load_dword v39, off, s[0:3], 0 offset:56
	buffer_load_dword v40, off, s[0:3], 0 offset:60
	s_waitcnt vmcnt(0)
	ds_write_b64 v37, v[39:40]
	buffer_store_dword v38, off, s[0:3], 0 offset:56
	buffer_store_dword v38, off, s[0:3], 0 offset:60
.LBB17_101:
	s_or_b64 exec, exec, s[4:5]
	s_waitcnt lgkmcnt(0)
	; wave barrier
	buffer_load_dword v47, off, s[0:3], 0 offset:64
	buffer_load_dword v48, off, s[0:3], 0 offset:68
	;; [unrolled: 1-line block ×20, first 2 shown]
	ds_read_b128 v[39:42], v38 offset:208
	buffer_load_dword v67, off, s[0:3], 0 offset:56
	buffer_load_dword v68, off, s[0:3], 0 offset:60
	ds_read_b128 v[43:46], v38 offset:224
	v_cmp_lt_u32_e32 vcc, 6, v0
	s_waitcnt vmcnt(20) lgkmcnt(1)
	v_fma_f64 v[39:40], v[47:48], v[39:40], 0
	s_waitcnt vmcnt(18)
	v_fma_f64 v[39:40], v[49:50], v[41:42], v[39:40]
	s_waitcnt vmcnt(16) lgkmcnt(0)
	v_fma_f64 v[39:40], v[51:52], v[43:44], v[39:40]
	s_waitcnt vmcnt(14)
	v_fma_f64 v[47:48], v[53:54], v[45:46], v[39:40]
	ds_read_b128 v[39:42], v38 offset:240
	ds_read_b128 v[43:46], v38 offset:256
	s_waitcnt vmcnt(12) lgkmcnt(1)
	v_fma_f64 v[39:40], v[55:56], v[39:40], v[47:48]
	s_waitcnt vmcnt(10)
	v_fma_f64 v[39:40], v[57:58], v[41:42], v[39:40]
	s_waitcnt vmcnt(8) lgkmcnt(0)
	v_fma_f64 v[39:40], v[59:60], v[43:44], v[39:40]
	s_waitcnt vmcnt(4)
	v_fma_f64 v[42:43], v[61:62], v[45:46], v[39:40]
	ds_read_b128 v[38:41], v38 offset:272
	s_waitcnt vmcnt(3) lgkmcnt(0)
	v_fma_f64 v[38:39], v[65:66], v[38:39], v[42:43]
	s_waitcnt vmcnt(2)
	v_fma_f64 v[38:39], v[63:64], v[40:41], v[38:39]
	s_waitcnt vmcnt(0)
	v_add_f64 v[38:39], v[67:68], -v[38:39]
	buffer_store_dword v38, off, s[0:3], 0 offset:56
	buffer_store_dword v39, off, s[0:3], 0 offset:60
	s_and_saveexec_b64 s[4:5], vcc
	s_cbranch_execz .LBB17_103
; %bb.102:
	buffer_load_dword v38, off, s[0:3], 0 offset:48
	buffer_load_dword v39, off, s[0:3], 0 offset:52
	v_mov_b32_e32 v40, 0
	buffer_store_dword v40, off, s[0:3], 0 offset:48
	buffer_store_dword v40, off, s[0:3], 0 offset:52
	s_waitcnt vmcnt(2)
	ds_write_b64 v37, v[38:39]
.LBB17_103:
	s_or_b64 exec, exec, s[4:5]
	s_waitcnt lgkmcnt(0)
	; wave barrier
	buffer_load_dword v47, off, s[0:3], 0 offset:56
	buffer_load_dword v48, off, s[0:3], 0 offset:60
	;; [unrolled: 1-line block ×21, first 2 shown]
	v_mov_b32_e32 v38, 0
	ds_read2_b64 v[39:42], v38 offset0:25 offset1:26
	ds_read2_b64 v[43:46], v38 offset0:27 offset1:28
	buffer_load_dword v64, off, s[0:3], 0 offset:140
	v_cmp_lt_u32_e32 vcc, 5, v0
	s_waitcnt vmcnt(20) lgkmcnt(1)
	v_fma_f64 v[39:40], v[47:48], v[39:40], 0
	buffer_load_dword v47, off, s[0:3], 0 offset:48
	buffer_load_dword v48, off, s[0:3], 0 offset:52
	s_waitcnt vmcnt(20)
	v_fma_f64 v[39:40], v[49:50], v[41:42], v[39:40]
	s_waitcnt vmcnt(18) lgkmcnt(0)
	v_fma_f64 v[39:40], v[51:52], v[43:44], v[39:40]
	s_waitcnt vmcnt(16)
	v_fma_f64 v[49:50], v[53:54], v[45:46], v[39:40]
	ds_read2_b64 v[39:42], v38 offset0:29 offset1:30
	ds_read2_b64 v[43:46], v38 offset0:31 offset1:32
	s_waitcnt vmcnt(14) lgkmcnt(1)
	v_fma_f64 v[39:40], v[55:56], v[39:40], v[49:50]
	s_waitcnt vmcnt(12)
	v_fma_f64 v[39:40], v[57:58], v[41:42], v[39:40]
	s_waitcnt vmcnt(10) lgkmcnt(0)
	v_fma_f64 v[39:40], v[59:60], v[43:44], v[39:40]
	s_waitcnt vmcnt(5)
	v_fma_f64 v[43:44], v[61:62], v[45:46], v[39:40]
	ds_read2_b64 v[39:42], v38 offset0:33 offset1:34
	ds_read_b64 v[45:46], v38 offset:280
	s_waitcnt vmcnt(4) lgkmcnt(1)
	v_fma_f64 v[39:40], v[67:68], v[39:40], v[43:44]
	s_waitcnt vmcnt(3)
	v_fma_f64 v[39:40], v[65:66], v[41:42], v[39:40]
	s_waitcnt vmcnt(2) lgkmcnt(0)
	v_fma_f64 v[39:40], v[63:64], v[45:46], v[39:40]
	s_waitcnt vmcnt(0)
	v_add_f64 v[39:40], v[47:48], -v[39:40]
	buffer_store_dword v40, off, s[0:3], 0 offset:52
	buffer_store_dword v39, off, s[0:3], 0 offset:48
	s_and_saveexec_b64 s[4:5], vcc
	s_cbranch_execz .LBB17_105
; %bb.104:
	buffer_load_dword v39, off, s[0:3], 0 offset:40
	buffer_load_dword v40, off, s[0:3], 0 offset:44
	s_waitcnt vmcnt(0)
	ds_write_b64 v37, v[39:40]
	buffer_store_dword v38, off, s[0:3], 0 offset:40
	buffer_store_dword v38, off, s[0:3], 0 offset:44
.LBB17_105:
	s_or_b64 exec, exec, s[4:5]
	s_waitcnt lgkmcnt(0)
	; wave barrier
	buffer_load_dword v47, off, s[0:3], 0 offset:48
	buffer_load_dword v48, off, s[0:3], 0 offset:52
	;; [unrolled: 1-line block ×21, first 2 shown]
	ds_read_b128 v[39:42], v38 offset:192
	ds_read_b128 v[43:46], v38 offset:208
	buffer_load_dword v64, off, s[0:3], 0 offset:132
	v_cmp_lt_u32_e32 vcc, 4, v0
	s_waitcnt vmcnt(20) lgkmcnt(1)
	v_fma_f64 v[39:40], v[47:48], v[39:40], 0
	buffer_load_dword v48, off, s[0:3], 0 offset:140
	buffer_load_dword v47, off, s[0:3], 0 offset:136
	s_waitcnt vmcnt(20)
	v_fma_f64 v[39:40], v[49:50], v[41:42], v[39:40]
	buffer_load_dword v49, off, s[0:3], 0 offset:40
	buffer_load_dword v50, off, s[0:3], 0 offset:44
	s_waitcnt vmcnt(20) lgkmcnt(0)
	v_fma_f64 v[39:40], v[51:52], v[43:44], v[39:40]
	s_waitcnt vmcnt(18)
	v_fma_f64 v[51:52], v[53:54], v[45:46], v[39:40]
	ds_read_b128 v[39:42], v38 offset:224
	ds_read_b128 v[43:46], v38 offset:240
	s_waitcnt vmcnt(16) lgkmcnt(1)
	v_fma_f64 v[39:40], v[55:56], v[39:40], v[51:52]
	s_waitcnt vmcnt(14)
	v_fma_f64 v[39:40], v[57:58], v[41:42], v[39:40]
	s_waitcnt vmcnt(12) lgkmcnt(0)
	v_fma_f64 v[39:40], v[59:60], v[43:44], v[39:40]
	s_waitcnt vmcnt(7)
	v_fma_f64 v[51:52], v[61:62], v[45:46], v[39:40]
	ds_read_b128 v[39:42], v38 offset:256
	ds_read_b128 v[43:46], v38 offset:272
	s_waitcnt vmcnt(6) lgkmcnt(1)
	v_fma_f64 v[38:39], v[67:68], v[39:40], v[51:52]
	s_waitcnt vmcnt(5)
	v_fma_f64 v[38:39], v[65:66], v[41:42], v[38:39]
	s_waitcnt vmcnt(4) lgkmcnt(0)
	v_fma_f64 v[38:39], v[63:64], v[43:44], v[38:39]
	s_waitcnt vmcnt(2)
	v_fma_f64 v[38:39], v[47:48], v[45:46], v[38:39]
	s_waitcnt vmcnt(0)
	v_add_f64 v[38:39], v[49:50], -v[38:39]
	buffer_store_dword v39, off, s[0:3], 0 offset:44
	buffer_store_dword v38, off, s[0:3], 0 offset:40
	s_and_saveexec_b64 s[4:5], vcc
	s_cbranch_execz .LBB17_107
; %bb.106:
	buffer_load_dword v38, off, s[0:3], 0 offset:32
	buffer_load_dword v39, off, s[0:3], 0 offset:36
	v_mov_b32_e32 v40, 0
	buffer_store_dword v40, off, s[0:3], 0 offset:32
	buffer_store_dword v40, off, s[0:3], 0 offset:36
	s_waitcnt vmcnt(2)
	ds_write_b64 v37, v[38:39]
.LBB17_107:
	s_or_b64 exec, exec, s[4:5]
	s_waitcnt lgkmcnt(0)
	; wave barrier
	buffer_load_dword v47, off, s[0:3], 0 offset:40
	buffer_load_dword v48, off, s[0:3], 0 offset:44
	;; [unrolled: 1-line block ×21, first 2 shown]
	v_mov_b32_e32 v38, 0
	ds_read2_b64 v[39:42], v38 offset0:23 offset1:24
	ds_read2_b64 v[43:46], v38 offset0:25 offset1:26
	buffer_load_dword v64, off, s[0:3], 0 offset:124
	v_cmp_lt_u32_e32 vcc, 3, v0
	s_waitcnt vmcnt(20) lgkmcnt(1)
	v_fma_f64 v[39:40], v[47:48], v[39:40], 0
	s_waitcnt vmcnt(18)
	v_fma_f64 v[39:40], v[49:50], v[41:42], v[39:40]
	buffer_load_dword v48, off, s[0:3], 0 offset:132
	buffer_load_dword v49, off, s[0:3], 0 offset:136
	;; [unrolled: 1-line block ×4, first 2 shown]
	s_waitcnt vmcnt(20) lgkmcnt(0)
	v_fma_f64 v[39:40], v[51:52], v[43:44], v[39:40]
	buffer_load_dword v51, off, s[0:3], 0 offset:32
	buffer_load_dword v52, off, s[0:3], 0 offset:36
	s_waitcnt vmcnt(20)
	v_fma_f64 v[53:54], v[53:54], v[45:46], v[39:40]
	ds_read2_b64 v[39:42], v38 offset0:27 offset1:28
	ds_read2_b64 v[43:46], v38 offset0:29 offset1:30
	s_waitcnt vmcnt(18) lgkmcnt(1)
	v_fma_f64 v[39:40], v[55:56], v[39:40], v[53:54]
	s_waitcnt vmcnt(16)
	v_fma_f64 v[39:40], v[57:58], v[41:42], v[39:40]
	s_waitcnt vmcnt(14) lgkmcnt(0)
	v_fma_f64 v[39:40], v[59:60], v[43:44], v[39:40]
	s_waitcnt vmcnt(9)
	v_fma_f64 v[53:54], v[61:62], v[45:46], v[39:40]
	ds_read2_b64 v[39:42], v38 offset0:31 offset1:32
	ds_read2_b64 v[43:46], v38 offset0:33 offset1:34
	s_waitcnt vmcnt(8) lgkmcnt(1)
	v_fma_f64 v[39:40], v[67:68], v[39:40], v[53:54]
	s_waitcnt vmcnt(7)
	v_fma_f64 v[39:40], v[65:66], v[41:42], v[39:40]
	ds_read_b64 v[41:42], v38 offset:280
	s_waitcnt vmcnt(6) lgkmcnt(1)
	v_fma_f64 v[39:40], v[63:64], v[43:44], v[39:40]
	s_waitcnt vmcnt(3)
	v_fma_f64 v[39:40], v[47:48], v[45:46], v[39:40]
	s_waitcnt vmcnt(2) lgkmcnt(0)
	v_fma_f64 v[39:40], v[49:50], v[41:42], v[39:40]
	s_waitcnt vmcnt(0)
	v_add_f64 v[39:40], v[51:52], -v[39:40]
	buffer_store_dword v40, off, s[0:3], 0 offset:36
	buffer_store_dword v39, off, s[0:3], 0 offset:32
	s_and_saveexec_b64 s[4:5], vcc
	s_cbranch_execz .LBB17_109
; %bb.108:
	buffer_load_dword v39, off, s[0:3], 0 offset:24
	buffer_load_dword v40, off, s[0:3], 0 offset:28
	s_waitcnt vmcnt(0)
	ds_write_b64 v37, v[39:40]
	buffer_store_dword v38, off, s[0:3], 0 offset:24
	buffer_store_dword v38, off, s[0:3], 0 offset:28
.LBB17_109:
	s_or_b64 exec, exec, s[4:5]
	s_waitcnt lgkmcnt(0)
	; wave barrier
	buffer_load_dword v47, off, s[0:3], 0 offset:32
	buffer_load_dword v48, off, s[0:3], 0 offset:36
	buffer_load_dword v49, off, s[0:3], 0 offset:40
	buffer_load_dword v50, off, s[0:3], 0 offset:44
	buffer_load_dword v51, off, s[0:3], 0 offset:48
	buffer_load_dword v52, off, s[0:3], 0 offset:52
	buffer_load_dword v53, off, s[0:3], 0 offset:56
	buffer_load_dword v54, off, s[0:3], 0 offset:60
	buffer_load_dword v55, off, s[0:3], 0 offset:64
	buffer_load_dword v56, off, s[0:3], 0 offset:68
	buffer_load_dword v57, off, s[0:3], 0 offset:72
	buffer_load_dword v58, off, s[0:3], 0 offset:76
	buffer_load_dword v59, off, s[0:3], 0 offset:80
	buffer_load_dword v60, off, s[0:3], 0 offset:84
	buffer_load_dword v62, off, s[0:3], 0 offset:92
	buffer_load_dword v63, off, s[0:3], 0 offset:112
	buffer_load_dword v65, off, s[0:3], 0 offset:104
	buffer_load_dword v67, off, s[0:3], 0 offset:96
	buffer_load_dword v61, off, s[0:3], 0 offset:88
	buffer_load_dword v68, off, s[0:3], 0 offset:100
	buffer_load_dword v66, off, s[0:3], 0 offset:108
	buffer_load_dword v64, off, s[0:3], 0 offset:116
	ds_read_b128 v[39:42], v38 offset:176
	ds_read_b128 v[43:46], v38 offset:192
	v_cmp_lt_u32_e32 vcc, 2, v0
	s_waitcnt vmcnt(20) lgkmcnt(1)
	v_fma_f64 v[39:40], v[47:48], v[39:40], 0
	s_waitcnt vmcnt(18)
	v_fma_f64 v[39:40], v[49:50], v[41:42], v[39:40]
	buffer_load_dword v48, off, s[0:3], 0 offset:124
	buffer_load_dword v49, off, s[0:3], 0 offset:136
	;; [unrolled: 1-line block ×6, first 2 shown]
	s_waitcnt vmcnt(22) lgkmcnt(0)
	v_fma_f64 v[39:40], v[51:52], v[43:44], v[39:40]
	s_waitcnt vmcnt(20)
	v_fma_f64 v[51:52], v[53:54], v[45:46], v[39:40]
	ds_read_b128 v[39:42], v38 offset:208
	buffer_load_dword v53, off, s[0:3], 0 offset:24
	buffer_load_dword v54, off, s[0:3], 0 offset:28
	ds_read_b128 v[43:46], v38 offset:224
	s_waitcnt vmcnt(20) lgkmcnt(1)
	v_fma_f64 v[39:40], v[55:56], v[39:40], v[51:52]
	s_waitcnt vmcnt(18)
	v_fma_f64 v[39:40], v[57:58], v[41:42], v[39:40]
	s_waitcnt vmcnt(16) lgkmcnt(0)
	v_fma_f64 v[39:40], v[59:60], v[43:44], v[39:40]
	s_waitcnt vmcnt(11)
	v_fma_f64 v[51:52], v[61:62], v[45:46], v[39:40]
	ds_read_b128 v[39:42], v38 offset:240
	ds_read_b128 v[43:46], v38 offset:256
	s_waitcnt vmcnt(10) lgkmcnt(1)
	v_fma_f64 v[39:40], v[67:68], v[39:40], v[51:52]
	s_waitcnt vmcnt(9)
	v_fma_f64 v[39:40], v[65:66], v[41:42], v[39:40]
	s_waitcnt vmcnt(8) lgkmcnt(0)
	v_fma_f64 v[39:40], v[63:64], v[43:44], v[39:40]
	s_waitcnt vmcnt(4)
	v_fma_f64 v[42:43], v[47:48], v[45:46], v[39:40]
	ds_read_b128 v[38:41], v38 offset:272
	s_waitcnt vmcnt(3) lgkmcnt(0)
	v_fma_f64 v[38:39], v[69:70], v[38:39], v[42:43]
	s_waitcnt vmcnt(2)
	v_fma_f64 v[38:39], v[49:50], v[40:41], v[38:39]
	s_waitcnt vmcnt(0)
	v_add_f64 v[38:39], v[53:54], -v[38:39]
	buffer_store_dword v39, off, s[0:3], 0 offset:28
	buffer_store_dword v38, off, s[0:3], 0 offset:24
	s_and_saveexec_b64 s[4:5], vcc
	s_cbranch_execz .LBB17_111
; %bb.110:
	buffer_load_dword v38, off, s[0:3], 0 offset:16
	buffer_load_dword v39, off, s[0:3], 0 offset:20
	v_mov_b32_e32 v40, 0
	buffer_store_dword v40, off, s[0:3], 0 offset:16
	buffer_store_dword v40, off, s[0:3], 0 offset:20
	s_waitcnt vmcnt(2)
	ds_write_b64 v37, v[38:39]
.LBB17_111:
	s_or_b64 exec, exec, s[4:5]
	s_waitcnt lgkmcnt(0)
	; wave barrier
	buffer_load_dword v47, off, s[0:3], 0 offset:24
	buffer_load_dword v48, off, s[0:3], 0 offset:28
	;; [unrolled: 1-line block ×22, first 2 shown]
	v_mov_b32_e32 v38, 0
	ds_read2_b64 v[39:42], v38 offset0:21 offset1:22
	ds_read2_b64 v[43:46], v38 offset0:23 offset1:24
	v_cmp_lt_u32_e32 vcc, 1, v0
	s_waitcnt vmcnt(20) lgkmcnt(1)
	v_fma_f64 v[39:40], v[47:48], v[39:40], 0
	s_waitcnt vmcnt(18)
	v_fma_f64 v[39:40], v[49:50], v[41:42], v[39:40]
	buffer_load_dword v48, off, s[0:3], 0 offset:116
	buffer_load_dword v49, off, s[0:3], 0 offset:136
	buffer_load_dword v69, off, s[0:3], 0 offset:128
	buffer_load_dword v71, off, s[0:3], 0 offset:120
	buffer_load_dword v47, off, s[0:3], 0 offset:112
	buffer_load_dword v72, off, s[0:3], 0 offset:124
	buffer_load_dword v70, off, s[0:3], 0 offset:132
	buffer_load_dword v50, off, s[0:3], 0 offset:140
	s_waitcnt vmcnt(24) lgkmcnt(0)
	v_fma_f64 v[39:40], v[51:52], v[43:44], v[39:40]
	s_waitcnt vmcnt(22)
	v_fma_f64 v[51:52], v[53:54], v[45:46], v[39:40]
	ds_read2_b64 v[39:42], v38 offset0:25 offset1:26
	ds_read2_b64 v[43:46], v38 offset0:27 offset1:28
	s_waitcnt vmcnt(20) lgkmcnt(1)
	v_fma_f64 v[39:40], v[55:56], v[39:40], v[51:52]
	buffer_load_dword v51, off, s[0:3], 0 offset:16
	buffer_load_dword v52, off, s[0:3], 0 offset:20
	s_waitcnt vmcnt(20)
	v_fma_f64 v[39:40], v[57:58], v[41:42], v[39:40]
	s_waitcnt vmcnt(18) lgkmcnt(0)
	v_fma_f64 v[39:40], v[59:60], v[43:44], v[39:40]
	s_waitcnt vmcnt(13)
	v_fma_f64 v[53:54], v[61:62], v[45:46], v[39:40]
	ds_read2_b64 v[39:42], v38 offset0:29 offset1:30
	ds_read2_b64 v[43:46], v38 offset0:31 offset1:32
	s_waitcnt vmcnt(12) lgkmcnt(1)
	v_fma_f64 v[39:40], v[67:68], v[39:40], v[53:54]
	s_waitcnt vmcnt(11)
	v_fma_f64 v[39:40], v[65:66], v[41:42], v[39:40]
	s_waitcnt vmcnt(10) lgkmcnt(0)
	v_fma_f64 v[39:40], v[63:64], v[43:44], v[39:40]
	s_waitcnt vmcnt(5)
	v_fma_f64 v[43:44], v[47:48], v[45:46], v[39:40]
	ds_read2_b64 v[39:42], v38 offset0:33 offset1:34
	ds_read_b64 v[45:46], v38 offset:280
	s_waitcnt vmcnt(4) lgkmcnt(1)
	v_fma_f64 v[39:40], v[71:72], v[39:40], v[43:44]
	s_waitcnt vmcnt(3)
	v_fma_f64 v[39:40], v[69:70], v[41:42], v[39:40]
	s_waitcnt vmcnt(2) lgkmcnt(0)
	v_fma_f64 v[39:40], v[49:50], v[45:46], v[39:40]
	s_waitcnt vmcnt(0)
	v_add_f64 v[39:40], v[51:52], -v[39:40]
	buffer_store_dword v40, off, s[0:3], 0 offset:20
	buffer_store_dword v39, off, s[0:3], 0 offset:16
	s_and_saveexec_b64 s[4:5], vcc
	s_cbranch_execz .LBB17_113
; %bb.112:
	buffer_load_dword v39, off, s[0:3], 0 offset:8
	buffer_load_dword v40, off, s[0:3], 0 offset:12
	s_waitcnt vmcnt(0)
	ds_write_b64 v37, v[39:40]
	buffer_store_dword v38, off, s[0:3], 0 offset:8
	buffer_store_dword v38, off, s[0:3], 0 offset:12
.LBB17_113:
	s_or_b64 exec, exec, s[4:5]
	s_waitcnt lgkmcnt(0)
	; wave barrier
	buffer_load_dword v47, off, s[0:3], 0 offset:16
	buffer_load_dword v48, off, s[0:3], 0 offset:20
	;; [unrolled: 1-line block ×22, first 2 shown]
	ds_read_b128 v[39:42], v38 offset:160
	ds_read_b128 v[43:46], v38 offset:176
	v_cmp_ne_u32_e32 vcc, 0, v0
	s_waitcnt vmcnt(20) lgkmcnt(1)
	v_fma_f64 v[39:40], v[47:48], v[39:40], 0
	s_waitcnt vmcnt(18)
	v_fma_f64 v[39:40], v[49:50], v[41:42], v[39:40]
	buffer_load_dword v48, off, s[0:3], 0 offset:108
	buffer_load_dword v49, off, s[0:3], 0 offset:128
	;; [unrolled: 1-line block ×8, first 2 shown]
	s_waitcnt vmcnt(24) lgkmcnt(0)
	v_fma_f64 v[39:40], v[51:52], v[43:44], v[39:40]
	s_waitcnt vmcnt(22)
	v_fma_f64 v[51:52], v[53:54], v[45:46], v[39:40]
	ds_read_b128 v[39:42], v38 offset:192
	ds_read_b128 v[43:46], v38 offset:208
	s_waitcnt vmcnt(20) lgkmcnt(1)
	v_fma_f64 v[39:40], v[55:56], v[39:40], v[51:52]
	buffer_load_dword v52, off, s[0:3], 0 offset:140
	buffer_load_dword v51, off, s[0:3], 0 offset:136
	;; [unrolled: 1-line block ×4, first 2 shown]
	s_waitcnt vmcnt(22)
	v_fma_f64 v[39:40], v[57:58], v[41:42], v[39:40]
	s_waitcnt vmcnt(20) lgkmcnt(0)
	v_fma_f64 v[39:40], v[59:60], v[43:44], v[39:40]
	s_waitcnt vmcnt(15)
	v_fma_f64 v[55:56], v[61:62], v[45:46], v[39:40]
	ds_read_b128 v[39:42], v38 offset:224
	ds_read_b128 v[43:46], v38 offset:240
	s_waitcnt vmcnt(14) lgkmcnt(1)
	v_fma_f64 v[39:40], v[67:68], v[39:40], v[55:56]
	s_waitcnt vmcnt(13)
	v_fma_f64 v[39:40], v[65:66], v[41:42], v[39:40]
	s_waitcnt vmcnt(12) lgkmcnt(0)
	v_fma_f64 v[39:40], v[63:64], v[43:44], v[39:40]
	s_waitcnt vmcnt(7)
	v_fma_f64 v[47:48], v[47:48], v[45:46], v[39:40]
	ds_read_b128 v[39:42], v38 offset:256
	ds_read_b128 v[43:46], v38 offset:272
	s_waitcnt vmcnt(6) lgkmcnt(1)
	v_fma_f64 v[38:39], v[71:72], v[39:40], v[47:48]
	s_waitcnt vmcnt(5)
	v_fma_f64 v[38:39], v[69:70], v[41:42], v[38:39]
	s_waitcnt vmcnt(4) lgkmcnt(0)
	v_fma_f64 v[38:39], v[49:50], v[43:44], v[38:39]
	s_waitcnt vmcnt(2)
	v_fma_f64 v[38:39], v[51:52], v[45:46], v[38:39]
	s_waitcnt vmcnt(0)
	v_add_f64 v[38:39], v[53:54], -v[38:39]
	buffer_store_dword v39, off, s[0:3], 0 offset:12
	buffer_store_dword v38, off, s[0:3], 0 offset:8
	s_and_saveexec_b64 s[4:5], vcc
	s_cbranch_execz .LBB17_115
; %bb.114:
	buffer_load_dword v38, off, s[0:3], 0
	buffer_load_dword v39, off, s[0:3], 0 offset:4
	v_mov_b32_e32 v0, 0
	buffer_store_dword v0, off, s[0:3], 0
	buffer_store_dword v0, off, s[0:3], 0 offset:4
	s_waitcnt vmcnt(2)
	ds_write_b64 v37, v[38:39]
.LBB17_115:
	s_or_b64 exec, exec, s[4:5]
	s_waitcnt lgkmcnt(0)
	; wave barrier
	buffer_load_dword v45, off, s[0:3], 0 offset:8
	buffer_load_dword v46, off, s[0:3], 0 offset:12
	;; [unrolled: 1-line block ×22, first 2 shown]
	v_mov_b32_e32 v0, 0
	ds_read2_b64 v[37:40], v0 offset0:19 offset1:20
	ds_read2_b64 v[41:44], v0 offset0:21 offset1:22
	buffer_load_dword v68, off, s[0:3], 0 offset:100
	buffer_load_dword v69, off, s[0:3], 0 offset:120
	;; [unrolled: 1-line block ×7, first 2 shown]
	s_and_b64 vcc, exec, s[22:23]
	s_waitcnt vmcnt(27) lgkmcnt(1)
	v_fma_f64 v[37:38], v[45:46], v[37:38], 0
	s_waitcnt vmcnt(25)
	v_fma_f64 v[37:38], v[47:48], v[39:40], v[37:38]
	s_waitcnt vmcnt(23) lgkmcnt(0)
	v_fma_f64 v[37:38], v[49:50], v[41:42], v[37:38]
	s_waitcnt vmcnt(21)
	v_fma_f64 v[45:46], v[51:52], v[43:44], v[37:38]
	ds_read2_b64 v[37:40], v0 offset0:23 offset1:24
	ds_read2_b64 v[41:44], v0 offset0:25 offset1:26
	buffer_load_dword v70, off, s[0:3], 0 offset:124
	s_waitcnt vmcnt(20) lgkmcnt(1)
	v_fma_f64 v[37:38], v[53:54], v[37:38], v[45:46]
	s_waitcnt vmcnt(18)
	v_fma_f64 v[37:38], v[55:56], v[39:40], v[37:38]
	buffer_load_dword v40, off, s[0:3], 0 offset:132
	buffer_load_dword v49, off, s[0:3], 0 offset:136
	;; [unrolled: 1-line block ×4, first 2 shown]
	buffer_load_dword v51, off, s[0:3], 0
	buffer_load_dword v52, off, s[0:3], 0 offset:4
	s_waitcnt vmcnt(22) lgkmcnt(0)
	v_fma_f64 v[37:38], v[57:58], v[41:42], v[37:38]
	s_waitcnt vmcnt(17)
	v_fma_f64 v[37:38], v[59:60], v[43:44], v[37:38]
	ds_read2_b64 v[41:44], v0 offset0:27 offset1:28
	ds_read2_b64 v[45:48], v0 offset0:29 offset1:30
	s_waitcnt vmcnt(16) lgkmcnt(1)
	v_fma_f64 v[37:38], v[65:66], v[41:42], v[37:38]
	s_waitcnt vmcnt(15)
	v_fma_f64 v[37:38], v[63:64], v[43:44], v[37:38]
	s_waitcnt vmcnt(14) lgkmcnt(0)
	v_fma_f64 v[37:38], v[61:62], v[45:46], v[37:38]
	s_waitcnt vmcnt(9)
	v_fma_f64 v[37:38], v[67:68], v[47:48], v[37:38]
	ds_read2_b64 v[41:44], v0 offset0:31 offset1:32
	ds_read2_b64 v[45:48], v0 offset0:33 offset1:34
	s_waitcnt vmcnt(8) lgkmcnt(1)
	v_fma_f64 v[37:38], v[73:74], v[41:42], v[37:38]
	ds_read_b64 v[41:42], v0 offset:280
	s_waitcnt vmcnt(7)
	v_fma_f64 v[37:38], v[71:72], v[43:44], v[37:38]
	s_waitcnt vmcnt(6) lgkmcnt(1)
	v_fma_f64 v[37:38], v[69:70], v[45:46], v[37:38]
	s_waitcnt vmcnt(3)
	v_fma_f64 v[37:38], v[39:40], v[47:48], v[37:38]
	s_waitcnt vmcnt(2) lgkmcnt(0)
	v_fma_f64 v[37:38], v[49:50], v[41:42], v[37:38]
	s_waitcnt vmcnt(0)
	v_add_f64 v[37:38], v[51:52], -v[37:38]
	buffer_store_dword v38, off, s[0:3], 0 offset:4
	buffer_store_dword v37, off, s[0:3], 0
	s_cbranch_vccz .LBB17_150
; %bb.116:
	global_load_dword v0, v0, s[20:21] offset:64
	s_waitcnt vmcnt(0)
	v_add_u32_e32 v0, -1, v0
	v_cmp_ne_u32_e32 vcc, 16, v0
	s_cbranch_vccz .LBB17_118
; %bb.117:
	v_lshlrev_b32_e32 v0, 3, v0
	buffer_load_dword v37, v0, s[0:3], 0 offen offset:4
	buffer_load_dword v38, v0, s[0:3], 0 offen
	s_waitcnt vmcnt(1)
	buffer_store_dword v37, off, s[0:3], 0 offset:132
	s_waitcnt vmcnt(1)
	buffer_store_dword v38, off, s[0:3], 0 offset:128
	buffer_store_dword v40, v0, s[0:3], 0 offen offset:4
	buffer_store_dword v39, v0, s[0:3], 0 offen
.LBB17_118:
	v_mov_b32_e32 v0, 0
	global_load_dword v37, v0, s[20:21] offset:60
	s_waitcnt vmcnt(0)
	v_add_u32_e32 v37, -1, v37
	v_cmp_eq_u32_e32 vcc, 15, v37
	s_cbranch_vccnz .LBB17_120
; %bb.119:
	v_lshlrev_b32_e32 v37, 3, v37
	buffer_load_dword v38, v37, s[0:3], 0 offen
	buffer_load_dword v39, v37, s[0:3], 0 offen offset:4
	buffer_load_dword v40, off, s[0:3], 0 offset:120
	buffer_load_dword v41, off, s[0:3], 0 offset:124
	s_waitcnt vmcnt(3)
	buffer_store_dword v38, off, s[0:3], 0 offset:120
	s_waitcnt vmcnt(3)
	buffer_store_dword v39, off, s[0:3], 0 offset:124
	s_waitcnt vmcnt(3)
	buffer_store_dword v40, v37, s[0:3], 0 offen
	s_waitcnt vmcnt(3)
	buffer_store_dword v41, v37, s[0:3], 0 offen offset:4
.LBB17_120:
	global_load_dword v0, v0, s[20:21] offset:56
	s_waitcnt vmcnt(0)
	v_add_u32_e32 v0, -1, v0
	v_cmp_eq_u32_e32 vcc, 14, v0
	s_cbranch_vccnz .LBB17_122
; %bb.121:
	v_lshlrev_b32_e32 v0, 3, v0
	buffer_load_dword v37, v0, s[0:3], 0 offen
	buffer_load_dword v38, v0, s[0:3], 0 offen offset:4
	buffer_load_dword v39, off, s[0:3], 0 offset:116
	buffer_load_dword v40, off, s[0:3], 0 offset:112
	s_waitcnt vmcnt(3)
	buffer_store_dword v37, off, s[0:3], 0 offset:112
	s_waitcnt vmcnt(3)
	buffer_store_dword v38, off, s[0:3], 0 offset:116
	s_waitcnt vmcnt(3)
	buffer_store_dword v39, v0, s[0:3], 0 offen offset:4
	s_waitcnt vmcnt(3)
	buffer_store_dword v40, v0, s[0:3], 0 offen
.LBB17_122:
	v_mov_b32_e32 v0, 0
	global_load_dword v37, v0, s[20:21] offset:52
	s_waitcnt vmcnt(0)
	v_add_u32_e32 v37, -1, v37
	v_cmp_eq_u32_e32 vcc, 13, v37
	s_cbranch_vccnz .LBB17_124
; %bb.123:
	v_lshlrev_b32_e32 v37, 3, v37
	buffer_load_dword v38, v37, s[0:3], 0 offen
	buffer_load_dword v39, v37, s[0:3], 0 offen offset:4
	buffer_load_dword v40, off, s[0:3], 0 offset:104
	buffer_load_dword v41, off, s[0:3], 0 offset:108
	s_waitcnt vmcnt(3)
	buffer_store_dword v38, off, s[0:3], 0 offset:104
	s_waitcnt vmcnt(3)
	buffer_store_dword v39, off, s[0:3], 0 offset:108
	s_waitcnt vmcnt(3)
	buffer_store_dword v40, v37, s[0:3], 0 offen
	s_waitcnt vmcnt(3)
	buffer_store_dword v41, v37, s[0:3], 0 offen offset:4
.LBB17_124:
	global_load_dword v0, v0, s[20:21] offset:48
	s_waitcnt vmcnt(0)
	v_add_u32_e32 v0, -1, v0
	v_cmp_eq_u32_e32 vcc, 12, v0
	s_cbranch_vccnz .LBB17_126
; %bb.125:
	v_lshlrev_b32_e32 v0, 3, v0
	buffer_load_dword v37, v0, s[0:3], 0 offen
	buffer_load_dword v38, v0, s[0:3], 0 offen offset:4
	buffer_load_dword v39, off, s[0:3], 0 offset:100
	buffer_load_dword v40, off, s[0:3], 0 offset:96
	s_waitcnt vmcnt(3)
	buffer_store_dword v37, off, s[0:3], 0 offset:96
	s_waitcnt vmcnt(3)
	buffer_store_dword v38, off, s[0:3], 0 offset:100
	s_waitcnt vmcnt(3)
	buffer_store_dword v39, v0, s[0:3], 0 offen offset:4
	s_waitcnt vmcnt(3)
	buffer_store_dword v40, v0, s[0:3], 0 offen
.LBB17_126:
	;; [unrolled: 41-line block ×7, first 2 shown]
	v_mov_b32_e32 v0, 0
	global_load_dword v37, v0, s[20:21] offset:4
	s_waitcnt vmcnt(0)
	v_add_u32_e32 v37, -1, v37
	v_cmp_eq_u32_e32 vcc, 1, v37
	s_cbranch_vccnz .LBB17_148
; %bb.147:
	v_lshlrev_b32_e32 v37, 3, v37
	buffer_load_dword v38, v37, s[0:3], 0 offen
	buffer_load_dword v39, v37, s[0:3], 0 offen offset:4
	buffer_load_dword v40, off, s[0:3], 0 offset:8
	buffer_load_dword v41, off, s[0:3], 0 offset:12
	s_waitcnt vmcnt(3)
	buffer_store_dword v38, off, s[0:3], 0 offset:8
	s_waitcnt vmcnt(3)
	buffer_store_dword v39, off, s[0:3], 0 offset:12
	s_waitcnt vmcnt(3)
	buffer_store_dword v40, v37, s[0:3], 0 offen
	s_waitcnt vmcnt(3)
	buffer_store_dword v41, v37, s[0:3], 0 offen offset:4
.LBB17_148:
	global_load_dword v0, v0, s[20:21]
	s_nop 0
	buffer_load_dword v37, off, s[0:3], 0
	buffer_load_dword v38, off, s[0:3], 0 offset:4
	s_waitcnt vmcnt(2)
	v_add_u32_e32 v0, -1, v0
	v_cmp_eq_u32_e32 vcc, 0, v0
	s_cbranch_vccnz .LBB17_150
; %bb.149:
	v_lshlrev_b32_e32 v0, 3, v0
	buffer_load_dword v39, v0, s[0:3], 0 offen offset:4
	buffer_load_dword v40, v0, s[0:3], 0 offen
	s_waitcnt vmcnt(1)
	buffer_store_dword v39, off, s[0:3], 0 offset:4
	s_waitcnt vmcnt(1)
	buffer_store_dword v40, off, s[0:3], 0
	buffer_store_dword v38, v0, s[0:3], 0 offen offset:4
	buffer_store_dword v37, v0, s[0:3], 0 offen
	buffer_load_dword v37, off, s[0:3], 0
	s_nop 0
	buffer_load_dword v38, off, s[0:3], 0 offset:4
.LBB17_150:
	buffer_load_dword v39, off, s[0:3], 0 offset:8
	buffer_load_dword v40, off, s[0:3], 0 offset:12
	;; [unrolled: 1-line block ×34, first 2 shown]
	s_waitcnt vmcnt(34)
	global_store_dwordx2 v[29:30], v[37:38], off
	s_waitcnt vmcnt(33)
	global_store_dwordx2 v[31:32], v[39:40], off
	;; [unrolled: 2-line block ×18, first 2 shown]
	s_endpgm
	.section	.rodata,"a",@progbits
	.p2align	6, 0x0
	.amdhsa_kernel _ZN9rocsolver6v33100L18getri_kernel_smallILi18EdPdEEvT1_iilPiilS4_bb
		.amdhsa_group_segment_fixed_size 296
		.amdhsa_private_segment_fixed_size 160
		.amdhsa_kernarg_size 60
		.amdhsa_user_sgpr_count 6
		.amdhsa_user_sgpr_private_segment_buffer 1
		.amdhsa_user_sgpr_dispatch_ptr 0
		.amdhsa_user_sgpr_queue_ptr 0
		.amdhsa_user_sgpr_kernarg_segment_ptr 1
		.amdhsa_user_sgpr_dispatch_id 0
		.amdhsa_user_sgpr_flat_scratch_init 0
		.amdhsa_user_sgpr_private_segment_size 0
		.amdhsa_uses_dynamic_stack 0
		.amdhsa_system_sgpr_private_segment_wavefront_offset 1
		.amdhsa_system_sgpr_workgroup_id_x 1
		.amdhsa_system_sgpr_workgroup_id_y 0
		.amdhsa_system_sgpr_workgroup_id_z 0
		.amdhsa_system_sgpr_workgroup_info 0
		.amdhsa_system_vgpr_workitem_id 0
		.amdhsa_next_free_vgpr 75
		.amdhsa_next_free_sgpr 24
		.amdhsa_reserve_vcc 1
		.amdhsa_reserve_flat_scratch 0
		.amdhsa_float_round_mode_32 0
		.amdhsa_float_round_mode_16_64 0
		.amdhsa_float_denorm_mode_32 3
		.amdhsa_float_denorm_mode_16_64 3
		.amdhsa_dx10_clamp 1
		.amdhsa_ieee_mode 1
		.amdhsa_fp16_overflow 0
		.amdhsa_exception_fp_ieee_invalid_op 0
		.amdhsa_exception_fp_denorm_src 0
		.amdhsa_exception_fp_ieee_div_zero 0
		.amdhsa_exception_fp_ieee_overflow 0
		.amdhsa_exception_fp_ieee_underflow 0
		.amdhsa_exception_fp_ieee_inexact 0
		.amdhsa_exception_int_div_zero 0
	.end_amdhsa_kernel
	.section	.text._ZN9rocsolver6v33100L18getri_kernel_smallILi18EdPdEEvT1_iilPiilS4_bb,"axG",@progbits,_ZN9rocsolver6v33100L18getri_kernel_smallILi18EdPdEEvT1_iilPiilS4_bb,comdat
.Lfunc_end17:
	.size	_ZN9rocsolver6v33100L18getri_kernel_smallILi18EdPdEEvT1_iilPiilS4_bb, .Lfunc_end17-_ZN9rocsolver6v33100L18getri_kernel_smallILi18EdPdEEvT1_iilPiilS4_bb
                                        ; -- End function
	.set _ZN9rocsolver6v33100L18getri_kernel_smallILi18EdPdEEvT1_iilPiilS4_bb.num_vgpr, 75
	.set _ZN9rocsolver6v33100L18getri_kernel_smallILi18EdPdEEvT1_iilPiilS4_bb.num_agpr, 0
	.set _ZN9rocsolver6v33100L18getri_kernel_smallILi18EdPdEEvT1_iilPiilS4_bb.numbered_sgpr, 24
	.set _ZN9rocsolver6v33100L18getri_kernel_smallILi18EdPdEEvT1_iilPiilS4_bb.num_named_barrier, 0
	.set _ZN9rocsolver6v33100L18getri_kernel_smallILi18EdPdEEvT1_iilPiilS4_bb.private_seg_size, 160
	.set _ZN9rocsolver6v33100L18getri_kernel_smallILi18EdPdEEvT1_iilPiilS4_bb.uses_vcc, 1
	.set _ZN9rocsolver6v33100L18getri_kernel_smallILi18EdPdEEvT1_iilPiilS4_bb.uses_flat_scratch, 0
	.set _ZN9rocsolver6v33100L18getri_kernel_smallILi18EdPdEEvT1_iilPiilS4_bb.has_dyn_sized_stack, 0
	.set _ZN9rocsolver6v33100L18getri_kernel_smallILi18EdPdEEvT1_iilPiilS4_bb.has_recursion, 0
	.set _ZN9rocsolver6v33100L18getri_kernel_smallILi18EdPdEEvT1_iilPiilS4_bb.has_indirect_call, 0
	.section	.AMDGPU.csdata,"",@progbits
; Kernel info:
; codeLenInByte = 13896
; TotalNumSgprs: 28
; NumVgprs: 75
; ScratchSize: 160
; MemoryBound: 0
; FloatMode: 240
; IeeeMode: 1
; LDSByteSize: 296 bytes/workgroup (compile time only)
; SGPRBlocks: 3
; VGPRBlocks: 18
; NumSGPRsForWavesPerEU: 28
; NumVGPRsForWavesPerEU: 75
; Occupancy: 3
; WaveLimiterHint : 1
; COMPUTE_PGM_RSRC2:SCRATCH_EN: 1
; COMPUTE_PGM_RSRC2:USER_SGPR: 6
; COMPUTE_PGM_RSRC2:TRAP_HANDLER: 0
; COMPUTE_PGM_RSRC2:TGID_X_EN: 1
; COMPUTE_PGM_RSRC2:TGID_Y_EN: 0
; COMPUTE_PGM_RSRC2:TGID_Z_EN: 0
; COMPUTE_PGM_RSRC2:TIDIG_COMP_CNT: 0
	.section	.text._ZN9rocsolver6v33100L18getri_kernel_smallILi19EdPdEEvT1_iilPiilS4_bb,"axG",@progbits,_ZN9rocsolver6v33100L18getri_kernel_smallILi19EdPdEEvT1_iilPiilS4_bb,comdat
	.globl	_ZN9rocsolver6v33100L18getri_kernel_smallILi19EdPdEEvT1_iilPiilS4_bb ; -- Begin function _ZN9rocsolver6v33100L18getri_kernel_smallILi19EdPdEEvT1_iilPiilS4_bb
	.p2align	8
	.type	_ZN9rocsolver6v33100L18getri_kernel_smallILi19EdPdEEvT1_iilPiilS4_bb,@function
_ZN9rocsolver6v33100L18getri_kernel_smallILi19EdPdEEvT1_iilPiilS4_bb: ; @_ZN9rocsolver6v33100L18getri_kernel_smallILi19EdPdEEvT1_iilPiilS4_bb
; %bb.0:
	s_add_u32 s0, s0, s7
	s_addc_u32 s1, s1, 0
	v_cmp_gt_u32_e32 vcc, 19, v0
	s_and_saveexec_b64 s[8:9], vcc
	s_cbranch_execz .LBB18_84
; %bb.1:
	s_load_dword s12, s[4:5], 0x38
	s_load_dwordx4 s[16:19], s[4:5], 0x10
	s_load_dwordx4 s[8:11], s[4:5], 0x28
                                        ; implicit-def: $sgpr20_sgpr21
	s_waitcnt lgkmcnt(0)
	s_bitcmp1_b32 s12, 8
	s_cselect_b64 s[22:23], -1, 0
	s_ashr_i32 s7, s6, 31
	s_bfe_u32 s12, s12, 0x10008
	s_cmp_eq_u32 s12, 0
	s_cbranch_scc1 .LBB18_3
; %bb.2:
	s_load_dword s12, s[4:5], 0x20
	s_mul_i32 s13, s8, s7
	s_mul_hi_u32 s14, s8, s6
	s_mul_i32 s9, s9, s6
	s_add_i32 s14, s14, s13
	s_add_i32 s9, s14, s9
	s_mul_i32 s8, s8, s6
	s_waitcnt lgkmcnt(0)
	s_ashr_i32 s13, s12, 31
	s_lshl_b64 s[8:9], s[8:9], 2
	s_add_u32 s14, s18, s8
	s_addc_u32 s15, s19, s9
	s_lshl_b64 s[8:9], s[12:13], 2
	s_add_u32 s20, s14, s8
	s_addc_u32 s21, s15, s9
.LBB18_3:
	s_load_dwordx4 s[12:15], s[4:5], 0x0
	s_load_dword s8, s[4:5], 0x38
	s_mul_i32 s9, s16, s7
	s_mul_hi_u32 s18, s16, s6
	s_add_i32 s9, s18, s9
	s_waitcnt lgkmcnt(0)
	s_ashr_i32 s5, s14, 31
	s_mov_b32 s4, s14
	s_mul_i32 s14, s17, s6
	s_add_i32 s17, s9, s14
	s_mul_i32 s16, s16, s6
	s_lshl_b64 s[16:17], s[16:17], 3
	s_add_u32 s9, s12, s16
	s_addc_u32 s12, s13, s17
	s_lshl_b64 s[4:5], s[4:5], 3
	s_add_u32 s4, s9, s4
	s_addc_u32 s5, s12, s5
	s_add_i32 s9, s15, s15
	v_add_u32_e32 v3, s9, v0
	v_ashrrev_i32_e32 v4, 31, v3
	v_lshlrev_b64 v[1:2], 3, v[3:4]
	v_add_u32_e32 v5, s15, v3
	v_mov_b32_e32 v4, s5
	v_add_co_u32_e32 v1, vcc, s4, v1
	v_ashrrev_i32_e32 v6, 31, v5
	v_addc_co_u32_e32 v2, vcc, v4, v2, vcc
	v_lshlrev_b64 v[3:4], 3, v[5:6]
	v_add_u32_e32 v7, s15, v5
	v_mov_b32_e32 v6, s5
	v_add_co_u32_e32 v3, vcc, s4, v3
	v_ashrrev_i32_e32 v8, 31, v7
	v_addc_co_u32_e32 v4, vcc, v6, v4, vcc
	;; [unrolled: 6-line block ×8, first 2 shown]
	v_lshlrev_b64 v[17:18], 3, v[19:20]
	v_mov_b32_e32 v21, s5
	v_add_co_u32_e32 v17, vcc, s4, v17
	v_addc_co_u32_e32 v18, vcc, v21, v18, vcc
	v_add_u32_e32 v21, s15, v19
	v_ashrrev_i32_e32 v22, 31, v21
	v_lshlrev_b64 v[19:20], 3, v[21:22]
	v_mov_b32_e32 v23, s5
	v_add_co_u32_e32 v19, vcc, s4, v19
	v_addc_co_u32_e32 v20, vcc, v23, v20, vcc
	v_add_u32_e32 v23, s15, v21
	v_ashrrev_i32_e32 v24, 31, v23
	;; [unrolled: 6-line block ×5, first 2 shown]
	v_lshlrev_b64 v[27:28], 3, v[29:30]
	v_mov_b32_e32 v31, s5
	v_add_co_u32_e32 v27, vcc, s4, v27
	v_addc_co_u32_e32 v28, vcc, v31, v28, vcc
	v_lshlrev_b32_e32 v41, 3, v0
	v_add_u32_e32 v35, s15, v29
	v_mov_b32_e32 v32, s5
	v_add_co_u32_e32 v31, vcc, s4, v41
	s_ashr_i32 s13, s15, 31
	s_mov_b32 s12, s15
	v_ashrrev_i32_e32 v36, 31, v35
	v_addc_co_u32_e32 v32, vcc, 0, v32, vcc
	s_lshl_b64 s[12:13], s[12:13], 3
	v_lshlrev_b64 v[29:30], 3, v[35:36]
	v_mov_b32_e32 v34, s13
	v_add_co_u32_e32 v33, vcc, s12, v31
	v_addc_co_u32_e32 v34, vcc, v32, v34, vcc
	v_mov_b32_e32 v37, s5
	v_add_co_u32_e32 v29, vcc, s4, v29
	v_addc_co_u32_e32 v30, vcc, v37, v30, vcc
	v_add_u32_e32 v37, s15, v35
	v_ashrrev_i32_e32 v38, 31, v37
	v_lshlrev_b64 v[35:36], 3, v[37:38]
	v_mov_b32_e32 v60, s5
	v_add_co_u32_e32 v35, vcc, s4, v35
	global_load_dwordx2 v[39:40], v41, s[4:5]
	global_load_dwordx2 v[44:45], v[1:2], off
	global_load_dwordx2 v[46:47], v[3:4], off
	;; [unrolled: 1-line block ×9, first 2 shown]
	v_addc_co_u32_e32 v36, vcc, v60, v36, vcc
	global_load_dwordx2 v[60:61], v[17:18], off
	global_load_dwordx2 v[62:63], v[19:20], off
	;; [unrolled: 1-line block ×8, first 2 shown]
	v_add_u32_e32 v37, s15, v37
	v_ashrrev_i32_e32 v38, 31, v37
	v_lshlrev_b64 v[37:38], 3, v[37:38]
	v_mov_b32_e32 v76, s5
	v_add_co_u32_e32 v37, vcc, s4, v37
	v_addc_co_u32_e32 v38, vcc, v76, v38, vcc
	global_load_dwordx2 v[76:77], v[37:38], off
	s_bitcmp0_b32 s8, 0
	s_mov_b64 s[8:9], -1
	s_waitcnt vmcnt(18)
	buffer_store_dword v40, off, s[0:3], 0 offset:4
	buffer_store_dword v39, off, s[0:3], 0
	s_waitcnt vmcnt(16)
	buffer_store_dword v43, off, s[0:3], 0 offset:12
	buffer_store_dword v42, off, s[0:3], 0 offset:8
	;; [unrolled: 1-line block ×8, first 2 shown]
	s_waitcnt vmcnt(23)
	buffer_store_dword v51, off, s[0:3], 0 offset:44
	buffer_store_dword v50, off, s[0:3], 0 offset:40
	s_waitcnt vmcnt(24)
	buffer_store_dword v53, off, s[0:3], 0 offset:52
	buffer_store_dword v52, off, s[0:3], 0 offset:48
	s_waitcnt vmcnt(25)
	buffer_store_dword v55, off, s[0:3], 0 offset:60
	buffer_store_dword v54, off, s[0:3], 0 offset:56
	s_waitcnt vmcnt(26)
	buffer_store_dword v57, off, s[0:3], 0 offset:68
	buffer_store_dword v56, off, s[0:3], 0 offset:64
	s_waitcnt vmcnt(27)
	buffer_store_dword v58, off, s[0:3], 0 offset:72
	buffer_store_dword v59, off, s[0:3], 0 offset:76
	s_waitcnt vmcnt(28)
	buffer_store_dword v60, off, s[0:3], 0 offset:80
	buffer_store_dword v61, off, s[0:3], 0 offset:84
	s_waitcnt vmcnt(29)
	buffer_store_dword v62, off, s[0:3], 0 offset:88
	buffer_store_dword v63, off, s[0:3], 0 offset:92
	s_waitcnt vmcnt(30)
	buffer_store_dword v64, off, s[0:3], 0 offset:96
	buffer_store_dword v65, off, s[0:3], 0 offset:100
	s_waitcnt vmcnt(31)
	buffer_store_dword v66, off, s[0:3], 0 offset:104
	buffer_store_dword v67, off, s[0:3], 0 offset:108
	s_waitcnt vmcnt(32)
	buffer_store_dword v69, off, s[0:3], 0 offset:116
	buffer_store_dword v68, off, s[0:3], 0 offset:112
	s_waitcnt vmcnt(33)
	buffer_store_dword v70, off, s[0:3], 0 offset:120
	buffer_store_dword v71, off, s[0:3], 0 offset:124
	s_waitcnt vmcnt(34)
	buffer_store_dword v72, off, s[0:3], 0 offset:128
	buffer_store_dword v73, off, s[0:3], 0 offset:132
	s_waitcnt vmcnt(35)
	buffer_store_dword v74, off, s[0:3], 0 offset:136
	buffer_store_dword v75, off, s[0:3], 0 offset:140
	s_waitcnt vmcnt(36)
	buffer_store_dword v76, off, s[0:3], 0 offset:144
	buffer_store_dword v77, off, s[0:3], 0 offset:148
	s_cbranch_scc1 .LBB18_82
; %bb.4:
	v_cmp_eq_u32_e64 s[4:5], 0, v0
	s_and_saveexec_b64 s[8:9], s[4:5]
; %bb.5:
	v_mov_b32_e32 v39, 0
	ds_write_b32 v39, v39 offset:152
; %bb.6:
	s_or_b64 exec, exec, s[8:9]
	v_mov_b32_e32 v39, 0
	v_lshl_add_u32 v39, v0, 3, v39
	s_waitcnt lgkmcnt(0)
	; wave barrier
	buffer_load_dword v42, v39, s[0:3], 0 offen
	buffer_load_dword v43, v39, s[0:3], 0 offen offset:4
	s_waitcnt vmcnt(0)
	v_cmp_eq_f64_e32 vcc, 0, v[42:43]
	s_and_saveexec_b64 s[12:13], vcc
	s_cbranch_execz .LBB18_10
; %bb.7:
	v_mov_b32_e32 v40, 0
	ds_read_b32 v43, v40 offset:152
	v_add_u32_e32 v42, 1, v0
	s_waitcnt lgkmcnt(0)
	v_readfirstlane_b32 s8, v43
	s_cmp_eq_u32 s8, 0
	s_cselect_b64 s[14:15], -1, 0
	v_cmp_gt_i32_e32 vcc, s8, v42
	s_or_b64 s[14:15], s[14:15], vcc
	s_and_b64 exec, exec, s[14:15]
	s_cbranch_execz .LBB18_10
; %bb.8:
	s_mov_b64 s[14:15], 0
	v_mov_b32_e32 v43, s8
.LBB18_9:                               ; =>This Inner Loop Header: Depth=1
	ds_cmpst_rtn_b32 v43, v40, v43, v42 offset:152
	s_waitcnt lgkmcnt(0)
	v_cmp_ne_u32_e32 vcc, 0, v43
	v_cmp_le_i32_e64 s[8:9], v43, v42
	s_and_b64 s[8:9], vcc, s[8:9]
	s_and_b64 s[8:9], exec, s[8:9]
	s_or_b64 s[14:15], s[8:9], s[14:15]
	s_andn2_b64 exec, exec, s[14:15]
	s_cbranch_execnz .LBB18_9
.LBB18_10:
	s_or_b64 exec, exec, s[12:13]
	v_mov_b32_e32 v42, 0
	; wave barrier
	ds_read_b32 v40, v42 offset:152
	s_and_saveexec_b64 s[8:9], s[4:5]
	s_cbranch_execz .LBB18_12
; %bb.11:
	s_lshl_b64 s[12:13], s[6:7], 2
	s_add_u32 s12, s10, s12
	s_addc_u32 s13, s11, s13
	s_waitcnt lgkmcnt(0)
	global_store_dword v42, v40, s[12:13]
.LBB18_12:
	s_or_b64 exec, exec, s[8:9]
	s_waitcnt lgkmcnt(0)
	v_cmp_ne_u32_e32 vcc, 0, v40
	s_mov_b64 s[8:9], 0
	s_cbranch_vccnz .LBB18_82
; %bb.13:
	buffer_load_dword v42, v39, s[0:3], 0 offen
	buffer_load_dword v43, v39, s[0:3], 0 offen offset:4
	s_waitcnt vmcnt(0)
	v_div_scale_f64 v[44:45], s[8:9], v[42:43], v[42:43], 1.0
	v_rcp_f64_e32 v[46:47], v[44:45]
	v_fma_f64 v[48:49], -v[44:45], v[46:47], 1.0
	v_fma_f64 v[46:47], v[46:47], v[48:49], v[46:47]
	v_div_scale_f64 v[48:49], vcc, 1.0, v[42:43], 1.0
	v_fma_f64 v[50:51], -v[44:45], v[46:47], 1.0
	v_fma_f64 v[46:47], v[46:47], v[50:51], v[46:47]
	v_mul_f64 v[50:51], v[48:49], v[46:47]
	v_fma_f64 v[44:45], -v[44:45], v[50:51], v[48:49]
	v_div_fmas_f64 v[44:45], v[44:45], v[46:47], v[50:51]
	v_div_fixup_f64 v[43:44], v[44:45], v[42:43], 1.0
	v_add_u32_e32 v42, 0xa0, v41
	buffer_store_dword v44, v39, s[0:3], 0 offen offset:4
	buffer_store_dword v43, v39, s[0:3], 0 offen
	buffer_load_dword v46, off, s[0:3], 0 offset:12
	buffer_load_dword v45, off, s[0:3], 0 offset:8
	v_xor_b32_e32 v44, 0x80000000, v44
	s_waitcnt vmcnt(0)
	ds_write2_b64 v41, v[43:44], v[45:46] offset1:20
	s_waitcnt lgkmcnt(0)
	; wave barrier
	s_and_saveexec_b64 s[8:9], s[4:5]
	s_cbranch_execz .LBB18_15
; %bb.14:
	buffer_load_dword v43, v39, s[0:3], 0 offen
	buffer_load_dword v44, v39, s[0:3], 0 offen offset:4
	ds_read_b64 v[45:46], v42
	v_mov_b32_e32 v40, 0
	ds_read_b64 v[47:48], v40 offset:8
	s_waitcnt vmcnt(0) lgkmcnt(1)
	v_fma_f64 v[43:44], v[43:44], v[45:46], 0
	s_waitcnt lgkmcnt(0)
	v_mul_f64 v[43:44], v[43:44], v[47:48]
	buffer_store_dword v43, off, s[0:3], 0 offset:8
	buffer_store_dword v44, off, s[0:3], 0 offset:12
.LBB18_15:
	s_or_b64 exec, exec, s[8:9]
	; wave barrier
	buffer_load_dword v43, off, s[0:3], 0 offset:16
	buffer_load_dword v44, off, s[0:3], 0 offset:20
	v_cmp_gt_u32_e32 vcc, 2, v0
	s_waitcnt vmcnt(0)
	ds_write_b64 v42, v[43:44]
	s_waitcnt lgkmcnt(0)
	; wave barrier
	s_and_saveexec_b64 s[8:9], vcc
	s_cbranch_execz .LBB18_17
; %bb.16:
	buffer_load_dword v43, v39, s[0:3], 0 offen
	buffer_load_dword v44, v39, s[0:3], 0 offen offset:4
                                        ; kill: killed $vgpr39
	s_nop 0
	buffer_load_dword v39, off, s[0:3], 0 offset:8
	buffer_load_dword v40, off, s[0:3], 0 offset:12
	ds_read_b64 v[45:46], v42
	s_waitcnt vmcnt(2) lgkmcnt(0)
	v_fma_f64 v[47:48], v[43:44], v[45:46], 0
	v_mov_b32_e32 v43, 0
	ds_read2_b64 v[43:46], v43 offset0:2 offset1:21
	s_waitcnt vmcnt(0) lgkmcnt(0)
	v_fma_f64 v[39:40], v[39:40], v[45:46], v[47:48]
	v_cndmask_b32_e64 v40, v48, v40, s[4:5]
	v_cndmask_b32_e64 v39, v47, v39, s[4:5]
	v_mul_f64 v[39:40], v[39:40], v[43:44]
	buffer_store_dword v40, off, s[0:3], 0 offset:20
	buffer_store_dword v39, off, s[0:3], 0 offset:16
.LBB18_17:
	s_or_b64 exec, exec, s[8:9]
	; wave barrier
	buffer_load_dword v39, off, s[0:3], 0 offset:24
	buffer_load_dword v40, off, s[0:3], 0 offset:28
	v_cmp_gt_u32_e32 vcc, 3, v0
	v_add_u32_e32 v43, -1, v0
	s_waitcnt vmcnt(0)
	ds_write_b64 v42, v[39:40]
	s_waitcnt lgkmcnt(0)
	; wave barrier
	s_and_saveexec_b64 s[4:5], vcc
	s_cbranch_execz .LBB18_21
; %bb.18:
	v_mov_b32_e32 v39, 0
	v_add_u32_e32 v44, -1, v0
	v_add_u32_e32 v45, 0xa0, v41
	v_mov_b32_e32 v46, v41
	v_mov_b32_e32 v40, 0
	s_mov_b64 s[8:9], 0
.LBB18_19:                              ; =>This Inner Loop Header: Depth=1
	buffer_load_dword v47, v46, s[0:3], 0 offen
	buffer_load_dword v48, v46, s[0:3], 0 offen offset:4
	ds_read_b64 v[49:50], v45
	v_add_u32_e32 v44, 1, v44
	v_cmp_lt_u32_e32 vcc, 1, v44
	v_add_u32_e32 v45, 8, v45
	s_or_b64 s[8:9], vcc, s[8:9]
	v_add_u32_e32 v46, 8, v46
	s_waitcnt vmcnt(0) lgkmcnt(0)
	v_fma_f64 v[39:40], v[47:48], v[49:50], v[39:40]
	s_andn2_b64 exec, exec, s[8:9]
	s_cbranch_execnz .LBB18_19
; %bb.20:
	s_or_b64 exec, exec, s[8:9]
	v_mov_b32_e32 v44, 0
	ds_read_b64 v[44:45], v44 offset:24
	s_waitcnt lgkmcnt(0)
	v_mul_f64 v[39:40], v[39:40], v[44:45]
	buffer_store_dword v40, off, s[0:3], 0 offset:28
	buffer_store_dword v39, off, s[0:3], 0 offset:24
.LBB18_21:
	s_or_b64 exec, exec, s[4:5]
	; wave barrier
	buffer_load_dword v39, off, s[0:3], 0 offset:32
	buffer_load_dword v40, off, s[0:3], 0 offset:36
	v_cmp_gt_u32_e32 vcc, 4, v0
	s_waitcnt vmcnt(0)
	ds_write_b64 v42, v[39:40]
	s_waitcnt lgkmcnt(0)
	; wave barrier
	s_and_saveexec_b64 s[4:5], vcc
	s_cbranch_execz .LBB18_25
; %bb.22:
	v_mov_b32_e32 v39, 0
	v_add_u32_e32 v44, -1, v0
	v_add_u32_e32 v45, 0xa0, v41
	v_mov_b32_e32 v46, v41
	v_mov_b32_e32 v40, 0
	s_mov_b64 s[8:9], 0
.LBB18_23:                              ; =>This Inner Loop Header: Depth=1
	buffer_load_dword v47, v46, s[0:3], 0 offen
	buffer_load_dword v48, v46, s[0:3], 0 offen offset:4
	ds_read_b64 v[49:50], v45
	v_add_u32_e32 v44, 1, v44
	v_cmp_lt_u32_e32 vcc, 2, v44
	v_add_u32_e32 v45, 8, v45
	s_or_b64 s[8:9], vcc, s[8:9]
	v_add_u32_e32 v46, 8, v46
	s_waitcnt vmcnt(0) lgkmcnt(0)
	v_fma_f64 v[39:40], v[47:48], v[49:50], v[39:40]
	s_andn2_b64 exec, exec, s[8:9]
	s_cbranch_execnz .LBB18_23
; %bb.24:
	s_or_b64 exec, exec, s[8:9]
	v_mov_b32_e32 v44, 0
	ds_read_b64 v[44:45], v44 offset:32
	s_waitcnt lgkmcnt(0)
	v_mul_f64 v[39:40], v[39:40], v[44:45]
	buffer_store_dword v40, off, s[0:3], 0 offset:36
	buffer_store_dword v39, off, s[0:3], 0 offset:32
.LBB18_25:
	s_or_b64 exec, exec, s[4:5]
	; wave barrier
	buffer_load_dword v39, off, s[0:3], 0 offset:40
	buffer_load_dword v40, off, s[0:3], 0 offset:44
	v_cmp_gt_u32_e32 vcc, 5, v0
	;; [unrolled: 40-line block ×14, first 2 shown]
	s_waitcnt vmcnt(0)
	ds_write_b64 v42, v[39:40]
	s_waitcnt lgkmcnt(0)
	; wave barrier
	s_and_saveexec_b64 s[4:5], vcc
	s_cbranch_execz .LBB18_77
; %bb.74:
	v_mov_b32_e32 v39, 0
	v_add_u32_e32 v44, -1, v0
	v_add_u32_e32 v45, 0xa0, v41
	v_mov_b32_e32 v46, v41
	v_mov_b32_e32 v40, 0
	s_mov_b64 s[8:9], 0
.LBB18_75:                              ; =>This Inner Loop Header: Depth=1
	buffer_load_dword v47, v46, s[0:3], 0 offen
	buffer_load_dword v48, v46, s[0:3], 0 offen offset:4
	ds_read_b64 v[49:50], v45
	v_add_u32_e32 v44, 1, v44
	v_cmp_lt_u32_e32 vcc, 15, v44
	v_add_u32_e32 v45, 8, v45
	s_or_b64 s[8:9], vcc, s[8:9]
	v_add_u32_e32 v46, 8, v46
	s_waitcnt vmcnt(0) lgkmcnt(0)
	v_fma_f64 v[39:40], v[47:48], v[49:50], v[39:40]
	s_andn2_b64 exec, exec, s[8:9]
	s_cbranch_execnz .LBB18_75
; %bb.76:
	s_or_b64 exec, exec, s[8:9]
	v_mov_b32_e32 v44, 0
	ds_read_b64 v[44:45], v44 offset:136
	s_waitcnt lgkmcnt(0)
	v_mul_f64 v[39:40], v[39:40], v[44:45]
	buffer_store_dword v40, off, s[0:3], 0 offset:140
	buffer_store_dword v39, off, s[0:3], 0 offset:136
.LBB18_77:
	s_or_b64 exec, exec, s[4:5]
	; wave barrier
	buffer_load_dword v39, off, s[0:3], 0 offset:144
	buffer_load_dword v40, off, s[0:3], 0 offset:148
	v_cmp_ne_u32_e32 vcc, 18, v0
	s_waitcnt vmcnt(0)
	ds_write_b64 v42, v[39:40]
	s_waitcnt lgkmcnt(0)
	; wave barrier
	s_and_saveexec_b64 s[4:5], vcc
	s_cbranch_execz .LBB18_81
; %bb.78:
	v_mov_b32_e32 v39, 0
	v_add_u32_e32 v42, 0xa0, v41
	v_mov_b32_e32 v40, 0
	s_mov_b64 s[8:9], 0
.LBB18_79:                              ; =>This Inner Loop Header: Depth=1
	buffer_load_dword v44, v41, s[0:3], 0 offen
	buffer_load_dword v45, v41, s[0:3], 0 offen offset:4
	ds_read_b64 v[46:47], v42
	v_add_u32_e32 v43, 1, v43
	v_cmp_lt_u32_e32 vcc, 16, v43
	v_add_u32_e32 v42, 8, v42
	s_or_b64 s[8:9], vcc, s[8:9]
	v_add_u32_e32 v41, 8, v41
	s_waitcnt vmcnt(0) lgkmcnt(0)
	v_fma_f64 v[39:40], v[44:45], v[46:47], v[39:40]
	s_andn2_b64 exec, exec, s[8:9]
	s_cbranch_execnz .LBB18_79
; %bb.80:
	s_or_b64 exec, exec, s[8:9]
	v_mov_b32_e32 v41, 0
	ds_read_b64 v[41:42], v41 offset:144
	s_waitcnt lgkmcnt(0)
	v_mul_f64 v[39:40], v[39:40], v[41:42]
	buffer_store_dword v40, off, s[0:3], 0 offset:148
	buffer_store_dword v39, off, s[0:3], 0 offset:144
.LBB18_81:
	s_or_b64 exec, exec, s[4:5]
	s_mov_b64 s[8:9], -1
	; wave barrier
.LBB18_82:
	s_and_b64 vcc, exec, s[8:9]
	s_cbranch_vccz .LBB18_84
; %bb.83:
	s_lshl_b64 s[4:5], s[6:7], 2
	s_add_u32 s4, s10, s4
	s_addc_u32 s5, s11, s5
	v_mov_b32_e32 v39, 0
	global_load_dword v39, v39, s[4:5]
	s_waitcnt vmcnt(0)
	v_cmp_ne_u32_e32 vcc, 0, v39
	s_cbranch_vccz .LBB18_85
.LBB18_84:
	s_endpgm
.LBB18_85:
	v_mov_b32_e32 v39, 0xa0
	v_lshl_add_u32 v39, v0, 3, v39
	v_cmp_eq_u32_e32 vcc, 18, v0
	s_and_saveexec_b64 s[4:5], vcc
	s_cbranch_execz .LBB18_87
; %bb.86:
	buffer_load_dword v40, off, s[0:3], 0 offset:136
	buffer_load_dword v41, off, s[0:3], 0 offset:140
	v_mov_b32_e32 v42, 0
	buffer_store_dword v42, off, s[0:3], 0 offset:136
	buffer_store_dword v42, off, s[0:3], 0 offset:140
	s_waitcnt vmcnt(2)
	ds_write_b64 v39, v[40:41]
.LBB18_87:
	s_or_b64 exec, exec, s[4:5]
	s_waitcnt lgkmcnt(0)
	; wave barrier
	buffer_load_dword v41, off, s[0:3], 0 offset:144
	buffer_load_dword v42, off, s[0:3], 0 offset:148
	;; [unrolled: 1-line block ×4, first 2 shown]
	v_mov_b32_e32 v40, 0
	ds_read_b64 v[45:46], v40 offset:304
	v_cmp_lt_u32_e32 vcc, 16, v0
	s_waitcnt vmcnt(2) lgkmcnt(0)
	v_fma_f64 v[41:42], v[41:42], v[45:46], 0
	s_waitcnt vmcnt(0)
	v_add_f64 v[41:42], v[43:44], -v[41:42]
	buffer_store_dword v41, off, s[0:3], 0 offset:136
	buffer_store_dword v42, off, s[0:3], 0 offset:140
	s_and_saveexec_b64 s[4:5], vcc
	s_cbranch_execz .LBB18_89
; %bb.88:
	buffer_load_dword v41, off, s[0:3], 0 offset:128
	buffer_load_dword v42, off, s[0:3], 0 offset:132
	s_waitcnt vmcnt(0)
	ds_write_b64 v39, v[41:42]
	buffer_store_dword v40, off, s[0:3], 0 offset:128
	buffer_store_dword v40, off, s[0:3], 0 offset:132
.LBB18_89:
	s_or_b64 exec, exec, s[4:5]
	s_waitcnt lgkmcnt(0)
	; wave barrier
	buffer_load_dword v44, off, s[0:3], 0 offset:136
	buffer_load_dword v45, off, s[0:3], 0 offset:140
	buffer_load_dword v46, off, s[0:3], 0 offset:144
	buffer_load_dword v47, off, s[0:3], 0 offset:148
	buffer_load_dword v48, off, s[0:3], 0 offset:128
	buffer_load_dword v49, off, s[0:3], 0 offset:132
	ds_read2_b64 v[40:43], v40 offset0:37 offset1:38
	v_cmp_lt_u32_e32 vcc, 15, v0
	s_waitcnt vmcnt(4) lgkmcnt(0)
	v_fma_f64 v[40:41], v[44:45], v[40:41], 0
	s_waitcnt vmcnt(2)
	v_fma_f64 v[40:41], v[46:47], v[42:43], v[40:41]
	s_waitcnt vmcnt(0)
	v_add_f64 v[40:41], v[48:49], -v[40:41]
	buffer_store_dword v40, off, s[0:3], 0 offset:128
	buffer_store_dword v41, off, s[0:3], 0 offset:132
	s_and_saveexec_b64 s[4:5], vcc
	s_cbranch_execz .LBB18_91
; %bb.90:
	buffer_load_dword v40, off, s[0:3], 0 offset:120
	buffer_load_dword v41, off, s[0:3], 0 offset:124
	v_mov_b32_e32 v42, 0
	buffer_store_dword v42, off, s[0:3], 0 offset:120
	buffer_store_dword v42, off, s[0:3], 0 offset:124
	s_waitcnt vmcnt(2)
	ds_write_b64 v39, v[40:41]
.LBB18_91:
	s_or_b64 exec, exec, s[4:5]
	s_waitcnt lgkmcnt(0)
	; wave barrier
	buffer_load_dword v45, off, s[0:3], 0 offset:128
	buffer_load_dword v46, off, s[0:3], 0 offset:132
	;; [unrolled: 1-line block ×8, first 2 shown]
	v_mov_b32_e32 v40, 0
	ds_read_b128 v[41:44], v40 offset:288
	ds_read_b64 v[53:54], v40 offset:304
	v_cmp_lt_u32_e32 vcc, 14, v0
	s_waitcnt vmcnt(6) lgkmcnt(1)
	v_fma_f64 v[41:42], v[45:46], v[41:42], 0
	s_waitcnt vmcnt(4)
	v_fma_f64 v[41:42], v[47:48], v[43:44], v[41:42]
	s_waitcnt vmcnt(2) lgkmcnt(0)
	v_fma_f64 v[41:42], v[49:50], v[53:54], v[41:42]
	s_waitcnt vmcnt(0)
	v_add_f64 v[41:42], v[51:52], -v[41:42]
	buffer_store_dword v41, off, s[0:3], 0 offset:120
	buffer_store_dword v42, off, s[0:3], 0 offset:124
	s_and_saveexec_b64 s[4:5], vcc
	s_cbranch_execz .LBB18_93
; %bb.92:
	buffer_load_dword v41, off, s[0:3], 0 offset:112
	buffer_load_dword v42, off, s[0:3], 0 offset:116
	s_waitcnt vmcnt(0)
	ds_write_b64 v39, v[41:42]
	buffer_store_dword v40, off, s[0:3], 0 offset:112
	buffer_store_dword v40, off, s[0:3], 0 offset:116
.LBB18_93:
	s_or_b64 exec, exec, s[4:5]
	s_waitcnt lgkmcnt(0)
	; wave barrier
	buffer_load_dword v49, off, s[0:3], 0 offset:120
	buffer_load_dword v50, off, s[0:3], 0 offset:124
	;; [unrolled: 1-line block ×10, first 2 shown]
	ds_read2_b64 v[41:44], v40 offset0:35 offset1:36
	ds_read2_b64 v[45:48], v40 offset0:37 offset1:38
	v_cmp_lt_u32_e32 vcc, 13, v0
	s_waitcnt vmcnt(8) lgkmcnt(1)
	v_fma_f64 v[40:41], v[49:50], v[41:42], 0
	s_waitcnt vmcnt(6)
	v_fma_f64 v[40:41], v[51:52], v[43:44], v[40:41]
	s_waitcnt vmcnt(4) lgkmcnt(0)
	v_fma_f64 v[40:41], v[53:54], v[45:46], v[40:41]
	s_waitcnt vmcnt(2)
	v_fma_f64 v[40:41], v[55:56], v[47:48], v[40:41]
	s_waitcnt vmcnt(0)
	v_add_f64 v[40:41], v[57:58], -v[40:41]
	buffer_store_dword v40, off, s[0:3], 0 offset:112
	buffer_store_dword v41, off, s[0:3], 0 offset:116
	s_and_saveexec_b64 s[4:5], vcc
	s_cbranch_execz .LBB18_95
; %bb.94:
	buffer_load_dword v40, off, s[0:3], 0 offset:104
	buffer_load_dword v41, off, s[0:3], 0 offset:108
	v_mov_b32_e32 v42, 0
	buffer_store_dword v42, off, s[0:3], 0 offset:104
	buffer_store_dword v42, off, s[0:3], 0 offset:108
	s_waitcnt vmcnt(2)
	ds_write_b64 v39, v[40:41]
.LBB18_95:
	s_or_b64 exec, exec, s[4:5]
	s_waitcnt lgkmcnt(0)
	; wave barrier
	buffer_load_dword v49, off, s[0:3], 0 offset:112
	buffer_load_dword v50, off, s[0:3], 0 offset:116
	;; [unrolled: 1-line block ×12, first 2 shown]
	v_mov_b32_e32 v40, 0
	ds_read_b128 v[41:44], v40 offset:272
	ds_read_b128 v[45:48], v40 offset:288
	v_cmp_lt_u32_e32 vcc, 12, v0
	s_waitcnt vmcnt(10) lgkmcnt(1)
	v_fma_f64 v[41:42], v[49:50], v[41:42], 0
	s_waitcnt vmcnt(8)
	v_fma_f64 v[41:42], v[51:52], v[43:44], v[41:42]
	ds_read_b64 v[43:44], v40 offset:304
	s_waitcnt vmcnt(6) lgkmcnt(1)
	v_fma_f64 v[41:42], v[53:54], v[45:46], v[41:42]
	s_waitcnt vmcnt(4)
	v_fma_f64 v[41:42], v[55:56], v[47:48], v[41:42]
	s_waitcnt vmcnt(2) lgkmcnt(0)
	v_fma_f64 v[41:42], v[57:58], v[43:44], v[41:42]
	s_waitcnt vmcnt(0)
	v_add_f64 v[41:42], v[59:60], -v[41:42]
	buffer_store_dword v41, off, s[0:3], 0 offset:104
	buffer_store_dword v42, off, s[0:3], 0 offset:108
	s_and_saveexec_b64 s[4:5], vcc
	s_cbranch_execz .LBB18_97
; %bb.96:
	buffer_load_dword v41, off, s[0:3], 0 offset:96
	buffer_load_dword v42, off, s[0:3], 0 offset:100
	s_waitcnt vmcnt(0)
	ds_write_b64 v39, v[41:42]
	buffer_store_dword v40, off, s[0:3], 0 offset:96
	buffer_store_dword v40, off, s[0:3], 0 offset:100
.LBB18_97:
	s_or_b64 exec, exec, s[4:5]
	s_waitcnt lgkmcnt(0)
	; wave barrier
	buffer_load_dword v45, off, s[0:3], 0 offset:96
	buffer_load_dword v46, off, s[0:3], 0 offset:100
	;; [unrolled: 1-line block ×14, first 2 shown]
	ds_read2_b64 v[41:44], v40 offset0:33 offset1:34
	v_cmp_lt_u32_e32 vcc, 11, v0
	s_waitcnt vmcnt(10) lgkmcnt(0)
	v_fma_f64 v[41:42], v[47:48], v[41:42], 0
	s_waitcnt vmcnt(8)
	v_fma_f64 v[47:48], v[49:50], v[43:44], v[41:42]
	ds_read2_b64 v[41:44], v40 offset0:35 offset1:36
	s_waitcnt vmcnt(6) lgkmcnt(0)
	v_fma_f64 v[41:42], v[51:52], v[41:42], v[47:48]
	s_waitcnt vmcnt(4)
	v_fma_f64 v[47:48], v[53:54], v[43:44], v[41:42]
	ds_read2_b64 v[40:43], v40 offset0:37 offset1:38
	s_waitcnt vmcnt(2) lgkmcnt(0)
	v_fma_f64 v[40:41], v[55:56], v[40:41], v[47:48]
	s_waitcnt vmcnt(0)
	v_fma_f64 v[40:41], v[57:58], v[42:43], v[40:41]
	v_add_f64 v[40:41], v[45:46], -v[40:41]
	buffer_store_dword v40, off, s[0:3], 0 offset:96
	buffer_store_dword v41, off, s[0:3], 0 offset:100
	s_and_saveexec_b64 s[4:5], vcc
	s_cbranch_execz .LBB18_99
; %bb.98:
	buffer_load_dword v40, off, s[0:3], 0 offset:88
	buffer_load_dword v41, off, s[0:3], 0 offset:92
	v_mov_b32_e32 v42, 0
	buffer_store_dword v42, off, s[0:3], 0 offset:88
	buffer_store_dword v42, off, s[0:3], 0 offset:92
	s_waitcnt vmcnt(2)
	ds_write_b64 v39, v[40:41]
.LBB18_99:
	s_or_b64 exec, exec, s[4:5]
	s_waitcnt lgkmcnt(0)
	; wave barrier
	buffer_load_dword v45, off, s[0:3], 0 offset:96
	buffer_load_dword v46, off, s[0:3], 0 offset:100
	;; [unrolled: 1-line block ×16, first 2 shown]
	v_mov_b32_e32 v40, 0
	ds_read_b128 v[41:44], v40 offset:256
	v_cmp_lt_u32_e32 vcc, 10, v0
	s_waitcnt vmcnt(14) lgkmcnt(0)
	v_fma_f64 v[41:42], v[45:46], v[41:42], 0
	s_waitcnt vmcnt(12)
	v_fma_f64 v[45:46], v[47:48], v[43:44], v[41:42]
	ds_read_b128 v[41:44], v40 offset:272
	s_waitcnt vmcnt(10) lgkmcnt(0)
	v_fma_f64 v[41:42], v[49:50], v[41:42], v[45:46]
	s_waitcnt vmcnt(8)
	v_fma_f64 v[45:46], v[51:52], v[43:44], v[41:42]
	ds_read_b128 v[41:44], v40 offset:288
	s_waitcnt vmcnt(6) lgkmcnt(0)
	v_fma_f64 v[41:42], v[53:54], v[41:42], v[45:46]
	s_waitcnt vmcnt(4)
	v_fma_f64 v[41:42], v[55:56], v[43:44], v[41:42]
	ds_read_b64 v[43:44], v40 offset:304
	s_waitcnt vmcnt(2) lgkmcnt(0)
	v_fma_f64 v[41:42], v[57:58], v[43:44], v[41:42]
	s_waitcnt vmcnt(0)
	v_add_f64 v[41:42], v[59:60], -v[41:42]
	buffer_store_dword v41, off, s[0:3], 0 offset:88
	buffer_store_dword v42, off, s[0:3], 0 offset:92
	s_and_saveexec_b64 s[4:5], vcc
	s_cbranch_execz .LBB18_101
; %bb.100:
	buffer_load_dword v41, off, s[0:3], 0 offset:80
	buffer_load_dword v42, off, s[0:3], 0 offset:84
	s_waitcnt vmcnt(0)
	ds_write_b64 v39, v[41:42]
	buffer_store_dword v40, off, s[0:3], 0 offset:80
	buffer_store_dword v40, off, s[0:3], 0 offset:84
.LBB18_101:
	s_or_b64 exec, exec, s[4:5]
	s_waitcnt lgkmcnt(0)
	; wave barrier
	buffer_load_dword v45, off, s[0:3], 0 offset:88
	buffer_load_dword v46, off, s[0:3], 0 offset:92
	;; [unrolled: 1-line block ×18, first 2 shown]
	ds_read2_b64 v[41:44], v40 offset0:31 offset1:32
	v_cmp_lt_u32_e32 vcc, 9, v0
	s_waitcnt vmcnt(16) lgkmcnt(0)
	v_fma_f64 v[41:42], v[45:46], v[41:42], 0
	s_waitcnt vmcnt(14)
	v_fma_f64 v[45:46], v[47:48], v[43:44], v[41:42]
	ds_read2_b64 v[41:44], v40 offset0:33 offset1:34
	s_waitcnt vmcnt(12) lgkmcnt(0)
	v_fma_f64 v[41:42], v[49:50], v[41:42], v[45:46]
	s_waitcnt vmcnt(10)
	v_fma_f64 v[45:46], v[51:52], v[43:44], v[41:42]
	ds_read2_b64 v[41:44], v40 offset0:35 offset1:36
	;; [unrolled: 5-line block ×3, first 2 shown]
	s_waitcnt vmcnt(4) lgkmcnt(0)
	v_fma_f64 v[40:41], v[57:58], v[40:41], v[44:45]
	s_waitcnt vmcnt(2)
	v_fma_f64 v[40:41], v[59:60], v[42:43], v[40:41]
	s_waitcnt vmcnt(0)
	v_add_f64 v[40:41], v[61:62], -v[40:41]
	buffer_store_dword v40, off, s[0:3], 0 offset:80
	buffer_store_dword v41, off, s[0:3], 0 offset:84
	s_and_saveexec_b64 s[4:5], vcc
	s_cbranch_execz .LBB18_103
; %bb.102:
	buffer_load_dword v40, off, s[0:3], 0 offset:72
	buffer_load_dword v41, off, s[0:3], 0 offset:76
	v_mov_b32_e32 v42, 0
	buffer_store_dword v42, off, s[0:3], 0 offset:72
	buffer_store_dword v42, off, s[0:3], 0 offset:76
	s_waitcnt vmcnt(2)
	ds_write_b64 v39, v[40:41]
.LBB18_103:
	s_or_b64 exec, exec, s[4:5]
	s_waitcnt lgkmcnt(0)
	; wave barrier
	buffer_load_dword v49, off, s[0:3], 0 offset:80
	buffer_load_dword v50, off, s[0:3], 0 offset:84
	;; [unrolled: 1-line block ×20, first 2 shown]
	v_mov_b32_e32 v40, 0
	ds_read_b128 v[41:44], v40 offset:240
	ds_read_b128 v[45:48], v40 offset:256
	v_cmp_lt_u32_e32 vcc, 8, v0
	s_waitcnt vmcnt(18) lgkmcnt(1)
	v_fma_f64 v[41:42], v[49:50], v[41:42], 0
	s_waitcnt vmcnt(16)
	v_fma_f64 v[41:42], v[51:52], v[43:44], v[41:42]
	s_waitcnt vmcnt(14) lgkmcnt(0)
	v_fma_f64 v[41:42], v[53:54], v[45:46], v[41:42]
	s_waitcnt vmcnt(12)
	v_fma_f64 v[49:50], v[55:56], v[47:48], v[41:42]
	ds_read_b128 v[41:44], v40 offset:272
	ds_read_b128 v[45:48], v40 offset:288
	s_waitcnt vmcnt(10) lgkmcnt(1)
	v_fma_f64 v[41:42], v[57:58], v[41:42], v[49:50]
	s_waitcnt vmcnt(8)
	v_fma_f64 v[41:42], v[59:60], v[43:44], v[41:42]
	ds_read_b64 v[43:44], v40 offset:304
	s_waitcnt vmcnt(6) lgkmcnt(1)
	v_fma_f64 v[41:42], v[61:62], v[45:46], v[41:42]
	s_waitcnt vmcnt(3)
	v_fma_f64 v[41:42], v[63:64], v[47:48], v[41:42]
	s_waitcnt vmcnt(2) lgkmcnt(0)
	v_fma_f64 v[41:42], v[65:66], v[43:44], v[41:42]
	s_waitcnt vmcnt(0)
	v_add_f64 v[41:42], v[67:68], -v[41:42]
	buffer_store_dword v41, off, s[0:3], 0 offset:72
	buffer_store_dword v42, off, s[0:3], 0 offset:76
	s_and_saveexec_b64 s[4:5], vcc
	s_cbranch_execz .LBB18_105
; %bb.104:
	buffer_load_dword v41, off, s[0:3], 0 offset:64
	buffer_load_dword v42, off, s[0:3], 0 offset:68
	s_waitcnt vmcnt(0)
	ds_write_b64 v39, v[41:42]
	buffer_store_dword v40, off, s[0:3], 0 offset:64
	buffer_store_dword v40, off, s[0:3], 0 offset:68
.LBB18_105:
	s_or_b64 exec, exec, s[4:5]
	s_waitcnt lgkmcnt(0)
	; wave barrier
	buffer_load_dword v49, off, s[0:3], 0 offset:72
	buffer_load_dword v50, off, s[0:3], 0 offset:76
	;; [unrolled: 1-line block ×20, first 2 shown]
	ds_read2_b64 v[41:44], v40 offset0:29 offset1:30
	buffer_load_dword v69, off, s[0:3], 0 offset:64
	buffer_load_dword v70, off, s[0:3], 0 offset:68
	ds_read2_b64 v[45:48], v40 offset0:31 offset1:32
	v_cmp_lt_u32_e32 vcc, 7, v0
	s_waitcnt vmcnt(20) lgkmcnt(1)
	v_fma_f64 v[41:42], v[49:50], v[41:42], 0
	s_waitcnt vmcnt(18)
	v_fma_f64 v[41:42], v[51:52], v[43:44], v[41:42]
	s_waitcnt vmcnt(16) lgkmcnt(0)
	v_fma_f64 v[41:42], v[53:54], v[45:46], v[41:42]
	s_waitcnt vmcnt(14)
	v_fma_f64 v[49:50], v[55:56], v[47:48], v[41:42]
	ds_read2_b64 v[41:44], v40 offset0:33 offset1:34
	ds_read2_b64 v[45:48], v40 offset0:35 offset1:36
	s_waitcnt vmcnt(12) lgkmcnt(1)
	v_fma_f64 v[41:42], v[57:58], v[41:42], v[49:50]
	s_waitcnt vmcnt(10)
	v_fma_f64 v[41:42], v[59:60], v[43:44], v[41:42]
	s_waitcnt vmcnt(8) lgkmcnt(0)
	v_fma_f64 v[41:42], v[61:62], v[45:46], v[41:42]
	s_waitcnt vmcnt(4)
	v_fma_f64 v[44:45], v[63:64], v[47:48], v[41:42]
	ds_read2_b64 v[40:43], v40 offset0:37 offset1:38
	s_waitcnt vmcnt(3) lgkmcnt(0)
	v_fma_f64 v[40:41], v[67:68], v[40:41], v[44:45]
	s_waitcnt vmcnt(2)
	v_fma_f64 v[40:41], v[65:66], v[42:43], v[40:41]
	s_waitcnt vmcnt(0)
	v_add_f64 v[40:41], v[69:70], -v[40:41]
	buffer_store_dword v40, off, s[0:3], 0 offset:64
	buffer_store_dword v41, off, s[0:3], 0 offset:68
	s_and_saveexec_b64 s[4:5], vcc
	s_cbranch_execz .LBB18_107
; %bb.106:
	buffer_load_dword v40, off, s[0:3], 0 offset:56
	buffer_load_dword v41, off, s[0:3], 0 offset:60
	v_mov_b32_e32 v42, 0
	buffer_store_dword v42, off, s[0:3], 0 offset:56
	buffer_store_dword v42, off, s[0:3], 0 offset:60
	s_waitcnt vmcnt(2)
	ds_write_b64 v39, v[40:41]
.LBB18_107:
	s_or_b64 exec, exec, s[4:5]
	s_waitcnt lgkmcnt(0)
	; wave barrier
	buffer_load_dword v49, off, s[0:3], 0 offset:64
	buffer_load_dword v50, off, s[0:3], 0 offset:68
	;; [unrolled: 1-line block ×21, first 2 shown]
	v_mov_b32_e32 v40, 0
	ds_read_b128 v[41:44], v40 offset:224
	ds_read_b128 v[45:48], v40 offset:240
	buffer_load_dword v66, off, s[0:3], 0 offset:148
	v_cmp_lt_u32_e32 vcc, 6, v0
	s_waitcnt vmcnt(20) lgkmcnt(1)
	v_fma_f64 v[41:42], v[49:50], v[41:42], 0
	buffer_load_dword v49, off, s[0:3], 0 offset:56
	buffer_load_dword v50, off, s[0:3], 0 offset:60
	s_waitcnt vmcnt(20)
	v_fma_f64 v[41:42], v[51:52], v[43:44], v[41:42]
	s_waitcnt vmcnt(18) lgkmcnt(0)
	v_fma_f64 v[41:42], v[53:54], v[45:46], v[41:42]
	s_waitcnt vmcnt(16)
	v_fma_f64 v[51:52], v[55:56], v[47:48], v[41:42]
	ds_read_b128 v[41:44], v40 offset:256
	ds_read_b128 v[45:48], v40 offset:272
	s_waitcnt vmcnt(14) lgkmcnt(1)
	v_fma_f64 v[41:42], v[57:58], v[41:42], v[51:52]
	s_waitcnt vmcnt(12)
	v_fma_f64 v[41:42], v[59:60], v[43:44], v[41:42]
	s_waitcnt vmcnt(10) lgkmcnt(0)
	v_fma_f64 v[41:42], v[61:62], v[45:46], v[41:42]
	s_waitcnt vmcnt(5)
	v_fma_f64 v[45:46], v[63:64], v[47:48], v[41:42]
	ds_read_b128 v[41:44], v40 offset:288
	ds_read_b64 v[47:48], v40 offset:304
	s_waitcnt vmcnt(4) lgkmcnt(1)
	v_fma_f64 v[41:42], v[69:70], v[41:42], v[45:46]
	s_waitcnt vmcnt(3)
	v_fma_f64 v[41:42], v[67:68], v[43:44], v[41:42]
	s_waitcnt vmcnt(2) lgkmcnt(0)
	v_fma_f64 v[41:42], v[65:66], v[47:48], v[41:42]
	s_waitcnt vmcnt(0)
	v_add_f64 v[41:42], v[49:50], -v[41:42]
	buffer_store_dword v42, off, s[0:3], 0 offset:60
	buffer_store_dword v41, off, s[0:3], 0 offset:56
	s_and_saveexec_b64 s[4:5], vcc
	s_cbranch_execz .LBB18_109
; %bb.108:
	buffer_load_dword v41, off, s[0:3], 0 offset:48
	buffer_load_dword v42, off, s[0:3], 0 offset:52
	s_waitcnt vmcnt(0)
	ds_write_b64 v39, v[41:42]
	buffer_store_dword v40, off, s[0:3], 0 offset:48
	buffer_store_dword v40, off, s[0:3], 0 offset:52
.LBB18_109:
	s_or_b64 exec, exec, s[4:5]
	s_waitcnt lgkmcnt(0)
	; wave barrier
	buffer_load_dword v49, off, s[0:3], 0 offset:56
	buffer_load_dword v50, off, s[0:3], 0 offset:60
	;; [unrolled: 1-line block ×21, first 2 shown]
	ds_read2_b64 v[41:44], v40 offset0:27 offset1:28
	ds_read2_b64 v[45:48], v40 offset0:29 offset1:30
	buffer_load_dword v66, off, s[0:3], 0 offset:140
	v_cmp_lt_u32_e32 vcc, 5, v0
	s_waitcnt vmcnt(20) lgkmcnt(1)
	v_fma_f64 v[41:42], v[49:50], v[41:42], 0
	buffer_load_dword v50, off, s[0:3], 0 offset:148
	buffer_load_dword v49, off, s[0:3], 0 offset:144
	s_waitcnt vmcnt(20)
	v_fma_f64 v[41:42], v[51:52], v[43:44], v[41:42]
	buffer_load_dword v51, off, s[0:3], 0 offset:48
	buffer_load_dword v52, off, s[0:3], 0 offset:52
	s_waitcnt vmcnt(20) lgkmcnt(0)
	v_fma_f64 v[41:42], v[53:54], v[45:46], v[41:42]
	s_waitcnt vmcnt(18)
	v_fma_f64 v[53:54], v[55:56], v[47:48], v[41:42]
	ds_read2_b64 v[41:44], v40 offset0:31 offset1:32
	ds_read2_b64 v[45:48], v40 offset0:33 offset1:34
	s_waitcnt vmcnt(16) lgkmcnt(1)
	v_fma_f64 v[41:42], v[57:58], v[41:42], v[53:54]
	s_waitcnt vmcnt(14)
	v_fma_f64 v[41:42], v[59:60], v[43:44], v[41:42]
	s_waitcnt vmcnt(12) lgkmcnt(0)
	v_fma_f64 v[41:42], v[61:62], v[45:46], v[41:42]
	s_waitcnt vmcnt(7)
	v_fma_f64 v[53:54], v[63:64], v[47:48], v[41:42]
	ds_read2_b64 v[41:44], v40 offset0:35 offset1:36
	ds_read2_b64 v[45:48], v40 offset0:37 offset1:38
	s_waitcnt vmcnt(6) lgkmcnt(1)
	v_fma_f64 v[40:41], v[69:70], v[41:42], v[53:54]
	s_waitcnt vmcnt(5)
	v_fma_f64 v[40:41], v[67:68], v[43:44], v[40:41]
	s_waitcnt vmcnt(4) lgkmcnt(0)
	v_fma_f64 v[40:41], v[65:66], v[45:46], v[40:41]
	s_waitcnt vmcnt(2)
	v_fma_f64 v[40:41], v[49:50], v[47:48], v[40:41]
	s_waitcnt vmcnt(0)
	v_add_f64 v[40:41], v[51:52], -v[40:41]
	buffer_store_dword v41, off, s[0:3], 0 offset:52
	buffer_store_dword v40, off, s[0:3], 0 offset:48
	s_and_saveexec_b64 s[4:5], vcc
	s_cbranch_execz .LBB18_111
; %bb.110:
	buffer_load_dword v40, off, s[0:3], 0 offset:40
	buffer_load_dword v41, off, s[0:3], 0 offset:44
	v_mov_b32_e32 v42, 0
	buffer_store_dword v42, off, s[0:3], 0 offset:40
	buffer_store_dword v42, off, s[0:3], 0 offset:44
	s_waitcnt vmcnt(2)
	ds_write_b64 v39, v[40:41]
.LBB18_111:
	s_or_b64 exec, exec, s[4:5]
	s_waitcnt lgkmcnt(0)
	; wave barrier
	buffer_load_dword v49, off, s[0:3], 0 offset:48
	buffer_load_dword v50, off, s[0:3], 0 offset:52
	buffer_load_dword v51, off, s[0:3], 0 offset:56
	buffer_load_dword v52, off, s[0:3], 0 offset:60
	buffer_load_dword v53, off, s[0:3], 0 offset:64
	buffer_load_dword v54, off, s[0:3], 0 offset:68
	buffer_load_dword v55, off, s[0:3], 0 offset:72
	buffer_load_dword v56, off, s[0:3], 0 offset:76
	buffer_load_dword v57, off, s[0:3], 0 offset:80
	buffer_load_dword v58, off, s[0:3], 0 offset:84
	buffer_load_dword v59, off, s[0:3], 0 offset:88
	buffer_load_dword v60, off, s[0:3], 0 offset:92
	buffer_load_dword v61, off, s[0:3], 0 offset:96
	buffer_load_dword v62, off, s[0:3], 0 offset:100
	buffer_load_dword v64, off, s[0:3], 0 offset:108
	buffer_load_dword v65, off, s[0:3], 0 offset:128
	buffer_load_dword v67, off, s[0:3], 0 offset:120
	buffer_load_dword v69, off, s[0:3], 0 offset:112
	buffer_load_dword v63, off, s[0:3], 0 offset:104
	buffer_load_dword v70, off, s[0:3], 0 offset:116
	buffer_load_dword v68, off, s[0:3], 0 offset:124
	v_mov_b32_e32 v40, 0
	ds_read_b128 v[41:44], v40 offset:208
	ds_read_b128 v[45:48], v40 offset:224
	buffer_load_dword v66, off, s[0:3], 0 offset:132
	v_cmp_lt_u32_e32 vcc, 4, v0
	s_waitcnt vmcnt(20) lgkmcnt(1)
	v_fma_f64 v[41:42], v[49:50], v[41:42], 0
	s_waitcnt vmcnt(18)
	v_fma_f64 v[41:42], v[51:52], v[43:44], v[41:42]
	buffer_load_dword v50, off, s[0:3], 0 offset:140
	buffer_load_dword v51, off, s[0:3], 0 offset:144
	;; [unrolled: 1-line block ×4, first 2 shown]
	s_waitcnt vmcnt(20) lgkmcnt(0)
	v_fma_f64 v[41:42], v[53:54], v[45:46], v[41:42]
	buffer_load_dword v53, off, s[0:3], 0 offset:40
	buffer_load_dword v54, off, s[0:3], 0 offset:44
	s_waitcnt vmcnt(20)
	v_fma_f64 v[55:56], v[55:56], v[47:48], v[41:42]
	ds_read_b128 v[41:44], v40 offset:240
	ds_read_b128 v[45:48], v40 offset:256
	s_waitcnt vmcnt(18) lgkmcnt(1)
	v_fma_f64 v[41:42], v[57:58], v[41:42], v[55:56]
	s_waitcnt vmcnt(16)
	v_fma_f64 v[41:42], v[59:60], v[43:44], v[41:42]
	s_waitcnt vmcnt(14) lgkmcnt(0)
	v_fma_f64 v[41:42], v[61:62], v[45:46], v[41:42]
	s_waitcnt vmcnt(9)
	v_fma_f64 v[55:56], v[63:64], v[47:48], v[41:42]
	ds_read_b128 v[41:44], v40 offset:272
	ds_read_b128 v[45:48], v40 offset:288
	s_waitcnt vmcnt(8) lgkmcnt(1)
	v_fma_f64 v[41:42], v[69:70], v[41:42], v[55:56]
	s_waitcnt vmcnt(7)
	v_fma_f64 v[41:42], v[67:68], v[43:44], v[41:42]
	ds_read_b64 v[43:44], v40 offset:304
	s_waitcnt vmcnt(6) lgkmcnt(1)
	v_fma_f64 v[41:42], v[65:66], v[45:46], v[41:42]
	s_waitcnt vmcnt(3)
	v_fma_f64 v[41:42], v[49:50], v[47:48], v[41:42]
	s_waitcnt vmcnt(2) lgkmcnt(0)
	v_fma_f64 v[41:42], v[51:52], v[43:44], v[41:42]
	s_waitcnt vmcnt(0)
	v_add_f64 v[41:42], v[53:54], -v[41:42]
	buffer_store_dword v42, off, s[0:3], 0 offset:44
	buffer_store_dword v41, off, s[0:3], 0 offset:40
	s_and_saveexec_b64 s[4:5], vcc
	s_cbranch_execz .LBB18_113
; %bb.112:
	buffer_load_dword v41, off, s[0:3], 0 offset:32
	buffer_load_dword v42, off, s[0:3], 0 offset:36
	s_waitcnt vmcnt(0)
	ds_write_b64 v39, v[41:42]
	buffer_store_dword v40, off, s[0:3], 0 offset:32
	buffer_store_dword v40, off, s[0:3], 0 offset:36
.LBB18_113:
	s_or_b64 exec, exec, s[4:5]
	s_waitcnt lgkmcnt(0)
	; wave barrier
	buffer_load_dword v49, off, s[0:3], 0 offset:40
	buffer_load_dword v50, off, s[0:3], 0 offset:44
	;; [unrolled: 1-line block ×22, first 2 shown]
	ds_read2_b64 v[41:44], v40 offset0:25 offset1:26
	ds_read2_b64 v[45:48], v40 offset0:27 offset1:28
	v_cmp_lt_u32_e32 vcc, 3, v0
	s_waitcnt vmcnt(20) lgkmcnt(1)
	v_fma_f64 v[41:42], v[49:50], v[41:42], 0
	s_waitcnt vmcnt(18)
	v_fma_f64 v[41:42], v[51:52], v[43:44], v[41:42]
	buffer_load_dword v50, off, s[0:3], 0 offset:132
	buffer_load_dword v51, off, s[0:3], 0 offset:144
	;; [unrolled: 1-line block ×6, first 2 shown]
	s_waitcnt vmcnt(22) lgkmcnt(0)
	v_fma_f64 v[41:42], v[53:54], v[45:46], v[41:42]
	s_waitcnt vmcnt(20)
	v_fma_f64 v[53:54], v[55:56], v[47:48], v[41:42]
	ds_read2_b64 v[41:44], v40 offset0:29 offset1:30
	buffer_load_dword v55, off, s[0:3], 0 offset:32
	buffer_load_dword v56, off, s[0:3], 0 offset:36
	ds_read2_b64 v[45:48], v40 offset0:31 offset1:32
	s_waitcnt vmcnt(20) lgkmcnt(1)
	v_fma_f64 v[41:42], v[57:58], v[41:42], v[53:54]
	s_waitcnt vmcnt(18)
	v_fma_f64 v[41:42], v[59:60], v[43:44], v[41:42]
	s_waitcnt vmcnt(16) lgkmcnt(0)
	v_fma_f64 v[41:42], v[61:62], v[45:46], v[41:42]
	s_waitcnt vmcnt(11)
	v_fma_f64 v[53:54], v[63:64], v[47:48], v[41:42]
	ds_read2_b64 v[41:44], v40 offset0:33 offset1:34
	ds_read2_b64 v[45:48], v40 offset0:35 offset1:36
	s_waitcnt vmcnt(10) lgkmcnt(1)
	v_fma_f64 v[41:42], v[69:70], v[41:42], v[53:54]
	s_waitcnt vmcnt(9)
	v_fma_f64 v[41:42], v[67:68], v[43:44], v[41:42]
	s_waitcnt vmcnt(8) lgkmcnt(0)
	v_fma_f64 v[41:42], v[65:66], v[45:46], v[41:42]
	s_waitcnt vmcnt(4)
	v_fma_f64 v[44:45], v[49:50], v[47:48], v[41:42]
	ds_read2_b64 v[40:43], v40 offset0:37 offset1:38
	s_waitcnt vmcnt(3) lgkmcnt(0)
	v_fma_f64 v[40:41], v[71:72], v[40:41], v[44:45]
	s_waitcnt vmcnt(2)
	v_fma_f64 v[40:41], v[51:52], v[42:43], v[40:41]
	s_waitcnt vmcnt(0)
	v_add_f64 v[40:41], v[55:56], -v[40:41]
	buffer_store_dword v41, off, s[0:3], 0 offset:36
	buffer_store_dword v40, off, s[0:3], 0 offset:32
	s_and_saveexec_b64 s[4:5], vcc
	s_cbranch_execz .LBB18_115
; %bb.114:
	buffer_load_dword v40, off, s[0:3], 0 offset:24
	buffer_load_dword v41, off, s[0:3], 0 offset:28
	v_mov_b32_e32 v42, 0
	buffer_store_dword v42, off, s[0:3], 0 offset:24
	buffer_store_dword v42, off, s[0:3], 0 offset:28
	s_waitcnt vmcnt(2)
	ds_write_b64 v39, v[40:41]
.LBB18_115:
	s_or_b64 exec, exec, s[4:5]
	s_waitcnt lgkmcnt(0)
	; wave barrier
	buffer_load_dword v49, off, s[0:3], 0 offset:32
	buffer_load_dword v50, off, s[0:3], 0 offset:36
	;; [unrolled: 1-line block ×22, first 2 shown]
	v_mov_b32_e32 v40, 0
	ds_read_b128 v[41:44], v40 offset:192
	ds_read_b128 v[45:48], v40 offset:208
	v_cmp_lt_u32_e32 vcc, 2, v0
	s_waitcnt vmcnt(20) lgkmcnt(1)
	v_fma_f64 v[41:42], v[49:50], v[41:42], 0
	s_waitcnt vmcnt(18)
	v_fma_f64 v[41:42], v[51:52], v[43:44], v[41:42]
	buffer_load_dword v50, off, s[0:3], 0 offset:124
	buffer_load_dword v51, off, s[0:3], 0 offset:144
	;; [unrolled: 1-line block ×8, first 2 shown]
	s_waitcnt vmcnt(24) lgkmcnt(0)
	v_fma_f64 v[41:42], v[53:54], v[45:46], v[41:42]
	s_waitcnt vmcnt(22)
	v_fma_f64 v[53:54], v[55:56], v[47:48], v[41:42]
	ds_read_b128 v[41:44], v40 offset:224
	ds_read_b128 v[45:48], v40 offset:240
	s_waitcnt vmcnt(20) lgkmcnt(1)
	v_fma_f64 v[41:42], v[57:58], v[41:42], v[53:54]
	buffer_load_dword v53, off, s[0:3], 0 offset:24
	buffer_load_dword v54, off, s[0:3], 0 offset:28
	s_waitcnt vmcnt(20)
	v_fma_f64 v[41:42], v[59:60], v[43:44], v[41:42]
	s_waitcnt vmcnt(18) lgkmcnt(0)
	v_fma_f64 v[41:42], v[61:62], v[45:46], v[41:42]
	s_waitcnt vmcnt(13)
	v_fma_f64 v[55:56], v[63:64], v[47:48], v[41:42]
	ds_read_b128 v[41:44], v40 offset:256
	ds_read_b128 v[45:48], v40 offset:272
	s_waitcnt vmcnt(12) lgkmcnt(1)
	v_fma_f64 v[41:42], v[69:70], v[41:42], v[55:56]
	s_waitcnt vmcnt(11)
	v_fma_f64 v[41:42], v[67:68], v[43:44], v[41:42]
	s_waitcnt vmcnt(10) lgkmcnt(0)
	v_fma_f64 v[41:42], v[65:66], v[45:46], v[41:42]
	s_waitcnt vmcnt(5)
	v_fma_f64 v[45:46], v[49:50], v[47:48], v[41:42]
	ds_read_b128 v[41:44], v40 offset:288
	ds_read_b64 v[47:48], v40 offset:304
	s_waitcnt vmcnt(4) lgkmcnt(1)
	v_fma_f64 v[41:42], v[73:74], v[41:42], v[45:46]
	s_waitcnt vmcnt(3)
	v_fma_f64 v[41:42], v[71:72], v[43:44], v[41:42]
	s_waitcnt vmcnt(2) lgkmcnt(0)
	v_fma_f64 v[41:42], v[51:52], v[47:48], v[41:42]
	s_waitcnt vmcnt(0)
	v_add_f64 v[41:42], v[53:54], -v[41:42]
	buffer_store_dword v42, off, s[0:3], 0 offset:28
	buffer_store_dword v41, off, s[0:3], 0 offset:24
	s_and_saveexec_b64 s[4:5], vcc
	s_cbranch_execz .LBB18_117
; %bb.116:
	buffer_load_dword v41, off, s[0:3], 0 offset:16
	buffer_load_dword v42, off, s[0:3], 0 offset:20
	s_waitcnt vmcnt(0)
	ds_write_b64 v39, v[41:42]
	buffer_store_dword v40, off, s[0:3], 0 offset:16
	buffer_store_dword v40, off, s[0:3], 0 offset:20
.LBB18_117:
	s_or_b64 exec, exec, s[4:5]
	s_waitcnt lgkmcnt(0)
	; wave barrier
	buffer_load_dword v49, off, s[0:3], 0 offset:24
	buffer_load_dword v50, off, s[0:3], 0 offset:28
	;; [unrolled: 1-line block ×22, first 2 shown]
	ds_read2_b64 v[41:44], v40 offset0:23 offset1:24
	ds_read2_b64 v[45:48], v40 offset0:25 offset1:26
	v_cmp_lt_u32_e32 vcc, 1, v0
	s_waitcnt vmcnt(20) lgkmcnt(1)
	v_fma_f64 v[41:42], v[49:50], v[41:42], 0
	s_waitcnt vmcnt(18)
	v_fma_f64 v[41:42], v[51:52], v[43:44], v[41:42]
	buffer_load_dword v50, off, s[0:3], 0 offset:116
	buffer_load_dword v51, off, s[0:3], 0 offset:136
	;; [unrolled: 1-line block ×8, first 2 shown]
	s_waitcnt vmcnt(24) lgkmcnt(0)
	v_fma_f64 v[41:42], v[53:54], v[45:46], v[41:42]
	s_waitcnt vmcnt(22)
	v_fma_f64 v[53:54], v[55:56], v[47:48], v[41:42]
	ds_read2_b64 v[41:44], v40 offset0:27 offset1:28
	ds_read2_b64 v[45:48], v40 offset0:29 offset1:30
	s_waitcnt vmcnt(20) lgkmcnt(1)
	v_fma_f64 v[41:42], v[57:58], v[41:42], v[53:54]
	buffer_load_dword v54, off, s[0:3], 0 offset:148
	buffer_load_dword v53, off, s[0:3], 0 offset:144
	;; [unrolled: 1-line block ×4, first 2 shown]
	s_waitcnt vmcnt(22)
	v_fma_f64 v[41:42], v[59:60], v[43:44], v[41:42]
	s_waitcnt vmcnt(20) lgkmcnt(0)
	v_fma_f64 v[41:42], v[61:62], v[45:46], v[41:42]
	s_waitcnt vmcnt(15)
	v_fma_f64 v[57:58], v[63:64], v[47:48], v[41:42]
	ds_read2_b64 v[41:44], v40 offset0:31 offset1:32
	ds_read2_b64 v[45:48], v40 offset0:33 offset1:34
	s_waitcnt vmcnt(14) lgkmcnt(1)
	v_fma_f64 v[41:42], v[69:70], v[41:42], v[57:58]
	s_waitcnt vmcnt(13)
	v_fma_f64 v[41:42], v[67:68], v[43:44], v[41:42]
	s_waitcnt vmcnt(12) lgkmcnt(0)
	v_fma_f64 v[41:42], v[65:66], v[45:46], v[41:42]
	s_waitcnt vmcnt(7)
	v_fma_f64 v[49:50], v[49:50], v[47:48], v[41:42]
	ds_read2_b64 v[41:44], v40 offset0:35 offset1:36
	ds_read2_b64 v[45:48], v40 offset0:37 offset1:38
	s_waitcnt vmcnt(6) lgkmcnt(1)
	v_fma_f64 v[40:41], v[73:74], v[41:42], v[49:50]
	s_waitcnt vmcnt(5)
	v_fma_f64 v[40:41], v[71:72], v[43:44], v[40:41]
	s_waitcnt vmcnt(4) lgkmcnt(0)
	v_fma_f64 v[40:41], v[51:52], v[45:46], v[40:41]
	s_waitcnt vmcnt(2)
	v_fma_f64 v[40:41], v[53:54], v[47:48], v[40:41]
	s_waitcnt vmcnt(0)
	v_add_f64 v[40:41], v[55:56], -v[40:41]
	buffer_store_dword v41, off, s[0:3], 0 offset:20
	buffer_store_dword v40, off, s[0:3], 0 offset:16
	s_and_saveexec_b64 s[4:5], vcc
	s_cbranch_execz .LBB18_119
; %bb.118:
	buffer_load_dword v40, off, s[0:3], 0 offset:8
	buffer_load_dword v41, off, s[0:3], 0 offset:12
	v_mov_b32_e32 v42, 0
	buffer_store_dword v42, off, s[0:3], 0 offset:8
	buffer_store_dword v42, off, s[0:3], 0 offset:12
	s_waitcnt vmcnt(2)
	ds_write_b64 v39, v[40:41]
.LBB18_119:
	s_or_b64 exec, exec, s[4:5]
	s_waitcnt lgkmcnt(0)
	; wave barrier
	buffer_load_dword v49, off, s[0:3], 0 offset:16
	buffer_load_dword v50, off, s[0:3], 0 offset:20
	;; [unrolled: 1-line block ×22, first 2 shown]
	v_mov_b32_e32 v40, 0
	ds_read_b128 v[41:44], v40 offset:176
	ds_read_b128 v[45:48], v40 offset:192
	v_cmp_ne_u32_e32 vcc, 0, v0
	s_waitcnt vmcnt(20) lgkmcnt(1)
	v_fma_f64 v[41:42], v[49:50], v[41:42], 0
	s_waitcnt vmcnt(18)
	v_fma_f64 v[41:42], v[51:52], v[43:44], v[41:42]
	buffer_load_dword v50, off, s[0:3], 0 offset:108
	buffer_load_dword v51, off, s[0:3], 0 offset:128
	;; [unrolled: 1-line block ×7, first 2 shown]
	s_waitcnt vmcnt(23) lgkmcnt(0)
	v_fma_f64 v[41:42], v[53:54], v[45:46], v[41:42]
	s_waitcnt vmcnt(21)
	v_fma_f64 v[52:53], v[55:56], v[47:48], v[41:42]
	ds_read_b128 v[41:44], v40 offset:208
	ds_read_b128 v[45:48], v40 offset:224
	s_waitcnt vmcnt(19) lgkmcnt(1)
	v_fma_f64 v[41:42], v[57:58], v[41:42], v[52:53]
	buffer_load_dword v52, off, s[0:3], 0 offset:132
	buffer_load_dword v54, off, s[0:3], 0 offset:140
	;; [unrolled: 1-line block ×7, first 2 shown]
	s_waitcnt vmcnt(24)
	v_fma_f64 v[41:42], v[59:60], v[43:44], v[41:42]
	s_waitcnt vmcnt(22) lgkmcnt(0)
	v_fma_f64 v[41:42], v[61:62], v[45:46], v[41:42]
	s_waitcnt vmcnt(17)
	v_fma_f64 v[59:60], v[63:64], v[47:48], v[41:42]
	ds_read_b128 v[41:44], v40 offset:240
	ds_read_b128 v[45:48], v40 offset:256
	s_waitcnt vmcnt(16) lgkmcnt(1)
	v_fma_f64 v[41:42], v[69:70], v[41:42], v[59:60]
	s_waitcnt vmcnt(15)
	v_fma_f64 v[41:42], v[67:68], v[43:44], v[41:42]
	s_waitcnt vmcnt(14) lgkmcnt(0)
	v_fma_f64 v[41:42], v[65:66], v[45:46], v[41:42]
	s_waitcnt vmcnt(9)
	v_fma_f64 v[49:50], v[49:50], v[47:48], v[41:42]
	ds_read_b128 v[41:44], v40 offset:272
	ds_read_b128 v[45:48], v40 offset:288
	s_waitcnt vmcnt(8) lgkmcnt(1)
	v_fma_f64 v[41:42], v[73:74], v[41:42], v[49:50]
	s_waitcnt vmcnt(7)
	v_fma_f64 v[41:42], v[71:72], v[43:44], v[41:42]
	ds_read_b64 v[43:44], v40 offset:304
	s_waitcnt vmcnt(6) lgkmcnt(1)
	v_fma_f64 v[41:42], v[51:52], v[45:46], v[41:42]
	s_waitcnt vmcnt(3)
	v_fma_f64 v[41:42], v[53:54], v[47:48], v[41:42]
	s_waitcnt vmcnt(2) lgkmcnt(0)
	v_fma_f64 v[41:42], v[55:56], v[43:44], v[41:42]
	s_waitcnt vmcnt(0)
	v_add_f64 v[41:42], v[57:58], -v[41:42]
	buffer_store_dword v42, off, s[0:3], 0 offset:12
	buffer_store_dword v41, off, s[0:3], 0 offset:8
	s_and_saveexec_b64 s[4:5], vcc
	s_cbranch_execz .LBB18_121
; %bb.120:
	buffer_load_dword v41, off, s[0:3], 0
	buffer_load_dword v42, off, s[0:3], 0 offset:4
	s_waitcnt vmcnt(0)
	ds_write_b64 v39, v[41:42]
	buffer_store_dword v40, off, s[0:3], 0
	buffer_store_dword v40, off, s[0:3], 0 offset:4
.LBB18_121:
	s_or_b64 exec, exec, s[4:5]
	s_waitcnt lgkmcnt(0)
	; wave barrier
	buffer_load_dword v49, off, s[0:3], 0 offset:8
	buffer_load_dword v50, off, s[0:3], 0 offset:12
	;; [unrolled: 1-line block ×22, first 2 shown]
	ds_read2_b64 v[41:44], v40 offset0:21 offset1:22
	ds_read2_b64 v[45:48], v40 offset0:23 offset1:24
	s_and_b64 vcc, exec, s[22:23]
	s_waitcnt vmcnt(20) lgkmcnt(1)
	v_fma_f64 v[41:42], v[49:50], v[41:42], 0
	s_waitcnt vmcnt(18)
	v_fma_f64 v[41:42], v[51:52], v[43:44], v[41:42]
	buffer_load_dword v52, off, s[0:3], 0 offset:100
	buffer_load_dword v71, off, s[0:3], 0 offset:120
	;; [unrolled: 1-line block ×8, first 2 shown]
	s_waitcnt vmcnt(24) lgkmcnt(0)
	v_fma_f64 v[41:42], v[53:54], v[45:46], v[41:42]
	s_waitcnt vmcnt(22)
	v_fma_f64 v[49:50], v[55:56], v[47:48], v[41:42]
	ds_read2_b64 v[41:44], v40 offset0:25 offset1:26
	ds_read2_b64 v[45:48], v40 offset0:27 offset1:28
	s_waitcnt vmcnt(20) lgkmcnt(1)
	v_fma_f64 v[41:42], v[57:58], v[41:42], v[49:50]
	s_waitcnt vmcnt(18)
	v_fma_f64 v[42:43], v[59:60], v[43:44], v[41:42]
	buffer_load_dword v54, off, s[0:3], 0 offset:132
	buffer_load_dword v55, off, s[0:3], 0 offset:144
	;; [unrolled: 1-line block ×4, first 2 shown]
	s_waitcnt vmcnt(20) lgkmcnt(0)
	v_fma_f64 v[43:44], v[61:62], v[45:46], v[42:43]
	buffer_load_dword v42, off, s[0:3], 0 offset:140
	buffer_load_dword v56, off, s[0:3], 0 offset:148
	s_waitcnt vmcnt(17)
	v_fma_f64 v[57:58], v[63:64], v[47:48], v[43:44]
	ds_read2_b64 v[43:46], v40 offset0:29 offset1:30
	buffer_load_dword v59, off, s[0:3], 0
	buffer_load_dword v60, off, s[0:3], 0 offset:4
	ds_read2_b64 v[47:50], v40 offset0:31 offset1:32
	s_waitcnt vmcnt(18) lgkmcnt(1)
	v_fma_f64 v[43:44], v[69:70], v[43:44], v[57:58]
	s_waitcnt vmcnt(17)
	v_fma_f64 v[43:44], v[67:68], v[45:46], v[43:44]
	s_waitcnt vmcnt(16) lgkmcnt(0)
	v_fma_f64 v[43:44], v[65:66], v[47:48], v[43:44]
	s_waitcnt vmcnt(11)
	v_fma_f64 v[51:52], v[51:52], v[49:50], v[43:44]
	ds_read2_b64 v[43:46], v40 offset0:33 offset1:34
	ds_read2_b64 v[47:50], v40 offset0:35 offset1:36
	s_waitcnt vmcnt(10) lgkmcnt(1)
	v_fma_f64 v[43:44], v[75:76], v[43:44], v[51:52]
	s_waitcnt vmcnt(9)
	v_fma_f64 v[43:44], v[73:74], v[45:46], v[43:44]
	s_waitcnt vmcnt(8) lgkmcnt(0)
	v_fma_f64 v[43:44], v[71:72], v[47:48], v[43:44]
	s_waitcnt vmcnt(4)
	v_fma_f64 v[47:48], v[53:54], v[49:50], v[43:44]
	ds_read2_b64 v[43:46], v40 offset0:37 offset1:38
	s_waitcnt vmcnt(3) lgkmcnt(0)
	v_fma_f64 v[39:40], v[41:42], v[43:44], v[47:48]
	s_waitcnt vmcnt(2)
	v_fma_f64 v[39:40], v[55:56], v[45:46], v[39:40]
	s_waitcnt vmcnt(0)
	v_add_f64 v[39:40], v[59:60], -v[39:40]
	buffer_store_dword v40, off, s[0:3], 0 offset:4
	buffer_store_dword v39, off, s[0:3], 0
	s_cbranch_vccz .LBB18_158
; %bb.122:
	v_mov_b32_e32 v0, 0
	global_load_dword v39, v0, s[20:21] offset:68
	s_waitcnt vmcnt(0)
	v_add_u32_e32 v39, -1, v39
	v_cmp_ne_u32_e32 vcc, 17, v39
	s_cbranch_vccz .LBB18_124
; %bb.123:
	v_lshlrev_b32_e32 v39, 3, v39
	buffer_load_dword v40, v39, s[0:3], 0 offen
	buffer_load_dword v43, v39, s[0:3], 0 offen offset:4
	s_waitcnt vmcnt(1)
	buffer_store_dword v40, off, s[0:3], 0 offset:136
	s_waitcnt vmcnt(1)
	buffer_store_dword v43, off, s[0:3], 0 offset:140
	buffer_store_dword v41, v39, s[0:3], 0 offen
	buffer_store_dword v42, v39, s[0:3], 0 offen offset:4
.LBB18_124:
	global_load_dword v0, v0, s[20:21] offset:64
	s_waitcnt vmcnt(0)
	v_add_u32_e32 v0, -1, v0
	v_cmp_eq_u32_e32 vcc, 16, v0
	s_cbranch_vccnz .LBB18_126
; %bb.125:
	v_lshlrev_b32_e32 v0, 3, v0
	buffer_load_dword v39, v0, s[0:3], 0 offen
	buffer_load_dword v40, v0, s[0:3], 0 offen offset:4
	buffer_load_dword v41, off, s[0:3], 0 offset:132
	buffer_load_dword v42, off, s[0:3], 0 offset:128
	s_waitcnt vmcnt(3)
	buffer_store_dword v39, off, s[0:3], 0 offset:128
	s_waitcnt vmcnt(3)
	buffer_store_dword v40, off, s[0:3], 0 offset:132
	s_waitcnt vmcnt(3)
	buffer_store_dword v41, v0, s[0:3], 0 offen offset:4
	s_waitcnt vmcnt(3)
	buffer_store_dword v42, v0, s[0:3], 0 offen
.LBB18_126:
	v_mov_b32_e32 v0, 0
	global_load_dword v39, v0, s[20:21] offset:60
	s_waitcnt vmcnt(0)
	v_add_u32_e32 v39, -1, v39
	v_cmp_eq_u32_e32 vcc, 15, v39
	s_cbranch_vccnz .LBB18_128
; %bb.127:
	v_lshlrev_b32_e32 v39, 3, v39
	buffer_load_dword v40, v39, s[0:3], 0 offen
	buffer_load_dword v41, v39, s[0:3], 0 offen offset:4
	buffer_load_dword v42, off, s[0:3], 0 offset:120
	buffer_load_dword v43, off, s[0:3], 0 offset:124
	s_waitcnt vmcnt(3)
	buffer_store_dword v40, off, s[0:3], 0 offset:120
	s_waitcnt vmcnt(3)
	buffer_store_dword v41, off, s[0:3], 0 offset:124
	s_waitcnt vmcnt(3)
	buffer_store_dword v42, v39, s[0:3], 0 offen
	s_waitcnt vmcnt(3)
	buffer_store_dword v43, v39, s[0:3], 0 offen offset:4
.LBB18_128:
	global_load_dword v0, v0, s[20:21] offset:56
	s_waitcnt vmcnt(0)
	v_add_u32_e32 v0, -1, v0
	v_cmp_eq_u32_e32 vcc, 14, v0
	s_cbranch_vccnz .LBB18_130
; %bb.129:
	v_lshlrev_b32_e32 v0, 3, v0
	buffer_load_dword v39, v0, s[0:3], 0 offen
	buffer_load_dword v40, v0, s[0:3], 0 offen offset:4
	buffer_load_dword v41, off, s[0:3], 0 offset:116
	buffer_load_dword v42, off, s[0:3], 0 offset:112
	s_waitcnt vmcnt(3)
	buffer_store_dword v39, off, s[0:3], 0 offset:112
	s_waitcnt vmcnt(3)
	buffer_store_dword v40, off, s[0:3], 0 offset:116
	s_waitcnt vmcnt(3)
	buffer_store_dword v41, v0, s[0:3], 0 offen offset:4
	s_waitcnt vmcnt(3)
	buffer_store_dword v42, v0, s[0:3], 0 offen
.LBB18_130:
	v_mov_b32_e32 v0, 0
	global_load_dword v39, v0, s[20:21] offset:52
	s_waitcnt vmcnt(0)
	v_add_u32_e32 v39, -1, v39
	v_cmp_eq_u32_e32 vcc, 13, v39
	s_cbranch_vccnz .LBB18_132
; %bb.131:
	v_lshlrev_b32_e32 v39, 3, v39
	buffer_load_dword v40, v39, s[0:3], 0 offen
	buffer_load_dword v41, v39, s[0:3], 0 offen offset:4
	buffer_load_dword v42, off, s[0:3], 0 offset:104
	buffer_load_dword v43, off, s[0:3], 0 offset:108
	s_waitcnt vmcnt(3)
	buffer_store_dword v40, off, s[0:3], 0 offset:104
	s_waitcnt vmcnt(3)
	buffer_store_dword v41, off, s[0:3], 0 offset:108
	s_waitcnt vmcnt(3)
	buffer_store_dword v42, v39, s[0:3], 0 offen
	s_waitcnt vmcnt(3)
	buffer_store_dword v43, v39, s[0:3], 0 offen offset:4
.LBB18_132:
	;; [unrolled: 41-line block ×8, first 2 shown]
	global_load_dword v0, v0, s[20:21]
	s_nop 0
	buffer_load_dword v39, off, s[0:3], 0
	buffer_load_dword v40, off, s[0:3], 0 offset:4
	s_waitcnt vmcnt(2)
	v_add_u32_e32 v0, -1, v0
	v_cmp_eq_u32_e32 vcc, 0, v0
	s_cbranch_vccnz .LBB18_158
; %bb.157:
	v_lshlrev_b32_e32 v0, 3, v0
	buffer_load_dword v41, v0, s[0:3], 0 offen offset:4
	buffer_load_dword v42, v0, s[0:3], 0 offen
	s_waitcnt vmcnt(1)
	buffer_store_dword v41, off, s[0:3], 0 offset:4
	s_waitcnt vmcnt(1)
	buffer_store_dword v42, off, s[0:3], 0
	buffer_store_dword v40, v0, s[0:3], 0 offen offset:4
	buffer_store_dword v39, v0, s[0:3], 0 offen
	buffer_load_dword v39, off, s[0:3], 0
	s_nop 0
	buffer_load_dword v40, off, s[0:3], 0 offset:4
.LBB18_158:
	buffer_load_dword v41, off, s[0:3], 0 offset:8
	buffer_load_dword v42, off, s[0:3], 0 offset:12
	;; [unrolled: 1-line block ×36, first 2 shown]
	s_waitcnt vmcnt(36)
	global_store_dwordx2 v[31:32], v[39:40], off
	s_waitcnt vmcnt(35)
	global_store_dwordx2 v[33:34], v[41:42], off
	;; [unrolled: 2-line block ×19, first 2 shown]
	s_endpgm
	.section	.rodata,"a",@progbits
	.p2align	6, 0x0
	.amdhsa_kernel _ZN9rocsolver6v33100L18getri_kernel_smallILi19EdPdEEvT1_iilPiilS4_bb
		.amdhsa_group_segment_fixed_size 312
		.amdhsa_private_segment_fixed_size 160
		.amdhsa_kernarg_size 60
		.amdhsa_user_sgpr_count 6
		.amdhsa_user_sgpr_private_segment_buffer 1
		.amdhsa_user_sgpr_dispatch_ptr 0
		.amdhsa_user_sgpr_queue_ptr 0
		.amdhsa_user_sgpr_kernarg_segment_ptr 1
		.amdhsa_user_sgpr_dispatch_id 0
		.amdhsa_user_sgpr_flat_scratch_init 0
		.amdhsa_user_sgpr_private_segment_size 0
		.amdhsa_uses_dynamic_stack 0
		.amdhsa_system_sgpr_private_segment_wavefront_offset 1
		.amdhsa_system_sgpr_workgroup_id_x 1
		.amdhsa_system_sgpr_workgroup_id_y 0
		.amdhsa_system_sgpr_workgroup_id_z 0
		.amdhsa_system_sgpr_workgroup_info 0
		.amdhsa_system_vgpr_workitem_id 0
		.amdhsa_next_free_vgpr 78
		.amdhsa_next_free_sgpr 24
		.amdhsa_reserve_vcc 1
		.amdhsa_reserve_flat_scratch 0
		.amdhsa_float_round_mode_32 0
		.amdhsa_float_round_mode_16_64 0
		.amdhsa_float_denorm_mode_32 3
		.amdhsa_float_denorm_mode_16_64 3
		.amdhsa_dx10_clamp 1
		.amdhsa_ieee_mode 1
		.amdhsa_fp16_overflow 0
		.amdhsa_exception_fp_ieee_invalid_op 0
		.amdhsa_exception_fp_denorm_src 0
		.amdhsa_exception_fp_ieee_div_zero 0
		.amdhsa_exception_fp_ieee_overflow 0
		.amdhsa_exception_fp_ieee_underflow 0
		.amdhsa_exception_fp_ieee_inexact 0
		.amdhsa_exception_int_div_zero 0
	.end_amdhsa_kernel
	.section	.text._ZN9rocsolver6v33100L18getri_kernel_smallILi19EdPdEEvT1_iilPiilS4_bb,"axG",@progbits,_ZN9rocsolver6v33100L18getri_kernel_smallILi19EdPdEEvT1_iilPiilS4_bb,comdat
.Lfunc_end18:
	.size	_ZN9rocsolver6v33100L18getri_kernel_smallILi19EdPdEEvT1_iilPiilS4_bb, .Lfunc_end18-_ZN9rocsolver6v33100L18getri_kernel_smallILi19EdPdEEvT1_iilPiilS4_bb
                                        ; -- End function
	.set _ZN9rocsolver6v33100L18getri_kernel_smallILi19EdPdEEvT1_iilPiilS4_bb.num_vgpr, 78
	.set _ZN9rocsolver6v33100L18getri_kernel_smallILi19EdPdEEvT1_iilPiilS4_bb.num_agpr, 0
	.set _ZN9rocsolver6v33100L18getri_kernel_smallILi19EdPdEEvT1_iilPiilS4_bb.numbered_sgpr, 24
	.set _ZN9rocsolver6v33100L18getri_kernel_smallILi19EdPdEEvT1_iilPiilS4_bb.num_named_barrier, 0
	.set _ZN9rocsolver6v33100L18getri_kernel_smallILi19EdPdEEvT1_iilPiilS4_bb.private_seg_size, 160
	.set _ZN9rocsolver6v33100L18getri_kernel_smallILi19EdPdEEvT1_iilPiilS4_bb.uses_vcc, 1
	.set _ZN9rocsolver6v33100L18getri_kernel_smallILi19EdPdEEvT1_iilPiilS4_bb.uses_flat_scratch, 0
	.set _ZN9rocsolver6v33100L18getri_kernel_smallILi19EdPdEEvT1_iilPiilS4_bb.has_dyn_sized_stack, 0
	.set _ZN9rocsolver6v33100L18getri_kernel_smallILi19EdPdEEvT1_iilPiilS4_bb.has_recursion, 0
	.set _ZN9rocsolver6v33100L18getri_kernel_smallILi19EdPdEEvT1_iilPiilS4_bb.has_indirect_call, 0
	.section	.AMDGPU.csdata,"",@progbits
; Kernel info:
; codeLenInByte = 14964
; TotalNumSgprs: 28
; NumVgprs: 78
; ScratchSize: 160
; MemoryBound: 0
; FloatMode: 240
; IeeeMode: 1
; LDSByteSize: 312 bytes/workgroup (compile time only)
; SGPRBlocks: 3
; VGPRBlocks: 19
; NumSGPRsForWavesPerEU: 28
; NumVGPRsForWavesPerEU: 78
; Occupancy: 3
; WaveLimiterHint : 1
; COMPUTE_PGM_RSRC2:SCRATCH_EN: 1
; COMPUTE_PGM_RSRC2:USER_SGPR: 6
; COMPUTE_PGM_RSRC2:TRAP_HANDLER: 0
; COMPUTE_PGM_RSRC2:TGID_X_EN: 1
; COMPUTE_PGM_RSRC2:TGID_Y_EN: 0
; COMPUTE_PGM_RSRC2:TGID_Z_EN: 0
; COMPUTE_PGM_RSRC2:TIDIG_COMP_CNT: 0
	.section	.text._ZN9rocsolver6v33100L18getri_kernel_smallILi20EdPdEEvT1_iilPiilS4_bb,"axG",@progbits,_ZN9rocsolver6v33100L18getri_kernel_smallILi20EdPdEEvT1_iilPiilS4_bb,comdat
	.globl	_ZN9rocsolver6v33100L18getri_kernel_smallILi20EdPdEEvT1_iilPiilS4_bb ; -- Begin function _ZN9rocsolver6v33100L18getri_kernel_smallILi20EdPdEEvT1_iilPiilS4_bb
	.p2align	8
	.type	_ZN9rocsolver6v33100L18getri_kernel_smallILi20EdPdEEvT1_iilPiilS4_bb,@function
_ZN9rocsolver6v33100L18getri_kernel_smallILi20EdPdEEvT1_iilPiilS4_bb: ; @_ZN9rocsolver6v33100L18getri_kernel_smallILi20EdPdEEvT1_iilPiilS4_bb
; %bb.0:
	s_add_u32 s0, s0, s7
	s_addc_u32 s1, s1, 0
	v_cmp_gt_u32_e32 vcc, 20, v0
	s_and_saveexec_b64 s[8:9], vcc
	s_cbranch_execz .LBB19_88
; %bb.1:
	s_load_dword s12, s[4:5], 0x38
	s_load_dwordx4 s[16:19], s[4:5], 0x10
	s_load_dwordx4 s[8:11], s[4:5], 0x28
                                        ; implicit-def: $sgpr20_sgpr21
	s_waitcnt lgkmcnt(0)
	s_bitcmp1_b32 s12, 8
	s_cselect_b64 s[22:23], -1, 0
	s_ashr_i32 s7, s6, 31
	s_bfe_u32 s12, s12, 0x10008
	s_cmp_eq_u32 s12, 0
	s_cbranch_scc1 .LBB19_3
; %bb.2:
	s_load_dword s12, s[4:5], 0x20
	s_mul_i32 s13, s8, s7
	s_mul_hi_u32 s14, s8, s6
	s_mul_i32 s9, s9, s6
	s_add_i32 s14, s14, s13
	s_add_i32 s9, s14, s9
	s_mul_i32 s8, s8, s6
	s_waitcnt lgkmcnt(0)
	s_ashr_i32 s13, s12, 31
	s_lshl_b64 s[8:9], s[8:9], 2
	s_add_u32 s14, s18, s8
	s_addc_u32 s15, s19, s9
	s_lshl_b64 s[8:9], s[12:13], 2
	s_add_u32 s20, s14, s8
	s_addc_u32 s21, s15, s9
.LBB19_3:
	s_load_dwordx4 s[12:15], s[4:5], 0x0
	s_load_dword s8, s[4:5], 0x38
	s_mul_i32 s9, s16, s7
	s_mul_hi_u32 s18, s16, s6
	s_add_i32 s9, s18, s9
	s_waitcnt lgkmcnt(0)
	s_ashr_i32 s5, s14, 31
	s_mov_b32 s4, s14
	s_mul_i32 s14, s17, s6
	s_add_i32 s17, s9, s14
	s_mul_i32 s16, s16, s6
	s_lshl_b64 s[16:17], s[16:17], 3
	s_add_u32 s9, s12, s16
	s_addc_u32 s12, s13, s17
	s_lshl_b64 s[4:5], s[4:5], 3
	s_add_u32 s4, s9, s4
	s_addc_u32 s5, s12, s5
	s_add_i32 s9, s15, s15
	v_add_u32_e32 v3, s9, v0
	v_ashrrev_i32_e32 v4, 31, v3
	v_lshlrev_b64 v[1:2], 3, v[3:4]
	v_add_u32_e32 v5, s15, v3
	v_mov_b32_e32 v4, s5
	v_add_co_u32_e32 v1, vcc, s4, v1
	v_ashrrev_i32_e32 v6, 31, v5
	v_addc_co_u32_e32 v2, vcc, v4, v2, vcc
	v_lshlrev_b64 v[3:4], 3, v[5:6]
	v_add_u32_e32 v7, s15, v5
	v_mov_b32_e32 v6, s5
	v_add_co_u32_e32 v3, vcc, s4, v3
	v_ashrrev_i32_e32 v8, 31, v7
	v_addc_co_u32_e32 v4, vcc, v6, v4, vcc
	;; [unrolled: 6-line block ×6, first 2 shown]
	v_lshlrev_b64 v[13:14], 3, v[15:16]
	v_add_u32_e32 v17, s15, v15
	v_mov_b32_e32 v16, s5
	v_add_co_u32_e32 v13, vcc, s4, v13
	v_ashrrev_i32_e32 v18, 31, v17
	v_lshlrev_b32_e32 v43, 3, v0
	v_addc_co_u32_e32 v14, vcc, v16, v14, vcc
	v_lshlrev_b64 v[15:16], 3, v[17:18]
	global_load_dwordx2 v[41:42], v43, s[4:5]
	global_load_dwordx2 v[46:47], v[1:2], off
	global_load_dwordx2 v[48:49], v[3:4], off
	;; [unrolled: 1-line block ×3, first 2 shown]
	v_add_u32_e32 v19, s15, v17
	v_mov_b32_e32 v18, s5
	v_add_co_u32_e32 v15, vcc, s4, v15
	v_ashrrev_i32_e32 v20, 31, v19
	v_addc_co_u32_e32 v16, vcc, v18, v16, vcc
	v_lshlrev_b64 v[17:18], 3, v[19:20]
	v_mov_b32_e32 v21, s5
	v_add_co_u32_e32 v17, vcc, s4, v17
	v_addc_co_u32_e32 v18, vcc, v21, v18, vcc
	v_add_u32_e32 v21, s15, v19
	v_ashrrev_i32_e32 v22, 31, v21
	v_lshlrev_b64 v[19:20], 3, v[21:22]
	v_mov_b32_e32 v23, s5
	v_add_co_u32_e32 v19, vcc, s4, v19
	v_addc_co_u32_e32 v20, vcc, v23, v20, vcc
	v_add_u32_e32 v23, s15, v21
	v_ashrrev_i32_e32 v24, 31, v23
	v_lshlrev_b64 v[21:22], 3, v[23:24]
	v_mov_b32_e32 v25, s5
	v_add_co_u32_e32 v21, vcc, s4, v21
	v_addc_co_u32_e32 v22, vcc, v25, v22, vcc
	v_add_u32_e32 v25, s15, v23
	v_ashrrev_i32_e32 v26, 31, v25
	v_lshlrev_b64 v[23:24], 3, v[25:26]
	v_mov_b32_e32 v27, s5
	v_add_co_u32_e32 v23, vcc, s4, v23
	v_addc_co_u32_e32 v24, vcc, v27, v24, vcc
	v_add_u32_e32 v27, s15, v25
	v_ashrrev_i32_e32 v28, 31, v27
	v_lshlrev_b64 v[25:26], 3, v[27:28]
	v_mov_b32_e32 v29, s5
	v_add_co_u32_e32 v25, vcc, s4, v25
	v_addc_co_u32_e32 v26, vcc, v29, v26, vcc
	v_add_u32_e32 v29, s15, v27
	v_ashrrev_i32_e32 v30, 31, v29
	v_lshlrev_b64 v[27:28], 3, v[29:30]
	v_mov_b32_e32 v31, s5
	v_add_co_u32_e32 v27, vcc, s4, v27
	v_addc_co_u32_e32 v28, vcc, v31, v28, vcc
	v_add_u32_e32 v31, s15, v29
	v_ashrrev_i32_e32 v32, 31, v31
	v_lshlrev_b64 v[29:30], 3, v[31:32]
	v_add_u32_e32 v37, s15, v31
	v_ashrrev_i32_e32 v38, 31, v37
	v_mov_b32_e32 v33, s5
	v_add_co_u32_e32 v29, vcc, s4, v29
	v_lshlrev_b64 v[31:32], 3, v[37:38]
	v_addc_co_u32_e32 v30, vcc, v33, v30, vcc
	v_add_co_u32_e32 v31, vcc, s4, v31
	v_addc_co_u32_e32 v32, vcc, v33, v32, vcc
	v_mov_b32_e32 v34, s5
	v_add_co_u32_e32 v33, vcc, s4, v43
	s_ashr_i32 s13, s15, 31
	s_mov_b32 s12, s15
	v_add_u32_e32 v39, s15, v37
	v_addc_co_u32_e32 v34, vcc, 0, v34, vcc
	s_lshl_b64 s[12:13], s[12:13], 3
	v_ashrrev_i32_e32 v40, 31, v39
	v_mov_b32_e32 v36, s13
	v_add_co_u32_e32 v35, vcc, s12, v33
	v_lshlrev_b64 v[37:38], 3, v[39:40]
	v_addc_co_u32_e32 v36, vcc, v34, v36, vcc
	v_mov_b32_e32 v60, s5
	v_add_co_u32_e32 v37, vcc, s4, v37
	global_load_dwordx2 v[44:45], v[35:36], off
	global_load_dwordx2 v[52:53], v[7:8], off
	;; [unrolled: 1-line block ×5, first 2 shown]
	v_addc_co_u32_e32 v38, vcc, v60, v38, vcc
	global_load_dwordx2 v[60:61], v[15:16], off
	global_load_dwordx2 v[62:63], v[17:18], off
	;; [unrolled: 1-line block ×8, first 2 shown]
	v_add_u32_e32 v39, s15, v39
	v_ashrrev_i32_e32 v40, 31, v39
	v_lshlrev_b64 v[39:40], 3, v[39:40]
	v_mov_b32_e32 v76, s5
	v_add_co_u32_e32 v39, vcc, s4, v39
	v_addc_co_u32_e32 v40, vcc, v76, v40, vcc
	global_load_dwordx2 v[76:77], v[31:32], off
	global_load_dwordx2 v[78:79], v[37:38], off
	s_bitcmp0_b32 s8, 0
	s_waitcnt vmcnt(18)
	buffer_store_dword v42, off, s[0:3], 0 offset:4
	buffer_store_dword v41, off, s[0:3], 0
	global_load_dwordx2 v[41:42], v[39:40], off
	s_mov_b64 s[8:9], -1
	s_waitcnt vmcnt(17)
	buffer_store_dword v45, off, s[0:3], 0 offset:12
	buffer_store_dword v44, off, s[0:3], 0 offset:8
	;; [unrolled: 1-line block ×8, first 2 shown]
	s_waitcnt vmcnt(24)
	buffer_store_dword v53, off, s[0:3], 0 offset:44
	buffer_store_dword v52, off, s[0:3], 0 offset:40
	s_waitcnt vmcnt(25)
	buffer_store_dword v55, off, s[0:3], 0 offset:52
	buffer_store_dword v54, off, s[0:3], 0 offset:48
	;; [unrolled: 3-line block ×15, first 2 shown]
	s_cbranch_scc1 .LBB19_86
; %bb.4:
	v_cmp_eq_u32_e64 s[4:5], 0, v0
	s_and_saveexec_b64 s[8:9], s[4:5]
; %bb.5:
	v_mov_b32_e32 v41, 0
	ds_write_b32 v41, v41 offset:320
; %bb.6:
	s_or_b64 exec, exec, s[8:9]
	v_mov_b32_e32 v41, 0
	v_lshl_add_u32 v41, v0, 3, v41
	s_waitcnt lgkmcnt(0)
	; wave barrier
	buffer_load_dword v44, v41, s[0:3], 0 offen
	buffer_load_dword v45, v41, s[0:3], 0 offen offset:4
	s_waitcnt vmcnt(0)
	v_cmp_eq_f64_e32 vcc, 0, v[44:45]
	s_and_saveexec_b64 s[12:13], vcc
	s_cbranch_execz .LBB19_10
; %bb.7:
	v_mov_b32_e32 v42, 0
	ds_read_b32 v45, v42 offset:320
	v_add_u32_e32 v44, 1, v0
	s_waitcnt lgkmcnt(0)
	v_readfirstlane_b32 s8, v45
	s_cmp_eq_u32 s8, 0
	s_cselect_b64 s[14:15], -1, 0
	v_cmp_gt_i32_e32 vcc, s8, v44
	s_or_b64 s[14:15], s[14:15], vcc
	s_and_b64 exec, exec, s[14:15]
	s_cbranch_execz .LBB19_10
; %bb.8:
	s_mov_b64 s[14:15], 0
	v_mov_b32_e32 v45, s8
.LBB19_9:                               ; =>This Inner Loop Header: Depth=1
	ds_cmpst_rtn_b32 v45, v42, v45, v44 offset:320
	s_waitcnt lgkmcnt(0)
	v_cmp_ne_u32_e32 vcc, 0, v45
	v_cmp_le_i32_e64 s[8:9], v45, v44
	s_and_b64 s[8:9], vcc, s[8:9]
	s_and_b64 s[8:9], exec, s[8:9]
	s_or_b64 s[14:15], s[8:9], s[14:15]
	s_andn2_b64 exec, exec, s[14:15]
	s_cbranch_execnz .LBB19_9
.LBB19_10:
	s_or_b64 exec, exec, s[12:13]
	v_mov_b32_e32 v44, 0
	; wave barrier
	ds_read_b32 v42, v44 offset:320
	s_and_saveexec_b64 s[8:9], s[4:5]
	s_cbranch_execz .LBB19_12
; %bb.11:
	s_lshl_b64 s[12:13], s[6:7], 2
	s_add_u32 s12, s10, s12
	s_addc_u32 s13, s11, s13
	s_waitcnt lgkmcnt(0)
	global_store_dword v44, v42, s[12:13]
.LBB19_12:
	s_or_b64 exec, exec, s[8:9]
	s_waitcnt lgkmcnt(0)
	v_cmp_ne_u32_e32 vcc, 0, v42
	s_mov_b64 s[8:9], 0
	s_cbranch_vccnz .LBB19_86
; %bb.13:
	buffer_load_dword v44, v41, s[0:3], 0 offen
	buffer_load_dword v45, v41, s[0:3], 0 offen offset:4
	s_waitcnt vmcnt(0)
	v_div_scale_f64 v[46:47], s[8:9], v[44:45], v[44:45], 1.0
	v_rcp_f64_e32 v[48:49], v[46:47]
	v_fma_f64 v[50:51], -v[46:47], v[48:49], 1.0
	v_fma_f64 v[48:49], v[48:49], v[50:51], v[48:49]
	v_div_scale_f64 v[50:51], vcc, 1.0, v[44:45], 1.0
	v_fma_f64 v[52:53], -v[46:47], v[48:49], 1.0
	v_fma_f64 v[48:49], v[48:49], v[52:53], v[48:49]
	v_mul_f64 v[52:53], v[50:51], v[48:49]
	v_fma_f64 v[46:47], -v[46:47], v[52:53], v[50:51]
	v_div_fmas_f64 v[46:47], v[46:47], v[48:49], v[52:53]
	v_div_fixup_f64 v[45:46], v[46:47], v[44:45], 1.0
	v_add_u32_e32 v44, 0xa0, v43
	buffer_store_dword v46, v41, s[0:3], 0 offen offset:4
	buffer_store_dword v45, v41, s[0:3], 0 offen
	buffer_load_dword v48, off, s[0:3], 0 offset:12
	buffer_load_dword v47, off, s[0:3], 0 offset:8
	v_xor_b32_e32 v46, 0x80000000, v46
	s_waitcnt vmcnt(0)
	ds_write2_b64 v43, v[45:46], v[47:48] offset1:20
	s_waitcnt lgkmcnt(0)
	; wave barrier
	s_and_saveexec_b64 s[8:9], s[4:5]
	s_cbranch_execz .LBB19_15
; %bb.14:
	buffer_load_dword v45, v41, s[0:3], 0 offen
	buffer_load_dword v46, v41, s[0:3], 0 offen offset:4
	ds_read_b64 v[47:48], v44
	v_mov_b32_e32 v42, 0
	ds_read_b64 v[49:50], v42 offset:8
	s_waitcnt vmcnt(0) lgkmcnt(1)
	v_fma_f64 v[45:46], v[45:46], v[47:48], 0
	s_waitcnt lgkmcnt(0)
	v_mul_f64 v[45:46], v[45:46], v[49:50]
	buffer_store_dword v45, off, s[0:3], 0 offset:8
	buffer_store_dword v46, off, s[0:3], 0 offset:12
.LBB19_15:
	s_or_b64 exec, exec, s[8:9]
	; wave barrier
	buffer_load_dword v45, off, s[0:3], 0 offset:16
	buffer_load_dword v46, off, s[0:3], 0 offset:20
	v_cmp_gt_u32_e32 vcc, 2, v0
	s_waitcnt vmcnt(0)
	ds_write_b64 v44, v[45:46]
	s_waitcnt lgkmcnt(0)
	; wave barrier
	s_and_saveexec_b64 s[8:9], vcc
	s_cbranch_execz .LBB19_17
; %bb.16:
	buffer_load_dword v45, v41, s[0:3], 0 offen
	buffer_load_dword v46, v41, s[0:3], 0 offen offset:4
                                        ; kill: killed $vgpr41
	s_nop 0
	buffer_load_dword v41, off, s[0:3], 0 offset:8
	buffer_load_dword v42, off, s[0:3], 0 offset:12
	ds_read_b64 v[47:48], v44
	s_waitcnt vmcnt(2) lgkmcnt(0)
	v_fma_f64 v[49:50], v[45:46], v[47:48], 0
	v_mov_b32_e32 v45, 0
	ds_read2_b64 v[45:48], v45 offset0:2 offset1:21
	s_waitcnt vmcnt(0) lgkmcnt(0)
	v_fma_f64 v[41:42], v[41:42], v[47:48], v[49:50]
	v_cndmask_b32_e64 v42, v50, v42, s[4:5]
	v_cndmask_b32_e64 v41, v49, v41, s[4:5]
	v_mul_f64 v[41:42], v[41:42], v[45:46]
	buffer_store_dword v42, off, s[0:3], 0 offset:20
	buffer_store_dword v41, off, s[0:3], 0 offset:16
.LBB19_17:
	s_or_b64 exec, exec, s[8:9]
	; wave barrier
	buffer_load_dword v41, off, s[0:3], 0 offset:24
	buffer_load_dword v42, off, s[0:3], 0 offset:28
	v_cmp_gt_u32_e32 vcc, 3, v0
	v_add_u32_e32 v45, -1, v0
	s_waitcnt vmcnt(0)
	ds_write_b64 v44, v[41:42]
	s_waitcnt lgkmcnt(0)
	; wave barrier
	s_and_saveexec_b64 s[4:5], vcc
	s_cbranch_execz .LBB19_21
; %bb.18:
	v_mov_b32_e32 v41, 0
	v_add_u32_e32 v46, -1, v0
	v_add_u32_e32 v47, 0xa0, v43
	v_mov_b32_e32 v48, v43
	v_mov_b32_e32 v42, 0
	s_mov_b64 s[8:9], 0
.LBB19_19:                              ; =>This Inner Loop Header: Depth=1
	buffer_load_dword v49, v48, s[0:3], 0 offen
	buffer_load_dword v50, v48, s[0:3], 0 offen offset:4
	ds_read_b64 v[51:52], v47
	v_add_u32_e32 v46, 1, v46
	v_cmp_lt_u32_e32 vcc, 1, v46
	v_add_u32_e32 v47, 8, v47
	s_or_b64 s[8:9], vcc, s[8:9]
	v_add_u32_e32 v48, 8, v48
	s_waitcnt vmcnt(0) lgkmcnt(0)
	v_fma_f64 v[41:42], v[49:50], v[51:52], v[41:42]
	s_andn2_b64 exec, exec, s[8:9]
	s_cbranch_execnz .LBB19_19
; %bb.20:
	s_or_b64 exec, exec, s[8:9]
	v_mov_b32_e32 v46, 0
	ds_read_b64 v[46:47], v46 offset:24
	s_waitcnt lgkmcnt(0)
	v_mul_f64 v[41:42], v[41:42], v[46:47]
	buffer_store_dword v42, off, s[0:3], 0 offset:28
	buffer_store_dword v41, off, s[0:3], 0 offset:24
.LBB19_21:
	s_or_b64 exec, exec, s[4:5]
	; wave barrier
	buffer_load_dword v41, off, s[0:3], 0 offset:32
	buffer_load_dword v42, off, s[0:3], 0 offset:36
	v_cmp_gt_u32_e32 vcc, 4, v0
	s_waitcnt vmcnt(0)
	ds_write_b64 v44, v[41:42]
	s_waitcnt lgkmcnt(0)
	; wave barrier
	s_and_saveexec_b64 s[4:5], vcc
	s_cbranch_execz .LBB19_25
; %bb.22:
	v_mov_b32_e32 v41, 0
	v_add_u32_e32 v46, -1, v0
	v_add_u32_e32 v47, 0xa0, v43
	v_mov_b32_e32 v48, v43
	v_mov_b32_e32 v42, 0
	s_mov_b64 s[8:9], 0
.LBB19_23:                              ; =>This Inner Loop Header: Depth=1
	buffer_load_dword v49, v48, s[0:3], 0 offen
	buffer_load_dword v50, v48, s[0:3], 0 offen offset:4
	ds_read_b64 v[51:52], v47
	v_add_u32_e32 v46, 1, v46
	v_cmp_lt_u32_e32 vcc, 2, v46
	v_add_u32_e32 v47, 8, v47
	s_or_b64 s[8:9], vcc, s[8:9]
	v_add_u32_e32 v48, 8, v48
	s_waitcnt vmcnt(0) lgkmcnt(0)
	v_fma_f64 v[41:42], v[49:50], v[51:52], v[41:42]
	s_andn2_b64 exec, exec, s[8:9]
	s_cbranch_execnz .LBB19_23
; %bb.24:
	s_or_b64 exec, exec, s[8:9]
	v_mov_b32_e32 v46, 0
	ds_read_b64 v[46:47], v46 offset:32
	s_waitcnt lgkmcnt(0)
	v_mul_f64 v[41:42], v[41:42], v[46:47]
	buffer_store_dword v42, off, s[0:3], 0 offset:36
	buffer_store_dword v41, off, s[0:3], 0 offset:32
.LBB19_25:
	s_or_b64 exec, exec, s[4:5]
	; wave barrier
	buffer_load_dword v41, off, s[0:3], 0 offset:40
	buffer_load_dword v42, off, s[0:3], 0 offset:44
	v_cmp_gt_u32_e32 vcc, 5, v0
	;; [unrolled: 40-line block ×15, first 2 shown]
	s_waitcnt vmcnt(0)
	ds_write_b64 v44, v[41:42]
	s_waitcnt lgkmcnt(0)
	; wave barrier
	s_and_saveexec_b64 s[4:5], vcc
	s_cbranch_execz .LBB19_81
; %bb.78:
	v_mov_b32_e32 v41, 0
	v_add_u32_e32 v46, -1, v0
	v_add_u32_e32 v47, 0xa0, v43
	v_mov_b32_e32 v48, v43
	v_mov_b32_e32 v42, 0
	s_mov_b64 s[8:9], 0
.LBB19_79:                              ; =>This Inner Loop Header: Depth=1
	buffer_load_dword v49, v48, s[0:3], 0 offen
	buffer_load_dword v50, v48, s[0:3], 0 offen offset:4
	ds_read_b64 v[51:52], v47
	v_add_u32_e32 v46, 1, v46
	v_cmp_lt_u32_e32 vcc, 16, v46
	v_add_u32_e32 v47, 8, v47
	s_or_b64 s[8:9], vcc, s[8:9]
	v_add_u32_e32 v48, 8, v48
	s_waitcnt vmcnt(0) lgkmcnt(0)
	v_fma_f64 v[41:42], v[49:50], v[51:52], v[41:42]
	s_andn2_b64 exec, exec, s[8:9]
	s_cbranch_execnz .LBB19_79
; %bb.80:
	s_or_b64 exec, exec, s[8:9]
	v_mov_b32_e32 v46, 0
	ds_read_b64 v[46:47], v46 offset:144
	s_waitcnt lgkmcnt(0)
	v_mul_f64 v[41:42], v[41:42], v[46:47]
	buffer_store_dword v42, off, s[0:3], 0 offset:148
	buffer_store_dword v41, off, s[0:3], 0 offset:144
.LBB19_81:
	s_or_b64 exec, exec, s[4:5]
	; wave barrier
	buffer_load_dword v41, off, s[0:3], 0 offset:152
	buffer_load_dword v42, off, s[0:3], 0 offset:156
	v_cmp_ne_u32_e32 vcc, 19, v0
	s_waitcnt vmcnt(0)
	ds_write_b64 v44, v[41:42]
	s_waitcnt lgkmcnt(0)
	; wave barrier
	s_and_saveexec_b64 s[4:5], vcc
	s_cbranch_execz .LBB19_85
; %bb.82:
	v_mov_b32_e32 v41, 0
	v_add_u32_e32 v44, 0xa0, v43
	v_mov_b32_e32 v42, 0
	s_mov_b64 s[8:9], 0
.LBB19_83:                              ; =>This Inner Loop Header: Depth=1
	buffer_load_dword v46, v43, s[0:3], 0 offen
	buffer_load_dword v47, v43, s[0:3], 0 offen offset:4
	ds_read_b64 v[48:49], v44
	v_add_u32_e32 v45, 1, v45
	v_cmp_lt_u32_e32 vcc, 17, v45
	v_add_u32_e32 v44, 8, v44
	s_or_b64 s[8:9], vcc, s[8:9]
	v_add_u32_e32 v43, 8, v43
	s_waitcnt vmcnt(0) lgkmcnt(0)
	v_fma_f64 v[41:42], v[46:47], v[48:49], v[41:42]
	s_andn2_b64 exec, exec, s[8:9]
	s_cbranch_execnz .LBB19_83
; %bb.84:
	s_or_b64 exec, exec, s[8:9]
	v_mov_b32_e32 v43, 0
	ds_read_b64 v[43:44], v43 offset:152
	s_waitcnt lgkmcnt(0)
	v_mul_f64 v[41:42], v[41:42], v[43:44]
	buffer_store_dword v42, off, s[0:3], 0 offset:156
	buffer_store_dword v41, off, s[0:3], 0 offset:152
.LBB19_85:
	s_or_b64 exec, exec, s[4:5]
	s_mov_b64 s[8:9], -1
	; wave barrier
.LBB19_86:
	s_and_b64 vcc, exec, s[8:9]
	s_cbranch_vccz .LBB19_88
; %bb.87:
	s_lshl_b64 s[4:5], s[6:7], 2
	s_add_u32 s4, s10, s4
	s_addc_u32 s5, s11, s5
	v_mov_b32_e32 v41, 0
	global_load_dword v41, v41, s[4:5]
	s_waitcnt vmcnt(0)
	v_cmp_ne_u32_e32 vcc, 0, v41
	s_cbranch_vccz .LBB19_89
.LBB19_88:
	s_endpgm
.LBB19_89:
	v_mov_b32_e32 v41, 0xa0
	v_lshl_add_u32 v41, v0, 3, v41
	v_cmp_eq_u32_e32 vcc, 19, v0
	s_and_saveexec_b64 s[4:5], vcc
	s_cbranch_execz .LBB19_91
; %bb.90:
	buffer_load_dword v42, off, s[0:3], 0 offset:144
	buffer_load_dword v43, off, s[0:3], 0 offset:148
	v_mov_b32_e32 v44, 0
	buffer_store_dword v44, off, s[0:3], 0 offset:144
	buffer_store_dword v44, off, s[0:3], 0 offset:148
	s_waitcnt vmcnt(2)
	ds_write_b64 v41, v[42:43]
.LBB19_91:
	s_or_b64 exec, exec, s[4:5]
	s_waitcnt lgkmcnt(0)
	; wave barrier
	buffer_load_dword v43, off, s[0:3], 0 offset:152
	buffer_load_dword v44, off, s[0:3], 0 offset:156
	;; [unrolled: 1-line block ×4, first 2 shown]
	v_mov_b32_e32 v42, 0
	ds_read_b64 v[47:48], v42 offset:312
	v_cmp_lt_u32_e32 vcc, 17, v0
	s_waitcnt vmcnt(2) lgkmcnt(0)
	v_fma_f64 v[43:44], v[43:44], v[47:48], 0
	s_waitcnt vmcnt(0)
	v_add_f64 v[43:44], v[45:46], -v[43:44]
	buffer_store_dword v43, off, s[0:3], 0 offset:144
	buffer_store_dword v44, off, s[0:3], 0 offset:148
	s_and_saveexec_b64 s[4:5], vcc
	s_cbranch_execz .LBB19_93
; %bb.92:
	buffer_load_dword v43, off, s[0:3], 0 offset:136
	buffer_load_dword v44, off, s[0:3], 0 offset:140
	s_waitcnt vmcnt(0)
	ds_write_b64 v41, v[43:44]
	buffer_store_dword v42, off, s[0:3], 0 offset:136
	buffer_store_dword v42, off, s[0:3], 0 offset:140
.LBB19_93:
	s_or_b64 exec, exec, s[4:5]
	s_waitcnt lgkmcnt(0)
	; wave barrier
	buffer_load_dword v46, off, s[0:3], 0 offset:144
	buffer_load_dword v47, off, s[0:3], 0 offset:148
	;; [unrolled: 1-line block ×6, first 2 shown]
	ds_read_b128 v[42:45], v42 offset:304
	v_cmp_lt_u32_e32 vcc, 16, v0
	s_waitcnt vmcnt(4) lgkmcnt(0)
	v_fma_f64 v[42:43], v[46:47], v[42:43], 0
	s_waitcnt vmcnt(2)
	v_fma_f64 v[42:43], v[48:49], v[44:45], v[42:43]
	s_waitcnt vmcnt(0)
	v_add_f64 v[42:43], v[50:51], -v[42:43]
	buffer_store_dword v42, off, s[0:3], 0 offset:136
	buffer_store_dword v43, off, s[0:3], 0 offset:140
	s_and_saveexec_b64 s[4:5], vcc
	s_cbranch_execz .LBB19_95
; %bb.94:
	buffer_load_dword v42, off, s[0:3], 0 offset:128
	buffer_load_dword v43, off, s[0:3], 0 offset:132
	v_mov_b32_e32 v44, 0
	buffer_store_dword v44, off, s[0:3], 0 offset:128
	buffer_store_dword v44, off, s[0:3], 0 offset:132
	s_waitcnt vmcnt(2)
	ds_write_b64 v41, v[42:43]
.LBB19_95:
	s_or_b64 exec, exec, s[4:5]
	s_waitcnt lgkmcnt(0)
	; wave barrier
	buffer_load_dword v47, off, s[0:3], 0 offset:136
	buffer_load_dword v48, off, s[0:3], 0 offset:140
	;; [unrolled: 1-line block ×8, first 2 shown]
	v_mov_b32_e32 v42, 0
	ds_read2_b64 v[43:46], v42 offset0:37 offset1:38
	ds_read_b64 v[55:56], v42 offset:312
	v_cmp_lt_u32_e32 vcc, 15, v0
	s_waitcnt vmcnt(6) lgkmcnt(1)
	v_fma_f64 v[43:44], v[47:48], v[43:44], 0
	s_waitcnt vmcnt(4)
	v_fma_f64 v[43:44], v[49:50], v[45:46], v[43:44]
	s_waitcnt vmcnt(2) lgkmcnt(0)
	v_fma_f64 v[43:44], v[51:52], v[55:56], v[43:44]
	s_waitcnt vmcnt(0)
	v_add_f64 v[43:44], v[53:54], -v[43:44]
	buffer_store_dword v43, off, s[0:3], 0 offset:128
	buffer_store_dword v44, off, s[0:3], 0 offset:132
	s_and_saveexec_b64 s[4:5], vcc
	s_cbranch_execz .LBB19_97
; %bb.96:
	buffer_load_dword v43, off, s[0:3], 0 offset:120
	buffer_load_dword v44, off, s[0:3], 0 offset:124
	s_waitcnt vmcnt(0)
	ds_write_b64 v41, v[43:44]
	buffer_store_dword v42, off, s[0:3], 0 offset:120
	buffer_store_dword v42, off, s[0:3], 0 offset:124
.LBB19_97:
	s_or_b64 exec, exec, s[4:5]
	s_waitcnt lgkmcnt(0)
	; wave barrier
	buffer_load_dword v51, off, s[0:3], 0 offset:128
	buffer_load_dword v52, off, s[0:3], 0 offset:132
	;; [unrolled: 1-line block ×10, first 2 shown]
	ds_read_b128 v[43:46], v42 offset:288
	ds_read_b128 v[47:50], v42 offset:304
	v_cmp_lt_u32_e32 vcc, 14, v0
	s_waitcnt vmcnt(8) lgkmcnt(1)
	v_fma_f64 v[42:43], v[51:52], v[43:44], 0
	s_waitcnt vmcnt(6)
	v_fma_f64 v[42:43], v[53:54], v[45:46], v[42:43]
	s_waitcnt vmcnt(4) lgkmcnt(0)
	v_fma_f64 v[42:43], v[55:56], v[47:48], v[42:43]
	s_waitcnt vmcnt(2)
	v_fma_f64 v[42:43], v[57:58], v[49:50], v[42:43]
	s_waitcnt vmcnt(0)
	v_add_f64 v[42:43], v[59:60], -v[42:43]
	buffer_store_dword v42, off, s[0:3], 0 offset:120
	buffer_store_dword v43, off, s[0:3], 0 offset:124
	s_and_saveexec_b64 s[4:5], vcc
	s_cbranch_execz .LBB19_99
; %bb.98:
	buffer_load_dword v42, off, s[0:3], 0 offset:112
	buffer_load_dword v43, off, s[0:3], 0 offset:116
	v_mov_b32_e32 v44, 0
	buffer_store_dword v44, off, s[0:3], 0 offset:112
	buffer_store_dword v44, off, s[0:3], 0 offset:116
	s_waitcnt vmcnt(2)
	ds_write_b64 v41, v[42:43]
.LBB19_99:
	s_or_b64 exec, exec, s[4:5]
	s_waitcnt lgkmcnt(0)
	; wave barrier
	buffer_load_dword v47, off, s[0:3], 0 offset:112
	buffer_load_dword v48, off, s[0:3], 0 offset:116
	;; [unrolled: 1-line block ×12, first 2 shown]
	v_mov_b32_e32 v42, 0
	ds_read2_b64 v[43:46], v42 offset0:35 offset1:36
	v_cmp_lt_u32_e32 vcc, 13, v0
	s_waitcnt vmcnt(8) lgkmcnt(0)
	v_fma_f64 v[43:44], v[49:50], v[43:44], 0
	s_waitcnt vmcnt(6)
	v_fma_f64 v[49:50], v[51:52], v[45:46], v[43:44]
	ds_read2_b64 v[43:46], v42 offset0:37 offset1:38
	s_waitcnt vmcnt(4) lgkmcnt(0)
	v_fma_f64 v[43:44], v[53:54], v[43:44], v[49:50]
	s_waitcnt vmcnt(2)
	v_fma_f64 v[43:44], v[55:56], v[45:46], v[43:44]
	ds_read_b64 v[45:46], v42 offset:312
	s_waitcnt vmcnt(0) lgkmcnt(0)
	v_fma_f64 v[43:44], v[57:58], v[45:46], v[43:44]
	v_add_f64 v[43:44], v[47:48], -v[43:44]
	buffer_store_dword v43, off, s[0:3], 0 offset:112
	buffer_store_dword v44, off, s[0:3], 0 offset:116
	s_and_saveexec_b64 s[4:5], vcc
	s_cbranch_execz .LBB19_101
; %bb.100:
	buffer_load_dword v43, off, s[0:3], 0 offset:104
	buffer_load_dword v44, off, s[0:3], 0 offset:108
	s_waitcnt vmcnt(0)
	ds_write_b64 v41, v[43:44]
	buffer_store_dword v42, off, s[0:3], 0 offset:104
	buffer_store_dword v42, off, s[0:3], 0 offset:108
.LBB19_101:
	s_or_b64 exec, exec, s[4:5]
	s_waitcnt lgkmcnt(0)
	; wave barrier
	buffer_load_dword v47, off, s[0:3], 0 offset:112
	buffer_load_dword v48, off, s[0:3], 0 offset:116
	;; [unrolled: 1-line block ×14, first 2 shown]
	ds_read_b128 v[43:46], v42 offset:272
	v_cmp_lt_u32_e32 vcc, 12, v0
	s_waitcnt vmcnt(12) lgkmcnt(0)
	v_fma_f64 v[43:44], v[47:48], v[43:44], 0
	s_waitcnt vmcnt(10)
	v_fma_f64 v[47:48], v[49:50], v[45:46], v[43:44]
	ds_read_b128 v[43:46], v42 offset:288
	s_waitcnt vmcnt(8) lgkmcnt(0)
	v_fma_f64 v[43:44], v[51:52], v[43:44], v[47:48]
	s_waitcnt vmcnt(6)
	v_fma_f64 v[46:47], v[53:54], v[45:46], v[43:44]
	ds_read_b128 v[42:45], v42 offset:304
	s_waitcnt vmcnt(4) lgkmcnt(0)
	v_fma_f64 v[42:43], v[55:56], v[42:43], v[46:47]
	s_waitcnt vmcnt(2)
	v_fma_f64 v[42:43], v[57:58], v[44:45], v[42:43]
	s_waitcnt vmcnt(0)
	v_add_f64 v[42:43], v[59:60], -v[42:43]
	buffer_store_dword v42, off, s[0:3], 0 offset:104
	buffer_store_dword v43, off, s[0:3], 0 offset:108
	s_and_saveexec_b64 s[4:5], vcc
	s_cbranch_execz .LBB19_103
; %bb.102:
	buffer_load_dword v42, off, s[0:3], 0 offset:96
	buffer_load_dword v43, off, s[0:3], 0 offset:100
	v_mov_b32_e32 v44, 0
	buffer_store_dword v44, off, s[0:3], 0 offset:96
	buffer_store_dword v44, off, s[0:3], 0 offset:100
	s_waitcnt vmcnt(2)
	ds_write_b64 v41, v[42:43]
.LBB19_103:
	s_or_b64 exec, exec, s[4:5]
	s_waitcnt lgkmcnt(0)
	; wave barrier
	buffer_load_dword v47, off, s[0:3], 0 offset:104
	buffer_load_dword v48, off, s[0:3], 0 offset:108
	;; [unrolled: 1-line block ×16, first 2 shown]
	v_mov_b32_e32 v42, 0
	ds_read2_b64 v[43:46], v42 offset0:33 offset1:34
	v_cmp_lt_u32_e32 vcc, 11, v0
	s_waitcnt vmcnt(14) lgkmcnt(0)
	v_fma_f64 v[43:44], v[47:48], v[43:44], 0
	s_waitcnt vmcnt(12)
	v_fma_f64 v[47:48], v[49:50], v[45:46], v[43:44]
	ds_read2_b64 v[43:46], v42 offset0:35 offset1:36
	s_waitcnt vmcnt(10) lgkmcnt(0)
	v_fma_f64 v[43:44], v[51:52], v[43:44], v[47:48]
	s_waitcnt vmcnt(8)
	v_fma_f64 v[47:48], v[53:54], v[45:46], v[43:44]
	ds_read2_b64 v[43:46], v42 offset0:37 offset1:38
	s_waitcnt vmcnt(6) lgkmcnt(0)
	v_fma_f64 v[43:44], v[55:56], v[43:44], v[47:48]
	s_waitcnt vmcnt(4)
	v_fma_f64 v[43:44], v[57:58], v[45:46], v[43:44]
	ds_read_b64 v[45:46], v42 offset:312
	s_waitcnt vmcnt(2) lgkmcnt(0)
	v_fma_f64 v[43:44], v[59:60], v[45:46], v[43:44]
	s_waitcnt vmcnt(0)
	v_add_f64 v[43:44], v[61:62], -v[43:44]
	buffer_store_dword v43, off, s[0:3], 0 offset:96
	buffer_store_dword v44, off, s[0:3], 0 offset:100
	s_and_saveexec_b64 s[4:5], vcc
	s_cbranch_execz .LBB19_105
; %bb.104:
	buffer_load_dword v43, off, s[0:3], 0 offset:88
	buffer_load_dword v44, off, s[0:3], 0 offset:92
	s_waitcnt vmcnt(0)
	ds_write_b64 v41, v[43:44]
	buffer_store_dword v42, off, s[0:3], 0 offset:88
	buffer_store_dword v42, off, s[0:3], 0 offset:92
.LBB19_105:
	s_or_b64 exec, exec, s[4:5]
	s_waitcnt lgkmcnt(0)
	; wave barrier
	buffer_load_dword v51, off, s[0:3], 0 offset:96
	buffer_load_dword v52, off, s[0:3], 0 offset:100
	;; [unrolled: 1-line block ×18, first 2 shown]
	ds_read_b128 v[43:46], v42 offset:256
	ds_read_b128 v[47:50], v42 offset:272
	v_cmp_lt_u32_e32 vcc, 10, v0
	s_waitcnt vmcnt(16) lgkmcnt(1)
	v_fma_f64 v[43:44], v[51:52], v[43:44], 0
	s_waitcnt vmcnt(14)
	v_fma_f64 v[43:44], v[53:54], v[45:46], v[43:44]
	s_waitcnt vmcnt(12) lgkmcnt(0)
	v_fma_f64 v[43:44], v[55:56], v[47:48], v[43:44]
	s_waitcnt vmcnt(10)
	v_fma_f64 v[51:52], v[57:58], v[49:50], v[43:44]
	ds_read_b128 v[43:46], v42 offset:288
	ds_read_b128 v[47:50], v42 offset:304
	s_waitcnt vmcnt(8) lgkmcnt(1)
	v_fma_f64 v[42:43], v[59:60], v[43:44], v[51:52]
	s_waitcnt vmcnt(6)
	v_fma_f64 v[42:43], v[61:62], v[45:46], v[42:43]
	s_waitcnt vmcnt(4) lgkmcnt(0)
	v_fma_f64 v[42:43], v[63:64], v[47:48], v[42:43]
	s_waitcnt vmcnt(2)
	v_fma_f64 v[42:43], v[65:66], v[49:50], v[42:43]
	s_waitcnt vmcnt(0)
	v_add_f64 v[42:43], v[67:68], -v[42:43]
	buffer_store_dword v42, off, s[0:3], 0 offset:88
	buffer_store_dword v43, off, s[0:3], 0 offset:92
	s_and_saveexec_b64 s[4:5], vcc
	s_cbranch_execz .LBB19_107
; %bb.106:
	buffer_load_dword v42, off, s[0:3], 0 offset:80
	buffer_load_dword v43, off, s[0:3], 0 offset:84
	v_mov_b32_e32 v44, 0
	buffer_store_dword v44, off, s[0:3], 0 offset:80
	buffer_store_dword v44, off, s[0:3], 0 offset:84
	s_waitcnt vmcnt(2)
	ds_write_b64 v41, v[42:43]
.LBB19_107:
	s_or_b64 exec, exec, s[4:5]
	s_waitcnt lgkmcnt(0)
	; wave barrier
	buffer_load_dword v51, off, s[0:3], 0 offset:88
	buffer_load_dword v52, off, s[0:3], 0 offset:92
	;; [unrolled: 1-line block ×20, first 2 shown]
	v_mov_b32_e32 v42, 0
	ds_read2_b64 v[43:46], v42 offset0:31 offset1:32
	ds_read2_b64 v[47:50], v42 offset0:33 offset1:34
	v_cmp_lt_u32_e32 vcc, 9, v0
	s_waitcnt vmcnt(18) lgkmcnt(1)
	v_fma_f64 v[43:44], v[51:52], v[43:44], 0
	s_waitcnt vmcnt(16)
	v_fma_f64 v[43:44], v[53:54], v[45:46], v[43:44]
	s_waitcnt vmcnt(14) lgkmcnt(0)
	v_fma_f64 v[43:44], v[55:56], v[47:48], v[43:44]
	s_waitcnt vmcnt(12)
	v_fma_f64 v[51:52], v[57:58], v[49:50], v[43:44]
	ds_read2_b64 v[43:46], v42 offset0:35 offset1:36
	ds_read2_b64 v[47:50], v42 offset0:37 offset1:38
	s_waitcnt vmcnt(10) lgkmcnt(1)
	v_fma_f64 v[43:44], v[59:60], v[43:44], v[51:52]
	s_waitcnt vmcnt(8)
	v_fma_f64 v[43:44], v[61:62], v[45:46], v[43:44]
	ds_read_b64 v[45:46], v42 offset:312
	s_waitcnt vmcnt(6) lgkmcnt(1)
	v_fma_f64 v[43:44], v[63:64], v[47:48], v[43:44]
	s_waitcnt vmcnt(3)
	v_fma_f64 v[43:44], v[65:66], v[49:50], v[43:44]
	s_waitcnt vmcnt(2) lgkmcnt(0)
	v_fma_f64 v[43:44], v[67:68], v[45:46], v[43:44]
	s_waitcnt vmcnt(0)
	v_add_f64 v[43:44], v[69:70], -v[43:44]
	buffer_store_dword v43, off, s[0:3], 0 offset:80
	buffer_store_dword v44, off, s[0:3], 0 offset:84
	s_and_saveexec_b64 s[4:5], vcc
	s_cbranch_execz .LBB19_109
; %bb.108:
	buffer_load_dword v43, off, s[0:3], 0 offset:72
	buffer_load_dword v44, off, s[0:3], 0 offset:76
	s_waitcnt vmcnt(0)
	ds_write_b64 v41, v[43:44]
	buffer_store_dword v42, off, s[0:3], 0 offset:72
	buffer_store_dword v42, off, s[0:3], 0 offset:76
.LBB19_109:
	s_or_b64 exec, exec, s[4:5]
	s_waitcnt lgkmcnt(0)
	; wave barrier
	buffer_load_dword v51, off, s[0:3], 0 offset:80
	buffer_load_dword v52, off, s[0:3], 0 offset:84
	;; [unrolled: 1-line block ×20, first 2 shown]
	ds_read_b128 v[43:46], v42 offset:240
	buffer_load_dword v71, off, s[0:3], 0 offset:72
	buffer_load_dword v72, off, s[0:3], 0 offset:76
	ds_read_b128 v[47:50], v42 offset:256
	v_cmp_lt_u32_e32 vcc, 8, v0
	s_waitcnt vmcnt(20) lgkmcnt(1)
	v_fma_f64 v[43:44], v[51:52], v[43:44], 0
	s_waitcnt vmcnt(18)
	v_fma_f64 v[43:44], v[53:54], v[45:46], v[43:44]
	s_waitcnt vmcnt(16) lgkmcnt(0)
	v_fma_f64 v[43:44], v[55:56], v[47:48], v[43:44]
	s_waitcnt vmcnt(14)
	v_fma_f64 v[51:52], v[57:58], v[49:50], v[43:44]
	ds_read_b128 v[43:46], v42 offset:272
	ds_read_b128 v[47:50], v42 offset:288
	s_waitcnt vmcnt(12) lgkmcnt(1)
	v_fma_f64 v[43:44], v[59:60], v[43:44], v[51:52]
	s_waitcnt vmcnt(10)
	v_fma_f64 v[43:44], v[61:62], v[45:46], v[43:44]
	s_waitcnt vmcnt(8) lgkmcnt(0)
	v_fma_f64 v[43:44], v[63:64], v[47:48], v[43:44]
	s_waitcnt vmcnt(4)
	v_fma_f64 v[46:47], v[65:66], v[49:50], v[43:44]
	ds_read_b128 v[42:45], v42 offset:304
	s_waitcnt vmcnt(3) lgkmcnt(0)
	v_fma_f64 v[42:43], v[69:70], v[42:43], v[46:47]
	s_waitcnt vmcnt(2)
	v_fma_f64 v[42:43], v[67:68], v[44:45], v[42:43]
	s_waitcnt vmcnt(0)
	v_add_f64 v[42:43], v[71:72], -v[42:43]
	buffer_store_dword v42, off, s[0:3], 0 offset:72
	buffer_store_dword v43, off, s[0:3], 0 offset:76
	s_and_saveexec_b64 s[4:5], vcc
	s_cbranch_execz .LBB19_111
; %bb.110:
	buffer_load_dword v42, off, s[0:3], 0 offset:64
	buffer_load_dword v43, off, s[0:3], 0 offset:68
	v_mov_b32_e32 v44, 0
	buffer_store_dword v44, off, s[0:3], 0 offset:64
	buffer_store_dword v44, off, s[0:3], 0 offset:68
	s_waitcnt vmcnt(2)
	ds_write_b64 v41, v[42:43]
.LBB19_111:
	s_or_b64 exec, exec, s[4:5]
	s_waitcnt lgkmcnt(0)
	; wave barrier
	buffer_load_dword v51, off, s[0:3], 0 offset:72
	buffer_load_dword v52, off, s[0:3], 0 offset:76
	;; [unrolled: 1-line block ×21, first 2 shown]
	v_mov_b32_e32 v42, 0
	ds_read2_b64 v[43:46], v42 offset0:29 offset1:30
	ds_read2_b64 v[47:50], v42 offset0:31 offset1:32
	buffer_load_dword v68, off, s[0:3], 0 offset:156
	v_cmp_lt_u32_e32 vcc, 7, v0
	s_waitcnt vmcnt(20) lgkmcnt(1)
	v_fma_f64 v[43:44], v[51:52], v[43:44], 0
	buffer_load_dword v51, off, s[0:3], 0 offset:64
	buffer_load_dword v52, off, s[0:3], 0 offset:68
	s_waitcnt vmcnt(20)
	v_fma_f64 v[43:44], v[53:54], v[45:46], v[43:44]
	s_waitcnt vmcnt(18) lgkmcnt(0)
	v_fma_f64 v[43:44], v[55:56], v[47:48], v[43:44]
	s_waitcnt vmcnt(16)
	v_fma_f64 v[53:54], v[57:58], v[49:50], v[43:44]
	ds_read2_b64 v[43:46], v42 offset0:33 offset1:34
	ds_read2_b64 v[47:50], v42 offset0:35 offset1:36
	s_waitcnt vmcnt(14) lgkmcnt(1)
	v_fma_f64 v[43:44], v[59:60], v[43:44], v[53:54]
	s_waitcnt vmcnt(12)
	v_fma_f64 v[43:44], v[61:62], v[45:46], v[43:44]
	s_waitcnt vmcnt(10) lgkmcnt(0)
	v_fma_f64 v[43:44], v[63:64], v[47:48], v[43:44]
	s_waitcnt vmcnt(5)
	v_fma_f64 v[47:48], v[65:66], v[49:50], v[43:44]
	ds_read2_b64 v[43:46], v42 offset0:37 offset1:38
	ds_read_b64 v[49:50], v42 offset:312
	s_waitcnt vmcnt(4) lgkmcnt(1)
	v_fma_f64 v[43:44], v[71:72], v[43:44], v[47:48]
	s_waitcnt vmcnt(3)
	v_fma_f64 v[43:44], v[69:70], v[45:46], v[43:44]
	s_waitcnt vmcnt(2) lgkmcnt(0)
	v_fma_f64 v[43:44], v[67:68], v[49:50], v[43:44]
	s_waitcnt vmcnt(0)
	v_add_f64 v[43:44], v[51:52], -v[43:44]
	buffer_store_dword v44, off, s[0:3], 0 offset:68
	buffer_store_dword v43, off, s[0:3], 0 offset:64
	s_and_saveexec_b64 s[4:5], vcc
	s_cbranch_execz .LBB19_113
; %bb.112:
	buffer_load_dword v43, off, s[0:3], 0 offset:56
	buffer_load_dword v44, off, s[0:3], 0 offset:60
	s_waitcnt vmcnt(0)
	ds_write_b64 v41, v[43:44]
	buffer_store_dword v42, off, s[0:3], 0 offset:56
	buffer_store_dword v42, off, s[0:3], 0 offset:60
.LBB19_113:
	s_or_b64 exec, exec, s[4:5]
	s_waitcnt lgkmcnt(0)
	; wave barrier
	buffer_load_dword v51, off, s[0:3], 0 offset:64
	buffer_load_dword v52, off, s[0:3], 0 offset:68
	;; [unrolled: 1-line block ×21, first 2 shown]
	ds_read_b128 v[43:46], v42 offset:224
	ds_read_b128 v[47:50], v42 offset:240
	buffer_load_dword v68, off, s[0:3], 0 offset:148
	v_cmp_lt_u32_e32 vcc, 6, v0
	s_waitcnt vmcnt(20) lgkmcnt(1)
	v_fma_f64 v[43:44], v[51:52], v[43:44], 0
	buffer_load_dword v52, off, s[0:3], 0 offset:156
	buffer_load_dword v51, off, s[0:3], 0 offset:152
	s_waitcnt vmcnt(20)
	v_fma_f64 v[43:44], v[53:54], v[45:46], v[43:44]
	buffer_load_dword v53, off, s[0:3], 0 offset:56
	buffer_load_dword v54, off, s[0:3], 0 offset:60
	s_waitcnt vmcnt(20) lgkmcnt(0)
	v_fma_f64 v[43:44], v[55:56], v[47:48], v[43:44]
	s_waitcnt vmcnt(18)
	v_fma_f64 v[55:56], v[57:58], v[49:50], v[43:44]
	ds_read_b128 v[43:46], v42 offset:256
	ds_read_b128 v[47:50], v42 offset:272
	s_waitcnt vmcnt(16) lgkmcnt(1)
	v_fma_f64 v[43:44], v[59:60], v[43:44], v[55:56]
	s_waitcnt vmcnt(14)
	v_fma_f64 v[43:44], v[61:62], v[45:46], v[43:44]
	s_waitcnt vmcnt(12) lgkmcnt(0)
	v_fma_f64 v[43:44], v[63:64], v[47:48], v[43:44]
	s_waitcnt vmcnt(7)
	v_fma_f64 v[55:56], v[65:66], v[49:50], v[43:44]
	ds_read_b128 v[43:46], v42 offset:288
	ds_read_b128 v[47:50], v42 offset:304
	s_waitcnt vmcnt(6) lgkmcnt(1)
	v_fma_f64 v[42:43], v[71:72], v[43:44], v[55:56]
	s_waitcnt vmcnt(5)
	v_fma_f64 v[42:43], v[69:70], v[45:46], v[42:43]
	s_waitcnt vmcnt(4) lgkmcnt(0)
	v_fma_f64 v[42:43], v[67:68], v[47:48], v[42:43]
	s_waitcnt vmcnt(2)
	v_fma_f64 v[42:43], v[51:52], v[49:50], v[42:43]
	s_waitcnt vmcnt(0)
	v_add_f64 v[42:43], v[53:54], -v[42:43]
	buffer_store_dword v43, off, s[0:3], 0 offset:60
	buffer_store_dword v42, off, s[0:3], 0 offset:56
	s_and_saveexec_b64 s[4:5], vcc
	s_cbranch_execz .LBB19_115
; %bb.114:
	buffer_load_dword v42, off, s[0:3], 0 offset:48
	buffer_load_dword v43, off, s[0:3], 0 offset:52
	v_mov_b32_e32 v44, 0
	buffer_store_dword v44, off, s[0:3], 0 offset:48
	buffer_store_dword v44, off, s[0:3], 0 offset:52
	s_waitcnt vmcnt(2)
	ds_write_b64 v41, v[42:43]
.LBB19_115:
	s_or_b64 exec, exec, s[4:5]
	s_waitcnt lgkmcnt(0)
	; wave barrier
	buffer_load_dword v51, off, s[0:3], 0 offset:56
	buffer_load_dword v52, off, s[0:3], 0 offset:60
	;; [unrolled: 1-line block ×21, first 2 shown]
	v_mov_b32_e32 v42, 0
	ds_read2_b64 v[43:46], v42 offset0:27 offset1:28
	ds_read2_b64 v[47:50], v42 offset0:29 offset1:30
	buffer_load_dword v68, off, s[0:3], 0 offset:140
	v_cmp_lt_u32_e32 vcc, 5, v0
	s_waitcnt vmcnt(20) lgkmcnt(1)
	v_fma_f64 v[43:44], v[51:52], v[43:44], 0
	s_waitcnt vmcnt(18)
	v_fma_f64 v[43:44], v[53:54], v[45:46], v[43:44]
	buffer_load_dword v52, off, s[0:3], 0 offset:148
	buffer_load_dword v53, off, s[0:3], 0 offset:152
	;; [unrolled: 1-line block ×4, first 2 shown]
	s_waitcnt vmcnt(20) lgkmcnt(0)
	v_fma_f64 v[43:44], v[55:56], v[47:48], v[43:44]
	buffer_load_dword v55, off, s[0:3], 0 offset:48
	buffer_load_dword v56, off, s[0:3], 0 offset:52
	s_waitcnt vmcnt(20)
	v_fma_f64 v[57:58], v[57:58], v[49:50], v[43:44]
	ds_read2_b64 v[43:46], v42 offset0:31 offset1:32
	ds_read2_b64 v[47:50], v42 offset0:33 offset1:34
	s_waitcnt vmcnt(18) lgkmcnt(1)
	v_fma_f64 v[43:44], v[59:60], v[43:44], v[57:58]
	s_waitcnt vmcnt(16)
	v_fma_f64 v[43:44], v[61:62], v[45:46], v[43:44]
	s_waitcnt vmcnt(14) lgkmcnt(0)
	v_fma_f64 v[43:44], v[63:64], v[47:48], v[43:44]
	s_waitcnt vmcnt(9)
	v_fma_f64 v[57:58], v[65:66], v[49:50], v[43:44]
	ds_read2_b64 v[43:46], v42 offset0:35 offset1:36
	ds_read2_b64 v[47:50], v42 offset0:37 offset1:38
	s_waitcnt vmcnt(8) lgkmcnt(1)
	v_fma_f64 v[43:44], v[71:72], v[43:44], v[57:58]
	s_waitcnt vmcnt(7)
	v_fma_f64 v[43:44], v[69:70], v[45:46], v[43:44]
	ds_read_b64 v[45:46], v42 offset:312
	s_waitcnt vmcnt(6) lgkmcnt(1)
	v_fma_f64 v[43:44], v[67:68], v[47:48], v[43:44]
	s_waitcnt vmcnt(3)
	v_fma_f64 v[43:44], v[51:52], v[49:50], v[43:44]
	s_waitcnt vmcnt(2) lgkmcnt(0)
	v_fma_f64 v[43:44], v[53:54], v[45:46], v[43:44]
	s_waitcnt vmcnt(0)
	v_add_f64 v[43:44], v[55:56], -v[43:44]
	buffer_store_dword v44, off, s[0:3], 0 offset:52
	buffer_store_dword v43, off, s[0:3], 0 offset:48
	s_and_saveexec_b64 s[4:5], vcc
	s_cbranch_execz .LBB19_117
; %bb.116:
	buffer_load_dword v43, off, s[0:3], 0 offset:40
	buffer_load_dword v44, off, s[0:3], 0 offset:44
	s_waitcnt vmcnt(0)
	ds_write_b64 v41, v[43:44]
	buffer_store_dword v42, off, s[0:3], 0 offset:40
	buffer_store_dword v42, off, s[0:3], 0 offset:44
.LBB19_117:
	s_or_b64 exec, exec, s[4:5]
	s_waitcnt lgkmcnt(0)
	; wave barrier
	buffer_load_dword v51, off, s[0:3], 0 offset:48
	buffer_load_dword v52, off, s[0:3], 0 offset:52
	;; [unrolled: 1-line block ×22, first 2 shown]
	ds_read_b128 v[43:46], v42 offset:208
	ds_read_b128 v[47:50], v42 offset:224
	v_cmp_lt_u32_e32 vcc, 4, v0
	s_waitcnt vmcnt(20) lgkmcnt(1)
	v_fma_f64 v[43:44], v[51:52], v[43:44], 0
	s_waitcnt vmcnt(18)
	v_fma_f64 v[43:44], v[53:54], v[45:46], v[43:44]
	buffer_load_dword v52, off, s[0:3], 0 offset:140
	buffer_load_dword v53, off, s[0:3], 0 offset:152
	;; [unrolled: 1-line block ×6, first 2 shown]
	s_waitcnt vmcnt(22) lgkmcnt(0)
	v_fma_f64 v[43:44], v[55:56], v[47:48], v[43:44]
	s_waitcnt vmcnt(20)
	v_fma_f64 v[55:56], v[57:58], v[49:50], v[43:44]
	ds_read_b128 v[43:46], v42 offset:240
	buffer_load_dword v57, off, s[0:3], 0 offset:40
	buffer_load_dword v58, off, s[0:3], 0 offset:44
	ds_read_b128 v[47:50], v42 offset:256
	s_waitcnt vmcnt(20) lgkmcnt(1)
	v_fma_f64 v[43:44], v[59:60], v[43:44], v[55:56]
	s_waitcnt vmcnt(18)
	v_fma_f64 v[43:44], v[61:62], v[45:46], v[43:44]
	s_waitcnt vmcnt(16) lgkmcnt(0)
	v_fma_f64 v[43:44], v[63:64], v[47:48], v[43:44]
	s_waitcnt vmcnt(11)
	v_fma_f64 v[55:56], v[65:66], v[49:50], v[43:44]
	ds_read_b128 v[43:46], v42 offset:272
	ds_read_b128 v[47:50], v42 offset:288
	s_waitcnt vmcnt(10) lgkmcnt(1)
	v_fma_f64 v[43:44], v[71:72], v[43:44], v[55:56]
	s_waitcnt vmcnt(9)
	v_fma_f64 v[43:44], v[69:70], v[45:46], v[43:44]
	s_waitcnt vmcnt(8) lgkmcnt(0)
	v_fma_f64 v[43:44], v[67:68], v[47:48], v[43:44]
	s_waitcnt vmcnt(4)
	v_fma_f64 v[46:47], v[51:52], v[49:50], v[43:44]
	ds_read_b128 v[42:45], v42 offset:304
	s_waitcnt vmcnt(3) lgkmcnt(0)
	v_fma_f64 v[42:43], v[73:74], v[42:43], v[46:47]
	s_waitcnt vmcnt(2)
	v_fma_f64 v[42:43], v[53:54], v[44:45], v[42:43]
	s_waitcnt vmcnt(0)
	v_add_f64 v[42:43], v[57:58], -v[42:43]
	buffer_store_dword v43, off, s[0:3], 0 offset:44
	buffer_store_dword v42, off, s[0:3], 0 offset:40
	s_and_saveexec_b64 s[4:5], vcc
	s_cbranch_execz .LBB19_119
; %bb.118:
	buffer_load_dword v42, off, s[0:3], 0 offset:32
	buffer_load_dword v43, off, s[0:3], 0 offset:36
	v_mov_b32_e32 v44, 0
	buffer_store_dword v44, off, s[0:3], 0 offset:32
	buffer_store_dword v44, off, s[0:3], 0 offset:36
	s_waitcnt vmcnt(2)
	ds_write_b64 v41, v[42:43]
.LBB19_119:
	s_or_b64 exec, exec, s[4:5]
	s_waitcnt lgkmcnt(0)
	; wave barrier
	buffer_load_dword v51, off, s[0:3], 0 offset:40
	buffer_load_dword v52, off, s[0:3], 0 offset:44
	;; [unrolled: 1-line block ×22, first 2 shown]
	v_mov_b32_e32 v42, 0
	ds_read2_b64 v[43:46], v42 offset0:25 offset1:26
	ds_read2_b64 v[47:50], v42 offset0:27 offset1:28
	v_cmp_lt_u32_e32 vcc, 3, v0
	s_waitcnt vmcnt(20) lgkmcnt(1)
	v_fma_f64 v[43:44], v[51:52], v[43:44], 0
	s_waitcnt vmcnt(18)
	v_fma_f64 v[43:44], v[53:54], v[45:46], v[43:44]
	buffer_load_dword v52, off, s[0:3], 0 offset:132
	buffer_load_dword v53, off, s[0:3], 0 offset:152
	;; [unrolled: 1-line block ×8, first 2 shown]
	s_waitcnt vmcnt(24) lgkmcnt(0)
	v_fma_f64 v[43:44], v[55:56], v[47:48], v[43:44]
	s_waitcnt vmcnt(22)
	v_fma_f64 v[55:56], v[57:58], v[49:50], v[43:44]
	ds_read2_b64 v[43:46], v42 offset0:29 offset1:30
	ds_read2_b64 v[47:50], v42 offset0:31 offset1:32
	s_waitcnt vmcnt(20) lgkmcnt(1)
	v_fma_f64 v[43:44], v[59:60], v[43:44], v[55:56]
	buffer_load_dword v55, off, s[0:3], 0 offset:32
	buffer_load_dword v56, off, s[0:3], 0 offset:36
	s_waitcnt vmcnt(20)
	v_fma_f64 v[43:44], v[61:62], v[45:46], v[43:44]
	s_waitcnt vmcnt(18) lgkmcnt(0)
	v_fma_f64 v[43:44], v[63:64], v[47:48], v[43:44]
	s_waitcnt vmcnt(13)
	v_fma_f64 v[57:58], v[65:66], v[49:50], v[43:44]
	ds_read2_b64 v[43:46], v42 offset0:33 offset1:34
	ds_read2_b64 v[47:50], v42 offset0:35 offset1:36
	s_waitcnt vmcnt(12) lgkmcnt(1)
	v_fma_f64 v[43:44], v[71:72], v[43:44], v[57:58]
	s_waitcnt vmcnt(11)
	v_fma_f64 v[43:44], v[69:70], v[45:46], v[43:44]
	s_waitcnt vmcnt(10) lgkmcnt(0)
	v_fma_f64 v[43:44], v[67:68], v[47:48], v[43:44]
	s_waitcnt vmcnt(5)
	v_fma_f64 v[47:48], v[51:52], v[49:50], v[43:44]
	ds_read2_b64 v[43:46], v42 offset0:37 offset1:38
	ds_read_b64 v[49:50], v42 offset:312
	s_waitcnt vmcnt(4) lgkmcnt(1)
	v_fma_f64 v[43:44], v[75:76], v[43:44], v[47:48]
	s_waitcnt vmcnt(3)
	v_fma_f64 v[43:44], v[73:74], v[45:46], v[43:44]
	s_waitcnt vmcnt(2) lgkmcnt(0)
	v_fma_f64 v[43:44], v[53:54], v[49:50], v[43:44]
	s_waitcnt vmcnt(0)
	v_add_f64 v[43:44], v[55:56], -v[43:44]
	buffer_store_dword v44, off, s[0:3], 0 offset:36
	buffer_store_dword v43, off, s[0:3], 0 offset:32
	s_and_saveexec_b64 s[4:5], vcc
	s_cbranch_execz .LBB19_121
; %bb.120:
	buffer_load_dword v43, off, s[0:3], 0 offset:24
	buffer_load_dword v44, off, s[0:3], 0 offset:28
	s_waitcnt vmcnt(0)
	ds_write_b64 v41, v[43:44]
	buffer_store_dword v42, off, s[0:3], 0 offset:24
	buffer_store_dword v42, off, s[0:3], 0 offset:28
.LBB19_121:
	s_or_b64 exec, exec, s[4:5]
	s_waitcnt lgkmcnt(0)
	; wave barrier
	buffer_load_dword v51, off, s[0:3], 0 offset:32
	buffer_load_dword v52, off, s[0:3], 0 offset:36
	;; [unrolled: 1-line block ×22, first 2 shown]
	ds_read_b128 v[43:46], v42 offset:192
	ds_read_b128 v[47:50], v42 offset:208
	v_cmp_lt_u32_e32 vcc, 2, v0
	s_waitcnt vmcnt(20) lgkmcnt(1)
	v_fma_f64 v[43:44], v[51:52], v[43:44], 0
	s_waitcnt vmcnt(18)
	v_fma_f64 v[43:44], v[53:54], v[45:46], v[43:44]
	buffer_load_dword v52, off, s[0:3], 0 offset:124
	buffer_load_dword v53, off, s[0:3], 0 offset:144
	;; [unrolled: 1-line block ×8, first 2 shown]
	s_waitcnt vmcnt(24) lgkmcnt(0)
	v_fma_f64 v[43:44], v[55:56], v[47:48], v[43:44]
	s_waitcnt vmcnt(22)
	v_fma_f64 v[55:56], v[57:58], v[49:50], v[43:44]
	ds_read_b128 v[43:46], v42 offset:224
	ds_read_b128 v[47:50], v42 offset:240
	s_waitcnt vmcnt(20) lgkmcnt(1)
	v_fma_f64 v[43:44], v[59:60], v[43:44], v[55:56]
	buffer_load_dword v56, off, s[0:3], 0 offset:156
	buffer_load_dword v55, off, s[0:3], 0 offset:152
	;; [unrolled: 1-line block ×4, first 2 shown]
	s_waitcnt vmcnt(22)
	v_fma_f64 v[43:44], v[61:62], v[45:46], v[43:44]
	s_waitcnt vmcnt(20) lgkmcnt(0)
	v_fma_f64 v[43:44], v[63:64], v[47:48], v[43:44]
	s_waitcnt vmcnt(15)
	v_fma_f64 v[59:60], v[65:66], v[49:50], v[43:44]
	ds_read_b128 v[43:46], v42 offset:256
	ds_read_b128 v[47:50], v42 offset:272
	s_waitcnt vmcnt(14) lgkmcnt(1)
	v_fma_f64 v[43:44], v[71:72], v[43:44], v[59:60]
	s_waitcnt vmcnt(13)
	v_fma_f64 v[43:44], v[69:70], v[45:46], v[43:44]
	s_waitcnt vmcnt(12) lgkmcnt(0)
	v_fma_f64 v[43:44], v[67:68], v[47:48], v[43:44]
	s_waitcnt vmcnt(7)
	v_fma_f64 v[51:52], v[51:52], v[49:50], v[43:44]
	ds_read_b128 v[43:46], v42 offset:288
	ds_read_b128 v[47:50], v42 offset:304
	s_waitcnt vmcnt(6) lgkmcnt(1)
	v_fma_f64 v[42:43], v[75:76], v[43:44], v[51:52]
	s_waitcnt vmcnt(5)
	v_fma_f64 v[42:43], v[73:74], v[45:46], v[42:43]
	s_waitcnt vmcnt(4) lgkmcnt(0)
	v_fma_f64 v[42:43], v[53:54], v[47:48], v[42:43]
	s_waitcnt vmcnt(2)
	v_fma_f64 v[42:43], v[55:56], v[49:50], v[42:43]
	s_waitcnt vmcnt(0)
	v_add_f64 v[42:43], v[57:58], -v[42:43]
	buffer_store_dword v43, off, s[0:3], 0 offset:28
	buffer_store_dword v42, off, s[0:3], 0 offset:24
	s_and_saveexec_b64 s[4:5], vcc
	s_cbranch_execz .LBB19_123
; %bb.122:
	buffer_load_dword v42, off, s[0:3], 0 offset:16
	buffer_load_dword v43, off, s[0:3], 0 offset:20
	v_mov_b32_e32 v44, 0
	buffer_store_dword v44, off, s[0:3], 0 offset:16
	buffer_store_dword v44, off, s[0:3], 0 offset:20
	s_waitcnt vmcnt(2)
	ds_write_b64 v41, v[42:43]
.LBB19_123:
	s_or_b64 exec, exec, s[4:5]
	s_waitcnt lgkmcnt(0)
	; wave barrier
	buffer_load_dword v51, off, s[0:3], 0 offset:24
	buffer_load_dword v52, off, s[0:3], 0 offset:28
	;; [unrolled: 1-line block ×22, first 2 shown]
	v_mov_b32_e32 v42, 0
	ds_read2_b64 v[43:46], v42 offset0:23 offset1:24
	ds_read2_b64 v[47:50], v42 offset0:25 offset1:26
	v_cmp_lt_u32_e32 vcc, 1, v0
	s_waitcnt vmcnt(20) lgkmcnt(1)
	v_fma_f64 v[43:44], v[51:52], v[43:44], 0
	s_waitcnt vmcnt(18)
	v_fma_f64 v[43:44], v[53:54], v[45:46], v[43:44]
	buffer_load_dword v52, off, s[0:3], 0 offset:116
	buffer_load_dword v53, off, s[0:3], 0 offset:136
	;; [unrolled: 1-line block ×7, first 2 shown]
	s_waitcnt vmcnt(23) lgkmcnt(0)
	v_fma_f64 v[43:44], v[55:56], v[47:48], v[43:44]
	s_waitcnt vmcnt(21)
	v_fma_f64 v[54:55], v[57:58], v[49:50], v[43:44]
	ds_read2_b64 v[43:46], v42 offset0:27 offset1:28
	ds_read2_b64 v[47:50], v42 offset0:29 offset1:30
	s_waitcnt vmcnt(19) lgkmcnt(1)
	v_fma_f64 v[43:44], v[59:60], v[43:44], v[54:55]
	buffer_load_dword v54, off, s[0:3], 0 offset:140
	buffer_load_dword v56, off, s[0:3], 0 offset:148
	;; [unrolled: 1-line block ×7, first 2 shown]
	s_waitcnt vmcnt(24)
	v_fma_f64 v[43:44], v[61:62], v[45:46], v[43:44]
	s_waitcnt vmcnt(22) lgkmcnt(0)
	v_fma_f64 v[43:44], v[63:64], v[47:48], v[43:44]
	s_waitcnt vmcnt(17)
	v_fma_f64 v[61:62], v[65:66], v[49:50], v[43:44]
	ds_read2_b64 v[43:46], v42 offset0:31 offset1:32
	ds_read2_b64 v[47:50], v42 offset0:33 offset1:34
	s_waitcnt vmcnt(16) lgkmcnt(1)
	v_fma_f64 v[43:44], v[71:72], v[43:44], v[61:62]
	s_waitcnt vmcnt(15)
	v_fma_f64 v[43:44], v[69:70], v[45:46], v[43:44]
	s_waitcnt vmcnt(14) lgkmcnt(0)
	v_fma_f64 v[43:44], v[67:68], v[47:48], v[43:44]
	s_waitcnt vmcnt(9)
	v_fma_f64 v[51:52], v[51:52], v[49:50], v[43:44]
	ds_read2_b64 v[43:46], v42 offset0:35 offset1:36
	ds_read2_b64 v[47:50], v42 offset0:37 offset1:38
	s_waitcnt vmcnt(8) lgkmcnt(1)
	v_fma_f64 v[43:44], v[75:76], v[43:44], v[51:52]
	s_waitcnt vmcnt(7)
	v_fma_f64 v[43:44], v[73:74], v[45:46], v[43:44]
	ds_read_b64 v[45:46], v42 offset:312
	s_waitcnt vmcnt(6) lgkmcnt(1)
	v_fma_f64 v[43:44], v[53:54], v[47:48], v[43:44]
	s_waitcnt vmcnt(3)
	v_fma_f64 v[43:44], v[55:56], v[49:50], v[43:44]
	s_waitcnt vmcnt(2) lgkmcnt(0)
	v_fma_f64 v[43:44], v[57:58], v[45:46], v[43:44]
	s_waitcnt vmcnt(0)
	v_add_f64 v[43:44], v[59:60], -v[43:44]
	buffer_store_dword v44, off, s[0:3], 0 offset:20
	buffer_store_dword v43, off, s[0:3], 0 offset:16
	s_and_saveexec_b64 s[4:5], vcc
	s_cbranch_execz .LBB19_125
; %bb.124:
	buffer_load_dword v43, off, s[0:3], 0 offset:8
	buffer_load_dword v44, off, s[0:3], 0 offset:12
	s_waitcnt vmcnt(0)
	ds_write_b64 v41, v[43:44]
	buffer_store_dword v42, off, s[0:3], 0 offset:8
	buffer_store_dword v42, off, s[0:3], 0 offset:12
.LBB19_125:
	s_or_b64 exec, exec, s[4:5]
	s_waitcnt lgkmcnt(0)
	; wave barrier
	buffer_load_dword v51, off, s[0:3], 0 offset:16
	buffer_load_dword v52, off, s[0:3], 0 offset:20
	;; [unrolled: 1-line block ×22, first 2 shown]
	ds_read_b128 v[43:46], v42 offset:176
	ds_read_b128 v[47:50], v42 offset:192
	v_cmp_ne_u32_e32 vcc, 0, v0
	s_waitcnt vmcnt(20) lgkmcnt(1)
	v_fma_f64 v[43:44], v[51:52], v[43:44], 0
	s_waitcnt vmcnt(18)
	v_fma_f64 v[43:44], v[53:54], v[45:46], v[43:44]
	buffer_load_dword v52, off, s[0:3], 0 offset:108
	buffer_load_dword v53, off, s[0:3], 0 offset:128
	;; [unrolled: 1-line block ×7, first 2 shown]
	s_waitcnt vmcnt(23) lgkmcnt(0)
	v_fma_f64 v[43:44], v[55:56], v[47:48], v[43:44]
	s_waitcnt vmcnt(21)
	v_fma_f64 v[54:55], v[57:58], v[49:50], v[43:44]
	ds_read_b128 v[43:46], v42 offset:208
	ds_read_b128 v[47:50], v42 offset:224
	s_waitcnt vmcnt(19) lgkmcnt(1)
	v_fma_f64 v[43:44], v[59:60], v[43:44], v[54:55]
	buffer_load_dword v54, off, s[0:3], 0 offset:132
	buffer_load_dword v56, off, s[0:3], 0 offset:140
	;; [unrolled: 1-line block ×7, first 2 shown]
	s_waitcnt vmcnt(24)
	v_fma_f64 v[43:44], v[61:62], v[45:46], v[43:44]
	s_waitcnt vmcnt(22) lgkmcnt(0)
	v_fma_f64 v[43:44], v[63:64], v[47:48], v[43:44]
	s_waitcnt vmcnt(17)
	v_fma_f64 v[61:62], v[65:66], v[49:50], v[43:44]
	ds_read_b128 v[43:46], v42 offset:240
	buffer_load_dword v63, off, s[0:3], 0 offset:8
	buffer_load_dword v64, off, s[0:3], 0 offset:12
	ds_read_b128 v[47:50], v42 offset:256
	s_waitcnt vmcnt(18) lgkmcnt(1)
	v_fma_f64 v[43:44], v[71:72], v[43:44], v[61:62]
	s_waitcnt vmcnt(17)
	v_fma_f64 v[43:44], v[69:70], v[45:46], v[43:44]
	s_waitcnt vmcnt(16) lgkmcnt(0)
	v_fma_f64 v[43:44], v[67:68], v[47:48], v[43:44]
	s_waitcnt vmcnt(11)
	v_fma_f64 v[51:52], v[51:52], v[49:50], v[43:44]
	ds_read_b128 v[43:46], v42 offset:272
	ds_read_b128 v[47:50], v42 offset:288
	s_waitcnt vmcnt(10) lgkmcnt(1)
	v_fma_f64 v[43:44], v[75:76], v[43:44], v[51:52]
	s_waitcnt vmcnt(9)
	v_fma_f64 v[43:44], v[73:74], v[45:46], v[43:44]
	s_waitcnt vmcnt(8) lgkmcnt(0)
	v_fma_f64 v[43:44], v[53:54], v[47:48], v[43:44]
	s_waitcnt vmcnt(4)
	v_fma_f64 v[46:47], v[55:56], v[49:50], v[43:44]
	ds_read_b128 v[42:45], v42 offset:304
	s_waitcnt vmcnt(3) lgkmcnt(0)
	v_fma_f64 v[42:43], v[59:60], v[42:43], v[46:47]
	s_waitcnt vmcnt(2)
	v_fma_f64 v[42:43], v[57:58], v[44:45], v[42:43]
	s_waitcnt vmcnt(0)
	v_add_f64 v[42:43], v[63:64], -v[42:43]
	buffer_store_dword v43, off, s[0:3], 0 offset:12
	buffer_store_dword v42, off, s[0:3], 0 offset:8
	s_and_saveexec_b64 s[4:5], vcc
	s_cbranch_execz .LBB19_127
; %bb.126:
	buffer_load_dword v42, off, s[0:3], 0
	buffer_load_dword v43, off, s[0:3], 0 offset:4
	v_mov_b32_e32 v0, 0
	buffer_store_dword v0, off, s[0:3], 0
	buffer_store_dword v0, off, s[0:3], 0 offset:4
	s_waitcnt vmcnt(2)
	ds_write_b64 v41, v[42:43]
.LBB19_127:
	s_or_b64 exec, exec, s[4:5]
	s_waitcnt lgkmcnt(0)
	; wave barrier
	buffer_load_dword v49, off, s[0:3], 0 offset:8
	buffer_load_dword v50, off, s[0:3], 0 offset:12
	;; [unrolled: 1-line block ×22, first 2 shown]
	v_mov_b32_e32 v0, 0
	ds_read2_b64 v[41:44], v0 offset0:21 offset1:22
	ds_read2_b64 v[45:48], v0 offset0:23 offset1:24
	buffer_load_dword v72, off, s[0:3], 0 offset:100
	buffer_load_dword v73, off, s[0:3], 0 offset:120
	;; [unrolled: 1-line block ×8, first 2 shown]
	s_and_b64 vcc, exec, s[22:23]
	s_waitcnt vmcnt(28) lgkmcnt(1)
	v_fma_f64 v[41:42], v[49:50], v[41:42], 0
	s_waitcnt vmcnt(26)
	v_fma_f64 v[41:42], v[51:52], v[43:44], v[41:42]
	s_waitcnt vmcnt(24) lgkmcnt(0)
	v_fma_f64 v[41:42], v[53:54], v[45:46], v[41:42]
	s_waitcnt vmcnt(22)
	v_fma_f64 v[49:50], v[55:56], v[47:48], v[41:42]
	ds_read2_b64 v[41:44], v0 offset0:25 offset1:26
	ds_read2_b64 v[45:48], v0 offset0:27 offset1:28
	s_waitcnt vmcnt(20) lgkmcnt(1)
	v_fma_f64 v[41:42], v[57:58], v[41:42], v[49:50]
	s_waitcnt vmcnt(18)
	v_fma_f64 v[41:42], v[59:60], v[43:44], v[41:42]
	buffer_load_dword v54, off, s[0:3], 0 offset:132
	buffer_load_dword v55, off, s[0:3], 0 offset:152
	;; [unrolled: 1-line block ×8, first 2 shown]
	ds_read2_b64 v[49:52], v0 offset0:31 offset1:32
	s_waitcnt vmcnt(24) lgkmcnt(1)
	v_fma_f64 v[41:42], v[61:62], v[45:46], v[41:42]
	s_waitcnt vmcnt(19)
	v_fma_f64 v[41:42], v[63:64], v[47:48], v[41:42]
	ds_read2_b64 v[45:48], v0 offset0:29 offset1:30
	buffer_load_dword v59, off, s[0:3], 0
	buffer_load_dword v60, off, s[0:3], 0 offset:4
	s_waitcnt vmcnt(20) lgkmcnt(0)
	v_fma_f64 v[41:42], v[69:70], v[45:46], v[41:42]
	s_waitcnt vmcnt(19)
	v_fma_f64 v[41:42], v[67:68], v[47:48], v[41:42]
	s_waitcnt vmcnt(18)
	;; [unrolled: 2-line block ×3, first 2 shown]
	v_fma_f64 v[41:42], v[71:72], v[51:52], v[41:42]
	ds_read2_b64 v[45:48], v0 offset0:33 offset1:34
	ds_read2_b64 v[49:52], v0 offset0:35 offset1:36
	s_waitcnt vmcnt(12) lgkmcnt(1)
	v_fma_f64 v[41:42], v[77:78], v[45:46], v[41:42]
	s_waitcnt vmcnt(11)
	v_fma_f64 v[41:42], v[75:76], v[47:48], v[41:42]
	s_waitcnt vmcnt(10) lgkmcnt(0)
	v_fma_f64 v[41:42], v[73:74], v[49:50], v[41:42]
	ds_read2_b64 v[45:48], v0 offset0:37 offset1:38
	ds_read_b64 v[49:50], v0 offset:312
	s_waitcnt vmcnt(5)
	v_fma_f64 v[41:42], v[53:54], v[51:52], v[41:42]
	s_waitcnt vmcnt(4) lgkmcnt(1)
	v_fma_f64 v[41:42], v[57:58], v[45:46], v[41:42]
	s_waitcnt vmcnt(3)
	v_fma_f64 v[41:42], v[43:44], v[47:48], v[41:42]
	s_waitcnt vmcnt(2) lgkmcnt(0)
	v_fma_f64 v[41:42], v[55:56], v[49:50], v[41:42]
	s_waitcnt vmcnt(0)
	v_add_f64 v[41:42], v[59:60], -v[41:42]
	buffer_store_dword v42, off, s[0:3], 0 offset:4
	buffer_store_dword v41, off, s[0:3], 0
	s_cbranch_vccz .LBB19_166
; %bb.128:
	global_load_dword v0, v0, s[20:21] offset:72
	s_waitcnt vmcnt(0)
	v_add_u32_e32 v0, -1, v0
	v_cmp_ne_u32_e32 vcc, 18, v0
	s_cbranch_vccz .LBB19_130
; %bb.129:
	v_lshlrev_b32_e32 v0, 3, v0
	buffer_load_dword v41, v0, s[0:3], 0 offen offset:4
	buffer_load_dword v42, v0, s[0:3], 0 offen
	s_waitcnt vmcnt(1)
	buffer_store_dword v41, off, s[0:3], 0 offset:148
	s_waitcnt vmcnt(1)
	buffer_store_dword v42, off, s[0:3], 0 offset:144
	buffer_store_dword v44, v0, s[0:3], 0 offen offset:4
	buffer_store_dword v43, v0, s[0:3], 0 offen
.LBB19_130:
	v_mov_b32_e32 v0, 0
	global_load_dword v41, v0, s[20:21] offset:68
	s_waitcnt vmcnt(0)
	v_add_u32_e32 v41, -1, v41
	v_cmp_eq_u32_e32 vcc, 17, v41
	s_cbranch_vccnz .LBB19_132
; %bb.131:
	v_lshlrev_b32_e32 v41, 3, v41
	buffer_load_dword v42, v41, s[0:3], 0 offen
	buffer_load_dword v43, v41, s[0:3], 0 offen offset:4
	buffer_load_dword v44, off, s[0:3], 0 offset:136
	buffer_load_dword v45, off, s[0:3], 0 offset:140
	s_waitcnt vmcnt(3)
	buffer_store_dword v42, off, s[0:3], 0 offset:136
	s_waitcnt vmcnt(3)
	buffer_store_dword v43, off, s[0:3], 0 offset:140
	s_waitcnt vmcnt(3)
	buffer_store_dword v44, v41, s[0:3], 0 offen
	s_waitcnt vmcnt(3)
	buffer_store_dword v45, v41, s[0:3], 0 offen offset:4
.LBB19_132:
	global_load_dword v0, v0, s[20:21] offset:64
	s_waitcnt vmcnt(0)
	v_add_u32_e32 v0, -1, v0
	v_cmp_eq_u32_e32 vcc, 16, v0
	s_cbranch_vccnz .LBB19_134
; %bb.133:
	v_lshlrev_b32_e32 v0, 3, v0
	buffer_load_dword v41, v0, s[0:3], 0 offen
	buffer_load_dword v42, v0, s[0:3], 0 offen offset:4
	buffer_load_dword v43, off, s[0:3], 0 offset:132
	buffer_load_dword v44, off, s[0:3], 0 offset:128
	s_waitcnt vmcnt(3)
	buffer_store_dword v41, off, s[0:3], 0 offset:128
	s_waitcnt vmcnt(3)
	buffer_store_dword v42, off, s[0:3], 0 offset:132
	s_waitcnt vmcnt(3)
	buffer_store_dword v43, v0, s[0:3], 0 offen offset:4
	s_waitcnt vmcnt(3)
	buffer_store_dword v44, v0, s[0:3], 0 offen
.LBB19_134:
	v_mov_b32_e32 v0, 0
	global_load_dword v41, v0, s[20:21] offset:60
	s_waitcnt vmcnt(0)
	v_add_u32_e32 v41, -1, v41
	v_cmp_eq_u32_e32 vcc, 15, v41
	s_cbranch_vccnz .LBB19_136
; %bb.135:
	v_lshlrev_b32_e32 v41, 3, v41
	buffer_load_dword v42, v41, s[0:3], 0 offen
	buffer_load_dword v43, v41, s[0:3], 0 offen offset:4
	buffer_load_dword v44, off, s[0:3], 0 offset:120
	buffer_load_dword v45, off, s[0:3], 0 offset:124
	s_waitcnt vmcnt(3)
	buffer_store_dword v42, off, s[0:3], 0 offset:120
	s_waitcnt vmcnt(3)
	buffer_store_dword v43, off, s[0:3], 0 offset:124
	s_waitcnt vmcnt(3)
	buffer_store_dword v44, v41, s[0:3], 0 offen
	s_waitcnt vmcnt(3)
	buffer_store_dword v45, v41, s[0:3], 0 offen offset:4
.LBB19_136:
	global_load_dword v0, v0, s[20:21] offset:56
	s_waitcnt vmcnt(0)
	v_add_u32_e32 v0, -1, v0
	v_cmp_eq_u32_e32 vcc, 14, v0
	s_cbranch_vccnz .LBB19_138
; %bb.137:
	v_lshlrev_b32_e32 v0, 3, v0
	buffer_load_dword v41, v0, s[0:3], 0 offen
	buffer_load_dword v42, v0, s[0:3], 0 offen offset:4
	buffer_load_dword v43, off, s[0:3], 0 offset:116
	buffer_load_dword v44, off, s[0:3], 0 offset:112
	s_waitcnt vmcnt(3)
	buffer_store_dword v41, off, s[0:3], 0 offset:112
	s_waitcnt vmcnt(3)
	buffer_store_dword v42, off, s[0:3], 0 offset:116
	s_waitcnt vmcnt(3)
	buffer_store_dword v43, v0, s[0:3], 0 offen offset:4
	s_waitcnt vmcnt(3)
	buffer_store_dword v44, v0, s[0:3], 0 offen
.LBB19_138:
	;; [unrolled: 41-line block ×8, first 2 shown]
	v_mov_b32_e32 v0, 0
	global_load_dword v41, v0, s[20:21] offset:4
	s_waitcnt vmcnt(0)
	v_add_u32_e32 v41, -1, v41
	v_cmp_eq_u32_e32 vcc, 1, v41
	s_cbranch_vccnz .LBB19_164
; %bb.163:
	v_lshlrev_b32_e32 v41, 3, v41
	buffer_load_dword v42, v41, s[0:3], 0 offen
	buffer_load_dword v43, v41, s[0:3], 0 offen offset:4
	buffer_load_dword v44, off, s[0:3], 0 offset:8
	buffer_load_dword v45, off, s[0:3], 0 offset:12
	s_waitcnt vmcnt(3)
	buffer_store_dword v42, off, s[0:3], 0 offset:8
	s_waitcnt vmcnt(3)
	buffer_store_dword v43, off, s[0:3], 0 offset:12
	s_waitcnt vmcnt(3)
	buffer_store_dword v44, v41, s[0:3], 0 offen
	s_waitcnt vmcnt(3)
	buffer_store_dword v45, v41, s[0:3], 0 offen offset:4
.LBB19_164:
	global_load_dword v0, v0, s[20:21]
	s_nop 0
	buffer_load_dword v41, off, s[0:3], 0
	buffer_load_dword v42, off, s[0:3], 0 offset:4
	s_waitcnt vmcnt(2)
	v_add_u32_e32 v0, -1, v0
	v_cmp_eq_u32_e32 vcc, 0, v0
	s_cbranch_vccnz .LBB19_166
; %bb.165:
	v_lshlrev_b32_e32 v0, 3, v0
	buffer_load_dword v43, v0, s[0:3], 0 offen offset:4
	buffer_load_dword v44, v0, s[0:3], 0 offen
	s_waitcnt vmcnt(1)
	buffer_store_dword v43, off, s[0:3], 0 offset:4
	s_waitcnt vmcnt(1)
	buffer_store_dword v44, off, s[0:3], 0
	buffer_store_dword v42, v0, s[0:3], 0 offen offset:4
	buffer_store_dword v41, v0, s[0:3], 0 offen
	buffer_load_dword v41, off, s[0:3], 0
	s_nop 0
	buffer_load_dword v42, off, s[0:3], 0 offset:4
.LBB19_166:
	buffer_load_dword v43, off, s[0:3], 0 offset:8
	buffer_load_dword v44, off, s[0:3], 0 offset:12
	;; [unrolled: 1-line block ×38, first 2 shown]
	s_waitcnt vmcnt(38)
	global_store_dwordx2 v[33:34], v[41:42], off
	s_waitcnt vmcnt(37)
	global_store_dwordx2 v[35:36], v[43:44], off
	;; [unrolled: 2-line block ×20, first 2 shown]
	s_endpgm
	.section	.rodata,"a",@progbits
	.p2align	6, 0x0
	.amdhsa_kernel _ZN9rocsolver6v33100L18getri_kernel_smallILi20EdPdEEvT1_iilPiilS4_bb
		.amdhsa_group_segment_fixed_size 328
		.amdhsa_private_segment_fixed_size 176
		.amdhsa_kernarg_size 60
		.amdhsa_user_sgpr_count 6
		.amdhsa_user_sgpr_private_segment_buffer 1
		.amdhsa_user_sgpr_dispatch_ptr 0
		.amdhsa_user_sgpr_queue_ptr 0
		.amdhsa_user_sgpr_kernarg_segment_ptr 1
		.amdhsa_user_sgpr_dispatch_id 0
		.amdhsa_user_sgpr_flat_scratch_init 0
		.amdhsa_user_sgpr_private_segment_size 0
		.amdhsa_uses_dynamic_stack 0
		.amdhsa_system_sgpr_private_segment_wavefront_offset 1
		.amdhsa_system_sgpr_workgroup_id_x 1
		.amdhsa_system_sgpr_workgroup_id_y 0
		.amdhsa_system_sgpr_workgroup_id_z 0
		.amdhsa_system_sgpr_workgroup_info 0
		.amdhsa_system_vgpr_workitem_id 0
		.amdhsa_next_free_vgpr 81
		.amdhsa_next_free_sgpr 24
		.amdhsa_reserve_vcc 1
		.amdhsa_reserve_flat_scratch 0
		.amdhsa_float_round_mode_32 0
		.amdhsa_float_round_mode_16_64 0
		.amdhsa_float_denorm_mode_32 3
		.amdhsa_float_denorm_mode_16_64 3
		.amdhsa_dx10_clamp 1
		.amdhsa_ieee_mode 1
		.amdhsa_fp16_overflow 0
		.amdhsa_exception_fp_ieee_invalid_op 0
		.amdhsa_exception_fp_denorm_src 0
		.amdhsa_exception_fp_ieee_div_zero 0
		.amdhsa_exception_fp_ieee_overflow 0
		.amdhsa_exception_fp_ieee_underflow 0
		.amdhsa_exception_fp_ieee_inexact 0
		.amdhsa_exception_int_div_zero 0
	.end_amdhsa_kernel
	.section	.text._ZN9rocsolver6v33100L18getri_kernel_smallILi20EdPdEEvT1_iilPiilS4_bb,"axG",@progbits,_ZN9rocsolver6v33100L18getri_kernel_smallILi20EdPdEEvT1_iilPiilS4_bb,comdat
.Lfunc_end19:
	.size	_ZN9rocsolver6v33100L18getri_kernel_smallILi20EdPdEEvT1_iilPiilS4_bb, .Lfunc_end19-_ZN9rocsolver6v33100L18getri_kernel_smallILi20EdPdEEvT1_iilPiilS4_bb
                                        ; -- End function
	.set _ZN9rocsolver6v33100L18getri_kernel_smallILi20EdPdEEvT1_iilPiilS4_bb.num_vgpr, 81
	.set _ZN9rocsolver6v33100L18getri_kernel_smallILi20EdPdEEvT1_iilPiilS4_bb.num_agpr, 0
	.set _ZN9rocsolver6v33100L18getri_kernel_smallILi20EdPdEEvT1_iilPiilS4_bb.numbered_sgpr, 24
	.set _ZN9rocsolver6v33100L18getri_kernel_smallILi20EdPdEEvT1_iilPiilS4_bb.num_named_barrier, 0
	.set _ZN9rocsolver6v33100L18getri_kernel_smallILi20EdPdEEvT1_iilPiilS4_bb.private_seg_size, 176
	.set _ZN9rocsolver6v33100L18getri_kernel_smallILi20EdPdEEvT1_iilPiilS4_bb.uses_vcc, 1
	.set _ZN9rocsolver6v33100L18getri_kernel_smallILi20EdPdEEvT1_iilPiilS4_bb.uses_flat_scratch, 0
	.set _ZN9rocsolver6v33100L18getri_kernel_smallILi20EdPdEEvT1_iilPiilS4_bb.has_dyn_sized_stack, 0
	.set _ZN9rocsolver6v33100L18getri_kernel_smallILi20EdPdEEvT1_iilPiilS4_bb.has_recursion, 0
	.set _ZN9rocsolver6v33100L18getri_kernel_smallILi20EdPdEEvT1_iilPiilS4_bb.has_indirect_call, 0
	.section	.AMDGPU.csdata,"",@progbits
; Kernel info:
; codeLenInByte = 16064
; TotalNumSgprs: 28
; NumVgprs: 81
; ScratchSize: 176
; MemoryBound: 0
; FloatMode: 240
; IeeeMode: 1
; LDSByteSize: 328 bytes/workgroup (compile time only)
; SGPRBlocks: 3
; VGPRBlocks: 20
; NumSGPRsForWavesPerEU: 28
; NumVGPRsForWavesPerEU: 81
; Occupancy: 3
; WaveLimiterHint : 1
; COMPUTE_PGM_RSRC2:SCRATCH_EN: 1
; COMPUTE_PGM_RSRC2:USER_SGPR: 6
; COMPUTE_PGM_RSRC2:TRAP_HANDLER: 0
; COMPUTE_PGM_RSRC2:TGID_X_EN: 1
; COMPUTE_PGM_RSRC2:TGID_Y_EN: 0
; COMPUTE_PGM_RSRC2:TGID_Z_EN: 0
; COMPUTE_PGM_RSRC2:TIDIG_COMP_CNT: 0
	.section	.text._ZN9rocsolver6v33100L18getri_kernel_smallILi21EdPdEEvT1_iilPiilS4_bb,"axG",@progbits,_ZN9rocsolver6v33100L18getri_kernel_smallILi21EdPdEEvT1_iilPiilS4_bb,comdat
	.globl	_ZN9rocsolver6v33100L18getri_kernel_smallILi21EdPdEEvT1_iilPiilS4_bb ; -- Begin function _ZN9rocsolver6v33100L18getri_kernel_smallILi21EdPdEEvT1_iilPiilS4_bb
	.p2align	8
	.type	_ZN9rocsolver6v33100L18getri_kernel_smallILi21EdPdEEvT1_iilPiilS4_bb,@function
_ZN9rocsolver6v33100L18getri_kernel_smallILi21EdPdEEvT1_iilPiilS4_bb: ; @_ZN9rocsolver6v33100L18getri_kernel_smallILi21EdPdEEvT1_iilPiilS4_bb
; %bb.0:
	s_add_u32 s0, s0, s7
	s_addc_u32 s1, s1, 0
	v_cmp_gt_u32_e32 vcc, 21, v0
	s_and_saveexec_b64 s[8:9], vcc
	s_cbranch_execz .LBB20_92
; %bb.1:
	s_load_dword s12, s[4:5], 0x38
	s_load_dwordx4 s[16:19], s[4:5], 0x10
	s_load_dwordx4 s[8:11], s[4:5], 0x28
                                        ; implicit-def: $sgpr20_sgpr21
	s_waitcnt lgkmcnt(0)
	s_bitcmp1_b32 s12, 8
	s_cselect_b64 s[22:23], -1, 0
	s_ashr_i32 s7, s6, 31
	s_bfe_u32 s12, s12, 0x10008
	s_cmp_eq_u32 s12, 0
	s_cbranch_scc1 .LBB20_3
; %bb.2:
	s_load_dword s12, s[4:5], 0x20
	s_mul_i32 s13, s8, s7
	s_mul_hi_u32 s14, s8, s6
	s_mul_i32 s9, s9, s6
	s_add_i32 s14, s14, s13
	s_add_i32 s9, s14, s9
	s_mul_i32 s8, s8, s6
	s_waitcnt lgkmcnt(0)
	s_ashr_i32 s13, s12, 31
	s_lshl_b64 s[8:9], s[8:9], 2
	s_add_u32 s14, s18, s8
	s_addc_u32 s15, s19, s9
	s_lshl_b64 s[8:9], s[12:13], 2
	s_add_u32 s20, s14, s8
	s_addc_u32 s21, s15, s9
.LBB20_3:
	s_load_dwordx4 s[12:15], s[4:5], 0x0
	s_load_dword s8, s[4:5], 0x38
	s_mul_i32 s9, s16, s7
	s_mul_hi_u32 s18, s16, s6
	s_add_i32 s9, s18, s9
	s_waitcnt lgkmcnt(0)
	s_ashr_i32 s5, s14, 31
	s_mov_b32 s4, s14
	s_mul_i32 s14, s17, s6
	s_add_i32 s17, s9, s14
	s_mul_i32 s16, s16, s6
	s_lshl_b64 s[16:17], s[16:17], 3
	s_add_u32 s9, s12, s16
	s_addc_u32 s12, s13, s17
	s_lshl_b64 s[4:5], s[4:5], 3
	s_add_u32 s4, s9, s4
	s_addc_u32 s5, s12, s5
	s_add_i32 s9, s15, s15
	v_add_u32_e32 v3, s9, v0
	v_ashrrev_i32_e32 v4, 31, v3
	v_lshlrev_b64 v[1:2], 3, v[3:4]
	v_add_u32_e32 v5, s15, v3
	v_mov_b32_e32 v4, s5
	v_add_co_u32_e32 v1, vcc, s4, v1
	v_ashrrev_i32_e32 v6, 31, v5
	v_addc_co_u32_e32 v2, vcc, v4, v2, vcc
	v_lshlrev_b64 v[3:4], 3, v[5:6]
	v_add_u32_e32 v7, s15, v5
	v_mov_b32_e32 v6, s5
	v_add_co_u32_e32 v3, vcc, s4, v3
	v_ashrrev_i32_e32 v8, 31, v7
	v_addc_co_u32_e32 v4, vcc, v6, v4, vcc
	;; [unrolled: 6-line block ×8, first 2 shown]
	v_lshlrev_b64 v[17:18], 3, v[19:20]
	v_mov_b32_e32 v21, s5
	v_add_co_u32_e32 v17, vcc, s4, v17
	v_addc_co_u32_e32 v18, vcc, v21, v18, vcc
	v_add_u32_e32 v21, s15, v19
	v_ashrrev_i32_e32 v22, 31, v21
	v_lshlrev_b64 v[19:20], 3, v[21:22]
	v_mov_b32_e32 v23, s5
	v_add_co_u32_e32 v19, vcc, s4, v19
	v_addc_co_u32_e32 v20, vcc, v23, v20, vcc
	v_add_u32_e32 v23, s15, v21
	v_ashrrev_i32_e32 v24, 31, v23
	v_lshlrev_b64 v[21:22], 3, v[23:24]
	v_mov_b32_e32 v25, s5
	v_add_co_u32_e32 v21, vcc, s4, v21
	v_addc_co_u32_e32 v22, vcc, v25, v22, vcc
	v_lshlrev_b32_e32 v45, 3, v0
	v_add_u32_e32 v25, s15, v23
	global_load_dwordx2 v[43:44], v45, s[4:5]
	global_load_dwordx2 v[48:49], v[1:2], off
	v_mov_b32_e32 v23, s5
	v_add_co_u32_e32 v41, vcc, s4, v45
	s_ashr_i32 s13, s15, 31
	s_mov_b32 s12, s15
	v_addc_co_u32_e32 v42, vcc, 0, v23, vcc
	s_lshl_b64 s[12:13], s[12:13], 3
	v_mov_b32_e32 v23, s13
	v_add_co_u32_e32 v27, vcc, s12, v41
	v_addc_co_u32_e32 v28, vcc, v42, v23, vcc
	global_load_dwordx2 v[46:47], v[27:28], off
	v_ashrrev_i32_e32 v26, 31, v25
	v_lshlrev_b64 v[23:24], 3, v[25:26]
	v_mov_b32_e32 v29, s5
	v_add_co_u32_e32 v23, vcc, s4, v23
	v_addc_co_u32_e32 v24, vcc, v29, v24, vcc
	v_add_u32_e32 v29, s15, v25
	v_ashrrev_i32_e32 v30, 31, v29
	v_lshlrev_b64 v[25:26], 3, v[29:30]
	v_mov_b32_e32 v31, s5
	v_add_co_u32_e32 v25, vcc, s4, v25
	v_addc_co_u32_e32 v26, vcc, v31, v26, vcc
	v_add_u32_e32 v31, s15, v29
	;; [unrolled: 6-line block ×6, first 2 shown]
	v_ashrrev_i32_e32 v40, 31, v39
	v_lshlrev_b64 v[37:38], 3, v[39:40]
	v_mov_b32_e32 v56, s5
	v_add_co_u32_e32 v37, vcc, s4, v37
	global_load_dwordx2 v[50:51], v[3:4], off
	global_load_dwordx2 v[52:53], v[5:6], off
	;; [unrolled: 1-line block ×3, first 2 shown]
	v_addc_co_u32_e32 v38, vcc, v56, v38, vcc
	global_load_dwordx2 v[56:57], v[9:10], off
	global_load_dwordx2 v[58:59], v[11:12], off
	;; [unrolled: 1-line block ×8, first 2 shown]
	v_add_u32_e32 v39, s15, v39
	v_ashrrev_i32_e32 v40, 31, v39
	v_lshlrev_b64 v[39:40], 3, v[39:40]
	v_mov_b32_e32 v72, s5
	v_add_co_u32_e32 v39, vcc, s4, v39
	v_addc_co_u32_e32 v40, vcc, v72, v40, vcc
	global_load_dwordx2 v[72:73], v[25:26], off
	global_load_dwordx2 v[74:75], v[29:30], off
	;; [unrolled: 1-line block ×4, first 2 shown]
	s_bitcmp0_b32 s8, 0
	s_waitcnt vmcnt(17)
	buffer_store_dword v44, off, s[0:3], 0 offset:4
	buffer_store_dword v43, off, s[0:3], 0
	global_load_dwordx2 v[43:44], v[31:32], off
	s_mov_b64 s[8:9], -1
	s_waitcnt vmcnt(19)
	buffer_store_dword v49, off, s[0:3], 0 offset:20
	s_waitcnt vmcnt(19)
	buffer_store_dword v47, off, s[0:3], 0 offset:12
	buffer_store_dword v46, off, s[0:3], 0 offset:8
	global_load_dwordx2 v[46:47], v[35:36], off
	s_nop 0
	buffer_store_dword v48, off, s[0:3], 0 offset:16
	global_load_dwordx2 v[48:49], v[39:40], off
	s_waitcnt vmcnt(23)
	buffer_store_dword v51, off, s[0:3], 0 offset:28
	buffer_store_dword v50, off, s[0:3], 0 offset:24
	s_waitcnt vmcnt(24)
	buffer_store_dword v53, off, s[0:3], 0 offset:36
	buffer_store_dword v52, off, s[0:3], 0 offset:32
	s_waitcnt vmcnt(25)
	buffer_store_dword v55, off, s[0:3], 0 offset:44
	buffer_store_dword v54, off, s[0:3], 0 offset:40
	s_waitcnt vmcnt(26)
	buffer_store_dword v57, off, s[0:3], 0 offset:52
	buffer_store_dword v56, off, s[0:3], 0 offset:48
	s_waitcnt vmcnt(27)
	buffer_store_dword v59, off, s[0:3], 0 offset:60
	buffer_store_dword v58, off, s[0:3], 0 offset:56
	s_waitcnt vmcnt(28)
	buffer_store_dword v61, off, s[0:3], 0 offset:68
	buffer_store_dword v60, off, s[0:3], 0 offset:64
	s_waitcnt vmcnt(29)
	buffer_store_dword v62, off, s[0:3], 0 offset:72
	buffer_store_dword v63, off, s[0:3], 0 offset:76
	s_waitcnt vmcnt(30)
	buffer_store_dword v64, off, s[0:3], 0 offset:80
	buffer_store_dword v65, off, s[0:3], 0 offset:84
	s_waitcnt vmcnt(31)
	buffer_store_dword v66, off, s[0:3], 0 offset:88
	buffer_store_dword v67, off, s[0:3], 0 offset:92
	s_waitcnt vmcnt(32)
	buffer_store_dword v68, off, s[0:3], 0 offset:96
	buffer_store_dword v69, off, s[0:3], 0 offset:100
	s_waitcnt vmcnt(33)
	buffer_store_dword v70, off, s[0:3], 0 offset:104
	buffer_store_dword v71, off, s[0:3], 0 offset:108
	s_waitcnt vmcnt(34)
	buffer_store_dword v73, off, s[0:3], 0 offset:116
	buffer_store_dword v72, off, s[0:3], 0 offset:112
	s_waitcnt vmcnt(35)
	buffer_store_dword v74, off, s[0:3], 0 offset:120
	buffer_store_dword v75, off, s[0:3], 0 offset:124
	s_waitcnt vmcnt(32)
	buffer_store_dword v43, off, s[0:3], 0 offset:128
	buffer_store_dword v44, off, s[0:3], 0 offset:132
	buffer_store_dword v76, off, s[0:3], 0 offset:136
	buffer_store_dword v77, off, s[0:3], 0 offset:140
	s_waitcnt vmcnt(32)
	buffer_store_dword v46, off, s[0:3], 0 offset:144
	buffer_store_dword v47, off, s[0:3], 0 offset:148
	;; [unrolled: 1-line block ×4, first 2 shown]
	s_waitcnt vmcnt(34)
	buffer_store_dword v49, off, s[0:3], 0 offset:164
	buffer_store_dword v48, off, s[0:3], 0 offset:160
	s_cbranch_scc1 .LBB20_90
; %bb.4:
	v_cmp_eq_u32_e64 s[4:5], 0, v0
	s_and_saveexec_b64 s[8:9], s[4:5]
; %bb.5:
	v_mov_b32_e32 v43, 0
	ds_write_b32 v43, v43 offset:168
; %bb.6:
	s_or_b64 exec, exec, s[8:9]
	v_mov_b32_e32 v43, 0
	v_lshl_add_u32 v43, v0, 3, v43
	s_waitcnt lgkmcnt(0)
	; wave barrier
	buffer_load_dword v46, v43, s[0:3], 0 offen
	buffer_load_dword v47, v43, s[0:3], 0 offen offset:4
	s_waitcnt vmcnt(0)
	v_cmp_eq_f64_e32 vcc, 0, v[46:47]
	s_and_saveexec_b64 s[12:13], vcc
	s_cbranch_execz .LBB20_10
; %bb.7:
	v_mov_b32_e32 v44, 0
	ds_read_b32 v47, v44 offset:168
	v_add_u32_e32 v46, 1, v0
	s_waitcnt lgkmcnt(0)
	v_readfirstlane_b32 s8, v47
	s_cmp_eq_u32 s8, 0
	s_cselect_b64 s[14:15], -1, 0
	v_cmp_gt_i32_e32 vcc, s8, v46
	s_or_b64 s[14:15], s[14:15], vcc
	s_and_b64 exec, exec, s[14:15]
	s_cbranch_execz .LBB20_10
; %bb.8:
	s_mov_b64 s[14:15], 0
	v_mov_b32_e32 v47, s8
.LBB20_9:                               ; =>This Inner Loop Header: Depth=1
	ds_cmpst_rtn_b32 v47, v44, v47, v46 offset:168
	s_waitcnt lgkmcnt(0)
	v_cmp_ne_u32_e32 vcc, 0, v47
	v_cmp_le_i32_e64 s[8:9], v47, v46
	s_and_b64 s[8:9], vcc, s[8:9]
	s_and_b64 s[8:9], exec, s[8:9]
	s_or_b64 s[14:15], s[8:9], s[14:15]
	s_andn2_b64 exec, exec, s[14:15]
	s_cbranch_execnz .LBB20_9
.LBB20_10:
	s_or_b64 exec, exec, s[12:13]
	v_mov_b32_e32 v46, 0
	; wave barrier
	ds_read_b32 v44, v46 offset:168
	s_and_saveexec_b64 s[8:9], s[4:5]
	s_cbranch_execz .LBB20_12
; %bb.11:
	s_lshl_b64 s[12:13], s[6:7], 2
	s_add_u32 s12, s10, s12
	s_addc_u32 s13, s11, s13
	s_waitcnt lgkmcnt(0)
	global_store_dword v46, v44, s[12:13]
.LBB20_12:
	s_or_b64 exec, exec, s[8:9]
	s_waitcnt lgkmcnt(0)
	v_cmp_ne_u32_e32 vcc, 0, v44
	s_mov_b64 s[8:9], 0
	s_cbranch_vccnz .LBB20_90
; %bb.13:
	buffer_load_dword v46, v43, s[0:3], 0 offen
	buffer_load_dword v47, v43, s[0:3], 0 offen offset:4
	s_waitcnt vmcnt(0)
	v_div_scale_f64 v[48:49], s[8:9], v[46:47], v[46:47], 1.0
	v_rcp_f64_e32 v[50:51], v[48:49]
	v_fma_f64 v[52:53], -v[48:49], v[50:51], 1.0
	v_fma_f64 v[50:51], v[50:51], v[52:53], v[50:51]
	v_div_scale_f64 v[52:53], vcc, 1.0, v[46:47], 1.0
	v_fma_f64 v[54:55], -v[48:49], v[50:51], 1.0
	v_fma_f64 v[50:51], v[50:51], v[54:55], v[50:51]
	v_mul_f64 v[54:55], v[52:53], v[50:51]
	v_fma_f64 v[48:49], -v[48:49], v[54:55], v[52:53]
	v_div_fmas_f64 v[48:49], v[48:49], v[50:51], v[54:55]
	v_div_fixup_f64 v[47:48], v[48:49], v[46:47], 1.0
	v_add_u32_e32 v46, 0xb0, v45
	buffer_store_dword v48, v43, s[0:3], 0 offen offset:4
	buffer_store_dword v47, v43, s[0:3], 0 offen
	buffer_load_dword v50, off, s[0:3], 0 offset:12
	buffer_load_dword v49, off, s[0:3], 0 offset:8
	v_xor_b32_e32 v48, 0x80000000, v48
	s_waitcnt vmcnt(0)
	ds_write2_b64 v45, v[47:48], v[49:50] offset1:22
	s_waitcnt lgkmcnt(0)
	; wave barrier
	s_and_saveexec_b64 s[8:9], s[4:5]
	s_cbranch_execz .LBB20_15
; %bb.14:
	buffer_load_dword v47, v43, s[0:3], 0 offen
	buffer_load_dword v48, v43, s[0:3], 0 offen offset:4
	ds_read_b64 v[49:50], v46
	v_mov_b32_e32 v44, 0
	ds_read_b64 v[51:52], v44 offset:8
	s_waitcnt vmcnt(0) lgkmcnt(1)
	v_fma_f64 v[47:48], v[47:48], v[49:50], 0
	s_waitcnt lgkmcnt(0)
	v_mul_f64 v[47:48], v[47:48], v[51:52]
	buffer_store_dword v47, off, s[0:3], 0 offset:8
	buffer_store_dword v48, off, s[0:3], 0 offset:12
.LBB20_15:
	s_or_b64 exec, exec, s[8:9]
	; wave barrier
	buffer_load_dword v47, off, s[0:3], 0 offset:16
	buffer_load_dword v48, off, s[0:3], 0 offset:20
	v_cmp_gt_u32_e32 vcc, 2, v0
	s_waitcnt vmcnt(0)
	ds_write_b64 v46, v[47:48]
	s_waitcnt lgkmcnt(0)
	; wave barrier
	s_and_saveexec_b64 s[8:9], vcc
	s_cbranch_execz .LBB20_17
; %bb.16:
	buffer_load_dword v47, v43, s[0:3], 0 offen
	buffer_load_dword v48, v43, s[0:3], 0 offen offset:4
                                        ; kill: killed $vgpr43
	s_nop 0
	buffer_load_dword v43, off, s[0:3], 0 offset:8
	buffer_load_dword v44, off, s[0:3], 0 offset:12
	ds_read_b64 v[49:50], v46
	s_waitcnt vmcnt(2) lgkmcnt(0)
	v_fma_f64 v[51:52], v[47:48], v[49:50], 0
	v_mov_b32_e32 v47, 0
	ds_read2_b64 v[47:50], v47 offset0:2 offset1:23
	s_waitcnt vmcnt(0) lgkmcnt(0)
	v_fma_f64 v[43:44], v[43:44], v[49:50], v[51:52]
	v_cndmask_b32_e64 v44, v52, v44, s[4:5]
	v_cndmask_b32_e64 v43, v51, v43, s[4:5]
	v_mul_f64 v[43:44], v[43:44], v[47:48]
	buffer_store_dword v44, off, s[0:3], 0 offset:20
	buffer_store_dword v43, off, s[0:3], 0 offset:16
.LBB20_17:
	s_or_b64 exec, exec, s[8:9]
	; wave barrier
	buffer_load_dword v43, off, s[0:3], 0 offset:24
	buffer_load_dword v44, off, s[0:3], 0 offset:28
	v_cmp_gt_u32_e32 vcc, 3, v0
	v_add_u32_e32 v47, -1, v0
	s_waitcnt vmcnt(0)
	ds_write_b64 v46, v[43:44]
	s_waitcnt lgkmcnt(0)
	; wave barrier
	s_and_saveexec_b64 s[4:5], vcc
	s_cbranch_execz .LBB20_21
; %bb.18:
	v_mov_b32_e32 v43, 0
	v_add_u32_e32 v48, -1, v0
	v_add_u32_e32 v49, 0xb0, v45
	v_mov_b32_e32 v50, v45
	v_mov_b32_e32 v44, 0
	s_mov_b64 s[8:9], 0
.LBB20_19:                              ; =>This Inner Loop Header: Depth=1
	buffer_load_dword v51, v50, s[0:3], 0 offen
	buffer_load_dword v52, v50, s[0:3], 0 offen offset:4
	ds_read_b64 v[53:54], v49
	v_add_u32_e32 v48, 1, v48
	v_cmp_lt_u32_e32 vcc, 1, v48
	v_add_u32_e32 v49, 8, v49
	s_or_b64 s[8:9], vcc, s[8:9]
	v_add_u32_e32 v50, 8, v50
	s_waitcnt vmcnt(0) lgkmcnt(0)
	v_fma_f64 v[43:44], v[51:52], v[53:54], v[43:44]
	s_andn2_b64 exec, exec, s[8:9]
	s_cbranch_execnz .LBB20_19
; %bb.20:
	s_or_b64 exec, exec, s[8:9]
	v_mov_b32_e32 v48, 0
	ds_read_b64 v[48:49], v48 offset:24
	s_waitcnt lgkmcnt(0)
	v_mul_f64 v[43:44], v[43:44], v[48:49]
	buffer_store_dword v44, off, s[0:3], 0 offset:28
	buffer_store_dword v43, off, s[0:3], 0 offset:24
.LBB20_21:
	s_or_b64 exec, exec, s[4:5]
	; wave barrier
	buffer_load_dword v43, off, s[0:3], 0 offset:32
	buffer_load_dword v44, off, s[0:3], 0 offset:36
	v_cmp_gt_u32_e32 vcc, 4, v0
	s_waitcnt vmcnt(0)
	ds_write_b64 v46, v[43:44]
	s_waitcnt lgkmcnt(0)
	; wave barrier
	s_and_saveexec_b64 s[4:5], vcc
	s_cbranch_execz .LBB20_25
; %bb.22:
	v_mov_b32_e32 v43, 0
	v_add_u32_e32 v48, -1, v0
	v_add_u32_e32 v49, 0xb0, v45
	v_mov_b32_e32 v50, v45
	v_mov_b32_e32 v44, 0
	s_mov_b64 s[8:9], 0
.LBB20_23:                              ; =>This Inner Loop Header: Depth=1
	buffer_load_dword v51, v50, s[0:3], 0 offen
	buffer_load_dword v52, v50, s[0:3], 0 offen offset:4
	ds_read_b64 v[53:54], v49
	v_add_u32_e32 v48, 1, v48
	v_cmp_lt_u32_e32 vcc, 2, v48
	v_add_u32_e32 v49, 8, v49
	s_or_b64 s[8:9], vcc, s[8:9]
	v_add_u32_e32 v50, 8, v50
	s_waitcnt vmcnt(0) lgkmcnt(0)
	v_fma_f64 v[43:44], v[51:52], v[53:54], v[43:44]
	s_andn2_b64 exec, exec, s[8:9]
	s_cbranch_execnz .LBB20_23
; %bb.24:
	s_or_b64 exec, exec, s[8:9]
	v_mov_b32_e32 v48, 0
	ds_read_b64 v[48:49], v48 offset:32
	s_waitcnt lgkmcnt(0)
	v_mul_f64 v[43:44], v[43:44], v[48:49]
	buffer_store_dword v44, off, s[0:3], 0 offset:36
	buffer_store_dword v43, off, s[0:3], 0 offset:32
.LBB20_25:
	s_or_b64 exec, exec, s[4:5]
	; wave barrier
	buffer_load_dword v43, off, s[0:3], 0 offset:40
	buffer_load_dword v44, off, s[0:3], 0 offset:44
	v_cmp_gt_u32_e32 vcc, 5, v0
	;; [unrolled: 40-line block ×16, first 2 shown]
	s_waitcnt vmcnt(0)
	ds_write_b64 v46, v[43:44]
	s_waitcnt lgkmcnt(0)
	; wave barrier
	s_and_saveexec_b64 s[4:5], vcc
	s_cbranch_execz .LBB20_85
; %bb.82:
	v_mov_b32_e32 v43, 0
	v_add_u32_e32 v48, -1, v0
	v_add_u32_e32 v49, 0xb0, v45
	v_mov_b32_e32 v50, v45
	v_mov_b32_e32 v44, 0
	s_mov_b64 s[8:9], 0
.LBB20_83:                              ; =>This Inner Loop Header: Depth=1
	buffer_load_dword v51, v50, s[0:3], 0 offen
	buffer_load_dword v52, v50, s[0:3], 0 offen offset:4
	ds_read_b64 v[53:54], v49
	v_add_u32_e32 v48, 1, v48
	v_cmp_lt_u32_e32 vcc, 17, v48
	v_add_u32_e32 v49, 8, v49
	s_or_b64 s[8:9], vcc, s[8:9]
	v_add_u32_e32 v50, 8, v50
	s_waitcnt vmcnt(0) lgkmcnt(0)
	v_fma_f64 v[43:44], v[51:52], v[53:54], v[43:44]
	s_andn2_b64 exec, exec, s[8:9]
	s_cbranch_execnz .LBB20_83
; %bb.84:
	s_or_b64 exec, exec, s[8:9]
	v_mov_b32_e32 v48, 0
	ds_read_b64 v[48:49], v48 offset:152
	s_waitcnt lgkmcnt(0)
	v_mul_f64 v[43:44], v[43:44], v[48:49]
	buffer_store_dword v44, off, s[0:3], 0 offset:156
	buffer_store_dword v43, off, s[0:3], 0 offset:152
.LBB20_85:
	s_or_b64 exec, exec, s[4:5]
	; wave barrier
	buffer_load_dword v43, off, s[0:3], 0 offset:160
	buffer_load_dword v44, off, s[0:3], 0 offset:164
	v_cmp_ne_u32_e32 vcc, 20, v0
	s_waitcnt vmcnt(0)
	ds_write_b64 v46, v[43:44]
	s_waitcnt lgkmcnt(0)
	; wave barrier
	s_and_saveexec_b64 s[4:5], vcc
	s_cbranch_execz .LBB20_89
; %bb.86:
	v_mov_b32_e32 v43, 0
	v_add_u32_e32 v46, 0xb0, v45
	v_mov_b32_e32 v44, 0
	s_mov_b64 s[8:9], 0
.LBB20_87:                              ; =>This Inner Loop Header: Depth=1
	buffer_load_dword v48, v45, s[0:3], 0 offen
	buffer_load_dword v49, v45, s[0:3], 0 offen offset:4
	ds_read_b64 v[50:51], v46
	v_add_u32_e32 v47, 1, v47
	v_cmp_lt_u32_e32 vcc, 18, v47
	v_add_u32_e32 v46, 8, v46
	s_or_b64 s[8:9], vcc, s[8:9]
	v_add_u32_e32 v45, 8, v45
	s_waitcnt vmcnt(0) lgkmcnt(0)
	v_fma_f64 v[43:44], v[48:49], v[50:51], v[43:44]
	s_andn2_b64 exec, exec, s[8:9]
	s_cbranch_execnz .LBB20_87
; %bb.88:
	s_or_b64 exec, exec, s[8:9]
	v_mov_b32_e32 v45, 0
	ds_read_b64 v[45:46], v45 offset:160
	s_waitcnt lgkmcnt(0)
	v_mul_f64 v[43:44], v[43:44], v[45:46]
	buffer_store_dword v44, off, s[0:3], 0 offset:164
	buffer_store_dword v43, off, s[0:3], 0 offset:160
.LBB20_89:
	s_or_b64 exec, exec, s[4:5]
	s_mov_b64 s[8:9], -1
	; wave barrier
.LBB20_90:
	s_and_b64 vcc, exec, s[8:9]
	s_cbranch_vccz .LBB20_92
; %bb.91:
	s_lshl_b64 s[4:5], s[6:7], 2
	s_add_u32 s4, s10, s4
	s_addc_u32 s5, s11, s5
	v_mov_b32_e32 v43, 0
	global_load_dword v43, v43, s[4:5]
	s_waitcnt vmcnt(0)
	v_cmp_ne_u32_e32 vcc, 0, v43
	s_cbranch_vccz .LBB20_93
.LBB20_92:
	s_endpgm
.LBB20_93:
	v_mov_b32_e32 v43, 0xb0
	v_lshl_add_u32 v43, v0, 3, v43
	v_cmp_eq_u32_e32 vcc, 20, v0
	s_and_saveexec_b64 s[4:5], vcc
	s_cbranch_execz .LBB20_95
; %bb.94:
	buffer_load_dword v44, off, s[0:3], 0 offset:152
	buffer_load_dword v45, off, s[0:3], 0 offset:156
	v_mov_b32_e32 v46, 0
	buffer_store_dword v46, off, s[0:3], 0 offset:152
	buffer_store_dword v46, off, s[0:3], 0 offset:156
	s_waitcnt vmcnt(2)
	ds_write_b64 v43, v[44:45]
.LBB20_95:
	s_or_b64 exec, exec, s[4:5]
	s_waitcnt lgkmcnt(0)
	; wave barrier
	buffer_load_dword v45, off, s[0:3], 0 offset:160
	buffer_load_dword v46, off, s[0:3], 0 offset:164
	;; [unrolled: 1-line block ×4, first 2 shown]
	v_mov_b32_e32 v44, 0
	ds_read_b64 v[49:50], v44 offset:336
	v_cmp_lt_u32_e32 vcc, 18, v0
	s_waitcnt vmcnt(2) lgkmcnt(0)
	v_fma_f64 v[45:46], v[45:46], v[49:50], 0
	s_waitcnt vmcnt(0)
	v_add_f64 v[45:46], v[47:48], -v[45:46]
	buffer_store_dword v45, off, s[0:3], 0 offset:152
	buffer_store_dword v46, off, s[0:3], 0 offset:156
	s_and_saveexec_b64 s[4:5], vcc
	s_cbranch_execz .LBB20_97
; %bb.96:
	buffer_load_dword v45, off, s[0:3], 0 offset:144
	buffer_load_dword v46, off, s[0:3], 0 offset:148
	s_waitcnt vmcnt(0)
	ds_write_b64 v43, v[45:46]
	buffer_store_dword v44, off, s[0:3], 0 offset:144
	buffer_store_dword v44, off, s[0:3], 0 offset:148
.LBB20_97:
	s_or_b64 exec, exec, s[4:5]
	s_waitcnt lgkmcnt(0)
	; wave barrier
	buffer_load_dword v48, off, s[0:3], 0 offset:152
	buffer_load_dword v49, off, s[0:3], 0 offset:156
	;; [unrolled: 1-line block ×6, first 2 shown]
	ds_read2_b64 v[44:47], v44 offset0:41 offset1:42
	v_cmp_lt_u32_e32 vcc, 17, v0
	s_waitcnt vmcnt(4) lgkmcnt(0)
	v_fma_f64 v[44:45], v[48:49], v[44:45], 0
	s_waitcnt vmcnt(2)
	v_fma_f64 v[44:45], v[50:51], v[46:47], v[44:45]
	s_waitcnt vmcnt(0)
	v_add_f64 v[44:45], v[52:53], -v[44:45]
	buffer_store_dword v44, off, s[0:3], 0 offset:144
	buffer_store_dword v45, off, s[0:3], 0 offset:148
	s_and_saveexec_b64 s[4:5], vcc
	s_cbranch_execz .LBB20_99
; %bb.98:
	buffer_load_dword v44, off, s[0:3], 0 offset:136
	buffer_load_dword v45, off, s[0:3], 0 offset:140
	v_mov_b32_e32 v46, 0
	buffer_store_dword v46, off, s[0:3], 0 offset:136
	buffer_store_dword v46, off, s[0:3], 0 offset:140
	s_waitcnt vmcnt(2)
	ds_write_b64 v43, v[44:45]
.LBB20_99:
	s_or_b64 exec, exec, s[4:5]
	s_waitcnt lgkmcnt(0)
	; wave barrier
	buffer_load_dword v49, off, s[0:3], 0 offset:144
	buffer_load_dword v50, off, s[0:3], 0 offset:148
	;; [unrolled: 1-line block ×8, first 2 shown]
	v_mov_b32_e32 v44, 0
	ds_read_b128 v[45:48], v44 offset:320
	ds_read_b64 v[57:58], v44 offset:336
	v_cmp_lt_u32_e32 vcc, 16, v0
	s_waitcnt vmcnt(6) lgkmcnt(1)
	v_fma_f64 v[45:46], v[49:50], v[45:46], 0
	s_waitcnt vmcnt(4)
	v_fma_f64 v[45:46], v[51:52], v[47:48], v[45:46]
	s_waitcnt vmcnt(2) lgkmcnt(0)
	v_fma_f64 v[45:46], v[53:54], v[57:58], v[45:46]
	s_waitcnt vmcnt(0)
	v_add_f64 v[45:46], v[55:56], -v[45:46]
	buffer_store_dword v45, off, s[0:3], 0 offset:136
	buffer_store_dword v46, off, s[0:3], 0 offset:140
	s_and_saveexec_b64 s[4:5], vcc
	s_cbranch_execz .LBB20_101
; %bb.100:
	buffer_load_dword v45, off, s[0:3], 0 offset:128
	buffer_load_dword v46, off, s[0:3], 0 offset:132
	s_waitcnt vmcnt(0)
	ds_write_b64 v43, v[45:46]
	buffer_store_dword v44, off, s[0:3], 0 offset:128
	buffer_store_dword v44, off, s[0:3], 0 offset:132
.LBB20_101:
	s_or_b64 exec, exec, s[4:5]
	s_waitcnt lgkmcnt(0)
	; wave barrier
	buffer_load_dword v53, off, s[0:3], 0 offset:136
	buffer_load_dword v54, off, s[0:3], 0 offset:140
	buffer_load_dword v55, off, s[0:3], 0 offset:144
	buffer_load_dword v56, off, s[0:3], 0 offset:148
	buffer_load_dword v57, off, s[0:3], 0 offset:152
	buffer_load_dword v58, off, s[0:3], 0 offset:156
	buffer_load_dword v59, off, s[0:3], 0 offset:160
	buffer_load_dword v60, off, s[0:3], 0 offset:164
	buffer_load_dword v61, off, s[0:3], 0 offset:128
	buffer_load_dword v62, off, s[0:3], 0 offset:132
	ds_read2_b64 v[45:48], v44 offset0:39 offset1:40
	ds_read2_b64 v[49:52], v44 offset0:41 offset1:42
	v_cmp_lt_u32_e32 vcc, 15, v0
	s_waitcnt vmcnt(8) lgkmcnt(1)
	v_fma_f64 v[44:45], v[53:54], v[45:46], 0
	s_waitcnt vmcnt(6)
	v_fma_f64 v[44:45], v[55:56], v[47:48], v[44:45]
	s_waitcnt vmcnt(4) lgkmcnt(0)
	v_fma_f64 v[44:45], v[57:58], v[49:50], v[44:45]
	s_waitcnt vmcnt(2)
	v_fma_f64 v[44:45], v[59:60], v[51:52], v[44:45]
	s_waitcnt vmcnt(0)
	v_add_f64 v[44:45], v[61:62], -v[44:45]
	buffer_store_dword v44, off, s[0:3], 0 offset:128
	buffer_store_dword v45, off, s[0:3], 0 offset:132
	s_and_saveexec_b64 s[4:5], vcc
	s_cbranch_execz .LBB20_103
; %bb.102:
	buffer_load_dword v44, off, s[0:3], 0 offset:120
	buffer_load_dword v45, off, s[0:3], 0 offset:124
	v_mov_b32_e32 v46, 0
	buffer_store_dword v46, off, s[0:3], 0 offset:120
	buffer_store_dword v46, off, s[0:3], 0 offset:124
	s_waitcnt vmcnt(2)
	ds_write_b64 v43, v[44:45]
.LBB20_103:
	s_or_b64 exec, exec, s[4:5]
	s_waitcnt lgkmcnt(0)
	; wave barrier
	buffer_load_dword v49, off, s[0:3], 0 offset:128
	buffer_load_dword v50, off, s[0:3], 0 offset:132
	;; [unrolled: 1-line block ×12, first 2 shown]
	v_mov_b32_e32 v44, 0
	ds_read_b128 v[45:48], v44 offset:304
	v_cmp_lt_u32_e32 vcc, 14, v0
	s_waitcnt vmcnt(10) lgkmcnt(0)
	v_fma_f64 v[45:46], v[49:50], v[45:46], 0
	s_waitcnt vmcnt(8)
	v_fma_f64 v[49:50], v[51:52], v[47:48], v[45:46]
	ds_read_b128 v[45:48], v44 offset:320
	s_waitcnt vmcnt(6) lgkmcnt(0)
	v_fma_f64 v[45:46], v[53:54], v[45:46], v[49:50]
	s_waitcnt vmcnt(4)
	v_fma_f64 v[45:46], v[55:56], v[47:48], v[45:46]
	ds_read_b64 v[47:48], v44 offset:336
	s_waitcnt vmcnt(2) lgkmcnt(0)
	v_fma_f64 v[45:46], v[57:58], v[47:48], v[45:46]
	s_waitcnt vmcnt(0)
	v_add_f64 v[45:46], v[59:60], -v[45:46]
	buffer_store_dword v45, off, s[0:3], 0 offset:120
	buffer_store_dword v46, off, s[0:3], 0 offset:124
	s_and_saveexec_b64 s[4:5], vcc
	s_cbranch_execz .LBB20_105
; %bb.104:
	buffer_load_dword v45, off, s[0:3], 0 offset:112
	buffer_load_dword v46, off, s[0:3], 0 offset:116
	s_waitcnt vmcnt(0)
	ds_write_b64 v43, v[45:46]
	buffer_store_dword v44, off, s[0:3], 0 offset:112
	buffer_store_dword v44, off, s[0:3], 0 offset:116
.LBB20_105:
	s_or_b64 exec, exec, s[4:5]
	s_waitcnt lgkmcnt(0)
	; wave barrier
	buffer_load_dword v49, off, s[0:3], 0 offset:120
	buffer_load_dword v50, off, s[0:3], 0 offset:124
	;; [unrolled: 1-line block ×14, first 2 shown]
	ds_read2_b64 v[45:48], v44 offset0:37 offset1:38
	v_cmp_lt_u32_e32 vcc, 13, v0
	s_waitcnt vmcnt(12) lgkmcnt(0)
	v_fma_f64 v[45:46], v[49:50], v[45:46], 0
	s_waitcnt vmcnt(10)
	v_fma_f64 v[49:50], v[51:52], v[47:48], v[45:46]
	ds_read2_b64 v[45:48], v44 offset0:39 offset1:40
	s_waitcnt vmcnt(8) lgkmcnt(0)
	v_fma_f64 v[45:46], v[53:54], v[45:46], v[49:50]
	s_waitcnt vmcnt(6)
	v_fma_f64 v[48:49], v[55:56], v[47:48], v[45:46]
	ds_read2_b64 v[44:47], v44 offset0:41 offset1:42
	s_waitcnt vmcnt(4) lgkmcnt(0)
	v_fma_f64 v[44:45], v[57:58], v[44:45], v[48:49]
	s_waitcnt vmcnt(2)
	v_fma_f64 v[44:45], v[59:60], v[46:47], v[44:45]
	s_waitcnt vmcnt(0)
	v_add_f64 v[44:45], v[61:62], -v[44:45]
	buffer_store_dword v44, off, s[0:3], 0 offset:112
	buffer_store_dword v45, off, s[0:3], 0 offset:116
	s_and_saveexec_b64 s[4:5], vcc
	s_cbranch_execz .LBB20_107
; %bb.106:
	buffer_load_dword v44, off, s[0:3], 0 offset:104
	buffer_load_dword v45, off, s[0:3], 0 offset:108
	v_mov_b32_e32 v46, 0
	buffer_store_dword v46, off, s[0:3], 0 offset:104
	buffer_store_dword v46, off, s[0:3], 0 offset:108
	s_waitcnt vmcnt(2)
	ds_write_b64 v43, v[44:45]
.LBB20_107:
	s_or_b64 exec, exec, s[4:5]
	s_waitcnt lgkmcnt(0)
	; wave barrier
	buffer_load_dword v53, off, s[0:3], 0 offset:112
	buffer_load_dword v54, off, s[0:3], 0 offset:116
	;; [unrolled: 1-line block ×16, first 2 shown]
	v_mov_b32_e32 v44, 0
	ds_read_b128 v[45:48], v44 offset:288
	ds_read_b128 v[49:52], v44 offset:304
	v_cmp_lt_u32_e32 vcc, 12, v0
	s_waitcnt vmcnt(14) lgkmcnt(1)
	v_fma_f64 v[45:46], v[53:54], v[45:46], 0
	s_waitcnt vmcnt(12)
	v_fma_f64 v[45:46], v[55:56], v[47:48], v[45:46]
	s_waitcnt vmcnt(10) lgkmcnt(0)
	v_fma_f64 v[45:46], v[57:58], v[49:50], v[45:46]
	s_waitcnt vmcnt(8)
	v_fma_f64 v[49:50], v[59:60], v[51:52], v[45:46]
	ds_read_b128 v[45:48], v44 offset:320
	ds_read_b64 v[51:52], v44 offset:336
	s_waitcnt vmcnt(6) lgkmcnt(1)
	v_fma_f64 v[45:46], v[61:62], v[45:46], v[49:50]
	s_waitcnt vmcnt(4)
	v_fma_f64 v[45:46], v[63:64], v[47:48], v[45:46]
	s_waitcnt vmcnt(2) lgkmcnt(0)
	v_fma_f64 v[45:46], v[65:66], v[51:52], v[45:46]
	s_waitcnt vmcnt(0)
	v_add_f64 v[45:46], v[67:68], -v[45:46]
	buffer_store_dword v45, off, s[0:3], 0 offset:104
	buffer_store_dword v46, off, s[0:3], 0 offset:108
	s_and_saveexec_b64 s[4:5], vcc
	s_cbranch_execz .LBB20_109
; %bb.108:
	buffer_load_dword v45, off, s[0:3], 0 offset:96
	buffer_load_dword v46, off, s[0:3], 0 offset:100
	s_waitcnt vmcnt(0)
	ds_write_b64 v43, v[45:46]
	buffer_store_dword v44, off, s[0:3], 0 offset:96
	buffer_store_dword v44, off, s[0:3], 0 offset:100
.LBB20_109:
	s_or_b64 exec, exec, s[4:5]
	s_waitcnt lgkmcnt(0)
	; wave barrier
	buffer_load_dword v53, off, s[0:3], 0 offset:104
	buffer_load_dword v54, off, s[0:3], 0 offset:108
	;; [unrolled: 1-line block ×18, first 2 shown]
	ds_read2_b64 v[45:48], v44 offset0:35 offset1:36
	ds_read2_b64 v[49:52], v44 offset0:37 offset1:38
	v_cmp_lt_u32_e32 vcc, 11, v0
	s_waitcnt vmcnt(16) lgkmcnt(1)
	v_fma_f64 v[45:46], v[53:54], v[45:46], 0
	s_waitcnt vmcnt(14)
	v_fma_f64 v[45:46], v[55:56], v[47:48], v[45:46]
	s_waitcnt vmcnt(12) lgkmcnt(0)
	v_fma_f64 v[45:46], v[57:58], v[49:50], v[45:46]
	s_waitcnt vmcnt(10)
	v_fma_f64 v[53:54], v[59:60], v[51:52], v[45:46]
	ds_read2_b64 v[45:48], v44 offset0:39 offset1:40
	ds_read2_b64 v[49:52], v44 offset0:41 offset1:42
	s_waitcnt vmcnt(8) lgkmcnt(1)
	v_fma_f64 v[44:45], v[61:62], v[45:46], v[53:54]
	s_waitcnt vmcnt(6)
	v_fma_f64 v[44:45], v[63:64], v[47:48], v[44:45]
	s_waitcnt vmcnt(4) lgkmcnt(0)
	v_fma_f64 v[44:45], v[65:66], v[49:50], v[44:45]
	s_waitcnt vmcnt(2)
	v_fma_f64 v[44:45], v[67:68], v[51:52], v[44:45]
	s_waitcnt vmcnt(0)
	v_add_f64 v[44:45], v[69:70], -v[44:45]
	buffer_store_dword v44, off, s[0:3], 0 offset:96
	buffer_store_dword v45, off, s[0:3], 0 offset:100
	s_and_saveexec_b64 s[4:5], vcc
	s_cbranch_execz .LBB20_111
; %bb.110:
	buffer_load_dword v44, off, s[0:3], 0 offset:88
	buffer_load_dword v45, off, s[0:3], 0 offset:92
	v_mov_b32_e32 v46, 0
	buffer_store_dword v46, off, s[0:3], 0 offset:88
	buffer_store_dword v46, off, s[0:3], 0 offset:92
	s_waitcnt vmcnt(2)
	ds_write_b64 v43, v[44:45]
.LBB20_111:
	s_or_b64 exec, exec, s[4:5]
	s_waitcnt lgkmcnt(0)
	; wave barrier
	buffer_load_dword v53, off, s[0:3], 0 offset:96
	buffer_load_dword v54, off, s[0:3], 0 offset:100
	;; [unrolled: 1-line block ×20, first 2 shown]
	v_mov_b32_e32 v44, 0
	ds_read_b128 v[45:48], v44 offset:272
	ds_read_b128 v[49:52], v44 offset:288
	v_cmp_lt_u32_e32 vcc, 10, v0
	s_waitcnt vmcnt(18) lgkmcnt(1)
	v_fma_f64 v[45:46], v[53:54], v[45:46], 0
	s_waitcnt vmcnt(16)
	v_fma_f64 v[45:46], v[55:56], v[47:48], v[45:46]
	s_waitcnt vmcnt(14) lgkmcnt(0)
	v_fma_f64 v[45:46], v[57:58], v[49:50], v[45:46]
	s_waitcnt vmcnt(12)
	v_fma_f64 v[53:54], v[59:60], v[51:52], v[45:46]
	ds_read_b128 v[45:48], v44 offset:304
	ds_read_b128 v[49:52], v44 offset:320
	s_waitcnt vmcnt(10) lgkmcnt(1)
	v_fma_f64 v[45:46], v[61:62], v[45:46], v[53:54]
	s_waitcnt vmcnt(8)
	v_fma_f64 v[45:46], v[63:64], v[47:48], v[45:46]
	ds_read_b64 v[47:48], v44 offset:336
	s_waitcnt vmcnt(6) lgkmcnt(1)
	v_fma_f64 v[45:46], v[65:66], v[49:50], v[45:46]
	s_waitcnt vmcnt(3)
	v_fma_f64 v[45:46], v[67:68], v[51:52], v[45:46]
	s_waitcnt vmcnt(2) lgkmcnt(0)
	v_fma_f64 v[45:46], v[69:70], v[47:48], v[45:46]
	s_waitcnt vmcnt(0)
	v_add_f64 v[45:46], v[71:72], -v[45:46]
	buffer_store_dword v45, off, s[0:3], 0 offset:88
	buffer_store_dword v46, off, s[0:3], 0 offset:92
	s_and_saveexec_b64 s[4:5], vcc
	s_cbranch_execz .LBB20_113
; %bb.112:
	buffer_load_dword v45, off, s[0:3], 0 offset:80
	buffer_load_dword v46, off, s[0:3], 0 offset:84
	s_waitcnt vmcnt(0)
	ds_write_b64 v43, v[45:46]
	buffer_store_dword v44, off, s[0:3], 0 offset:80
	buffer_store_dword v44, off, s[0:3], 0 offset:84
.LBB20_113:
	s_or_b64 exec, exec, s[4:5]
	s_waitcnt lgkmcnt(0)
	; wave barrier
	buffer_load_dword v53, off, s[0:3], 0 offset:88
	buffer_load_dword v54, off, s[0:3], 0 offset:92
	;; [unrolled: 1-line block ×20, first 2 shown]
	ds_read2_b64 v[45:48], v44 offset0:33 offset1:34
	buffer_load_dword v73, off, s[0:3], 0 offset:80
	buffer_load_dword v74, off, s[0:3], 0 offset:84
	ds_read2_b64 v[49:52], v44 offset0:35 offset1:36
	v_cmp_lt_u32_e32 vcc, 9, v0
	s_waitcnt vmcnt(20) lgkmcnt(1)
	v_fma_f64 v[45:46], v[53:54], v[45:46], 0
	s_waitcnt vmcnt(18)
	v_fma_f64 v[45:46], v[55:56], v[47:48], v[45:46]
	s_waitcnt vmcnt(16) lgkmcnt(0)
	v_fma_f64 v[45:46], v[57:58], v[49:50], v[45:46]
	s_waitcnt vmcnt(14)
	v_fma_f64 v[53:54], v[59:60], v[51:52], v[45:46]
	ds_read2_b64 v[45:48], v44 offset0:37 offset1:38
	ds_read2_b64 v[49:52], v44 offset0:39 offset1:40
	s_waitcnt vmcnt(12) lgkmcnt(1)
	v_fma_f64 v[45:46], v[61:62], v[45:46], v[53:54]
	s_waitcnt vmcnt(10)
	v_fma_f64 v[45:46], v[63:64], v[47:48], v[45:46]
	s_waitcnt vmcnt(8) lgkmcnt(0)
	v_fma_f64 v[45:46], v[65:66], v[49:50], v[45:46]
	s_waitcnt vmcnt(4)
	v_fma_f64 v[48:49], v[67:68], v[51:52], v[45:46]
	ds_read2_b64 v[44:47], v44 offset0:41 offset1:42
	s_waitcnt vmcnt(3) lgkmcnt(0)
	v_fma_f64 v[44:45], v[71:72], v[44:45], v[48:49]
	s_waitcnt vmcnt(2)
	v_fma_f64 v[44:45], v[69:70], v[46:47], v[44:45]
	s_waitcnt vmcnt(0)
	v_add_f64 v[44:45], v[73:74], -v[44:45]
	buffer_store_dword v44, off, s[0:3], 0 offset:80
	buffer_store_dword v45, off, s[0:3], 0 offset:84
	s_and_saveexec_b64 s[4:5], vcc
	s_cbranch_execz .LBB20_115
; %bb.114:
	buffer_load_dword v44, off, s[0:3], 0 offset:72
	buffer_load_dword v45, off, s[0:3], 0 offset:76
	v_mov_b32_e32 v46, 0
	buffer_store_dword v46, off, s[0:3], 0 offset:72
	buffer_store_dword v46, off, s[0:3], 0 offset:76
	s_waitcnt vmcnt(2)
	ds_write_b64 v43, v[44:45]
.LBB20_115:
	s_or_b64 exec, exec, s[4:5]
	s_waitcnt lgkmcnt(0)
	; wave barrier
	buffer_load_dword v53, off, s[0:3], 0 offset:80
	buffer_load_dword v54, off, s[0:3], 0 offset:84
	;; [unrolled: 1-line block ×21, first 2 shown]
	v_mov_b32_e32 v44, 0
	ds_read_b128 v[45:48], v44 offset:256
	ds_read_b128 v[49:52], v44 offset:272
	buffer_load_dword v70, off, s[0:3], 0 offset:164
	v_cmp_lt_u32_e32 vcc, 8, v0
	s_waitcnt vmcnt(20) lgkmcnt(1)
	v_fma_f64 v[45:46], v[53:54], v[45:46], 0
	buffer_load_dword v53, off, s[0:3], 0 offset:72
	buffer_load_dword v54, off, s[0:3], 0 offset:76
	s_waitcnt vmcnt(20)
	v_fma_f64 v[45:46], v[55:56], v[47:48], v[45:46]
	s_waitcnt vmcnt(18) lgkmcnt(0)
	v_fma_f64 v[45:46], v[57:58], v[49:50], v[45:46]
	s_waitcnt vmcnt(16)
	v_fma_f64 v[55:56], v[59:60], v[51:52], v[45:46]
	ds_read_b128 v[45:48], v44 offset:288
	ds_read_b128 v[49:52], v44 offset:304
	s_waitcnt vmcnt(14) lgkmcnt(1)
	v_fma_f64 v[45:46], v[61:62], v[45:46], v[55:56]
	s_waitcnt vmcnt(12)
	v_fma_f64 v[45:46], v[63:64], v[47:48], v[45:46]
	s_waitcnt vmcnt(10) lgkmcnt(0)
	v_fma_f64 v[45:46], v[65:66], v[49:50], v[45:46]
	s_waitcnt vmcnt(5)
	v_fma_f64 v[49:50], v[67:68], v[51:52], v[45:46]
	ds_read_b128 v[45:48], v44 offset:320
	ds_read_b64 v[51:52], v44 offset:336
	s_waitcnt vmcnt(4) lgkmcnt(1)
	v_fma_f64 v[45:46], v[73:74], v[45:46], v[49:50]
	s_waitcnt vmcnt(3)
	v_fma_f64 v[45:46], v[71:72], v[47:48], v[45:46]
	s_waitcnt vmcnt(2) lgkmcnt(0)
	v_fma_f64 v[45:46], v[69:70], v[51:52], v[45:46]
	s_waitcnt vmcnt(0)
	v_add_f64 v[45:46], v[53:54], -v[45:46]
	buffer_store_dword v46, off, s[0:3], 0 offset:76
	buffer_store_dword v45, off, s[0:3], 0 offset:72
	s_and_saveexec_b64 s[4:5], vcc
	s_cbranch_execz .LBB20_117
; %bb.116:
	buffer_load_dword v45, off, s[0:3], 0 offset:64
	buffer_load_dword v46, off, s[0:3], 0 offset:68
	s_waitcnt vmcnt(0)
	ds_write_b64 v43, v[45:46]
	buffer_store_dword v44, off, s[0:3], 0 offset:64
	buffer_store_dword v44, off, s[0:3], 0 offset:68
.LBB20_117:
	s_or_b64 exec, exec, s[4:5]
	s_waitcnt lgkmcnt(0)
	; wave barrier
	buffer_load_dword v53, off, s[0:3], 0 offset:72
	buffer_load_dword v54, off, s[0:3], 0 offset:76
	;; [unrolled: 1-line block ×21, first 2 shown]
	ds_read2_b64 v[45:48], v44 offset0:31 offset1:32
	ds_read2_b64 v[49:52], v44 offset0:33 offset1:34
	buffer_load_dword v70, off, s[0:3], 0 offset:156
	v_cmp_lt_u32_e32 vcc, 7, v0
	s_waitcnt vmcnt(20) lgkmcnt(1)
	v_fma_f64 v[45:46], v[53:54], v[45:46], 0
	buffer_load_dword v54, off, s[0:3], 0 offset:164
	buffer_load_dword v53, off, s[0:3], 0 offset:160
	s_waitcnt vmcnt(20)
	v_fma_f64 v[45:46], v[55:56], v[47:48], v[45:46]
	buffer_load_dword v55, off, s[0:3], 0 offset:64
	buffer_load_dword v56, off, s[0:3], 0 offset:68
	s_waitcnt vmcnt(20) lgkmcnt(0)
	v_fma_f64 v[45:46], v[57:58], v[49:50], v[45:46]
	s_waitcnt vmcnt(18)
	v_fma_f64 v[57:58], v[59:60], v[51:52], v[45:46]
	ds_read2_b64 v[45:48], v44 offset0:35 offset1:36
	ds_read2_b64 v[49:52], v44 offset0:37 offset1:38
	s_waitcnt vmcnt(16) lgkmcnt(1)
	v_fma_f64 v[45:46], v[61:62], v[45:46], v[57:58]
	s_waitcnt vmcnt(14)
	v_fma_f64 v[45:46], v[63:64], v[47:48], v[45:46]
	s_waitcnt vmcnt(12) lgkmcnt(0)
	v_fma_f64 v[45:46], v[65:66], v[49:50], v[45:46]
	s_waitcnt vmcnt(7)
	v_fma_f64 v[57:58], v[67:68], v[51:52], v[45:46]
	ds_read2_b64 v[45:48], v44 offset0:39 offset1:40
	ds_read2_b64 v[49:52], v44 offset0:41 offset1:42
	s_waitcnt vmcnt(6) lgkmcnt(1)
	v_fma_f64 v[44:45], v[73:74], v[45:46], v[57:58]
	s_waitcnt vmcnt(5)
	v_fma_f64 v[44:45], v[71:72], v[47:48], v[44:45]
	s_waitcnt vmcnt(4) lgkmcnt(0)
	v_fma_f64 v[44:45], v[69:70], v[49:50], v[44:45]
	s_waitcnt vmcnt(2)
	v_fma_f64 v[44:45], v[53:54], v[51:52], v[44:45]
	s_waitcnt vmcnt(0)
	v_add_f64 v[44:45], v[55:56], -v[44:45]
	buffer_store_dword v45, off, s[0:3], 0 offset:68
	buffer_store_dword v44, off, s[0:3], 0 offset:64
	s_and_saveexec_b64 s[4:5], vcc
	s_cbranch_execz .LBB20_119
; %bb.118:
	buffer_load_dword v44, off, s[0:3], 0 offset:56
	buffer_load_dword v45, off, s[0:3], 0 offset:60
	v_mov_b32_e32 v46, 0
	buffer_store_dword v46, off, s[0:3], 0 offset:56
	buffer_store_dword v46, off, s[0:3], 0 offset:60
	s_waitcnt vmcnt(2)
	ds_write_b64 v43, v[44:45]
.LBB20_119:
	s_or_b64 exec, exec, s[4:5]
	s_waitcnt lgkmcnt(0)
	; wave barrier
	buffer_load_dword v53, off, s[0:3], 0 offset:64
	buffer_load_dword v54, off, s[0:3], 0 offset:68
	buffer_load_dword v55, off, s[0:3], 0 offset:72
	buffer_load_dword v56, off, s[0:3], 0 offset:76
	buffer_load_dword v57, off, s[0:3], 0 offset:80
	buffer_load_dword v58, off, s[0:3], 0 offset:84
	buffer_load_dword v59, off, s[0:3], 0 offset:88
	buffer_load_dword v60, off, s[0:3], 0 offset:92
	buffer_load_dword v61, off, s[0:3], 0 offset:96
	buffer_load_dword v62, off, s[0:3], 0 offset:100
	buffer_load_dword v63, off, s[0:3], 0 offset:104
	buffer_load_dword v64, off, s[0:3], 0 offset:108
	buffer_load_dword v65, off, s[0:3], 0 offset:112
	buffer_load_dword v66, off, s[0:3], 0 offset:116
	buffer_load_dword v68, off, s[0:3], 0 offset:124
	buffer_load_dword v69, off, s[0:3], 0 offset:144
	buffer_load_dword v71, off, s[0:3], 0 offset:136
	buffer_load_dword v73, off, s[0:3], 0 offset:128
	buffer_load_dword v67, off, s[0:3], 0 offset:120
	buffer_load_dword v74, off, s[0:3], 0 offset:132
	buffer_load_dword v72, off, s[0:3], 0 offset:140
	v_mov_b32_e32 v44, 0
	ds_read_b128 v[45:48], v44 offset:240
	ds_read_b128 v[49:52], v44 offset:256
	buffer_load_dword v70, off, s[0:3], 0 offset:148
	v_cmp_lt_u32_e32 vcc, 6, v0
	s_waitcnt vmcnt(20) lgkmcnt(1)
	v_fma_f64 v[45:46], v[53:54], v[45:46], 0
	s_waitcnt vmcnt(18)
	v_fma_f64 v[45:46], v[55:56], v[47:48], v[45:46]
	buffer_load_dword v54, off, s[0:3], 0 offset:156
	buffer_load_dword v55, off, s[0:3], 0 offset:160
	;; [unrolled: 1-line block ×4, first 2 shown]
	s_waitcnt vmcnt(20) lgkmcnt(0)
	v_fma_f64 v[45:46], v[57:58], v[49:50], v[45:46]
	buffer_load_dword v57, off, s[0:3], 0 offset:56
	buffer_load_dword v58, off, s[0:3], 0 offset:60
	s_waitcnt vmcnt(20)
	v_fma_f64 v[59:60], v[59:60], v[51:52], v[45:46]
	ds_read_b128 v[45:48], v44 offset:272
	ds_read_b128 v[49:52], v44 offset:288
	s_waitcnt vmcnt(18) lgkmcnt(1)
	v_fma_f64 v[45:46], v[61:62], v[45:46], v[59:60]
	s_waitcnt vmcnt(16)
	v_fma_f64 v[45:46], v[63:64], v[47:48], v[45:46]
	s_waitcnt vmcnt(14) lgkmcnt(0)
	v_fma_f64 v[45:46], v[65:66], v[49:50], v[45:46]
	s_waitcnt vmcnt(9)
	v_fma_f64 v[59:60], v[67:68], v[51:52], v[45:46]
	ds_read_b128 v[45:48], v44 offset:304
	ds_read_b128 v[49:52], v44 offset:320
	s_waitcnt vmcnt(8) lgkmcnt(1)
	v_fma_f64 v[45:46], v[73:74], v[45:46], v[59:60]
	s_waitcnt vmcnt(7)
	v_fma_f64 v[45:46], v[71:72], v[47:48], v[45:46]
	ds_read_b64 v[47:48], v44 offset:336
	s_waitcnt vmcnt(6) lgkmcnt(1)
	v_fma_f64 v[45:46], v[69:70], v[49:50], v[45:46]
	s_waitcnt vmcnt(3)
	v_fma_f64 v[45:46], v[53:54], v[51:52], v[45:46]
	s_waitcnt vmcnt(2) lgkmcnt(0)
	v_fma_f64 v[45:46], v[55:56], v[47:48], v[45:46]
	s_waitcnt vmcnt(0)
	v_add_f64 v[45:46], v[57:58], -v[45:46]
	buffer_store_dword v46, off, s[0:3], 0 offset:60
	buffer_store_dword v45, off, s[0:3], 0 offset:56
	s_and_saveexec_b64 s[4:5], vcc
	s_cbranch_execz .LBB20_121
; %bb.120:
	buffer_load_dword v45, off, s[0:3], 0 offset:48
	buffer_load_dword v46, off, s[0:3], 0 offset:52
	s_waitcnt vmcnt(0)
	ds_write_b64 v43, v[45:46]
	buffer_store_dword v44, off, s[0:3], 0 offset:48
	buffer_store_dword v44, off, s[0:3], 0 offset:52
.LBB20_121:
	s_or_b64 exec, exec, s[4:5]
	s_waitcnt lgkmcnt(0)
	; wave barrier
	buffer_load_dword v53, off, s[0:3], 0 offset:56
	buffer_load_dword v54, off, s[0:3], 0 offset:60
	;; [unrolled: 1-line block ×22, first 2 shown]
	ds_read2_b64 v[45:48], v44 offset0:29 offset1:30
	ds_read2_b64 v[49:52], v44 offset0:31 offset1:32
	v_cmp_lt_u32_e32 vcc, 5, v0
	s_waitcnt vmcnt(20) lgkmcnt(1)
	v_fma_f64 v[45:46], v[53:54], v[45:46], 0
	s_waitcnt vmcnt(18)
	v_fma_f64 v[45:46], v[55:56], v[47:48], v[45:46]
	buffer_load_dword v54, off, s[0:3], 0 offset:148
	buffer_load_dword v55, off, s[0:3], 0 offset:160
	buffer_load_dword v75, off, s[0:3], 0 offset:152
	buffer_load_dword v53, off, s[0:3], 0 offset:144
	buffer_load_dword v76, off, s[0:3], 0 offset:156
	buffer_load_dword v56, off, s[0:3], 0 offset:164
	s_waitcnt vmcnt(22) lgkmcnt(0)
	v_fma_f64 v[45:46], v[57:58], v[49:50], v[45:46]
	s_waitcnt vmcnt(20)
	v_fma_f64 v[57:58], v[59:60], v[51:52], v[45:46]
	ds_read2_b64 v[45:48], v44 offset0:33 offset1:34
	buffer_load_dword v59, off, s[0:3], 0 offset:48
	buffer_load_dword v60, off, s[0:3], 0 offset:52
	ds_read2_b64 v[49:52], v44 offset0:35 offset1:36
	s_waitcnt vmcnt(20) lgkmcnt(1)
	v_fma_f64 v[45:46], v[61:62], v[45:46], v[57:58]
	s_waitcnt vmcnt(18)
	v_fma_f64 v[45:46], v[63:64], v[47:48], v[45:46]
	s_waitcnt vmcnt(16) lgkmcnt(0)
	v_fma_f64 v[45:46], v[65:66], v[49:50], v[45:46]
	s_waitcnt vmcnt(11)
	v_fma_f64 v[57:58], v[67:68], v[51:52], v[45:46]
	ds_read2_b64 v[45:48], v44 offset0:37 offset1:38
	ds_read2_b64 v[49:52], v44 offset0:39 offset1:40
	s_waitcnt vmcnt(10) lgkmcnt(1)
	v_fma_f64 v[45:46], v[73:74], v[45:46], v[57:58]
	s_waitcnt vmcnt(9)
	v_fma_f64 v[45:46], v[71:72], v[47:48], v[45:46]
	s_waitcnt vmcnt(8) lgkmcnt(0)
	v_fma_f64 v[45:46], v[69:70], v[49:50], v[45:46]
	s_waitcnt vmcnt(4)
	v_fma_f64 v[48:49], v[53:54], v[51:52], v[45:46]
	ds_read2_b64 v[44:47], v44 offset0:41 offset1:42
	s_waitcnt vmcnt(3) lgkmcnt(0)
	v_fma_f64 v[44:45], v[75:76], v[44:45], v[48:49]
	s_waitcnt vmcnt(2)
	v_fma_f64 v[44:45], v[55:56], v[46:47], v[44:45]
	s_waitcnt vmcnt(0)
	v_add_f64 v[44:45], v[59:60], -v[44:45]
	buffer_store_dword v45, off, s[0:3], 0 offset:52
	buffer_store_dword v44, off, s[0:3], 0 offset:48
	s_and_saveexec_b64 s[4:5], vcc
	s_cbranch_execz .LBB20_123
; %bb.122:
	buffer_load_dword v44, off, s[0:3], 0 offset:40
	buffer_load_dword v45, off, s[0:3], 0 offset:44
	v_mov_b32_e32 v46, 0
	buffer_store_dword v46, off, s[0:3], 0 offset:40
	buffer_store_dword v46, off, s[0:3], 0 offset:44
	s_waitcnt vmcnt(2)
	ds_write_b64 v43, v[44:45]
.LBB20_123:
	s_or_b64 exec, exec, s[4:5]
	s_waitcnt lgkmcnt(0)
	; wave barrier
	buffer_load_dword v53, off, s[0:3], 0 offset:48
	buffer_load_dword v54, off, s[0:3], 0 offset:52
	;; [unrolled: 1-line block ×22, first 2 shown]
	v_mov_b32_e32 v44, 0
	ds_read_b128 v[45:48], v44 offset:224
	ds_read_b128 v[49:52], v44 offset:240
	v_cmp_lt_u32_e32 vcc, 4, v0
	s_waitcnt vmcnt(20) lgkmcnt(1)
	v_fma_f64 v[45:46], v[53:54], v[45:46], 0
	s_waitcnt vmcnt(18)
	v_fma_f64 v[45:46], v[55:56], v[47:48], v[45:46]
	buffer_load_dword v54, off, s[0:3], 0 offset:140
	buffer_load_dword v55, off, s[0:3], 0 offset:160
	;; [unrolled: 1-line block ×8, first 2 shown]
	s_waitcnt vmcnt(24) lgkmcnt(0)
	v_fma_f64 v[45:46], v[57:58], v[49:50], v[45:46]
	s_waitcnt vmcnt(22)
	v_fma_f64 v[57:58], v[59:60], v[51:52], v[45:46]
	ds_read_b128 v[45:48], v44 offset:256
	ds_read_b128 v[49:52], v44 offset:272
	s_waitcnt vmcnt(20) lgkmcnt(1)
	v_fma_f64 v[45:46], v[61:62], v[45:46], v[57:58]
	buffer_load_dword v57, off, s[0:3], 0 offset:40
	buffer_load_dword v58, off, s[0:3], 0 offset:44
	s_waitcnt vmcnt(20)
	v_fma_f64 v[45:46], v[63:64], v[47:48], v[45:46]
	s_waitcnt vmcnt(18) lgkmcnt(0)
	v_fma_f64 v[45:46], v[65:66], v[49:50], v[45:46]
	s_waitcnt vmcnt(13)
	v_fma_f64 v[59:60], v[67:68], v[51:52], v[45:46]
	ds_read_b128 v[45:48], v44 offset:288
	ds_read_b128 v[49:52], v44 offset:304
	s_waitcnt vmcnt(12) lgkmcnt(1)
	v_fma_f64 v[45:46], v[73:74], v[45:46], v[59:60]
	s_waitcnt vmcnt(11)
	v_fma_f64 v[45:46], v[71:72], v[47:48], v[45:46]
	s_waitcnt vmcnt(10) lgkmcnt(0)
	v_fma_f64 v[45:46], v[69:70], v[49:50], v[45:46]
	s_waitcnt vmcnt(5)
	v_fma_f64 v[49:50], v[53:54], v[51:52], v[45:46]
	ds_read_b128 v[45:48], v44 offset:320
	ds_read_b64 v[51:52], v44 offset:336
	s_waitcnt vmcnt(4) lgkmcnt(1)
	v_fma_f64 v[45:46], v[77:78], v[45:46], v[49:50]
	s_waitcnt vmcnt(3)
	v_fma_f64 v[45:46], v[75:76], v[47:48], v[45:46]
	s_waitcnt vmcnt(2) lgkmcnt(0)
	v_fma_f64 v[45:46], v[55:56], v[51:52], v[45:46]
	s_waitcnt vmcnt(0)
	v_add_f64 v[45:46], v[57:58], -v[45:46]
	buffer_store_dword v46, off, s[0:3], 0 offset:44
	buffer_store_dword v45, off, s[0:3], 0 offset:40
	s_and_saveexec_b64 s[4:5], vcc
	s_cbranch_execz .LBB20_125
; %bb.124:
	buffer_load_dword v45, off, s[0:3], 0 offset:32
	buffer_load_dword v46, off, s[0:3], 0 offset:36
	s_waitcnt vmcnt(0)
	ds_write_b64 v43, v[45:46]
	buffer_store_dword v44, off, s[0:3], 0 offset:32
	buffer_store_dword v44, off, s[0:3], 0 offset:36
.LBB20_125:
	s_or_b64 exec, exec, s[4:5]
	s_waitcnt lgkmcnt(0)
	; wave barrier
	buffer_load_dword v53, off, s[0:3], 0 offset:40
	buffer_load_dword v54, off, s[0:3], 0 offset:44
	;; [unrolled: 1-line block ×22, first 2 shown]
	ds_read2_b64 v[45:48], v44 offset0:27 offset1:28
	ds_read2_b64 v[49:52], v44 offset0:29 offset1:30
	v_cmp_lt_u32_e32 vcc, 3, v0
	s_waitcnt vmcnt(20) lgkmcnt(1)
	v_fma_f64 v[45:46], v[53:54], v[45:46], 0
	s_waitcnt vmcnt(18)
	v_fma_f64 v[45:46], v[55:56], v[47:48], v[45:46]
	buffer_load_dword v54, off, s[0:3], 0 offset:132
	buffer_load_dword v55, off, s[0:3], 0 offset:152
	;; [unrolled: 1-line block ×8, first 2 shown]
	s_waitcnt vmcnt(24) lgkmcnt(0)
	v_fma_f64 v[45:46], v[57:58], v[49:50], v[45:46]
	s_waitcnt vmcnt(22)
	v_fma_f64 v[57:58], v[59:60], v[51:52], v[45:46]
	ds_read2_b64 v[45:48], v44 offset0:31 offset1:32
	ds_read2_b64 v[49:52], v44 offset0:33 offset1:34
	s_waitcnt vmcnt(20) lgkmcnt(1)
	v_fma_f64 v[45:46], v[61:62], v[45:46], v[57:58]
	buffer_load_dword v58, off, s[0:3], 0 offset:164
	buffer_load_dword v57, off, s[0:3], 0 offset:160
	;; [unrolled: 1-line block ×4, first 2 shown]
	s_waitcnt vmcnt(22)
	v_fma_f64 v[45:46], v[63:64], v[47:48], v[45:46]
	s_waitcnt vmcnt(20) lgkmcnt(0)
	v_fma_f64 v[45:46], v[65:66], v[49:50], v[45:46]
	s_waitcnt vmcnt(15)
	v_fma_f64 v[61:62], v[67:68], v[51:52], v[45:46]
	ds_read2_b64 v[45:48], v44 offset0:35 offset1:36
	ds_read2_b64 v[49:52], v44 offset0:37 offset1:38
	s_waitcnt vmcnt(14) lgkmcnt(1)
	v_fma_f64 v[45:46], v[73:74], v[45:46], v[61:62]
	s_waitcnt vmcnt(13)
	v_fma_f64 v[45:46], v[71:72], v[47:48], v[45:46]
	s_waitcnt vmcnt(12) lgkmcnt(0)
	v_fma_f64 v[45:46], v[69:70], v[49:50], v[45:46]
	s_waitcnt vmcnt(7)
	v_fma_f64 v[53:54], v[53:54], v[51:52], v[45:46]
	ds_read2_b64 v[45:48], v44 offset0:39 offset1:40
	ds_read2_b64 v[49:52], v44 offset0:41 offset1:42
	s_waitcnt vmcnt(6) lgkmcnt(1)
	v_fma_f64 v[44:45], v[77:78], v[45:46], v[53:54]
	s_waitcnt vmcnt(5)
	v_fma_f64 v[44:45], v[75:76], v[47:48], v[44:45]
	s_waitcnt vmcnt(4) lgkmcnt(0)
	v_fma_f64 v[44:45], v[55:56], v[49:50], v[44:45]
	s_waitcnt vmcnt(2)
	v_fma_f64 v[44:45], v[57:58], v[51:52], v[44:45]
	s_waitcnt vmcnt(0)
	v_add_f64 v[44:45], v[59:60], -v[44:45]
	buffer_store_dword v45, off, s[0:3], 0 offset:36
	buffer_store_dword v44, off, s[0:3], 0 offset:32
	s_and_saveexec_b64 s[4:5], vcc
	s_cbranch_execz .LBB20_127
; %bb.126:
	buffer_load_dword v44, off, s[0:3], 0 offset:24
	buffer_load_dword v45, off, s[0:3], 0 offset:28
	v_mov_b32_e32 v46, 0
	buffer_store_dword v46, off, s[0:3], 0 offset:24
	buffer_store_dword v46, off, s[0:3], 0 offset:28
	s_waitcnt vmcnt(2)
	ds_write_b64 v43, v[44:45]
.LBB20_127:
	s_or_b64 exec, exec, s[4:5]
	s_waitcnt lgkmcnt(0)
	; wave barrier
	buffer_load_dword v53, off, s[0:3], 0 offset:32
	buffer_load_dword v54, off, s[0:3], 0 offset:36
	;; [unrolled: 1-line block ×22, first 2 shown]
	v_mov_b32_e32 v44, 0
	ds_read_b128 v[45:48], v44 offset:208
	ds_read_b128 v[49:52], v44 offset:224
	v_cmp_lt_u32_e32 vcc, 2, v0
	s_waitcnt vmcnt(20) lgkmcnt(1)
	v_fma_f64 v[45:46], v[53:54], v[45:46], 0
	s_waitcnt vmcnt(18)
	v_fma_f64 v[45:46], v[55:56], v[47:48], v[45:46]
	buffer_load_dword v54, off, s[0:3], 0 offset:124
	buffer_load_dword v55, off, s[0:3], 0 offset:144
	;; [unrolled: 1-line block ×7, first 2 shown]
	s_waitcnt vmcnt(23) lgkmcnt(0)
	v_fma_f64 v[45:46], v[57:58], v[49:50], v[45:46]
	s_waitcnt vmcnt(21)
	v_fma_f64 v[56:57], v[59:60], v[51:52], v[45:46]
	ds_read_b128 v[45:48], v44 offset:240
	ds_read_b128 v[49:52], v44 offset:256
	s_waitcnt vmcnt(19) lgkmcnt(1)
	v_fma_f64 v[45:46], v[61:62], v[45:46], v[56:57]
	buffer_load_dword v56, off, s[0:3], 0 offset:148
	buffer_load_dword v58, off, s[0:3], 0 offset:156
	;; [unrolled: 1-line block ×7, first 2 shown]
	s_waitcnt vmcnt(24)
	v_fma_f64 v[45:46], v[63:64], v[47:48], v[45:46]
	s_waitcnt vmcnt(22) lgkmcnt(0)
	v_fma_f64 v[45:46], v[65:66], v[49:50], v[45:46]
	s_waitcnt vmcnt(17)
	v_fma_f64 v[63:64], v[67:68], v[51:52], v[45:46]
	ds_read_b128 v[45:48], v44 offset:272
	ds_read_b128 v[49:52], v44 offset:288
	s_waitcnt vmcnt(16) lgkmcnt(1)
	v_fma_f64 v[45:46], v[73:74], v[45:46], v[63:64]
	s_waitcnt vmcnt(15)
	v_fma_f64 v[45:46], v[71:72], v[47:48], v[45:46]
	s_waitcnt vmcnt(14) lgkmcnt(0)
	v_fma_f64 v[45:46], v[69:70], v[49:50], v[45:46]
	s_waitcnt vmcnt(9)
	v_fma_f64 v[53:54], v[53:54], v[51:52], v[45:46]
	ds_read_b128 v[45:48], v44 offset:304
	ds_read_b128 v[49:52], v44 offset:320
	s_waitcnt vmcnt(8) lgkmcnt(1)
	v_fma_f64 v[45:46], v[77:78], v[45:46], v[53:54]
	s_waitcnt vmcnt(7)
	v_fma_f64 v[45:46], v[75:76], v[47:48], v[45:46]
	ds_read_b64 v[47:48], v44 offset:336
	s_waitcnt vmcnt(6) lgkmcnt(1)
	v_fma_f64 v[45:46], v[55:56], v[49:50], v[45:46]
	s_waitcnt vmcnt(3)
	v_fma_f64 v[45:46], v[57:58], v[51:52], v[45:46]
	s_waitcnt vmcnt(2) lgkmcnt(0)
	v_fma_f64 v[45:46], v[59:60], v[47:48], v[45:46]
	s_waitcnt vmcnt(0)
	v_add_f64 v[45:46], v[61:62], -v[45:46]
	buffer_store_dword v46, off, s[0:3], 0 offset:28
	buffer_store_dword v45, off, s[0:3], 0 offset:24
	s_and_saveexec_b64 s[4:5], vcc
	s_cbranch_execz .LBB20_129
; %bb.128:
	buffer_load_dword v45, off, s[0:3], 0 offset:16
	buffer_load_dword v46, off, s[0:3], 0 offset:20
	s_waitcnt vmcnt(0)
	ds_write_b64 v43, v[45:46]
	buffer_store_dword v44, off, s[0:3], 0 offset:16
	buffer_store_dword v44, off, s[0:3], 0 offset:20
.LBB20_129:
	s_or_b64 exec, exec, s[4:5]
	s_waitcnt lgkmcnt(0)
	; wave barrier
	buffer_load_dword v53, off, s[0:3], 0 offset:24
	buffer_load_dword v54, off, s[0:3], 0 offset:28
	buffer_load_dword v55, off, s[0:3], 0 offset:32
	buffer_load_dword v56, off, s[0:3], 0 offset:36
	buffer_load_dword v57, off, s[0:3], 0 offset:40
	buffer_load_dword v58, off, s[0:3], 0 offset:44
	buffer_load_dword v59, off, s[0:3], 0 offset:48
	buffer_load_dword v60, off, s[0:3], 0 offset:52
	buffer_load_dword v61, off, s[0:3], 0 offset:56
	buffer_load_dword v62, off, s[0:3], 0 offset:60
	buffer_load_dword v63, off, s[0:3], 0 offset:64
	buffer_load_dword v64, off, s[0:3], 0 offset:68
	buffer_load_dword v65, off, s[0:3], 0 offset:72
	buffer_load_dword v66, off, s[0:3], 0 offset:76
	buffer_load_dword v68, off, s[0:3], 0 offset:84
	buffer_load_dword v69, off, s[0:3], 0 offset:104
	buffer_load_dword v71, off, s[0:3], 0 offset:96
	buffer_load_dword v73, off, s[0:3], 0 offset:88
	buffer_load_dword v67, off, s[0:3], 0 offset:80
	buffer_load_dword v74, off, s[0:3], 0 offset:92
	buffer_load_dword v72, off, s[0:3], 0 offset:100
	buffer_load_dword v70, off, s[0:3], 0 offset:108
	ds_read2_b64 v[45:48], v44 offset0:25 offset1:26
	ds_read2_b64 v[49:52], v44 offset0:27 offset1:28
	v_cmp_lt_u32_e32 vcc, 1, v0
	s_waitcnt vmcnt(20) lgkmcnt(1)
	v_fma_f64 v[45:46], v[53:54], v[45:46], 0
	s_waitcnt vmcnt(18)
	v_fma_f64 v[45:46], v[55:56], v[47:48], v[45:46]
	buffer_load_dword v54, off, s[0:3], 0 offset:116
	buffer_load_dword v55, off, s[0:3], 0 offset:136
	;; [unrolled: 1-line block ×7, first 2 shown]
	s_waitcnt vmcnt(23) lgkmcnt(0)
	v_fma_f64 v[45:46], v[57:58], v[49:50], v[45:46]
	s_waitcnt vmcnt(21)
	v_fma_f64 v[56:57], v[59:60], v[51:52], v[45:46]
	ds_read2_b64 v[45:48], v44 offset0:29 offset1:30
	ds_read2_b64 v[49:52], v44 offset0:31 offset1:32
	s_waitcnt vmcnt(19) lgkmcnt(1)
	v_fma_f64 v[45:46], v[61:62], v[45:46], v[56:57]
	buffer_load_dword v56, off, s[0:3], 0 offset:140
	buffer_load_dword v58, off, s[0:3], 0 offset:148
	;; [unrolled: 1-line block ×7, first 2 shown]
	s_waitcnt vmcnt(24)
	v_fma_f64 v[45:46], v[63:64], v[47:48], v[45:46]
	s_waitcnt vmcnt(22) lgkmcnt(0)
	v_fma_f64 v[45:46], v[65:66], v[49:50], v[45:46]
	s_waitcnt vmcnt(17)
	v_fma_f64 v[63:64], v[67:68], v[51:52], v[45:46]
	ds_read2_b64 v[45:48], v44 offset0:33 offset1:34
	buffer_load_dword v65, off, s[0:3], 0 offset:16
	buffer_load_dword v66, off, s[0:3], 0 offset:20
	ds_read2_b64 v[49:52], v44 offset0:35 offset1:36
	s_waitcnt vmcnt(18) lgkmcnt(1)
	v_fma_f64 v[45:46], v[73:74], v[45:46], v[63:64]
	s_waitcnt vmcnt(17)
	v_fma_f64 v[45:46], v[71:72], v[47:48], v[45:46]
	s_waitcnt vmcnt(16) lgkmcnt(0)
	v_fma_f64 v[45:46], v[69:70], v[49:50], v[45:46]
	s_waitcnt vmcnt(11)
	v_fma_f64 v[53:54], v[53:54], v[51:52], v[45:46]
	ds_read2_b64 v[45:48], v44 offset0:37 offset1:38
	ds_read2_b64 v[49:52], v44 offset0:39 offset1:40
	s_waitcnt vmcnt(10) lgkmcnt(1)
	v_fma_f64 v[45:46], v[77:78], v[45:46], v[53:54]
	s_waitcnt vmcnt(9)
	v_fma_f64 v[45:46], v[75:76], v[47:48], v[45:46]
	s_waitcnt vmcnt(8) lgkmcnt(0)
	v_fma_f64 v[45:46], v[55:56], v[49:50], v[45:46]
	s_waitcnt vmcnt(4)
	v_fma_f64 v[48:49], v[57:58], v[51:52], v[45:46]
	ds_read2_b64 v[44:47], v44 offset0:41 offset1:42
	s_waitcnt vmcnt(3) lgkmcnt(0)
	v_fma_f64 v[44:45], v[61:62], v[44:45], v[48:49]
	s_waitcnt vmcnt(2)
	v_fma_f64 v[44:45], v[59:60], v[46:47], v[44:45]
	s_waitcnt vmcnt(0)
	v_add_f64 v[44:45], v[65:66], -v[44:45]
	buffer_store_dword v45, off, s[0:3], 0 offset:20
	buffer_store_dword v44, off, s[0:3], 0 offset:16
	s_and_saveexec_b64 s[4:5], vcc
	s_cbranch_execz .LBB20_131
; %bb.130:
	buffer_load_dword v44, off, s[0:3], 0 offset:8
	buffer_load_dword v45, off, s[0:3], 0 offset:12
	v_mov_b32_e32 v46, 0
	buffer_store_dword v46, off, s[0:3], 0 offset:8
	buffer_store_dword v46, off, s[0:3], 0 offset:12
	s_waitcnt vmcnt(2)
	ds_write_b64 v43, v[44:45]
.LBB20_131:
	s_or_b64 exec, exec, s[4:5]
	s_waitcnt lgkmcnt(0)
	; wave barrier
	buffer_load_dword v54, off, s[0:3], 0 offset:16
	buffer_load_dword v55, off, s[0:3], 0 offset:20
	;; [unrolled: 1-line block ×22, first 2 shown]
	v_mov_b32_e32 v45, 0
	ds_read_b128 v[46:49], v45 offset:192
	ds_read_b128 v[50:53], v45 offset:208
	v_cmp_ne_u32_e32 vcc, 0, v0
	s_waitcnt vmcnt(20) lgkmcnt(1)
	v_fma_f64 v[46:47], v[54:55], v[46:47], 0
	s_waitcnt vmcnt(18)
	v_fma_f64 v[46:47], v[56:57], v[48:49], v[46:47]
	buffer_load_dword v55, off, s[0:3], 0 offset:108
	buffer_load_dword v56, off, s[0:3], 0 offset:128
	;; [unrolled: 1-line block ×7, first 2 shown]
	s_waitcnt vmcnt(23) lgkmcnt(0)
	v_fma_f64 v[46:47], v[58:59], v[50:51], v[46:47]
	s_waitcnt vmcnt(21)
	v_fma_f64 v[57:58], v[60:61], v[52:53], v[46:47]
	ds_read_b128 v[46:49], v45 offset:224
	ds_read_b128 v[50:53], v45 offset:240
	s_waitcnt vmcnt(19) lgkmcnt(1)
	v_fma_f64 v[46:47], v[62:63], v[46:47], v[57:58]
	buffer_load_dword v57, off, s[0:3], 0 offset:132
	s_waitcnt vmcnt(18)
	v_fma_f64 v[46:47], v[64:65], v[48:49], v[46:47]
	buffer_load_dword v59, off, s[0:3], 0 offset:140
	buffer_load_dword v60, off, s[0:3], 0 offset:160
	;; [unrolled: 1-line block ×8, first 2 shown]
	s_waitcnt vmcnt(24) lgkmcnt(0)
	v_fma_f64 v[46:47], v[66:67], v[50:51], v[46:47]
	s_waitcnt vmcnt(19)
	v_fma_f64 v[66:67], v[68:69], v[52:53], v[46:47]
	ds_read_b128 v[46:49], v45 offset:256
	ds_read_b128 v[50:53], v45 offset:272
	s_waitcnt vmcnt(18) lgkmcnt(1)
	v_fma_f64 v[46:47], v[74:75], v[46:47], v[66:67]
	buffer_load_dword v66, off, s[0:3], 0 offset:8
	buffer_load_dword v67, off, s[0:3], 0 offset:12
	s_waitcnt vmcnt(19)
	v_fma_f64 v[46:47], v[72:73], v[48:49], v[46:47]
	s_waitcnt vmcnt(18) lgkmcnt(0)
	v_fma_f64 v[46:47], v[70:71], v[50:51], v[46:47]
	s_waitcnt vmcnt(13)
	v_fma_f64 v[54:55], v[54:55], v[52:53], v[46:47]
	ds_read_b128 v[46:49], v45 offset:288
	ds_read_b128 v[50:53], v45 offset:304
	s_waitcnt vmcnt(12) lgkmcnt(1)
	v_fma_f64 v[46:47], v[78:79], v[46:47], v[54:55]
	s_waitcnt vmcnt(11)
	v_fma_f64 v[46:47], v[76:77], v[48:49], v[46:47]
	s_waitcnt vmcnt(10) lgkmcnt(0)
	v_fma_f64 v[46:47], v[56:57], v[50:51], v[46:47]
	s_waitcnt vmcnt(5)
	v_fma_f64 v[50:51], v[58:59], v[52:53], v[46:47]
	ds_read_b128 v[46:49], v45 offset:320
	ds_read_b64 v[52:53], v45 offset:336
	s_waitcnt vmcnt(4) lgkmcnt(1)
	v_fma_f64 v[46:47], v[64:65], v[46:47], v[50:51]
	s_waitcnt vmcnt(3)
	v_fma_f64 v[46:47], v[62:63], v[48:49], v[46:47]
	s_waitcnt vmcnt(2) lgkmcnt(0)
	v_fma_f64 v[46:47], v[60:61], v[52:53], v[46:47]
	s_waitcnt vmcnt(0)
	v_add_f64 v[46:47], v[66:67], -v[46:47]
	buffer_store_dword v47, off, s[0:3], 0 offset:12
	buffer_store_dword v46, off, s[0:3], 0 offset:8
	s_and_saveexec_b64 s[4:5], vcc
	s_cbranch_execz .LBB20_133
; %bb.132:
	buffer_load_dword v46, off, s[0:3], 0
	buffer_load_dword v47, off, s[0:3], 0 offset:4
	s_waitcnt vmcnt(0)
	ds_write_b64 v43, v[46:47]
	buffer_store_dword v45, off, s[0:3], 0
	buffer_store_dword v45, off, s[0:3], 0 offset:4
.LBB20_133:
	s_or_b64 exec, exec, s[4:5]
	s_waitcnt lgkmcnt(0)
	; wave barrier
	buffer_load_dword v43, off, s[0:3], 0 offset:8
	buffer_load_dword v44, off, s[0:3], 0 offset:12
	;; [unrolled: 1-line block ×22, first 2 shown]
	ds_read2_b64 v[46:49], v45 offset0:23 offset1:24
	ds_read2_b64 v[50:53], v45 offset0:25 offset1:26
	s_and_b64 vcc, exec, s[22:23]
	s_waitcnt vmcnt(20) lgkmcnt(1)
	v_fma_f64 v[43:44], v[43:44], v[46:47], 0
	s_waitcnt vmcnt(18)
	v_fma_f64 v[43:44], v[54:55], v[48:49], v[43:44]
	buffer_load_dword v55, off, s[0:3], 0 offset:100
	buffer_load_dword v74, off, s[0:3], 0 offset:120
	;; [unrolled: 1-line block ×8, first 2 shown]
	ds_read2_b64 v[46:49], v45 offset0:27 offset1:28
	s_waitcnt vmcnt(24) lgkmcnt(1)
	v_fma_f64 v[43:44], v[56:57], v[50:51], v[43:44]
	s_waitcnt vmcnt(22)
	v_fma_f64 v[43:44], v[58:59], v[52:53], v[43:44]
	ds_read2_b64 v[50:53], v45 offset0:29 offset1:30
	s_waitcnt vmcnt(20) lgkmcnt(1)
	v_fma_f64 v[43:44], v[60:61], v[46:47], v[43:44]
	s_waitcnt vmcnt(18)
	v_fma_f64 v[46:47], v[62:63], v[48:49], v[43:44]
	buffer_load_dword v57, off, s[0:3], 0 offset:132
	buffer_load_dword v43, off, s[0:3], 0 offset:152
	;; [unrolled: 1-line block ×8, first 2 shown]
	s_waitcnt vmcnt(24) lgkmcnt(0)
	v_fma_f64 v[46:47], v[64:65], v[50:51], v[46:47]
	s_waitcnt vmcnt(19)
	v_fma_f64 v[62:63], v[66:67], v[52:53], v[46:47]
	ds_read2_b64 v[46:49], v45 offset0:31 offset1:32
	ds_read2_b64 v[50:53], v45 offset0:33 offset1:34
	s_waitcnt vmcnt(18) lgkmcnt(1)
	v_fma_f64 v[46:47], v[72:73], v[46:47], v[62:63]
	buffer_load_dword v63, off, s[0:3], 0 offset:164
	buffer_load_dword v62, off, s[0:3], 0 offset:160
	buffer_load_dword v64, off, s[0:3], 0
	buffer_load_dword v65, off, s[0:3], 0 offset:4
	s_waitcnt vmcnt(21)
	v_fma_f64 v[46:47], v[70:71], v[48:49], v[46:47]
	s_waitcnt vmcnt(20) lgkmcnt(0)
	v_fma_f64 v[46:47], v[68:69], v[50:51], v[46:47]
	s_waitcnt vmcnt(15)
	v_fma_f64 v[54:55], v[54:55], v[52:53], v[46:47]
	ds_read2_b64 v[46:49], v45 offset0:35 offset1:36
	ds_read2_b64 v[50:53], v45 offset0:37 offset1:38
	s_waitcnt vmcnt(14) lgkmcnt(1)
	v_fma_f64 v[46:47], v[78:79], v[46:47], v[54:55]
	s_waitcnt vmcnt(13)
	v_fma_f64 v[46:47], v[76:77], v[48:49], v[46:47]
	s_waitcnt vmcnt(12) lgkmcnt(0)
	v_fma_f64 v[46:47], v[74:75], v[50:51], v[46:47]
	s_waitcnt vmcnt(7)
	v_fma_f64 v[54:55], v[56:57], v[52:53], v[46:47]
	ds_read2_b64 v[46:49], v45 offset0:39 offset1:40
	ds_read2_b64 v[50:53], v45 offset0:41 offset1:42
	s_waitcnt vmcnt(6) lgkmcnt(1)
	v_fma_f64 v[45:46], v[60:61], v[46:47], v[54:55]
	s_waitcnt vmcnt(5)
	v_fma_f64 v[45:46], v[58:59], v[48:49], v[45:46]
	s_waitcnt vmcnt(4) lgkmcnt(0)
	v_fma_f64 v[45:46], v[43:44], v[50:51], v[45:46]
	s_waitcnt vmcnt(2)
	v_fma_f64 v[45:46], v[62:63], v[52:53], v[45:46]
	s_waitcnt vmcnt(0)
	v_add_f64 v[45:46], v[64:65], -v[45:46]
	buffer_store_dword v46, off, s[0:3], 0 offset:4
	buffer_store_dword v45, off, s[0:3], 0
	s_cbranch_vccz .LBB20_174
; %bb.134:
	v_mov_b32_e32 v0, 0
	global_load_dword v45, v0, s[20:21] offset:76
	s_waitcnt vmcnt(0)
	v_add_u32_e32 v45, -1, v45
	v_cmp_ne_u32_e32 vcc, 19, v45
	s_cbranch_vccz .LBB20_136
; %bb.135:
	v_lshlrev_b32_e32 v45, 3, v45
	buffer_load_dword v46, v45, s[0:3], 0 offen
	buffer_load_dword v47, v45, s[0:3], 0 offen offset:4
	s_waitcnt vmcnt(1)
	buffer_store_dword v46, off, s[0:3], 0 offset:152
	s_waitcnt vmcnt(1)
	buffer_store_dword v47, off, s[0:3], 0 offset:156
	buffer_store_dword v43, v45, s[0:3], 0 offen
	buffer_store_dword v44, v45, s[0:3], 0 offen offset:4
.LBB20_136:
	global_load_dword v0, v0, s[20:21] offset:72
	s_waitcnt vmcnt(0)
	v_add_u32_e32 v0, -1, v0
	v_cmp_eq_u32_e32 vcc, 18, v0
	s_cbranch_vccnz .LBB20_138
; %bb.137:
	v_lshlrev_b32_e32 v0, 3, v0
	buffer_load_dword v43, v0, s[0:3], 0 offen
	buffer_load_dword v44, v0, s[0:3], 0 offen offset:4
	buffer_load_dword v45, off, s[0:3], 0 offset:148
	buffer_load_dword v46, off, s[0:3], 0 offset:144
	s_waitcnt vmcnt(3)
	buffer_store_dword v43, off, s[0:3], 0 offset:144
	s_waitcnt vmcnt(3)
	buffer_store_dword v44, off, s[0:3], 0 offset:148
	s_waitcnt vmcnt(3)
	buffer_store_dword v45, v0, s[0:3], 0 offen offset:4
	s_waitcnt vmcnt(3)
	buffer_store_dword v46, v0, s[0:3], 0 offen
.LBB20_138:
	v_mov_b32_e32 v0, 0
	global_load_dword v43, v0, s[20:21] offset:68
	s_waitcnt vmcnt(0)
	v_add_u32_e32 v43, -1, v43
	v_cmp_eq_u32_e32 vcc, 17, v43
	s_cbranch_vccnz .LBB20_140
; %bb.139:
	v_lshlrev_b32_e32 v43, 3, v43
	buffer_load_dword v44, v43, s[0:3], 0 offen
	buffer_load_dword v45, v43, s[0:3], 0 offen offset:4
	buffer_load_dword v46, off, s[0:3], 0 offset:136
	buffer_load_dword v47, off, s[0:3], 0 offset:140
	s_waitcnt vmcnt(3)
	buffer_store_dword v44, off, s[0:3], 0 offset:136
	s_waitcnt vmcnt(3)
	buffer_store_dword v45, off, s[0:3], 0 offset:140
	s_waitcnt vmcnt(3)
	buffer_store_dword v46, v43, s[0:3], 0 offen
	s_waitcnt vmcnt(3)
	buffer_store_dword v47, v43, s[0:3], 0 offen offset:4
.LBB20_140:
	global_load_dword v0, v0, s[20:21] offset:64
	s_waitcnt vmcnt(0)
	v_add_u32_e32 v0, -1, v0
	v_cmp_eq_u32_e32 vcc, 16, v0
	s_cbranch_vccnz .LBB20_142
; %bb.141:
	v_lshlrev_b32_e32 v0, 3, v0
	buffer_load_dword v43, v0, s[0:3], 0 offen
	buffer_load_dword v44, v0, s[0:3], 0 offen offset:4
	buffer_load_dword v45, off, s[0:3], 0 offset:132
	buffer_load_dword v46, off, s[0:3], 0 offset:128
	s_waitcnt vmcnt(3)
	buffer_store_dword v43, off, s[0:3], 0 offset:128
	s_waitcnt vmcnt(3)
	buffer_store_dword v44, off, s[0:3], 0 offset:132
	s_waitcnt vmcnt(3)
	buffer_store_dword v45, v0, s[0:3], 0 offen offset:4
	s_waitcnt vmcnt(3)
	buffer_store_dword v46, v0, s[0:3], 0 offen
.LBB20_142:
	v_mov_b32_e32 v0, 0
	global_load_dword v43, v0, s[20:21] offset:60
	s_waitcnt vmcnt(0)
	v_add_u32_e32 v43, -1, v43
	v_cmp_eq_u32_e32 vcc, 15, v43
	s_cbranch_vccnz .LBB20_144
; %bb.143:
	v_lshlrev_b32_e32 v43, 3, v43
	buffer_load_dword v44, v43, s[0:3], 0 offen
	buffer_load_dword v45, v43, s[0:3], 0 offen offset:4
	buffer_load_dword v46, off, s[0:3], 0 offset:120
	buffer_load_dword v47, off, s[0:3], 0 offset:124
	s_waitcnt vmcnt(3)
	buffer_store_dword v44, off, s[0:3], 0 offset:120
	s_waitcnt vmcnt(3)
	buffer_store_dword v45, off, s[0:3], 0 offset:124
	s_waitcnt vmcnt(3)
	buffer_store_dword v46, v43, s[0:3], 0 offen
	s_waitcnt vmcnt(3)
	buffer_store_dword v47, v43, s[0:3], 0 offen offset:4
.LBB20_144:
	;; [unrolled: 41-line block ×9, first 2 shown]
	global_load_dword v0, v0, s[20:21]
	s_nop 0
	buffer_load_dword v45, off, s[0:3], 0
	buffer_load_dword v46, off, s[0:3], 0 offset:4
	s_waitcnt vmcnt(2)
	v_add_u32_e32 v0, -1, v0
	v_cmp_eq_u32_e32 vcc, 0, v0
	s_cbranch_vccnz .LBB20_174
; %bb.173:
	v_lshlrev_b32_e32 v0, 3, v0
	buffer_load_dword v43, v0, s[0:3], 0 offen offset:4
	buffer_load_dword v44, v0, s[0:3], 0 offen
	s_waitcnt vmcnt(1)
	buffer_store_dword v43, off, s[0:3], 0 offset:4
	s_waitcnt vmcnt(1)
	buffer_store_dword v44, off, s[0:3], 0
	buffer_store_dword v46, v0, s[0:3], 0 offen offset:4
	buffer_store_dword v45, v0, s[0:3], 0 offen
	buffer_load_dword v45, off, s[0:3], 0
	s_nop 0
	buffer_load_dword v46, off, s[0:3], 0 offset:4
.LBB20_174:
	s_waitcnt vmcnt(0)
	global_store_dwordx2 v[41:42], v[45:46], off
	buffer_load_dword v41, off, s[0:3], 0 offset:8
	s_nop 0
	buffer_load_dword v42, off, s[0:3], 0 offset:12
	buffer_load_dword v43, off, s[0:3], 0 offset:16
	;; [unrolled: 1-line block ×39, first 2 shown]
	s_waitcnt vmcnt(38)
	global_store_dwordx2 v[27:28], v[41:42], off
	s_waitcnt vmcnt(37)
	global_store_dwordx2 v[1:2], v[43:44], off
	;; [unrolled: 2-line block ×20, first 2 shown]
	s_endpgm
	.section	.rodata,"a",@progbits
	.p2align	6, 0x0
	.amdhsa_kernel _ZN9rocsolver6v33100L18getri_kernel_smallILi21EdPdEEvT1_iilPiilS4_bb
		.amdhsa_group_segment_fixed_size 344
		.amdhsa_private_segment_fixed_size 176
		.amdhsa_kernarg_size 60
		.amdhsa_user_sgpr_count 6
		.amdhsa_user_sgpr_private_segment_buffer 1
		.amdhsa_user_sgpr_dispatch_ptr 0
		.amdhsa_user_sgpr_queue_ptr 0
		.amdhsa_user_sgpr_kernarg_segment_ptr 1
		.amdhsa_user_sgpr_dispatch_id 0
		.amdhsa_user_sgpr_flat_scratch_init 0
		.amdhsa_user_sgpr_private_segment_size 0
		.amdhsa_uses_dynamic_stack 0
		.amdhsa_system_sgpr_private_segment_wavefront_offset 1
		.amdhsa_system_sgpr_workgroup_id_x 1
		.amdhsa_system_sgpr_workgroup_id_y 0
		.amdhsa_system_sgpr_workgroup_id_z 0
		.amdhsa_system_sgpr_workgroup_info 0
		.amdhsa_system_vgpr_workitem_id 0
		.amdhsa_next_free_vgpr 81
		.amdhsa_next_free_sgpr 24
		.amdhsa_reserve_vcc 1
		.amdhsa_reserve_flat_scratch 0
		.amdhsa_float_round_mode_32 0
		.amdhsa_float_round_mode_16_64 0
		.amdhsa_float_denorm_mode_32 3
		.amdhsa_float_denorm_mode_16_64 3
		.amdhsa_dx10_clamp 1
		.amdhsa_ieee_mode 1
		.amdhsa_fp16_overflow 0
		.amdhsa_exception_fp_ieee_invalid_op 0
		.amdhsa_exception_fp_denorm_src 0
		.amdhsa_exception_fp_ieee_div_zero 0
		.amdhsa_exception_fp_ieee_overflow 0
		.amdhsa_exception_fp_ieee_underflow 0
		.amdhsa_exception_fp_ieee_inexact 0
		.amdhsa_exception_int_div_zero 0
	.end_amdhsa_kernel
	.section	.text._ZN9rocsolver6v33100L18getri_kernel_smallILi21EdPdEEvT1_iilPiilS4_bb,"axG",@progbits,_ZN9rocsolver6v33100L18getri_kernel_smallILi21EdPdEEvT1_iilPiilS4_bb,comdat
.Lfunc_end20:
	.size	_ZN9rocsolver6v33100L18getri_kernel_smallILi21EdPdEEvT1_iilPiilS4_bb, .Lfunc_end20-_ZN9rocsolver6v33100L18getri_kernel_smallILi21EdPdEEvT1_iilPiilS4_bb
                                        ; -- End function
	.set _ZN9rocsolver6v33100L18getri_kernel_smallILi21EdPdEEvT1_iilPiilS4_bb.num_vgpr, 81
	.set _ZN9rocsolver6v33100L18getri_kernel_smallILi21EdPdEEvT1_iilPiilS4_bb.num_agpr, 0
	.set _ZN9rocsolver6v33100L18getri_kernel_smallILi21EdPdEEvT1_iilPiilS4_bb.numbered_sgpr, 24
	.set _ZN9rocsolver6v33100L18getri_kernel_smallILi21EdPdEEvT1_iilPiilS4_bb.num_named_barrier, 0
	.set _ZN9rocsolver6v33100L18getri_kernel_smallILi21EdPdEEvT1_iilPiilS4_bb.private_seg_size, 176
	.set _ZN9rocsolver6v33100L18getri_kernel_smallILi21EdPdEEvT1_iilPiilS4_bb.uses_vcc, 1
	.set _ZN9rocsolver6v33100L18getri_kernel_smallILi21EdPdEEvT1_iilPiilS4_bb.uses_flat_scratch, 0
	.set _ZN9rocsolver6v33100L18getri_kernel_smallILi21EdPdEEvT1_iilPiilS4_bb.has_dyn_sized_stack, 0
	.set _ZN9rocsolver6v33100L18getri_kernel_smallILi21EdPdEEvT1_iilPiilS4_bb.has_recursion, 0
	.set _ZN9rocsolver6v33100L18getri_kernel_smallILi21EdPdEEvT1_iilPiilS4_bb.has_indirect_call, 0
	.section	.AMDGPU.csdata,"",@progbits
; Kernel info:
; codeLenInByte = 17212
; TotalNumSgprs: 28
; NumVgprs: 81
; ScratchSize: 176
; MemoryBound: 0
; FloatMode: 240
; IeeeMode: 1
; LDSByteSize: 344 bytes/workgroup (compile time only)
; SGPRBlocks: 3
; VGPRBlocks: 20
; NumSGPRsForWavesPerEU: 28
; NumVGPRsForWavesPerEU: 81
; Occupancy: 3
; WaveLimiterHint : 1
; COMPUTE_PGM_RSRC2:SCRATCH_EN: 1
; COMPUTE_PGM_RSRC2:USER_SGPR: 6
; COMPUTE_PGM_RSRC2:TRAP_HANDLER: 0
; COMPUTE_PGM_RSRC2:TGID_X_EN: 1
; COMPUTE_PGM_RSRC2:TGID_Y_EN: 0
; COMPUTE_PGM_RSRC2:TGID_Z_EN: 0
; COMPUTE_PGM_RSRC2:TIDIG_COMP_CNT: 0
	.section	.text._ZN9rocsolver6v33100L18getri_kernel_smallILi22EdPdEEvT1_iilPiilS4_bb,"axG",@progbits,_ZN9rocsolver6v33100L18getri_kernel_smallILi22EdPdEEvT1_iilPiilS4_bb,comdat
	.globl	_ZN9rocsolver6v33100L18getri_kernel_smallILi22EdPdEEvT1_iilPiilS4_bb ; -- Begin function _ZN9rocsolver6v33100L18getri_kernel_smallILi22EdPdEEvT1_iilPiilS4_bb
	.p2align	8
	.type	_ZN9rocsolver6v33100L18getri_kernel_smallILi22EdPdEEvT1_iilPiilS4_bb,@function
_ZN9rocsolver6v33100L18getri_kernel_smallILi22EdPdEEvT1_iilPiilS4_bb: ; @_ZN9rocsolver6v33100L18getri_kernel_smallILi22EdPdEEvT1_iilPiilS4_bb
; %bb.0:
	s_add_u32 s0, s0, s7
	s_addc_u32 s1, s1, 0
	v_cmp_gt_u32_e32 vcc, 22, v0
	s_and_saveexec_b64 s[8:9], vcc
	s_cbranch_execz .LBB21_96
; %bb.1:
	s_load_dword s12, s[4:5], 0x38
	s_load_dwordx4 s[16:19], s[4:5], 0x10
	s_load_dwordx4 s[8:11], s[4:5], 0x28
                                        ; implicit-def: $sgpr20_sgpr21
	s_waitcnt lgkmcnt(0)
	s_bitcmp1_b32 s12, 8
	s_cselect_b64 s[22:23], -1, 0
	s_ashr_i32 s7, s6, 31
	s_bfe_u32 s12, s12, 0x10008
	s_cmp_eq_u32 s12, 0
	s_cbranch_scc1 .LBB21_3
; %bb.2:
	s_load_dword s12, s[4:5], 0x20
	s_mul_i32 s13, s8, s7
	s_mul_hi_u32 s14, s8, s6
	s_mul_i32 s9, s9, s6
	s_add_i32 s14, s14, s13
	s_add_i32 s9, s14, s9
	s_mul_i32 s8, s8, s6
	s_waitcnt lgkmcnt(0)
	s_ashr_i32 s13, s12, 31
	s_lshl_b64 s[8:9], s[8:9], 2
	s_add_u32 s14, s18, s8
	s_addc_u32 s15, s19, s9
	s_lshl_b64 s[8:9], s[12:13], 2
	s_add_u32 s20, s14, s8
	s_addc_u32 s21, s15, s9
.LBB21_3:
	s_load_dwordx4 s[12:15], s[4:5], 0x0
	s_load_dword s8, s[4:5], 0x38
	s_mul_i32 s9, s16, s7
	s_mul_hi_u32 s18, s16, s6
	s_add_i32 s9, s18, s9
	s_waitcnt lgkmcnt(0)
	s_ashr_i32 s5, s14, 31
	s_mov_b32 s4, s14
	s_mul_i32 s14, s17, s6
	s_add_i32 s17, s9, s14
	s_mul_i32 s16, s16, s6
	s_lshl_b64 s[16:17], s[16:17], 3
	s_add_u32 s9, s12, s16
	s_addc_u32 s12, s13, s17
	s_lshl_b64 s[4:5], s[4:5], 3
	s_add_u32 s4, s9, s4
	s_addc_u32 s5, s12, s5
	s_add_i32 s9, s15, s15
	v_add_u32_e32 v3, s9, v0
	v_ashrrev_i32_e32 v4, 31, v3
	v_lshlrev_b64 v[1:2], 3, v[3:4]
	v_add_u32_e32 v5, s15, v3
	v_mov_b32_e32 v4, s5
	v_add_co_u32_e32 v1, vcc, s4, v1
	v_ashrrev_i32_e32 v6, 31, v5
	v_addc_co_u32_e32 v2, vcc, v4, v2, vcc
	v_lshlrev_b64 v[3:4], 3, v[5:6]
	v_add_u32_e32 v7, s15, v5
	v_mov_b32_e32 v6, s5
	v_add_co_u32_e32 v3, vcc, s4, v3
	v_ashrrev_i32_e32 v8, 31, v7
	v_addc_co_u32_e32 v4, vcc, v6, v4, vcc
	;; [unrolled: 6-line block ×8, first 2 shown]
	v_lshlrev_b64 v[17:18], 3, v[19:20]
	v_mov_b32_e32 v21, s5
	v_add_co_u32_e32 v17, vcc, s4, v17
	v_addc_co_u32_e32 v18, vcc, v21, v18, vcc
	v_add_u32_e32 v21, s15, v19
	v_ashrrev_i32_e32 v22, 31, v21
	v_lshlrev_b64 v[19:20], 3, v[21:22]
	v_mov_b32_e32 v23, s5
	v_add_co_u32_e32 v19, vcc, s4, v19
	v_addc_co_u32_e32 v20, vcc, v23, v20, vcc
	v_add_u32_e32 v23, s15, v21
	v_ashrrev_i32_e32 v24, 31, v23
	;; [unrolled: 6-line block ×3, first 2 shown]
	v_lshlrev_b32_e32 v47, 3, v0
	v_lshlrev_b64 v[23:24], 3, v[25:26]
	global_load_dwordx2 v[45:46], v47, s[4:5]
	global_load_dwordx2 v[50:51], v[1:2], off
	global_load_dwordx2 v[52:53], v[3:4], off
	;; [unrolled: 1-line block ×3, first 2 shown]
	v_mov_b32_e32 v26, s5
	v_add_co_u32_e32 v43, vcc, s4, v47
	s_ashr_i32 s13, s15, 31
	s_mov_b32 s12, s15
	v_addc_co_u32_e32 v44, vcc, 0, v26, vcc
	s_lshl_b64 s[12:13], s[12:13], 3
	v_mov_b32_e32 v26, s13
	v_add_co_u32_e32 v37, vcc, s12, v43
	v_addc_co_u32_e32 v38, vcc, v44, v26, vcc
	global_load_dwordx2 v[48:49], v[37:38], off
	global_load_dwordx2 v[58:59], v[9:10], off
	v_mov_b32_e32 v27, s5
	v_add_co_u32_e32 v23, vcc, s4, v23
	v_addc_co_u32_e32 v24, vcc, v27, v24, vcc
	v_add_u32_e32 v27, s15, v25
	v_ashrrev_i32_e32 v28, 31, v27
	v_lshlrev_b64 v[25:26], 3, v[27:28]
	v_mov_b32_e32 v29, s5
	v_add_co_u32_e32 v25, vcc, s4, v25
	v_addc_co_u32_e32 v26, vcc, v29, v26, vcc
	v_add_u32_e32 v29, s15, v27
	v_ashrrev_i32_e32 v30, 31, v29
	v_lshlrev_b64 v[27:28], 3, v[29:30]
	;; [unrolled: 6-line block ×7, first 2 shown]
	v_mov_b32_e32 v56, s5
	v_add_co_u32_e32 v39, vcc, s4, v39
	v_addc_co_u32_e32 v40, vcc, v56, v40, vcc
	global_load_dwordx2 v[56:57], v[7:8], off
	global_load_dwordx2 v[60:61], v[11:12], off
	;; [unrolled: 1-line block ×5, first 2 shown]
	v_add_u32_e32 v41, s15, v41
	v_ashrrev_i32_e32 v42, 31, v41
	v_lshlrev_b64 v[41:42], 3, v[41:42]
	v_mov_b32_e32 v68, s5
	v_add_co_u32_e32 v41, vcc, s4, v41
	v_addc_co_u32_e32 v42, vcc, v68, v42, vcc
	global_load_dwordx2 v[68:69], v[19:20], off
	global_load_dwordx2 v[70:71], v[21:22], off
	;; [unrolled: 1-line block ×6, first 2 shown]
	s_bitcmp0_b32 s8, 0
	s_waitcnt vmcnt(16)
	buffer_store_dword v46, off, s[0:3], 0 offset:4
	buffer_store_dword v45, off, s[0:3], 0
	global_load_dwordx2 v[45:46], v[23:24], off
	s_mov_b64 s[8:9], -1
	s_waitcnt vmcnt(15)
	buffer_store_dword v49, off, s[0:3], 0 offset:12
	buffer_store_dword v48, off, s[0:3], 0 offset:8
	global_load_dwordx2 v[48:49], v[27:28], off
	s_nop 0
	buffer_store_dword v51, off, s[0:3], 0 offset:20
	buffer_store_dword v50, off, s[0:3], 0 offset:16
	global_load_dwordx2 v[50:51], v[31:32], off
	s_nop 0
	;; [unrolled: 4-line block ×3, first 2 shown]
	buffer_store_dword v55, off, s[0:3], 0 offset:36
	buffer_store_dword v54, off, s[0:3], 0 offset:32
	global_load_dwordx2 v[54:55], v[41:42], off
	s_waitcnt vmcnt(25)
	buffer_store_dword v57, off, s[0:3], 0 offset:44
	buffer_store_dword v56, off, s[0:3], 0 offset:40
	buffer_store_dword v59, off, s[0:3], 0 offset:52
	buffer_store_dword v58, off, s[0:3], 0 offset:48
	s_waitcnt vmcnt(28)
	buffer_store_dword v61, off, s[0:3], 0 offset:60
	buffer_store_dword v60, off, s[0:3], 0 offset:56
	s_waitcnt vmcnt(29)
	buffer_store_dword v63, off, s[0:3], 0 offset:68
	buffer_store_dword v62, off, s[0:3], 0 offset:64
	;; [unrolled: 3-line block ×7, first 2 shown]
	buffer_store_dword v73, off, s[0:3], 0 offset:116
	buffer_store_dword v72, off, s[0:3], 0 offset:112
	s_waitcnt vmcnt(29)
	buffer_store_dword v48, off, s[0:3], 0 offset:120
	buffer_store_dword v49, off, s[0:3], 0 offset:124
	buffer_store_dword v74, off, s[0:3], 0 offset:128
	buffer_store_dword v75, off, s[0:3], 0 offset:132
	s_waitcnt vmcnt(30)
	buffer_store_dword v50, off, s[0:3], 0 offset:136
	buffer_store_dword v51, off, s[0:3], 0 offset:140
	;; [unrolled: 5-line block ×4, first 2 shown]
	s_cbranch_scc1 .LBB21_94
; %bb.4:
	v_cmp_eq_u32_e64 s[4:5], 0, v0
	s_and_saveexec_b64 s[8:9], s[4:5]
; %bb.5:
	v_mov_b32_e32 v45, 0
	ds_write_b32 v45, v45 offset:352
; %bb.6:
	s_or_b64 exec, exec, s[8:9]
	v_mov_b32_e32 v45, 0
	v_lshl_add_u32 v45, v0, 3, v45
	s_waitcnt lgkmcnt(0)
	; wave barrier
	buffer_load_dword v48, v45, s[0:3], 0 offen
	buffer_load_dword v49, v45, s[0:3], 0 offen offset:4
	s_waitcnt vmcnt(0)
	v_cmp_eq_f64_e32 vcc, 0, v[48:49]
	s_and_saveexec_b64 s[12:13], vcc
	s_cbranch_execz .LBB21_10
; %bb.7:
	v_mov_b32_e32 v46, 0
	ds_read_b32 v49, v46 offset:352
	v_add_u32_e32 v48, 1, v0
	s_waitcnt lgkmcnt(0)
	v_readfirstlane_b32 s8, v49
	s_cmp_eq_u32 s8, 0
	s_cselect_b64 s[14:15], -1, 0
	v_cmp_gt_i32_e32 vcc, s8, v48
	s_or_b64 s[14:15], s[14:15], vcc
	s_and_b64 exec, exec, s[14:15]
	s_cbranch_execz .LBB21_10
; %bb.8:
	s_mov_b64 s[14:15], 0
	v_mov_b32_e32 v49, s8
.LBB21_9:                               ; =>This Inner Loop Header: Depth=1
	ds_cmpst_rtn_b32 v49, v46, v49, v48 offset:352
	s_waitcnt lgkmcnt(0)
	v_cmp_ne_u32_e32 vcc, 0, v49
	v_cmp_le_i32_e64 s[8:9], v49, v48
	s_and_b64 s[8:9], vcc, s[8:9]
	s_and_b64 s[8:9], exec, s[8:9]
	s_or_b64 s[14:15], s[8:9], s[14:15]
	s_andn2_b64 exec, exec, s[14:15]
	s_cbranch_execnz .LBB21_9
.LBB21_10:
	s_or_b64 exec, exec, s[12:13]
	v_mov_b32_e32 v48, 0
	; wave barrier
	ds_read_b32 v46, v48 offset:352
	s_and_saveexec_b64 s[8:9], s[4:5]
	s_cbranch_execz .LBB21_12
; %bb.11:
	s_lshl_b64 s[12:13], s[6:7], 2
	s_add_u32 s12, s10, s12
	s_addc_u32 s13, s11, s13
	s_waitcnt lgkmcnt(0)
	global_store_dword v48, v46, s[12:13]
.LBB21_12:
	s_or_b64 exec, exec, s[8:9]
	s_waitcnt lgkmcnt(0)
	v_cmp_ne_u32_e32 vcc, 0, v46
	s_mov_b64 s[8:9], 0
	s_cbranch_vccnz .LBB21_94
; %bb.13:
	buffer_load_dword v48, v45, s[0:3], 0 offen
	buffer_load_dword v49, v45, s[0:3], 0 offen offset:4
	s_waitcnt vmcnt(0)
	v_div_scale_f64 v[50:51], s[8:9], v[48:49], v[48:49], 1.0
	v_rcp_f64_e32 v[52:53], v[50:51]
	v_fma_f64 v[54:55], -v[50:51], v[52:53], 1.0
	v_fma_f64 v[52:53], v[52:53], v[54:55], v[52:53]
	v_div_scale_f64 v[54:55], vcc, 1.0, v[48:49], 1.0
	v_fma_f64 v[56:57], -v[50:51], v[52:53], 1.0
	v_fma_f64 v[52:53], v[52:53], v[56:57], v[52:53]
	v_mul_f64 v[56:57], v[54:55], v[52:53]
	v_fma_f64 v[50:51], -v[50:51], v[56:57], v[54:55]
	v_div_fmas_f64 v[50:51], v[50:51], v[52:53], v[56:57]
	v_div_fixup_f64 v[49:50], v[50:51], v[48:49], 1.0
	v_add_u32_e32 v48, 0xb0, v47
	buffer_store_dword v50, v45, s[0:3], 0 offen offset:4
	buffer_store_dword v49, v45, s[0:3], 0 offen
	buffer_load_dword v52, off, s[0:3], 0 offset:12
	buffer_load_dword v51, off, s[0:3], 0 offset:8
	v_xor_b32_e32 v50, 0x80000000, v50
	s_waitcnt vmcnt(0)
	ds_write2_b64 v47, v[49:50], v[51:52] offset1:22
	s_waitcnt lgkmcnt(0)
	; wave barrier
	s_and_saveexec_b64 s[8:9], s[4:5]
	s_cbranch_execz .LBB21_15
; %bb.14:
	buffer_load_dword v49, v45, s[0:3], 0 offen
	buffer_load_dword v50, v45, s[0:3], 0 offen offset:4
	ds_read_b64 v[51:52], v48
	v_mov_b32_e32 v46, 0
	ds_read_b64 v[53:54], v46 offset:8
	s_waitcnt vmcnt(0) lgkmcnt(1)
	v_fma_f64 v[49:50], v[49:50], v[51:52], 0
	s_waitcnt lgkmcnt(0)
	v_mul_f64 v[49:50], v[49:50], v[53:54]
	buffer_store_dword v49, off, s[0:3], 0 offset:8
	buffer_store_dword v50, off, s[0:3], 0 offset:12
.LBB21_15:
	s_or_b64 exec, exec, s[8:9]
	; wave barrier
	buffer_load_dword v49, off, s[0:3], 0 offset:16
	buffer_load_dword v50, off, s[0:3], 0 offset:20
	v_cmp_gt_u32_e32 vcc, 2, v0
	s_waitcnt vmcnt(0)
	ds_write_b64 v48, v[49:50]
	s_waitcnt lgkmcnt(0)
	; wave barrier
	s_and_saveexec_b64 s[8:9], vcc
	s_cbranch_execz .LBB21_17
; %bb.16:
	buffer_load_dword v49, v45, s[0:3], 0 offen
	buffer_load_dword v50, v45, s[0:3], 0 offen offset:4
                                        ; kill: killed $vgpr45
	s_nop 0
	buffer_load_dword v45, off, s[0:3], 0 offset:8
	buffer_load_dword v46, off, s[0:3], 0 offset:12
	ds_read_b64 v[51:52], v48
	s_waitcnt vmcnt(2) lgkmcnt(0)
	v_fma_f64 v[53:54], v[49:50], v[51:52], 0
	v_mov_b32_e32 v49, 0
	ds_read2_b64 v[49:52], v49 offset0:2 offset1:23
	s_waitcnt vmcnt(0) lgkmcnt(0)
	v_fma_f64 v[45:46], v[45:46], v[51:52], v[53:54]
	v_cndmask_b32_e64 v46, v54, v46, s[4:5]
	v_cndmask_b32_e64 v45, v53, v45, s[4:5]
	v_mul_f64 v[45:46], v[45:46], v[49:50]
	buffer_store_dword v46, off, s[0:3], 0 offset:20
	buffer_store_dword v45, off, s[0:3], 0 offset:16
.LBB21_17:
	s_or_b64 exec, exec, s[8:9]
	; wave barrier
	buffer_load_dword v45, off, s[0:3], 0 offset:24
	buffer_load_dword v46, off, s[0:3], 0 offset:28
	v_cmp_gt_u32_e32 vcc, 3, v0
	v_add_u32_e32 v49, -1, v0
	s_waitcnt vmcnt(0)
	ds_write_b64 v48, v[45:46]
	s_waitcnt lgkmcnt(0)
	; wave barrier
	s_and_saveexec_b64 s[4:5], vcc
	s_cbranch_execz .LBB21_21
; %bb.18:
	v_mov_b32_e32 v45, 0
	v_add_u32_e32 v50, -1, v0
	v_add_u32_e32 v51, 0xb0, v47
	v_mov_b32_e32 v52, v47
	v_mov_b32_e32 v46, 0
	s_mov_b64 s[8:9], 0
.LBB21_19:                              ; =>This Inner Loop Header: Depth=1
	buffer_load_dword v53, v52, s[0:3], 0 offen
	buffer_load_dword v54, v52, s[0:3], 0 offen offset:4
	ds_read_b64 v[55:56], v51
	v_add_u32_e32 v50, 1, v50
	v_cmp_lt_u32_e32 vcc, 1, v50
	v_add_u32_e32 v51, 8, v51
	s_or_b64 s[8:9], vcc, s[8:9]
	v_add_u32_e32 v52, 8, v52
	s_waitcnt vmcnt(0) lgkmcnt(0)
	v_fma_f64 v[45:46], v[53:54], v[55:56], v[45:46]
	s_andn2_b64 exec, exec, s[8:9]
	s_cbranch_execnz .LBB21_19
; %bb.20:
	s_or_b64 exec, exec, s[8:9]
	v_mov_b32_e32 v50, 0
	ds_read_b64 v[50:51], v50 offset:24
	s_waitcnt lgkmcnt(0)
	v_mul_f64 v[45:46], v[45:46], v[50:51]
	buffer_store_dword v46, off, s[0:3], 0 offset:28
	buffer_store_dword v45, off, s[0:3], 0 offset:24
.LBB21_21:
	s_or_b64 exec, exec, s[4:5]
	; wave barrier
	buffer_load_dword v45, off, s[0:3], 0 offset:32
	buffer_load_dword v46, off, s[0:3], 0 offset:36
	v_cmp_gt_u32_e32 vcc, 4, v0
	s_waitcnt vmcnt(0)
	ds_write_b64 v48, v[45:46]
	s_waitcnt lgkmcnt(0)
	; wave barrier
	s_and_saveexec_b64 s[4:5], vcc
	s_cbranch_execz .LBB21_25
; %bb.22:
	v_mov_b32_e32 v45, 0
	v_add_u32_e32 v50, -1, v0
	v_add_u32_e32 v51, 0xb0, v47
	v_mov_b32_e32 v52, v47
	v_mov_b32_e32 v46, 0
	s_mov_b64 s[8:9], 0
.LBB21_23:                              ; =>This Inner Loop Header: Depth=1
	buffer_load_dword v53, v52, s[0:3], 0 offen
	buffer_load_dword v54, v52, s[0:3], 0 offen offset:4
	ds_read_b64 v[55:56], v51
	v_add_u32_e32 v50, 1, v50
	v_cmp_lt_u32_e32 vcc, 2, v50
	v_add_u32_e32 v51, 8, v51
	s_or_b64 s[8:9], vcc, s[8:9]
	v_add_u32_e32 v52, 8, v52
	s_waitcnt vmcnt(0) lgkmcnt(0)
	v_fma_f64 v[45:46], v[53:54], v[55:56], v[45:46]
	s_andn2_b64 exec, exec, s[8:9]
	s_cbranch_execnz .LBB21_23
; %bb.24:
	s_or_b64 exec, exec, s[8:9]
	v_mov_b32_e32 v50, 0
	ds_read_b64 v[50:51], v50 offset:32
	s_waitcnt lgkmcnt(0)
	v_mul_f64 v[45:46], v[45:46], v[50:51]
	buffer_store_dword v46, off, s[0:3], 0 offset:36
	buffer_store_dword v45, off, s[0:3], 0 offset:32
.LBB21_25:
	s_or_b64 exec, exec, s[4:5]
	; wave barrier
	buffer_load_dword v45, off, s[0:3], 0 offset:40
	buffer_load_dword v46, off, s[0:3], 0 offset:44
	v_cmp_gt_u32_e32 vcc, 5, v0
	;; [unrolled: 40-line block ×17, first 2 shown]
	s_waitcnt vmcnt(0)
	ds_write_b64 v48, v[45:46]
	s_waitcnt lgkmcnt(0)
	; wave barrier
	s_and_saveexec_b64 s[4:5], vcc
	s_cbranch_execz .LBB21_89
; %bb.86:
	v_mov_b32_e32 v45, 0
	v_add_u32_e32 v50, -1, v0
	v_add_u32_e32 v51, 0xb0, v47
	v_mov_b32_e32 v52, v47
	v_mov_b32_e32 v46, 0
	s_mov_b64 s[8:9], 0
.LBB21_87:                              ; =>This Inner Loop Header: Depth=1
	buffer_load_dword v53, v52, s[0:3], 0 offen
	buffer_load_dword v54, v52, s[0:3], 0 offen offset:4
	ds_read_b64 v[55:56], v51
	v_add_u32_e32 v50, 1, v50
	v_cmp_lt_u32_e32 vcc, 18, v50
	v_add_u32_e32 v51, 8, v51
	s_or_b64 s[8:9], vcc, s[8:9]
	v_add_u32_e32 v52, 8, v52
	s_waitcnt vmcnt(0) lgkmcnt(0)
	v_fma_f64 v[45:46], v[53:54], v[55:56], v[45:46]
	s_andn2_b64 exec, exec, s[8:9]
	s_cbranch_execnz .LBB21_87
; %bb.88:
	s_or_b64 exec, exec, s[8:9]
	v_mov_b32_e32 v50, 0
	ds_read_b64 v[50:51], v50 offset:160
	s_waitcnt lgkmcnt(0)
	v_mul_f64 v[45:46], v[45:46], v[50:51]
	buffer_store_dword v46, off, s[0:3], 0 offset:164
	buffer_store_dword v45, off, s[0:3], 0 offset:160
.LBB21_89:
	s_or_b64 exec, exec, s[4:5]
	; wave barrier
	buffer_load_dword v45, off, s[0:3], 0 offset:168
	buffer_load_dword v46, off, s[0:3], 0 offset:172
	v_cmp_ne_u32_e32 vcc, 21, v0
	s_waitcnt vmcnt(0)
	ds_write_b64 v48, v[45:46]
	s_waitcnt lgkmcnt(0)
	; wave barrier
	s_and_saveexec_b64 s[4:5], vcc
	s_cbranch_execz .LBB21_93
; %bb.90:
	v_mov_b32_e32 v45, 0
	v_add_u32_e32 v48, 0xb0, v47
	v_mov_b32_e32 v46, 0
	s_mov_b64 s[8:9], 0
.LBB21_91:                              ; =>This Inner Loop Header: Depth=1
	buffer_load_dword v50, v47, s[0:3], 0 offen
	buffer_load_dword v51, v47, s[0:3], 0 offen offset:4
	ds_read_b64 v[52:53], v48
	v_add_u32_e32 v49, 1, v49
	v_cmp_lt_u32_e32 vcc, 19, v49
	v_add_u32_e32 v48, 8, v48
	s_or_b64 s[8:9], vcc, s[8:9]
	v_add_u32_e32 v47, 8, v47
	s_waitcnt vmcnt(0) lgkmcnt(0)
	v_fma_f64 v[45:46], v[50:51], v[52:53], v[45:46]
	s_andn2_b64 exec, exec, s[8:9]
	s_cbranch_execnz .LBB21_91
; %bb.92:
	s_or_b64 exec, exec, s[8:9]
	v_mov_b32_e32 v47, 0
	ds_read_b64 v[47:48], v47 offset:168
	s_waitcnt lgkmcnt(0)
	v_mul_f64 v[45:46], v[45:46], v[47:48]
	buffer_store_dword v46, off, s[0:3], 0 offset:172
	buffer_store_dword v45, off, s[0:3], 0 offset:168
.LBB21_93:
	s_or_b64 exec, exec, s[4:5]
	s_mov_b64 s[8:9], -1
	; wave barrier
.LBB21_94:
	s_and_b64 vcc, exec, s[8:9]
	s_cbranch_vccz .LBB21_96
; %bb.95:
	s_lshl_b64 s[4:5], s[6:7], 2
	s_add_u32 s4, s10, s4
	s_addc_u32 s5, s11, s5
	v_mov_b32_e32 v45, 0
	global_load_dword v45, v45, s[4:5]
	s_waitcnt vmcnt(0)
	v_cmp_ne_u32_e32 vcc, 0, v45
	s_cbranch_vccz .LBB21_97
.LBB21_96:
	s_endpgm
.LBB21_97:
	v_mov_b32_e32 v45, 0xb0
	v_lshl_add_u32 v45, v0, 3, v45
	v_cmp_eq_u32_e32 vcc, 21, v0
	s_and_saveexec_b64 s[4:5], vcc
	s_cbranch_execz .LBB21_99
; %bb.98:
	buffer_load_dword v46, off, s[0:3], 0 offset:160
	buffer_load_dword v47, off, s[0:3], 0 offset:164
	v_mov_b32_e32 v48, 0
	buffer_store_dword v48, off, s[0:3], 0 offset:160
	buffer_store_dword v48, off, s[0:3], 0 offset:164
	s_waitcnt vmcnt(2)
	ds_write_b64 v45, v[46:47]
.LBB21_99:
	s_or_b64 exec, exec, s[4:5]
	s_waitcnt lgkmcnt(0)
	; wave barrier
	buffer_load_dword v47, off, s[0:3], 0 offset:168
	buffer_load_dword v48, off, s[0:3], 0 offset:172
	;; [unrolled: 1-line block ×4, first 2 shown]
	v_mov_b32_e32 v46, 0
	ds_read_b64 v[51:52], v46 offset:344
	v_cmp_lt_u32_e32 vcc, 19, v0
	s_waitcnt vmcnt(2) lgkmcnt(0)
	v_fma_f64 v[47:48], v[47:48], v[51:52], 0
	s_waitcnt vmcnt(0)
	v_add_f64 v[47:48], v[49:50], -v[47:48]
	buffer_store_dword v47, off, s[0:3], 0 offset:160
	buffer_store_dword v48, off, s[0:3], 0 offset:164
	s_and_saveexec_b64 s[4:5], vcc
	s_cbranch_execz .LBB21_101
; %bb.100:
	buffer_load_dword v47, off, s[0:3], 0 offset:152
	buffer_load_dword v48, off, s[0:3], 0 offset:156
	s_waitcnt vmcnt(0)
	ds_write_b64 v45, v[47:48]
	buffer_store_dword v46, off, s[0:3], 0 offset:152
	buffer_store_dword v46, off, s[0:3], 0 offset:156
.LBB21_101:
	s_or_b64 exec, exec, s[4:5]
	s_waitcnt lgkmcnt(0)
	; wave barrier
	buffer_load_dword v50, off, s[0:3], 0 offset:160
	buffer_load_dword v51, off, s[0:3], 0 offset:164
	;; [unrolled: 1-line block ×6, first 2 shown]
	ds_read_b128 v[46:49], v46 offset:336
	v_cmp_lt_u32_e32 vcc, 18, v0
	s_waitcnt vmcnt(4) lgkmcnt(0)
	v_fma_f64 v[46:47], v[50:51], v[46:47], 0
	s_waitcnt vmcnt(2)
	v_fma_f64 v[46:47], v[52:53], v[48:49], v[46:47]
	s_waitcnt vmcnt(0)
	v_add_f64 v[46:47], v[54:55], -v[46:47]
	buffer_store_dword v46, off, s[0:3], 0 offset:152
	buffer_store_dword v47, off, s[0:3], 0 offset:156
	s_and_saveexec_b64 s[4:5], vcc
	s_cbranch_execz .LBB21_103
; %bb.102:
	buffer_load_dword v46, off, s[0:3], 0 offset:144
	buffer_load_dword v47, off, s[0:3], 0 offset:148
	v_mov_b32_e32 v48, 0
	buffer_store_dword v48, off, s[0:3], 0 offset:144
	buffer_store_dword v48, off, s[0:3], 0 offset:148
	s_waitcnt vmcnt(2)
	ds_write_b64 v45, v[46:47]
.LBB21_103:
	s_or_b64 exec, exec, s[4:5]
	s_waitcnt lgkmcnt(0)
	; wave barrier
	buffer_load_dword v51, off, s[0:3], 0 offset:152
	buffer_load_dword v52, off, s[0:3], 0 offset:156
	;; [unrolled: 1-line block ×8, first 2 shown]
	v_mov_b32_e32 v46, 0
	ds_read2_b64 v[47:50], v46 offset0:41 offset1:42
	ds_read_b64 v[59:60], v46 offset:344
	v_cmp_lt_u32_e32 vcc, 17, v0
	s_waitcnt vmcnt(6) lgkmcnt(1)
	v_fma_f64 v[47:48], v[51:52], v[47:48], 0
	s_waitcnt vmcnt(4)
	v_fma_f64 v[47:48], v[53:54], v[49:50], v[47:48]
	s_waitcnt vmcnt(2) lgkmcnt(0)
	v_fma_f64 v[47:48], v[55:56], v[59:60], v[47:48]
	s_waitcnt vmcnt(0)
	v_add_f64 v[47:48], v[57:58], -v[47:48]
	buffer_store_dword v47, off, s[0:3], 0 offset:144
	buffer_store_dword v48, off, s[0:3], 0 offset:148
	s_and_saveexec_b64 s[4:5], vcc
	s_cbranch_execz .LBB21_105
; %bb.104:
	buffer_load_dword v47, off, s[0:3], 0 offset:136
	buffer_load_dword v48, off, s[0:3], 0 offset:140
	s_waitcnt vmcnt(0)
	ds_write_b64 v45, v[47:48]
	buffer_store_dword v46, off, s[0:3], 0 offset:136
	buffer_store_dword v46, off, s[0:3], 0 offset:140
.LBB21_105:
	s_or_b64 exec, exec, s[4:5]
	s_waitcnt lgkmcnt(0)
	; wave barrier
	buffer_load_dword v51, off, s[0:3], 0 offset:144
	buffer_load_dword v52, off, s[0:3], 0 offset:148
	;; [unrolled: 1-line block ×10, first 2 shown]
	ds_read_b128 v[47:50], v46 offset:320
	v_cmp_lt_u32_e32 vcc, 16, v0
	s_waitcnt vmcnt(8) lgkmcnt(0)
	v_fma_f64 v[47:48], v[51:52], v[47:48], 0
	s_waitcnt vmcnt(6)
	v_fma_f64 v[50:51], v[53:54], v[49:50], v[47:48]
	ds_read_b128 v[46:49], v46 offset:336
	s_waitcnt vmcnt(4) lgkmcnt(0)
	v_fma_f64 v[46:47], v[55:56], v[46:47], v[50:51]
	s_waitcnt vmcnt(2)
	v_fma_f64 v[46:47], v[57:58], v[48:49], v[46:47]
	s_waitcnt vmcnt(0)
	v_add_f64 v[46:47], v[59:60], -v[46:47]
	buffer_store_dword v46, off, s[0:3], 0 offset:136
	buffer_store_dword v47, off, s[0:3], 0 offset:140
	s_and_saveexec_b64 s[4:5], vcc
	s_cbranch_execz .LBB21_107
; %bb.106:
	buffer_load_dword v46, off, s[0:3], 0 offset:128
	buffer_load_dword v47, off, s[0:3], 0 offset:132
	v_mov_b32_e32 v48, 0
	buffer_store_dword v48, off, s[0:3], 0 offset:128
	buffer_store_dword v48, off, s[0:3], 0 offset:132
	s_waitcnt vmcnt(2)
	ds_write_b64 v45, v[46:47]
.LBB21_107:
	s_or_b64 exec, exec, s[4:5]
	s_waitcnt lgkmcnt(0)
	; wave barrier
	buffer_load_dword v51, off, s[0:3], 0 offset:136
	buffer_load_dword v52, off, s[0:3], 0 offset:140
	;; [unrolled: 1-line block ×12, first 2 shown]
	v_mov_b32_e32 v46, 0
	ds_read2_b64 v[47:50], v46 offset0:39 offset1:40
	v_cmp_lt_u32_e32 vcc, 15, v0
	s_waitcnt vmcnt(10) lgkmcnt(0)
	v_fma_f64 v[47:48], v[51:52], v[47:48], 0
	s_waitcnt vmcnt(8)
	v_fma_f64 v[51:52], v[53:54], v[49:50], v[47:48]
	ds_read2_b64 v[47:50], v46 offset0:41 offset1:42
	s_waitcnt vmcnt(6) lgkmcnt(0)
	v_fma_f64 v[47:48], v[55:56], v[47:48], v[51:52]
	s_waitcnt vmcnt(4)
	v_fma_f64 v[47:48], v[57:58], v[49:50], v[47:48]
	ds_read_b64 v[49:50], v46 offset:344
	s_waitcnt vmcnt(2) lgkmcnt(0)
	v_fma_f64 v[47:48], v[59:60], v[49:50], v[47:48]
	s_waitcnt vmcnt(0)
	v_add_f64 v[47:48], v[61:62], -v[47:48]
	buffer_store_dword v47, off, s[0:3], 0 offset:128
	buffer_store_dword v48, off, s[0:3], 0 offset:132
	s_and_saveexec_b64 s[4:5], vcc
	s_cbranch_execz .LBB21_109
; %bb.108:
	buffer_load_dword v47, off, s[0:3], 0 offset:120
	buffer_load_dword v48, off, s[0:3], 0 offset:124
	s_waitcnt vmcnt(0)
	ds_write_b64 v45, v[47:48]
	buffer_store_dword v46, off, s[0:3], 0 offset:120
	buffer_store_dword v46, off, s[0:3], 0 offset:124
.LBB21_109:
	s_or_b64 exec, exec, s[4:5]
	s_waitcnt lgkmcnt(0)
	; wave barrier
	buffer_load_dword v55, off, s[0:3], 0 offset:128
	buffer_load_dword v56, off, s[0:3], 0 offset:132
	;; [unrolled: 1-line block ×14, first 2 shown]
	ds_read_b128 v[47:50], v46 offset:304
	ds_read_b128 v[51:54], v46 offset:320
	v_cmp_lt_u32_e32 vcc, 14, v0
	s_waitcnt vmcnt(12) lgkmcnt(1)
	v_fma_f64 v[47:48], v[55:56], v[47:48], 0
	s_waitcnt vmcnt(10)
	v_fma_f64 v[47:48], v[57:58], v[49:50], v[47:48]
	s_waitcnt vmcnt(8) lgkmcnt(0)
	v_fma_f64 v[47:48], v[59:60], v[51:52], v[47:48]
	s_waitcnt vmcnt(6)
	v_fma_f64 v[50:51], v[61:62], v[53:54], v[47:48]
	ds_read_b128 v[46:49], v46 offset:336
	s_waitcnt vmcnt(4) lgkmcnt(0)
	v_fma_f64 v[46:47], v[63:64], v[46:47], v[50:51]
	s_waitcnt vmcnt(2)
	v_fma_f64 v[46:47], v[65:66], v[48:49], v[46:47]
	s_waitcnt vmcnt(0)
	v_add_f64 v[46:47], v[67:68], -v[46:47]
	buffer_store_dword v46, off, s[0:3], 0 offset:120
	buffer_store_dword v47, off, s[0:3], 0 offset:124
	s_and_saveexec_b64 s[4:5], vcc
	s_cbranch_execz .LBB21_111
; %bb.110:
	buffer_load_dword v46, off, s[0:3], 0 offset:112
	buffer_load_dword v47, off, s[0:3], 0 offset:116
	v_mov_b32_e32 v48, 0
	buffer_store_dword v48, off, s[0:3], 0 offset:112
	buffer_store_dword v48, off, s[0:3], 0 offset:116
	s_waitcnt vmcnt(2)
	ds_write_b64 v45, v[46:47]
.LBB21_111:
	s_or_b64 exec, exec, s[4:5]
	s_waitcnt lgkmcnt(0)
	; wave barrier
	buffer_load_dword v55, off, s[0:3], 0 offset:120
	buffer_load_dword v56, off, s[0:3], 0 offset:124
	;; [unrolled: 1-line block ×16, first 2 shown]
	v_mov_b32_e32 v46, 0
	ds_read2_b64 v[47:50], v46 offset0:37 offset1:38
	ds_read2_b64 v[51:54], v46 offset0:39 offset1:40
	v_cmp_lt_u32_e32 vcc, 13, v0
	s_waitcnt vmcnt(14) lgkmcnt(1)
	v_fma_f64 v[47:48], v[55:56], v[47:48], 0
	s_waitcnt vmcnt(12)
	v_fma_f64 v[47:48], v[57:58], v[49:50], v[47:48]
	s_waitcnt vmcnt(10) lgkmcnt(0)
	v_fma_f64 v[47:48], v[59:60], v[51:52], v[47:48]
	s_waitcnt vmcnt(8)
	v_fma_f64 v[51:52], v[61:62], v[53:54], v[47:48]
	ds_read2_b64 v[47:50], v46 offset0:41 offset1:42
	ds_read_b64 v[53:54], v46 offset:344
	s_waitcnt vmcnt(6) lgkmcnt(1)
	v_fma_f64 v[47:48], v[63:64], v[47:48], v[51:52]
	s_waitcnt vmcnt(4)
	v_fma_f64 v[47:48], v[65:66], v[49:50], v[47:48]
	s_waitcnt vmcnt(2) lgkmcnt(0)
	v_fma_f64 v[47:48], v[67:68], v[53:54], v[47:48]
	s_waitcnt vmcnt(0)
	v_add_f64 v[47:48], v[69:70], -v[47:48]
	buffer_store_dword v47, off, s[0:3], 0 offset:112
	buffer_store_dword v48, off, s[0:3], 0 offset:116
	s_and_saveexec_b64 s[4:5], vcc
	s_cbranch_execz .LBB21_113
; %bb.112:
	buffer_load_dword v47, off, s[0:3], 0 offset:104
	buffer_load_dword v48, off, s[0:3], 0 offset:108
	s_waitcnt vmcnt(0)
	ds_write_b64 v45, v[47:48]
	buffer_store_dword v46, off, s[0:3], 0 offset:104
	buffer_store_dword v46, off, s[0:3], 0 offset:108
.LBB21_113:
	s_or_b64 exec, exec, s[4:5]
	s_waitcnt lgkmcnt(0)
	; wave barrier
	buffer_load_dword v55, off, s[0:3], 0 offset:112
	buffer_load_dword v56, off, s[0:3], 0 offset:116
	;; [unrolled: 1-line block ×18, first 2 shown]
	ds_read_b128 v[47:50], v46 offset:288
	ds_read_b128 v[51:54], v46 offset:304
	v_cmp_lt_u32_e32 vcc, 12, v0
	s_waitcnt vmcnt(16) lgkmcnt(1)
	v_fma_f64 v[47:48], v[55:56], v[47:48], 0
	s_waitcnt vmcnt(14)
	v_fma_f64 v[47:48], v[57:58], v[49:50], v[47:48]
	s_waitcnt vmcnt(12) lgkmcnt(0)
	v_fma_f64 v[47:48], v[59:60], v[51:52], v[47:48]
	s_waitcnt vmcnt(10)
	v_fma_f64 v[55:56], v[61:62], v[53:54], v[47:48]
	ds_read_b128 v[47:50], v46 offset:320
	ds_read_b128 v[51:54], v46 offset:336
	s_waitcnt vmcnt(8) lgkmcnt(1)
	v_fma_f64 v[46:47], v[63:64], v[47:48], v[55:56]
	s_waitcnt vmcnt(6)
	v_fma_f64 v[46:47], v[65:66], v[49:50], v[46:47]
	s_waitcnt vmcnt(4) lgkmcnt(0)
	v_fma_f64 v[46:47], v[67:68], v[51:52], v[46:47]
	s_waitcnt vmcnt(2)
	v_fma_f64 v[46:47], v[69:70], v[53:54], v[46:47]
	s_waitcnt vmcnt(0)
	v_add_f64 v[46:47], v[71:72], -v[46:47]
	buffer_store_dword v46, off, s[0:3], 0 offset:104
	buffer_store_dword v47, off, s[0:3], 0 offset:108
	s_and_saveexec_b64 s[4:5], vcc
	s_cbranch_execz .LBB21_115
; %bb.114:
	buffer_load_dword v46, off, s[0:3], 0 offset:96
	buffer_load_dword v47, off, s[0:3], 0 offset:100
	v_mov_b32_e32 v48, 0
	buffer_store_dword v48, off, s[0:3], 0 offset:96
	buffer_store_dword v48, off, s[0:3], 0 offset:100
	s_waitcnt vmcnt(2)
	ds_write_b64 v45, v[46:47]
.LBB21_115:
	s_or_b64 exec, exec, s[4:5]
	s_waitcnt lgkmcnt(0)
	; wave barrier
	buffer_load_dword v55, off, s[0:3], 0 offset:104
	buffer_load_dword v56, off, s[0:3], 0 offset:108
	;; [unrolled: 1-line block ×20, first 2 shown]
	v_mov_b32_e32 v46, 0
	ds_read2_b64 v[47:50], v46 offset0:35 offset1:36
	ds_read2_b64 v[51:54], v46 offset0:37 offset1:38
	v_cmp_lt_u32_e32 vcc, 11, v0
	s_waitcnt vmcnt(18) lgkmcnt(1)
	v_fma_f64 v[47:48], v[55:56], v[47:48], 0
	s_waitcnt vmcnt(16)
	v_fma_f64 v[47:48], v[57:58], v[49:50], v[47:48]
	s_waitcnt vmcnt(14) lgkmcnt(0)
	v_fma_f64 v[47:48], v[59:60], v[51:52], v[47:48]
	s_waitcnt vmcnt(12)
	v_fma_f64 v[55:56], v[61:62], v[53:54], v[47:48]
	ds_read2_b64 v[47:50], v46 offset0:39 offset1:40
	ds_read2_b64 v[51:54], v46 offset0:41 offset1:42
	s_waitcnt vmcnt(10) lgkmcnt(1)
	v_fma_f64 v[47:48], v[63:64], v[47:48], v[55:56]
	s_waitcnt vmcnt(8)
	v_fma_f64 v[47:48], v[65:66], v[49:50], v[47:48]
	ds_read_b64 v[49:50], v46 offset:344
	s_waitcnt vmcnt(6) lgkmcnt(1)
	v_fma_f64 v[47:48], v[67:68], v[51:52], v[47:48]
	s_waitcnt vmcnt(3)
	v_fma_f64 v[47:48], v[69:70], v[53:54], v[47:48]
	s_waitcnt vmcnt(2) lgkmcnt(0)
	v_fma_f64 v[47:48], v[71:72], v[49:50], v[47:48]
	s_waitcnt vmcnt(0)
	v_add_f64 v[47:48], v[73:74], -v[47:48]
	buffer_store_dword v47, off, s[0:3], 0 offset:96
	buffer_store_dword v48, off, s[0:3], 0 offset:100
	s_and_saveexec_b64 s[4:5], vcc
	s_cbranch_execz .LBB21_117
; %bb.116:
	buffer_load_dword v47, off, s[0:3], 0 offset:88
	buffer_load_dword v48, off, s[0:3], 0 offset:92
	s_waitcnt vmcnt(0)
	ds_write_b64 v45, v[47:48]
	buffer_store_dword v46, off, s[0:3], 0 offset:88
	buffer_store_dword v46, off, s[0:3], 0 offset:92
.LBB21_117:
	s_or_b64 exec, exec, s[4:5]
	s_waitcnt lgkmcnt(0)
	; wave barrier
	buffer_load_dword v55, off, s[0:3], 0 offset:96
	buffer_load_dword v56, off, s[0:3], 0 offset:100
	buffer_load_dword v57, off, s[0:3], 0 offset:104
	buffer_load_dword v58, off, s[0:3], 0 offset:108
	buffer_load_dword v59, off, s[0:3], 0 offset:112
	buffer_load_dword v60, off, s[0:3], 0 offset:116
	buffer_load_dword v61, off, s[0:3], 0 offset:120
	buffer_load_dword v62, off, s[0:3], 0 offset:124
	buffer_load_dword v63, off, s[0:3], 0 offset:128
	buffer_load_dword v64, off, s[0:3], 0 offset:132
	buffer_load_dword v65, off, s[0:3], 0 offset:136
	buffer_load_dword v66, off, s[0:3], 0 offset:140
	buffer_load_dword v67, off, s[0:3], 0 offset:144
	buffer_load_dword v68, off, s[0:3], 0 offset:148
	buffer_load_dword v70, off, s[0:3], 0 offset:156
	buffer_load_dword v71, off, s[0:3], 0 offset:168
	buffer_load_dword v73, off, s[0:3], 0 offset:160
	buffer_load_dword v69, off, s[0:3], 0 offset:152
	buffer_load_dword v74, off, s[0:3], 0 offset:164
	buffer_load_dword v72, off, s[0:3], 0 offset:172
	ds_read_b128 v[47:50], v46 offset:272
	buffer_load_dword v75, off, s[0:3], 0 offset:88
	buffer_load_dword v76, off, s[0:3], 0 offset:92
	ds_read_b128 v[51:54], v46 offset:288
	v_cmp_lt_u32_e32 vcc, 10, v0
	s_waitcnt vmcnt(20) lgkmcnt(1)
	v_fma_f64 v[47:48], v[55:56], v[47:48], 0
	s_waitcnt vmcnt(18)
	v_fma_f64 v[47:48], v[57:58], v[49:50], v[47:48]
	s_waitcnt vmcnt(16) lgkmcnt(0)
	v_fma_f64 v[47:48], v[59:60], v[51:52], v[47:48]
	s_waitcnt vmcnt(14)
	v_fma_f64 v[55:56], v[61:62], v[53:54], v[47:48]
	ds_read_b128 v[47:50], v46 offset:304
	ds_read_b128 v[51:54], v46 offset:320
	s_waitcnt vmcnt(12) lgkmcnt(1)
	v_fma_f64 v[47:48], v[63:64], v[47:48], v[55:56]
	s_waitcnt vmcnt(10)
	v_fma_f64 v[47:48], v[65:66], v[49:50], v[47:48]
	s_waitcnt vmcnt(8) lgkmcnt(0)
	v_fma_f64 v[47:48], v[67:68], v[51:52], v[47:48]
	s_waitcnt vmcnt(4)
	v_fma_f64 v[50:51], v[69:70], v[53:54], v[47:48]
	ds_read_b128 v[46:49], v46 offset:336
	s_waitcnt vmcnt(3) lgkmcnt(0)
	v_fma_f64 v[46:47], v[73:74], v[46:47], v[50:51]
	s_waitcnt vmcnt(2)
	v_fma_f64 v[46:47], v[71:72], v[48:49], v[46:47]
	s_waitcnt vmcnt(0)
	v_add_f64 v[46:47], v[75:76], -v[46:47]
	buffer_store_dword v46, off, s[0:3], 0 offset:88
	buffer_store_dword v47, off, s[0:3], 0 offset:92
	s_and_saveexec_b64 s[4:5], vcc
	s_cbranch_execz .LBB21_119
; %bb.118:
	buffer_load_dword v46, off, s[0:3], 0 offset:80
	buffer_load_dword v47, off, s[0:3], 0 offset:84
	v_mov_b32_e32 v48, 0
	buffer_store_dword v48, off, s[0:3], 0 offset:80
	buffer_store_dword v48, off, s[0:3], 0 offset:84
	s_waitcnt vmcnt(2)
	ds_write_b64 v45, v[46:47]
.LBB21_119:
	s_or_b64 exec, exec, s[4:5]
	s_waitcnt lgkmcnt(0)
	; wave barrier
	buffer_load_dword v55, off, s[0:3], 0 offset:88
	buffer_load_dword v56, off, s[0:3], 0 offset:92
	;; [unrolled: 1-line block ×21, first 2 shown]
	v_mov_b32_e32 v46, 0
	ds_read2_b64 v[47:50], v46 offset0:33 offset1:34
	ds_read2_b64 v[51:54], v46 offset0:35 offset1:36
	buffer_load_dword v72, off, s[0:3], 0 offset:172
	v_cmp_lt_u32_e32 vcc, 9, v0
	s_waitcnt vmcnt(20) lgkmcnt(1)
	v_fma_f64 v[47:48], v[55:56], v[47:48], 0
	buffer_load_dword v55, off, s[0:3], 0 offset:80
	buffer_load_dword v56, off, s[0:3], 0 offset:84
	s_waitcnt vmcnt(20)
	v_fma_f64 v[47:48], v[57:58], v[49:50], v[47:48]
	s_waitcnt vmcnt(18) lgkmcnt(0)
	v_fma_f64 v[47:48], v[59:60], v[51:52], v[47:48]
	s_waitcnt vmcnt(16)
	v_fma_f64 v[57:58], v[61:62], v[53:54], v[47:48]
	ds_read2_b64 v[47:50], v46 offset0:37 offset1:38
	ds_read2_b64 v[51:54], v46 offset0:39 offset1:40
	s_waitcnt vmcnt(14) lgkmcnt(1)
	v_fma_f64 v[47:48], v[63:64], v[47:48], v[57:58]
	s_waitcnt vmcnt(12)
	v_fma_f64 v[47:48], v[65:66], v[49:50], v[47:48]
	s_waitcnt vmcnt(10) lgkmcnt(0)
	v_fma_f64 v[47:48], v[67:68], v[51:52], v[47:48]
	s_waitcnt vmcnt(5)
	v_fma_f64 v[51:52], v[69:70], v[53:54], v[47:48]
	ds_read2_b64 v[47:50], v46 offset0:41 offset1:42
	ds_read_b64 v[53:54], v46 offset:344
	s_waitcnt vmcnt(4) lgkmcnt(1)
	v_fma_f64 v[47:48], v[75:76], v[47:48], v[51:52]
	s_waitcnt vmcnt(3)
	v_fma_f64 v[47:48], v[73:74], v[49:50], v[47:48]
	s_waitcnt vmcnt(2) lgkmcnt(0)
	v_fma_f64 v[47:48], v[71:72], v[53:54], v[47:48]
	s_waitcnt vmcnt(0)
	v_add_f64 v[47:48], v[55:56], -v[47:48]
	buffer_store_dword v48, off, s[0:3], 0 offset:84
	buffer_store_dword v47, off, s[0:3], 0 offset:80
	s_and_saveexec_b64 s[4:5], vcc
	s_cbranch_execz .LBB21_121
; %bb.120:
	buffer_load_dword v47, off, s[0:3], 0 offset:72
	buffer_load_dword v48, off, s[0:3], 0 offset:76
	s_waitcnt vmcnt(0)
	ds_write_b64 v45, v[47:48]
	buffer_store_dword v46, off, s[0:3], 0 offset:72
	buffer_store_dword v46, off, s[0:3], 0 offset:76
.LBB21_121:
	s_or_b64 exec, exec, s[4:5]
	s_waitcnt lgkmcnt(0)
	; wave barrier
	buffer_load_dword v55, off, s[0:3], 0 offset:80
	buffer_load_dword v56, off, s[0:3], 0 offset:84
	;; [unrolled: 1-line block ×21, first 2 shown]
	ds_read_b128 v[47:50], v46 offset:256
	ds_read_b128 v[51:54], v46 offset:272
	buffer_load_dword v72, off, s[0:3], 0 offset:164
	v_cmp_lt_u32_e32 vcc, 8, v0
	s_waitcnt vmcnt(20) lgkmcnt(1)
	v_fma_f64 v[47:48], v[55:56], v[47:48], 0
	buffer_load_dword v56, off, s[0:3], 0 offset:172
	buffer_load_dword v55, off, s[0:3], 0 offset:168
	s_waitcnt vmcnt(20)
	v_fma_f64 v[47:48], v[57:58], v[49:50], v[47:48]
	buffer_load_dword v57, off, s[0:3], 0 offset:72
	buffer_load_dword v58, off, s[0:3], 0 offset:76
	s_waitcnt vmcnt(20) lgkmcnt(0)
	v_fma_f64 v[47:48], v[59:60], v[51:52], v[47:48]
	s_waitcnt vmcnt(18)
	v_fma_f64 v[59:60], v[61:62], v[53:54], v[47:48]
	ds_read_b128 v[47:50], v46 offset:288
	ds_read_b128 v[51:54], v46 offset:304
	s_waitcnt vmcnt(16) lgkmcnt(1)
	v_fma_f64 v[47:48], v[63:64], v[47:48], v[59:60]
	s_waitcnt vmcnt(14)
	v_fma_f64 v[47:48], v[65:66], v[49:50], v[47:48]
	s_waitcnt vmcnt(12) lgkmcnt(0)
	v_fma_f64 v[47:48], v[67:68], v[51:52], v[47:48]
	s_waitcnt vmcnt(7)
	v_fma_f64 v[59:60], v[69:70], v[53:54], v[47:48]
	ds_read_b128 v[47:50], v46 offset:320
	ds_read_b128 v[51:54], v46 offset:336
	s_waitcnt vmcnt(6) lgkmcnt(1)
	v_fma_f64 v[46:47], v[75:76], v[47:48], v[59:60]
	s_waitcnt vmcnt(5)
	v_fma_f64 v[46:47], v[73:74], v[49:50], v[46:47]
	s_waitcnt vmcnt(4) lgkmcnt(0)
	v_fma_f64 v[46:47], v[71:72], v[51:52], v[46:47]
	s_waitcnt vmcnt(2)
	v_fma_f64 v[46:47], v[55:56], v[53:54], v[46:47]
	s_waitcnt vmcnt(0)
	v_add_f64 v[46:47], v[57:58], -v[46:47]
	buffer_store_dword v47, off, s[0:3], 0 offset:76
	buffer_store_dword v46, off, s[0:3], 0 offset:72
	s_and_saveexec_b64 s[4:5], vcc
	s_cbranch_execz .LBB21_123
; %bb.122:
	buffer_load_dword v46, off, s[0:3], 0 offset:64
	buffer_load_dword v47, off, s[0:3], 0 offset:68
	v_mov_b32_e32 v48, 0
	buffer_store_dword v48, off, s[0:3], 0 offset:64
	buffer_store_dword v48, off, s[0:3], 0 offset:68
	s_waitcnt vmcnt(2)
	ds_write_b64 v45, v[46:47]
.LBB21_123:
	s_or_b64 exec, exec, s[4:5]
	s_waitcnt lgkmcnt(0)
	; wave barrier
	buffer_load_dword v55, off, s[0:3], 0 offset:72
	buffer_load_dword v56, off, s[0:3], 0 offset:76
	;; [unrolled: 1-line block ×21, first 2 shown]
	v_mov_b32_e32 v46, 0
	ds_read2_b64 v[47:50], v46 offset0:31 offset1:32
	ds_read2_b64 v[51:54], v46 offset0:33 offset1:34
	buffer_load_dword v72, off, s[0:3], 0 offset:156
	v_cmp_lt_u32_e32 vcc, 7, v0
	s_waitcnt vmcnt(20) lgkmcnt(1)
	v_fma_f64 v[47:48], v[55:56], v[47:48], 0
	s_waitcnt vmcnt(18)
	v_fma_f64 v[47:48], v[57:58], v[49:50], v[47:48]
	buffer_load_dword v56, off, s[0:3], 0 offset:164
	buffer_load_dword v57, off, s[0:3], 0 offset:168
	;; [unrolled: 1-line block ×4, first 2 shown]
	s_waitcnt vmcnt(20) lgkmcnt(0)
	v_fma_f64 v[47:48], v[59:60], v[51:52], v[47:48]
	buffer_load_dword v59, off, s[0:3], 0 offset:64
	buffer_load_dword v60, off, s[0:3], 0 offset:68
	s_waitcnt vmcnt(20)
	v_fma_f64 v[61:62], v[61:62], v[53:54], v[47:48]
	ds_read2_b64 v[47:50], v46 offset0:35 offset1:36
	ds_read2_b64 v[51:54], v46 offset0:37 offset1:38
	s_waitcnt vmcnt(18) lgkmcnt(1)
	v_fma_f64 v[47:48], v[63:64], v[47:48], v[61:62]
	s_waitcnt vmcnt(16)
	v_fma_f64 v[47:48], v[65:66], v[49:50], v[47:48]
	s_waitcnt vmcnt(14) lgkmcnt(0)
	v_fma_f64 v[47:48], v[67:68], v[51:52], v[47:48]
	s_waitcnt vmcnt(9)
	v_fma_f64 v[61:62], v[69:70], v[53:54], v[47:48]
	ds_read2_b64 v[47:50], v46 offset0:39 offset1:40
	ds_read2_b64 v[51:54], v46 offset0:41 offset1:42
	s_waitcnt vmcnt(8) lgkmcnt(1)
	v_fma_f64 v[47:48], v[75:76], v[47:48], v[61:62]
	s_waitcnt vmcnt(7)
	v_fma_f64 v[47:48], v[73:74], v[49:50], v[47:48]
	ds_read_b64 v[49:50], v46 offset:344
	s_waitcnt vmcnt(6) lgkmcnt(1)
	v_fma_f64 v[47:48], v[71:72], v[51:52], v[47:48]
	s_waitcnt vmcnt(3)
	v_fma_f64 v[47:48], v[55:56], v[53:54], v[47:48]
	s_waitcnt vmcnt(2) lgkmcnt(0)
	v_fma_f64 v[47:48], v[57:58], v[49:50], v[47:48]
	s_waitcnt vmcnt(0)
	v_add_f64 v[47:48], v[59:60], -v[47:48]
	buffer_store_dword v48, off, s[0:3], 0 offset:68
	buffer_store_dword v47, off, s[0:3], 0 offset:64
	s_and_saveexec_b64 s[4:5], vcc
	s_cbranch_execz .LBB21_125
; %bb.124:
	buffer_load_dword v47, off, s[0:3], 0 offset:56
	buffer_load_dword v48, off, s[0:3], 0 offset:60
	s_waitcnt vmcnt(0)
	ds_write_b64 v45, v[47:48]
	buffer_store_dword v46, off, s[0:3], 0 offset:56
	buffer_store_dword v46, off, s[0:3], 0 offset:60
.LBB21_125:
	s_or_b64 exec, exec, s[4:5]
	s_waitcnt lgkmcnt(0)
	; wave barrier
	buffer_load_dword v55, off, s[0:3], 0 offset:64
	buffer_load_dword v56, off, s[0:3], 0 offset:68
	;; [unrolled: 1-line block ×22, first 2 shown]
	ds_read_b128 v[47:50], v46 offset:240
	ds_read_b128 v[51:54], v46 offset:256
	v_cmp_lt_u32_e32 vcc, 6, v0
	s_waitcnt vmcnt(20) lgkmcnt(1)
	v_fma_f64 v[47:48], v[55:56], v[47:48], 0
	s_waitcnt vmcnt(18)
	v_fma_f64 v[47:48], v[57:58], v[49:50], v[47:48]
	buffer_load_dword v56, off, s[0:3], 0 offset:156
	buffer_load_dword v57, off, s[0:3], 0 offset:168
	;; [unrolled: 1-line block ×6, first 2 shown]
	s_waitcnt vmcnt(22) lgkmcnt(0)
	v_fma_f64 v[47:48], v[59:60], v[51:52], v[47:48]
	s_waitcnt vmcnt(20)
	v_fma_f64 v[59:60], v[61:62], v[53:54], v[47:48]
	ds_read_b128 v[47:50], v46 offset:272
	buffer_load_dword v61, off, s[0:3], 0 offset:56
	buffer_load_dword v62, off, s[0:3], 0 offset:60
	ds_read_b128 v[51:54], v46 offset:288
	s_waitcnt vmcnt(20) lgkmcnt(1)
	v_fma_f64 v[47:48], v[63:64], v[47:48], v[59:60]
	s_waitcnt vmcnt(18)
	v_fma_f64 v[47:48], v[65:66], v[49:50], v[47:48]
	s_waitcnt vmcnt(16) lgkmcnt(0)
	v_fma_f64 v[47:48], v[67:68], v[51:52], v[47:48]
	s_waitcnt vmcnt(11)
	v_fma_f64 v[59:60], v[69:70], v[53:54], v[47:48]
	ds_read_b128 v[47:50], v46 offset:304
	ds_read_b128 v[51:54], v46 offset:320
	s_waitcnt vmcnt(10) lgkmcnt(1)
	v_fma_f64 v[47:48], v[75:76], v[47:48], v[59:60]
	s_waitcnt vmcnt(9)
	v_fma_f64 v[47:48], v[73:74], v[49:50], v[47:48]
	s_waitcnt vmcnt(8) lgkmcnt(0)
	v_fma_f64 v[47:48], v[71:72], v[51:52], v[47:48]
	s_waitcnt vmcnt(4)
	v_fma_f64 v[50:51], v[55:56], v[53:54], v[47:48]
	ds_read_b128 v[46:49], v46 offset:336
	s_waitcnt vmcnt(3) lgkmcnt(0)
	v_fma_f64 v[46:47], v[77:78], v[46:47], v[50:51]
	s_waitcnt vmcnt(2)
	v_fma_f64 v[46:47], v[57:58], v[48:49], v[46:47]
	s_waitcnt vmcnt(0)
	v_add_f64 v[46:47], v[61:62], -v[46:47]
	buffer_store_dword v47, off, s[0:3], 0 offset:60
	buffer_store_dword v46, off, s[0:3], 0 offset:56
	s_and_saveexec_b64 s[4:5], vcc
	s_cbranch_execz .LBB21_127
; %bb.126:
	buffer_load_dword v46, off, s[0:3], 0 offset:48
	buffer_load_dword v47, off, s[0:3], 0 offset:52
	v_mov_b32_e32 v48, 0
	buffer_store_dword v48, off, s[0:3], 0 offset:48
	buffer_store_dword v48, off, s[0:3], 0 offset:52
	s_waitcnt vmcnt(2)
	ds_write_b64 v45, v[46:47]
.LBB21_127:
	s_or_b64 exec, exec, s[4:5]
	s_waitcnt lgkmcnt(0)
	; wave barrier
	buffer_load_dword v55, off, s[0:3], 0 offset:56
	buffer_load_dword v56, off, s[0:3], 0 offset:60
	buffer_load_dword v57, off, s[0:3], 0 offset:64
	buffer_load_dword v58, off, s[0:3], 0 offset:68
	buffer_load_dword v59, off, s[0:3], 0 offset:72
	buffer_load_dword v60, off, s[0:3], 0 offset:76
	buffer_load_dword v61, off, s[0:3], 0 offset:80
	buffer_load_dword v62, off, s[0:3], 0 offset:84
	buffer_load_dword v63, off, s[0:3], 0 offset:88
	buffer_load_dword v64, off, s[0:3], 0 offset:92
	buffer_load_dword v65, off, s[0:3], 0 offset:96
	buffer_load_dword v66, off, s[0:3], 0 offset:100
	buffer_load_dword v67, off, s[0:3], 0 offset:104
	buffer_load_dword v68, off, s[0:3], 0 offset:108
	buffer_load_dword v70, off, s[0:3], 0 offset:116
	buffer_load_dword v71, off, s[0:3], 0 offset:136
	buffer_load_dword v73, off, s[0:3], 0 offset:128
	buffer_load_dword v75, off, s[0:3], 0 offset:120
	buffer_load_dword v69, off, s[0:3], 0 offset:112
	buffer_load_dword v76, off, s[0:3], 0 offset:124
	buffer_load_dword v74, off, s[0:3], 0 offset:132
	buffer_load_dword v72, off, s[0:3], 0 offset:140
	v_mov_b32_e32 v46, 0
	ds_read2_b64 v[47:50], v46 offset0:29 offset1:30
	ds_read2_b64 v[51:54], v46 offset0:31 offset1:32
	v_cmp_lt_u32_e32 vcc, 5, v0
	s_waitcnt vmcnt(20) lgkmcnt(1)
	v_fma_f64 v[47:48], v[55:56], v[47:48], 0
	s_waitcnt vmcnt(18)
	v_fma_f64 v[47:48], v[57:58], v[49:50], v[47:48]
	buffer_load_dword v56, off, s[0:3], 0 offset:148
	buffer_load_dword v57, off, s[0:3], 0 offset:168
	;; [unrolled: 1-line block ×8, first 2 shown]
	s_waitcnt vmcnt(24) lgkmcnt(0)
	v_fma_f64 v[47:48], v[59:60], v[51:52], v[47:48]
	s_waitcnt vmcnt(22)
	v_fma_f64 v[59:60], v[61:62], v[53:54], v[47:48]
	ds_read2_b64 v[47:50], v46 offset0:33 offset1:34
	ds_read2_b64 v[51:54], v46 offset0:35 offset1:36
	s_waitcnt vmcnt(20) lgkmcnt(1)
	v_fma_f64 v[47:48], v[63:64], v[47:48], v[59:60]
	buffer_load_dword v59, off, s[0:3], 0 offset:48
	buffer_load_dword v60, off, s[0:3], 0 offset:52
	s_waitcnt vmcnt(20)
	v_fma_f64 v[47:48], v[65:66], v[49:50], v[47:48]
	s_waitcnt vmcnt(18) lgkmcnt(0)
	v_fma_f64 v[47:48], v[67:68], v[51:52], v[47:48]
	s_waitcnt vmcnt(13)
	v_fma_f64 v[61:62], v[69:70], v[53:54], v[47:48]
	ds_read2_b64 v[47:50], v46 offset0:37 offset1:38
	ds_read2_b64 v[51:54], v46 offset0:39 offset1:40
	s_waitcnt vmcnt(12) lgkmcnt(1)
	v_fma_f64 v[47:48], v[75:76], v[47:48], v[61:62]
	s_waitcnt vmcnt(11)
	v_fma_f64 v[47:48], v[73:74], v[49:50], v[47:48]
	s_waitcnt vmcnt(10) lgkmcnt(0)
	v_fma_f64 v[47:48], v[71:72], v[51:52], v[47:48]
	s_waitcnt vmcnt(5)
	v_fma_f64 v[51:52], v[55:56], v[53:54], v[47:48]
	ds_read2_b64 v[47:50], v46 offset0:41 offset1:42
	ds_read_b64 v[53:54], v46 offset:344
	s_waitcnt vmcnt(4) lgkmcnt(1)
	v_fma_f64 v[47:48], v[79:80], v[47:48], v[51:52]
	s_waitcnt vmcnt(3)
	v_fma_f64 v[47:48], v[77:78], v[49:50], v[47:48]
	s_waitcnt vmcnt(2) lgkmcnt(0)
	v_fma_f64 v[47:48], v[57:58], v[53:54], v[47:48]
	s_waitcnt vmcnt(0)
	v_add_f64 v[47:48], v[59:60], -v[47:48]
	buffer_store_dword v48, off, s[0:3], 0 offset:52
	buffer_store_dword v47, off, s[0:3], 0 offset:48
	s_and_saveexec_b64 s[4:5], vcc
	s_cbranch_execz .LBB21_129
; %bb.128:
	buffer_load_dword v47, off, s[0:3], 0 offset:40
	buffer_load_dword v48, off, s[0:3], 0 offset:44
	s_waitcnt vmcnt(0)
	ds_write_b64 v45, v[47:48]
	buffer_store_dword v46, off, s[0:3], 0 offset:40
	buffer_store_dword v46, off, s[0:3], 0 offset:44
.LBB21_129:
	s_or_b64 exec, exec, s[4:5]
	s_waitcnt lgkmcnt(0)
	; wave barrier
	buffer_load_dword v55, off, s[0:3], 0 offset:48
	buffer_load_dword v56, off, s[0:3], 0 offset:52
	buffer_load_dword v57, off, s[0:3], 0 offset:56
	buffer_load_dword v58, off, s[0:3], 0 offset:60
	buffer_load_dword v59, off, s[0:3], 0 offset:64
	buffer_load_dword v60, off, s[0:3], 0 offset:68
	buffer_load_dword v61, off, s[0:3], 0 offset:72
	buffer_load_dword v62, off, s[0:3], 0 offset:76
	buffer_load_dword v63, off, s[0:3], 0 offset:80
	buffer_load_dword v64, off, s[0:3], 0 offset:84
	buffer_load_dword v65, off, s[0:3], 0 offset:88
	buffer_load_dword v66, off, s[0:3], 0 offset:92
	buffer_load_dword v67, off, s[0:3], 0 offset:96
	buffer_load_dword v68, off, s[0:3], 0 offset:100
	buffer_load_dword v70, off, s[0:3], 0 offset:108
	buffer_load_dword v71, off, s[0:3], 0 offset:128
	buffer_load_dword v73, off, s[0:3], 0 offset:120
	buffer_load_dword v75, off, s[0:3], 0 offset:112
	buffer_load_dword v69, off, s[0:3], 0 offset:104
	buffer_load_dword v76, off, s[0:3], 0 offset:116
	buffer_load_dword v74, off, s[0:3], 0 offset:124
	buffer_load_dword v72, off, s[0:3], 0 offset:132
	ds_read_b128 v[47:50], v46 offset:224
	ds_read_b128 v[51:54], v46 offset:240
	v_cmp_lt_u32_e32 vcc, 4, v0
	s_waitcnt vmcnt(20) lgkmcnt(1)
	v_fma_f64 v[47:48], v[55:56], v[47:48], 0
	s_waitcnt vmcnt(18)
	v_fma_f64 v[47:48], v[57:58], v[49:50], v[47:48]
	buffer_load_dword v56, off, s[0:3], 0 offset:140
	buffer_load_dword v57, off, s[0:3], 0 offset:160
	;; [unrolled: 1-line block ×8, first 2 shown]
	s_waitcnt vmcnt(24) lgkmcnt(0)
	v_fma_f64 v[47:48], v[59:60], v[51:52], v[47:48]
	s_waitcnt vmcnt(22)
	v_fma_f64 v[59:60], v[61:62], v[53:54], v[47:48]
	ds_read_b128 v[47:50], v46 offset:256
	ds_read_b128 v[51:54], v46 offset:272
	s_waitcnt vmcnt(20) lgkmcnt(1)
	v_fma_f64 v[47:48], v[63:64], v[47:48], v[59:60]
	buffer_load_dword v60, off, s[0:3], 0 offset:172
	buffer_load_dword v59, off, s[0:3], 0 offset:168
	buffer_load_dword v61, off, s[0:3], 0 offset:40
	buffer_load_dword v62, off, s[0:3], 0 offset:44
	s_waitcnt vmcnt(22)
	v_fma_f64 v[47:48], v[65:66], v[49:50], v[47:48]
	s_waitcnt vmcnt(20) lgkmcnt(0)
	v_fma_f64 v[47:48], v[67:68], v[51:52], v[47:48]
	s_waitcnt vmcnt(15)
	v_fma_f64 v[63:64], v[69:70], v[53:54], v[47:48]
	ds_read_b128 v[47:50], v46 offset:288
	ds_read_b128 v[51:54], v46 offset:304
	s_waitcnt vmcnt(14) lgkmcnt(1)
	v_fma_f64 v[47:48], v[75:76], v[47:48], v[63:64]
	s_waitcnt vmcnt(13)
	v_fma_f64 v[47:48], v[73:74], v[49:50], v[47:48]
	s_waitcnt vmcnt(12) lgkmcnt(0)
	v_fma_f64 v[47:48], v[71:72], v[51:52], v[47:48]
	s_waitcnt vmcnt(7)
	v_fma_f64 v[55:56], v[55:56], v[53:54], v[47:48]
	ds_read_b128 v[47:50], v46 offset:320
	ds_read_b128 v[51:54], v46 offset:336
	s_waitcnt vmcnt(6) lgkmcnt(1)
	v_fma_f64 v[46:47], v[79:80], v[47:48], v[55:56]
	s_waitcnt vmcnt(5)
	v_fma_f64 v[46:47], v[77:78], v[49:50], v[46:47]
	s_waitcnt vmcnt(4) lgkmcnt(0)
	v_fma_f64 v[46:47], v[57:58], v[51:52], v[46:47]
	s_waitcnt vmcnt(2)
	v_fma_f64 v[46:47], v[59:60], v[53:54], v[46:47]
	s_waitcnt vmcnt(0)
	v_add_f64 v[46:47], v[61:62], -v[46:47]
	buffer_store_dword v47, off, s[0:3], 0 offset:44
	buffer_store_dword v46, off, s[0:3], 0 offset:40
	s_and_saveexec_b64 s[4:5], vcc
	s_cbranch_execz .LBB21_131
; %bb.130:
	buffer_load_dword v46, off, s[0:3], 0 offset:32
	buffer_load_dword v47, off, s[0:3], 0 offset:36
	v_mov_b32_e32 v48, 0
	buffer_store_dword v48, off, s[0:3], 0 offset:32
	buffer_store_dword v48, off, s[0:3], 0 offset:36
	s_waitcnt vmcnt(2)
	ds_write_b64 v45, v[46:47]
.LBB21_131:
	s_or_b64 exec, exec, s[4:5]
	s_waitcnt lgkmcnt(0)
	; wave barrier
	buffer_load_dword v55, off, s[0:3], 0 offset:40
	buffer_load_dword v56, off, s[0:3], 0 offset:44
	;; [unrolled: 1-line block ×22, first 2 shown]
	v_mov_b32_e32 v46, 0
	ds_read2_b64 v[47:50], v46 offset0:27 offset1:28
	ds_read2_b64 v[51:54], v46 offset0:29 offset1:30
	v_cmp_lt_u32_e32 vcc, 3, v0
	s_waitcnt vmcnt(20) lgkmcnt(1)
	v_fma_f64 v[47:48], v[55:56], v[47:48], 0
	s_waitcnt vmcnt(18)
	v_fma_f64 v[47:48], v[57:58], v[49:50], v[47:48]
	buffer_load_dword v56, off, s[0:3], 0 offset:132
	buffer_load_dword v57, off, s[0:3], 0 offset:152
	buffer_load_dword v77, off, s[0:3], 0 offset:144
	buffer_load_dword v79, off, s[0:3], 0 offset:136
	buffer_load_dword v55, off, s[0:3], 0 offset:128
	buffer_load_dword v80, off, s[0:3], 0 offset:140
	buffer_load_dword v78, off, s[0:3], 0 offset:148
	s_waitcnt vmcnt(23) lgkmcnt(0)
	v_fma_f64 v[47:48], v[59:60], v[51:52], v[47:48]
	s_waitcnt vmcnt(21)
	v_fma_f64 v[58:59], v[61:62], v[53:54], v[47:48]
	ds_read2_b64 v[47:50], v46 offset0:31 offset1:32
	ds_read2_b64 v[51:54], v46 offset0:33 offset1:34
	s_waitcnt vmcnt(19) lgkmcnt(1)
	v_fma_f64 v[47:48], v[63:64], v[47:48], v[58:59]
	buffer_load_dword v58, off, s[0:3], 0 offset:156
	buffer_load_dword v60, off, s[0:3], 0 offset:164
	;; [unrolled: 1-line block ×7, first 2 shown]
	s_waitcnt vmcnt(24)
	v_fma_f64 v[47:48], v[65:66], v[49:50], v[47:48]
	s_waitcnt vmcnt(22) lgkmcnt(0)
	v_fma_f64 v[47:48], v[67:68], v[51:52], v[47:48]
	s_waitcnt vmcnt(17)
	v_fma_f64 v[65:66], v[69:70], v[53:54], v[47:48]
	ds_read2_b64 v[47:50], v46 offset0:35 offset1:36
	ds_read2_b64 v[51:54], v46 offset0:37 offset1:38
	s_waitcnt vmcnt(16) lgkmcnt(1)
	v_fma_f64 v[47:48], v[75:76], v[47:48], v[65:66]
	s_waitcnt vmcnt(15)
	v_fma_f64 v[47:48], v[73:74], v[49:50], v[47:48]
	s_waitcnt vmcnt(14) lgkmcnt(0)
	v_fma_f64 v[47:48], v[71:72], v[51:52], v[47:48]
	s_waitcnt vmcnt(9)
	v_fma_f64 v[55:56], v[55:56], v[53:54], v[47:48]
	ds_read2_b64 v[47:50], v46 offset0:39 offset1:40
	ds_read2_b64 v[51:54], v46 offset0:41 offset1:42
	s_waitcnt vmcnt(8) lgkmcnt(1)
	v_fma_f64 v[47:48], v[79:80], v[47:48], v[55:56]
	s_waitcnt vmcnt(7)
	v_fma_f64 v[47:48], v[77:78], v[49:50], v[47:48]
	ds_read_b64 v[49:50], v46 offset:344
	s_waitcnt vmcnt(6) lgkmcnt(1)
	v_fma_f64 v[47:48], v[57:58], v[51:52], v[47:48]
	s_waitcnt vmcnt(3)
	v_fma_f64 v[47:48], v[59:60], v[53:54], v[47:48]
	s_waitcnt vmcnt(2) lgkmcnt(0)
	v_fma_f64 v[47:48], v[61:62], v[49:50], v[47:48]
	s_waitcnt vmcnt(0)
	v_add_f64 v[47:48], v[63:64], -v[47:48]
	buffer_store_dword v48, off, s[0:3], 0 offset:36
	buffer_store_dword v47, off, s[0:3], 0 offset:32
	s_and_saveexec_b64 s[4:5], vcc
	s_cbranch_execz .LBB21_133
; %bb.132:
	buffer_load_dword v47, off, s[0:3], 0 offset:24
	buffer_load_dword v48, off, s[0:3], 0 offset:28
	s_waitcnt vmcnt(0)
	ds_write_b64 v45, v[47:48]
	buffer_store_dword v46, off, s[0:3], 0 offset:24
	buffer_store_dword v46, off, s[0:3], 0 offset:28
.LBB21_133:
	s_or_b64 exec, exec, s[4:5]
	s_waitcnt lgkmcnt(0)
	; wave barrier
	buffer_load_dword v55, off, s[0:3], 0 offset:32
	buffer_load_dword v56, off, s[0:3], 0 offset:36
	;; [unrolled: 1-line block ×22, first 2 shown]
	ds_read_b128 v[47:50], v46 offset:208
	ds_read_b128 v[51:54], v46 offset:224
	v_cmp_lt_u32_e32 vcc, 2, v0
	s_waitcnt vmcnt(20) lgkmcnt(1)
	v_fma_f64 v[47:48], v[55:56], v[47:48], 0
	s_waitcnt vmcnt(18)
	v_fma_f64 v[47:48], v[57:58], v[49:50], v[47:48]
	buffer_load_dword v56, off, s[0:3], 0 offset:124
	buffer_load_dword v57, off, s[0:3], 0 offset:144
	buffer_load_dword v77, off, s[0:3], 0 offset:136
	buffer_load_dword v79, off, s[0:3], 0 offset:128
	buffer_load_dword v55, off, s[0:3], 0 offset:120
	buffer_load_dword v80, off, s[0:3], 0 offset:132
	buffer_load_dword v78, off, s[0:3], 0 offset:140
	s_waitcnt vmcnt(23) lgkmcnt(0)
	v_fma_f64 v[47:48], v[59:60], v[51:52], v[47:48]
	s_waitcnt vmcnt(21)
	v_fma_f64 v[58:59], v[61:62], v[53:54], v[47:48]
	ds_read_b128 v[47:50], v46 offset:240
	ds_read_b128 v[51:54], v46 offset:256
	s_waitcnt vmcnt(19) lgkmcnt(1)
	v_fma_f64 v[47:48], v[63:64], v[47:48], v[58:59]
	buffer_load_dword v58, off, s[0:3], 0 offset:148
	buffer_load_dword v60, off, s[0:3], 0 offset:156
	;; [unrolled: 1-line block ×7, first 2 shown]
	s_waitcnt vmcnt(24)
	v_fma_f64 v[47:48], v[65:66], v[49:50], v[47:48]
	s_waitcnt vmcnt(22) lgkmcnt(0)
	v_fma_f64 v[47:48], v[67:68], v[51:52], v[47:48]
	s_waitcnt vmcnt(17)
	v_fma_f64 v[65:66], v[69:70], v[53:54], v[47:48]
	ds_read_b128 v[47:50], v46 offset:272
	buffer_load_dword v67, off, s[0:3], 0 offset:24
	buffer_load_dword v68, off, s[0:3], 0 offset:28
	ds_read_b128 v[51:54], v46 offset:288
	s_waitcnt vmcnt(18) lgkmcnt(1)
	v_fma_f64 v[47:48], v[75:76], v[47:48], v[65:66]
	s_waitcnt vmcnt(17)
	v_fma_f64 v[47:48], v[73:74], v[49:50], v[47:48]
	s_waitcnt vmcnt(16) lgkmcnt(0)
	v_fma_f64 v[47:48], v[71:72], v[51:52], v[47:48]
	s_waitcnt vmcnt(11)
	v_fma_f64 v[55:56], v[55:56], v[53:54], v[47:48]
	ds_read_b128 v[47:50], v46 offset:304
	ds_read_b128 v[51:54], v46 offset:320
	s_waitcnt vmcnt(10) lgkmcnt(1)
	v_fma_f64 v[47:48], v[79:80], v[47:48], v[55:56]
	s_waitcnt vmcnt(9)
	v_fma_f64 v[47:48], v[77:78], v[49:50], v[47:48]
	s_waitcnt vmcnt(8) lgkmcnt(0)
	v_fma_f64 v[47:48], v[57:58], v[51:52], v[47:48]
	s_waitcnt vmcnt(4)
	v_fma_f64 v[50:51], v[59:60], v[53:54], v[47:48]
	ds_read_b128 v[46:49], v46 offset:336
	s_waitcnt vmcnt(3) lgkmcnt(0)
	v_fma_f64 v[46:47], v[63:64], v[46:47], v[50:51]
	s_waitcnt vmcnt(2)
	v_fma_f64 v[46:47], v[61:62], v[48:49], v[46:47]
	s_waitcnt vmcnt(0)
	v_add_f64 v[46:47], v[67:68], -v[46:47]
	buffer_store_dword v47, off, s[0:3], 0 offset:28
	buffer_store_dword v46, off, s[0:3], 0 offset:24
	s_and_saveexec_b64 s[4:5], vcc
	s_cbranch_execz .LBB21_135
; %bb.134:
	buffer_load_dword v46, off, s[0:3], 0 offset:16
	buffer_load_dword v47, off, s[0:3], 0 offset:20
	v_mov_b32_e32 v48, 0
	buffer_store_dword v48, off, s[0:3], 0 offset:16
	buffer_store_dword v48, off, s[0:3], 0 offset:20
	s_waitcnt vmcnt(2)
	ds_write_b64 v45, v[46:47]
.LBB21_135:
	s_or_b64 exec, exec, s[4:5]
	s_waitcnt lgkmcnt(0)
	; wave barrier
	buffer_load_dword v55, off, s[0:3], 0 offset:24
	buffer_load_dword v56, off, s[0:3], 0 offset:28
	;; [unrolled: 1-line block ×22, first 2 shown]
	v_mov_b32_e32 v46, 0
	ds_read2_b64 v[47:50], v46 offset0:25 offset1:26
	ds_read2_b64 v[51:54], v46 offset0:27 offset1:28
	v_cmp_lt_u32_e32 vcc, 1, v0
	s_waitcnt vmcnt(20) lgkmcnt(1)
	v_fma_f64 v[47:48], v[55:56], v[47:48], 0
	s_waitcnt vmcnt(18)
	v_fma_f64 v[47:48], v[57:58], v[49:50], v[47:48]
	buffer_load_dword v56, off, s[0:3], 0 offset:116
	buffer_load_dword v57, off, s[0:3], 0 offset:136
	;; [unrolled: 1-line block ×7, first 2 shown]
	s_waitcnt vmcnt(23) lgkmcnt(0)
	v_fma_f64 v[47:48], v[59:60], v[51:52], v[47:48]
	s_waitcnt vmcnt(21)
	v_fma_f64 v[58:59], v[61:62], v[53:54], v[47:48]
	ds_read2_b64 v[47:50], v46 offset0:29 offset1:30
	ds_read2_b64 v[51:54], v46 offset0:31 offset1:32
	s_waitcnt vmcnt(19) lgkmcnt(1)
	v_fma_f64 v[47:48], v[63:64], v[47:48], v[58:59]
	buffer_load_dword v58, off, s[0:3], 0 offset:140
	s_waitcnt vmcnt(18)
	v_fma_f64 v[47:48], v[65:66], v[49:50], v[47:48]
	buffer_load_dword v60, off, s[0:3], 0 offset:148
	buffer_load_dword v61, off, s[0:3], 0 offset:168
	;; [unrolled: 1-line block ×8, first 2 shown]
	s_waitcnt vmcnt(24) lgkmcnt(0)
	v_fma_f64 v[47:48], v[67:68], v[51:52], v[47:48]
	s_waitcnt vmcnt(19)
	v_fma_f64 v[67:68], v[69:70], v[53:54], v[47:48]
	ds_read2_b64 v[47:50], v46 offset0:33 offset1:34
	ds_read2_b64 v[51:54], v46 offset0:35 offset1:36
	s_waitcnt vmcnt(18) lgkmcnt(1)
	v_fma_f64 v[47:48], v[75:76], v[47:48], v[67:68]
	buffer_load_dword v67, off, s[0:3], 0 offset:16
	buffer_load_dword v68, off, s[0:3], 0 offset:20
	s_waitcnt vmcnt(19)
	v_fma_f64 v[47:48], v[73:74], v[49:50], v[47:48]
	s_waitcnt vmcnt(18) lgkmcnt(0)
	v_fma_f64 v[47:48], v[71:72], v[51:52], v[47:48]
	s_waitcnt vmcnt(13)
	v_fma_f64 v[55:56], v[55:56], v[53:54], v[47:48]
	ds_read2_b64 v[47:50], v46 offset0:37 offset1:38
	ds_read2_b64 v[51:54], v46 offset0:39 offset1:40
	s_waitcnt vmcnt(12) lgkmcnt(1)
	v_fma_f64 v[47:48], v[79:80], v[47:48], v[55:56]
	s_waitcnt vmcnt(11)
	v_fma_f64 v[47:48], v[77:78], v[49:50], v[47:48]
	s_waitcnt vmcnt(10) lgkmcnt(0)
	v_fma_f64 v[47:48], v[57:58], v[51:52], v[47:48]
	s_waitcnt vmcnt(5)
	v_fma_f64 v[51:52], v[59:60], v[53:54], v[47:48]
	ds_read2_b64 v[47:50], v46 offset0:41 offset1:42
	ds_read_b64 v[53:54], v46 offset:344
	s_waitcnt vmcnt(4) lgkmcnt(1)
	v_fma_f64 v[47:48], v[65:66], v[47:48], v[51:52]
	s_waitcnt vmcnt(3)
	v_fma_f64 v[47:48], v[63:64], v[49:50], v[47:48]
	s_waitcnt vmcnt(2) lgkmcnt(0)
	v_fma_f64 v[47:48], v[61:62], v[53:54], v[47:48]
	s_waitcnt vmcnt(0)
	v_add_f64 v[47:48], v[67:68], -v[47:48]
	buffer_store_dword v48, off, s[0:3], 0 offset:20
	buffer_store_dword v47, off, s[0:3], 0 offset:16
	s_and_saveexec_b64 s[4:5], vcc
	s_cbranch_execz .LBB21_137
; %bb.136:
	buffer_load_dword v47, off, s[0:3], 0 offset:8
	buffer_load_dword v48, off, s[0:3], 0 offset:12
	s_waitcnt vmcnt(0)
	ds_write_b64 v45, v[47:48]
	buffer_store_dword v46, off, s[0:3], 0 offset:8
	buffer_store_dword v46, off, s[0:3], 0 offset:12
.LBB21_137:
	s_or_b64 exec, exec, s[4:5]
	s_waitcnt lgkmcnt(0)
	; wave barrier
	buffer_load_dword v55, off, s[0:3], 0 offset:16
	buffer_load_dword v56, off, s[0:3], 0 offset:20
	;; [unrolled: 1-line block ×22, first 2 shown]
	ds_read_b128 v[47:50], v46 offset:192
	ds_read_b128 v[51:54], v46 offset:208
	v_cmp_ne_u32_e32 vcc, 0, v0
	s_waitcnt vmcnt(20) lgkmcnt(1)
	v_fma_f64 v[47:48], v[55:56], v[47:48], 0
	s_waitcnt vmcnt(18)
	v_fma_f64 v[47:48], v[57:58], v[49:50], v[47:48]
	buffer_load_dword v56, off, s[0:3], 0 offset:108
	buffer_load_dword v57, off, s[0:3], 0 offset:128
	;; [unrolled: 1-line block ×7, first 2 shown]
	s_waitcnt vmcnt(23) lgkmcnt(0)
	v_fma_f64 v[47:48], v[59:60], v[51:52], v[47:48]
	s_waitcnt vmcnt(21)
	v_fma_f64 v[58:59], v[61:62], v[53:54], v[47:48]
	ds_read_b128 v[47:50], v46 offset:224
	ds_read_b128 v[51:54], v46 offset:240
	s_waitcnt vmcnt(19) lgkmcnt(1)
	v_fma_f64 v[47:48], v[63:64], v[47:48], v[58:59]
	buffer_load_dword v58, off, s[0:3], 0 offset:132
	s_waitcnt vmcnt(18)
	v_fma_f64 v[47:48], v[65:66], v[49:50], v[47:48]
	buffer_load_dword v60, off, s[0:3], 0 offset:140
	buffer_load_dword v61, off, s[0:3], 0 offset:160
	;; [unrolled: 1-line block ×8, first 2 shown]
	s_waitcnt vmcnt(24) lgkmcnt(0)
	v_fma_f64 v[47:48], v[67:68], v[51:52], v[47:48]
	s_waitcnt vmcnt(19)
	v_fma_f64 v[67:68], v[69:70], v[53:54], v[47:48]
	ds_read_b128 v[47:50], v46 offset:256
	ds_read_b128 v[51:54], v46 offset:272
	s_waitcnt vmcnt(18) lgkmcnt(1)
	v_fma_f64 v[47:48], v[75:76], v[47:48], v[67:68]
	buffer_load_dword v68, off, s[0:3], 0 offset:172
	buffer_load_dword v67, off, s[0:3], 0 offset:168
	;; [unrolled: 1-line block ×4, first 2 shown]
	s_waitcnt vmcnt(21)
	v_fma_f64 v[47:48], v[73:74], v[49:50], v[47:48]
	s_waitcnt vmcnt(20) lgkmcnt(0)
	v_fma_f64 v[47:48], v[71:72], v[51:52], v[47:48]
	s_waitcnt vmcnt(15)
	v_fma_f64 v[55:56], v[55:56], v[53:54], v[47:48]
	ds_read_b128 v[47:50], v46 offset:288
	ds_read_b128 v[51:54], v46 offset:304
	s_waitcnt vmcnt(14) lgkmcnt(1)
	v_fma_f64 v[47:48], v[79:80], v[47:48], v[55:56]
	s_waitcnt vmcnt(13)
	v_fma_f64 v[47:48], v[77:78], v[49:50], v[47:48]
	s_waitcnt vmcnt(12) lgkmcnt(0)
	v_fma_f64 v[47:48], v[57:58], v[51:52], v[47:48]
	s_waitcnt vmcnt(7)
	v_fma_f64 v[55:56], v[59:60], v[53:54], v[47:48]
	ds_read_b128 v[47:50], v46 offset:320
	ds_read_b128 v[51:54], v46 offset:336
	s_waitcnt vmcnt(6) lgkmcnt(1)
	v_fma_f64 v[46:47], v[65:66], v[47:48], v[55:56]
	s_waitcnt vmcnt(5)
	v_fma_f64 v[46:47], v[63:64], v[49:50], v[46:47]
	s_waitcnt vmcnt(4) lgkmcnt(0)
	v_fma_f64 v[46:47], v[61:62], v[51:52], v[46:47]
	s_waitcnt vmcnt(2)
	v_fma_f64 v[46:47], v[67:68], v[53:54], v[46:47]
	s_waitcnt vmcnt(0)
	v_add_f64 v[46:47], v[69:70], -v[46:47]
	buffer_store_dword v47, off, s[0:3], 0 offset:12
	buffer_store_dword v46, off, s[0:3], 0 offset:8
	s_and_saveexec_b64 s[4:5], vcc
	s_cbranch_execz .LBB21_139
; %bb.138:
	buffer_load_dword v46, off, s[0:3], 0
	buffer_load_dword v47, off, s[0:3], 0 offset:4
	v_mov_b32_e32 v0, 0
	buffer_store_dword v0, off, s[0:3], 0
	buffer_store_dword v0, off, s[0:3], 0 offset:4
	s_waitcnt vmcnt(2)
	ds_write_b64 v45, v[46:47]
.LBB21_139:
	s_or_b64 exec, exec, s[4:5]
	s_waitcnt lgkmcnt(0)
	; wave barrier
	buffer_load_dword v53, off, s[0:3], 0 offset:8
	buffer_load_dword v54, off, s[0:3], 0 offset:12
	;; [unrolled: 1-line block ×21, first 2 shown]
	v_mov_b32_e32 v0, 0
	ds_read2_b64 v[45:48], v0 offset0:23 offset1:24
	ds_read2_b64 v[49:52], v0 offset0:25 offset1:26
	buffer_load_dword v70, off, s[0:3], 0 offset:92
	s_and_b64 vcc, exec, s[22:23]
	s_waitcnt vmcnt(20) lgkmcnt(1)
	v_fma_f64 v[45:46], v[53:54], v[45:46], 0
	s_waitcnt vmcnt(18)
	v_fma_f64 v[45:46], v[55:56], v[47:48], v[45:46]
	buffer_load_dword v54, off, s[0:3], 0 offset:100
	buffer_load_dword v55, off, s[0:3], 0 offset:120
	;; [unrolled: 1-line block ×7, first 2 shown]
	s_waitcnt vmcnt(23) lgkmcnt(0)
	v_fma_f64 v[45:46], v[57:58], v[49:50], v[45:46]
	s_waitcnt vmcnt(21)
	v_fma_f64 v[56:57], v[59:60], v[51:52], v[45:46]
	ds_read2_b64 v[45:48], v0 offset0:27 offset1:28
	ds_read2_b64 v[49:52], v0 offset0:29 offset1:30
	s_waitcnt vmcnt(19) lgkmcnt(1)
	v_fma_f64 v[45:46], v[61:62], v[45:46], v[56:57]
	buffer_load_dword v56, off, s[0:3], 0 offset:124
	s_waitcnt vmcnt(18)
	v_fma_f64 v[45:46], v[63:64], v[47:48], v[45:46]
	buffer_load_dword v58, off, s[0:3], 0 offset:132
	buffer_load_dword v59, off, s[0:3], 0 offset:152
	;; [unrolled: 1-line block ×7, first 2 shown]
	s_waitcnt vmcnt(23) lgkmcnt(0)
	v_fma_f64 v[45:46], v[65:66], v[49:50], v[45:46]
	s_waitcnt vmcnt(18)
	v_fma_f64 v[65:66], v[67:68], v[51:52], v[45:46]
	ds_read2_b64 v[45:48], v0 offset0:31 offset1:32
	ds_read2_b64 v[49:52], v0 offset0:33 offset1:34
	buffer_load_dword v60, off, s[0:3], 0 offset:156
	s_waitcnt vmcnt(18) lgkmcnt(1)
	v_fma_f64 v[45:46], v[73:74], v[45:46], v[65:66]
	s_waitcnt vmcnt(17)
	v_fma_f64 v[47:48], v[71:72], v[47:48], v[45:46]
	buffer_load_dword v46, off, s[0:3], 0 offset:164
	buffer_load_dword v65, off, s[0:3], 0 offset:168
	buffer_load_dword v45, off, s[0:3], 0 offset:160
	buffer_load_dword v66, off, s[0:3], 0 offset:172
	buffer_load_dword v67, off, s[0:3], 0
	buffer_load_dword v68, off, s[0:3], 0 offset:4
	s_waitcnt vmcnt(22) lgkmcnt(0)
	v_fma_f64 v[47:48], v[69:70], v[49:50], v[47:48]
	s_waitcnt vmcnt(17)
	v_fma_f64 v[69:70], v[53:54], v[51:52], v[47:48]
	ds_read2_b64 v[47:50], v0 offset0:35 offset1:36
	ds_read2_b64 v[51:54], v0 offset0:37 offset1:38
	s_waitcnt vmcnt(16) lgkmcnt(1)
	v_fma_f64 v[47:48], v[77:78], v[47:48], v[69:70]
	s_waitcnt vmcnt(15)
	v_fma_f64 v[47:48], v[75:76], v[49:50], v[47:48]
	s_waitcnt vmcnt(14) lgkmcnt(0)
	v_fma_f64 v[47:48], v[55:56], v[51:52], v[47:48]
	s_waitcnt vmcnt(9)
	v_fma_f64 v[55:56], v[57:58], v[53:54], v[47:48]
	ds_read2_b64 v[47:50], v0 offset0:39 offset1:40
	ds_read2_b64 v[51:54], v0 offset0:41 offset1:42
	s_waitcnt vmcnt(8) lgkmcnt(1)
	v_fma_f64 v[47:48], v[63:64], v[47:48], v[55:56]
	s_waitcnt vmcnt(7)
	v_fma_f64 v[47:48], v[61:62], v[49:50], v[47:48]
	ds_read_b64 v[49:50], v0 offset:344
	s_waitcnt vmcnt(6) lgkmcnt(1)
	v_fma_f64 v[47:48], v[59:60], v[51:52], v[47:48]
	s_waitcnt vmcnt(3)
	v_fma_f64 v[47:48], v[45:46], v[53:54], v[47:48]
	s_waitcnt vmcnt(2) lgkmcnt(0)
	v_fma_f64 v[47:48], v[65:66], v[49:50], v[47:48]
	s_waitcnt vmcnt(0)
	v_add_f64 v[47:48], v[67:68], -v[47:48]
	buffer_store_dword v48, off, s[0:3], 0 offset:4
	buffer_store_dword v47, off, s[0:3], 0
	s_cbranch_vccz .LBB21_182
; %bb.140:
	global_load_dword v0, v0, s[20:21] offset:80
	s_waitcnt vmcnt(0)
	v_add_u32_e32 v0, -1, v0
	v_cmp_ne_u32_e32 vcc, 20, v0
	s_cbranch_vccz .LBB21_142
; %bb.141:
	v_lshlrev_b32_e32 v0, 3, v0
	buffer_load_dword v47, v0, s[0:3], 0 offen offset:4
	buffer_load_dword v48, v0, s[0:3], 0 offen
	s_waitcnt vmcnt(1)
	buffer_store_dword v47, off, s[0:3], 0 offset:164
	s_waitcnt vmcnt(1)
	buffer_store_dword v48, off, s[0:3], 0 offset:160
	buffer_store_dword v46, v0, s[0:3], 0 offen offset:4
	buffer_store_dword v45, v0, s[0:3], 0 offen
.LBB21_142:
	v_mov_b32_e32 v0, 0
	global_load_dword v45, v0, s[20:21] offset:76
	s_waitcnt vmcnt(0)
	v_add_u32_e32 v45, -1, v45
	v_cmp_eq_u32_e32 vcc, 19, v45
	s_cbranch_vccnz .LBB21_144
; %bb.143:
	v_lshlrev_b32_e32 v45, 3, v45
	buffer_load_dword v46, v45, s[0:3], 0 offen
	buffer_load_dword v47, v45, s[0:3], 0 offen offset:4
	buffer_load_dword v48, off, s[0:3], 0 offset:152
	buffer_load_dword v49, off, s[0:3], 0 offset:156
	s_waitcnt vmcnt(3)
	buffer_store_dword v46, off, s[0:3], 0 offset:152
	s_waitcnt vmcnt(3)
	buffer_store_dword v47, off, s[0:3], 0 offset:156
	s_waitcnt vmcnt(3)
	buffer_store_dword v48, v45, s[0:3], 0 offen
	s_waitcnt vmcnt(3)
	buffer_store_dword v49, v45, s[0:3], 0 offen offset:4
.LBB21_144:
	global_load_dword v0, v0, s[20:21] offset:72
	s_waitcnt vmcnt(0)
	v_add_u32_e32 v0, -1, v0
	v_cmp_eq_u32_e32 vcc, 18, v0
	s_cbranch_vccnz .LBB21_146
; %bb.145:
	v_lshlrev_b32_e32 v0, 3, v0
	buffer_load_dword v45, v0, s[0:3], 0 offen
	buffer_load_dword v46, v0, s[0:3], 0 offen offset:4
	buffer_load_dword v47, off, s[0:3], 0 offset:148
	buffer_load_dword v48, off, s[0:3], 0 offset:144
	s_waitcnt vmcnt(3)
	buffer_store_dword v45, off, s[0:3], 0 offset:144
	s_waitcnt vmcnt(3)
	buffer_store_dword v46, off, s[0:3], 0 offset:148
	s_waitcnt vmcnt(3)
	buffer_store_dword v47, v0, s[0:3], 0 offen offset:4
	s_waitcnt vmcnt(3)
	buffer_store_dword v48, v0, s[0:3], 0 offen
.LBB21_146:
	v_mov_b32_e32 v0, 0
	global_load_dword v45, v0, s[20:21] offset:68
	s_waitcnt vmcnt(0)
	v_add_u32_e32 v45, -1, v45
	v_cmp_eq_u32_e32 vcc, 17, v45
	s_cbranch_vccnz .LBB21_148
; %bb.147:
	v_lshlrev_b32_e32 v45, 3, v45
	buffer_load_dword v46, v45, s[0:3], 0 offen
	buffer_load_dword v47, v45, s[0:3], 0 offen offset:4
	buffer_load_dword v48, off, s[0:3], 0 offset:136
	buffer_load_dword v49, off, s[0:3], 0 offset:140
	s_waitcnt vmcnt(3)
	buffer_store_dword v46, off, s[0:3], 0 offset:136
	s_waitcnt vmcnt(3)
	buffer_store_dword v47, off, s[0:3], 0 offset:140
	s_waitcnt vmcnt(3)
	buffer_store_dword v48, v45, s[0:3], 0 offen
	s_waitcnt vmcnt(3)
	buffer_store_dword v49, v45, s[0:3], 0 offen offset:4
.LBB21_148:
	global_load_dword v0, v0, s[20:21] offset:64
	s_waitcnt vmcnt(0)
	v_add_u32_e32 v0, -1, v0
	v_cmp_eq_u32_e32 vcc, 16, v0
	s_cbranch_vccnz .LBB21_150
; %bb.149:
	v_lshlrev_b32_e32 v0, 3, v0
	buffer_load_dword v45, v0, s[0:3], 0 offen
	buffer_load_dword v46, v0, s[0:3], 0 offen offset:4
	buffer_load_dword v47, off, s[0:3], 0 offset:132
	buffer_load_dword v48, off, s[0:3], 0 offset:128
	s_waitcnt vmcnt(3)
	buffer_store_dword v45, off, s[0:3], 0 offset:128
	s_waitcnt vmcnt(3)
	buffer_store_dword v46, off, s[0:3], 0 offset:132
	s_waitcnt vmcnt(3)
	buffer_store_dword v47, v0, s[0:3], 0 offen offset:4
	s_waitcnt vmcnt(3)
	buffer_store_dword v48, v0, s[0:3], 0 offen
.LBB21_150:
	v_mov_b32_e32 v0, 0
	global_load_dword v45, v0, s[20:21] offset:60
	s_waitcnt vmcnt(0)
	v_add_u32_e32 v45, -1, v45
	v_cmp_eq_u32_e32 vcc, 15, v45
	s_cbranch_vccnz .LBB21_152
; %bb.151:
	v_lshlrev_b32_e32 v45, 3, v45
	buffer_load_dword v46, v45, s[0:3], 0 offen
	buffer_load_dword v47, v45, s[0:3], 0 offen offset:4
	buffer_load_dword v48, off, s[0:3], 0 offset:120
	buffer_load_dword v49, off, s[0:3], 0 offset:124
	s_waitcnt vmcnt(3)
	buffer_store_dword v46, off, s[0:3], 0 offset:120
	s_waitcnt vmcnt(3)
	buffer_store_dword v47, off, s[0:3], 0 offset:124
	s_waitcnt vmcnt(3)
	buffer_store_dword v48, v45, s[0:3], 0 offen
	s_waitcnt vmcnt(3)
	buffer_store_dword v49, v45, s[0:3], 0 offen offset:4
.LBB21_152:
	global_load_dword v0, v0, s[20:21] offset:56
	s_waitcnt vmcnt(0)
	v_add_u32_e32 v0, -1, v0
	v_cmp_eq_u32_e32 vcc, 14, v0
	s_cbranch_vccnz .LBB21_154
; %bb.153:
	v_lshlrev_b32_e32 v0, 3, v0
	buffer_load_dword v45, v0, s[0:3], 0 offen
	buffer_load_dword v46, v0, s[0:3], 0 offen offset:4
	buffer_load_dword v47, off, s[0:3], 0 offset:116
	buffer_load_dword v48, off, s[0:3], 0 offset:112
	s_waitcnt vmcnt(3)
	buffer_store_dword v45, off, s[0:3], 0 offset:112
	s_waitcnt vmcnt(3)
	buffer_store_dword v46, off, s[0:3], 0 offset:116
	s_waitcnt vmcnt(3)
	buffer_store_dword v47, v0, s[0:3], 0 offen offset:4
	s_waitcnt vmcnt(3)
	buffer_store_dword v48, v0, s[0:3], 0 offen
.LBB21_154:
	v_mov_b32_e32 v0, 0
	global_load_dword v45, v0, s[20:21] offset:52
	s_waitcnt vmcnt(0)
	v_add_u32_e32 v45, -1, v45
	v_cmp_eq_u32_e32 vcc, 13, v45
	s_cbranch_vccnz .LBB21_156
; %bb.155:
	v_lshlrev_b32_e32 v45, 3, v45
	buffer_load_dword v46, v45, s[0:3], 0 offen
	buffer_load_dword v47, v45, s[0:3], 0 offen offset:4
	buffer_load_dword v48, off, s[0:3], 0 offset:104
	buffer_load_dword v49, off, s[0:3], 0 offset:108
	s_waitcnt vmcnt(3)
	buffer_store_dword v46, off, s[0:3], 0 offset:104
	s_waitcnt vmcnt(3)
	buffer_store_dword v47, off, s[0:3], 0 offset:108
	s_waitcnt vmcnt(3)
	buffer_store_dword v48, v45, s[0:3], 0 offen
	s_waitcnt vmcnt(3)
	buffer_store_dword v49, v45, s[0:3], 0 offen offset:4
.LBB21_156:
	global_load_dword v0, v0, s[20:21] offset:48
	s_waitcnt vmcnt(0)
	v_add_u32_e32 v0, -1, v0
	v_cmp_eq_u32_e32 vcc, 12, v0
	s_cbranch_vccnz .LBB21_158
; %bb.157:
	v_lshlrev_b32_e32 v0, 3, v0
	buffer_load_dword v45, v0, s[0:3], 0 offen
	buffer_load_dword v46, v0, s[0:3], 0 offen offset:4
	buffer_load_dword v47, off, s[0:3], 0 offset:100
	buffer_load_dword v48, off, s[0:3], 0 offset:96
	s_waitcnt vmcnt(3)
	buffer_store_dword v45, off, s[0:3], 0 offset:96
	s_waitcnt vmcnt(3)
	buffer_store_dword v46, off, s[0:3], 0 offset:100
	s_waitcnt vmcnt(3)
	buffer_store_dword v47, v0, s[0:3], 0 offen offset:4
	s_waitcnt vmcnt(3)
	buffer_store_dword v48, v0, s[0:3], 0 offen
.LBB21_158:
	v_mov_b32_e32 v0, 0
	global_load_dword v45, v0, s[20:21] offset:44
	s_waitcnt vmcnt(0)
	v_add_u32_e32 v45, -1, v45
	v_cmp_eq_u32_e32 vcc, 11, v45
	s_cbranch_vccnz .LBB21_160
; %bb.159:
	v_lshlrev_b32_e32 v45, 3, v45
	buffer_load_dword v46, v45, s[0:3], 0 offen
	buffer_load_dword v47, v45, s[0:3], 0 offen offset:4
	buffer_load_dword v48, off, s[0:3], 0 offset:88
	buffer_load_dword v49, off, s[0:3], 0 offset:92
	s_waitcnt vmcnt(3)
	buffer_store_dword v46, off, s[0:3], 0 offset:88
	s_waitcnt vmcnt(3)
	buffer_store_dword v47, off, s[0:3], 0 offset:92
	s_waitcnt vmcnt(3)
	buffer_store_dword v48, v45, s[0:3], 0 offen
	s_waitcnt vmcnt(3)
	buffer_store_dword v49, v45, s[0:3], 0 offen offset:4
.LBB21_160:
	global_load_dword v0, v0, s[20:21] offset:40
	s_waitcnt vmcnt(0)
	v_add_u32_e32 v0, -1, v0
	v_cmp_eq_u32_e32 vcc, 10, v0
	s_cbranch_vccnz .LBB21_162
; %bb.161:
	v_lshlrev_b32_e32 v0, 3, v0
	buffer_load_dword v45, v0, s[0:3], 0 offen
	buffer_load_dword v46, v0, s[0:3], 0 offen offset:4
	buffer_load_dword v47, off, s[0:3], 0 offset:84
	buffer_load_dword v48, off, s[0:3], 0 offset:80
	s_waitcnt vmcnt(3)
	buffer_store_dword v45, off, s[0:3], 0 offset:80
	s_waitcnt vmcnt(3)
	buffer_store_dword v46, off, s[0:3], 0 offset:84
	s_waitcnt vmcnt(3)
	buffer_store_dword v47, v0, s[0:3], 0 offen offset:4
	s_waitcnt vmcnt(3)
	buffer_store_dword v48, v0, s[0:3], 0 offen
.LBB21_162:
	v_mov_b32_e32 v0, 0
	global_load_dword v45, v0, s[20:21] offset:36
	s_waitcnt vmcnt(0)
	v_add_u32_e32 v45, -1, v45
	v_cmp_eq_u32_e32 vcc, 9, v45
	s_cbranch_vccnz .LBB21_164
; %bb.163:
	v_lshlrev_b32_e32 v45, 3, v45
	buffer_load_dword v46, v45, s[0:3], 0 offen
	buffer_load_dword v47, v45, s[0:3], 0 offen offset:4
	buffer_load_dword v48, off, s[0:3], 0 offset:72
	buffer_load_dword v49, off, s[0:3], 0 offset:76
	s_waitcnt vmcnt(3)
	buffer_store_dword v46, off, s[0:3], 0 offset:72
	s_waitcnt vmcnt(3)
	buffer_store_dword v47, off, s[0:3], 0 offset:76
	s_waitcnt vmcnt(3)
	buffer_store_dword v48, v45, s[0:3], 0 offen
	s_waitcnt vmcnt(3)
	buffer_store_dword v49, v45, s[0:3], 0 offen offset:4
.LBB21_164:
	global_load_dword v0, v0, s[20:21] offset:32
	s_waitcnt vmcnt(0)
	v_add_u32_e32 v0, -1, v0
	v_cmp_eq_u32_e32 vcc, 8, v0
	s_cbranch_vccnz .LBB21_166
; %bb.165:
	v_lshlrev_b32_e32 v0, 3, v0
	buffer_load_dword v45, v0, s[0:3], 0 offen
	buffer_load_dword v46, v0, s[0:3], 0 offen offset:4
	buffer_load_dword v47, off, s[0:3], 0 offset:68
	buffer_load_dword v48, off, s[0:3], 0 offset:64
	s_waitcnt vmcnt(3)
	buffer_store_dword v45, off, s[0:3], 0 offset:64
	s_waitcnt vmcnt(3)
	buffer_store_dword v46, off, s[0:3], 0 offset:68
	s_waitcnt vmcnt(3)
	buffer_store_dword v47, v0, s[0:3], 0 offen offset:4
	s_waitcnt vmcnt(3)
	buffer_store_dword v48, v0, s[0:3], 0 offen
.LBB21_166:
	v_mov_b32_e32 v0, 0
	global_load_dword v45, v0, s[20:21] offset:28
	s_waitcnt vmcnt(0)
	v_add_u32_e32 v45, -1, v45
	v_cmp_eq_u32_e32 vcc, 7, v45
	s_cbranch_vccnz .LBB21_168
; %bb.167:
	v_lshlrev_b32_e32 v45, 3, v45
	buffer_load_dword v46, v45, s[0:3], 0 offen
	buffer_load_dword v47, v45, s[0:3], 0 offen offset:4
	buffer_load_dword v48, off, s[0:3], 0 offset:56
	buffer_load_dword v49, off, s[0:3], 0 offset:60
	s_waitcnt vmcnt(3)
	buffer_store_dword v46, off, s[0:3], 0 offset:56
	s_waitcnt vmcnt(3)
	buffer_store_dword v47, off, s[0:3], 0 offset:60
	s_waitcnt vmcnt(3)
	buffer_store_dword v48, v45, s[0:3], 0 offen
	s_waitcnt vmcnt(3)
	buffer_store_dword v49, v45, s[0:3], 0 offen offset:4
.LBB21_168:
	global_load_dword v0, v0, s[20:21] offset:24
	s_waitcnt vmcnt(0)
	v_add_u32_e32 v0, -1, v0
	v_cmp_eq_u32_e32 vcc, 6, v0
	s_cbranch_vccnz .LBB21_170
; %bb.169:
	v_lshlrev_b32_e32 v0, 3, v0
	buffer_load_dword v45, v0, s[0:3], 0 offen
	buffer_load_dword v46, v0, s[0:3], 0 offen offset:4
	buffer_load_dword v47, off, s[0:3], 0 offset:52
	buffer_load_dword v48, off, s[0:3], 0 offset:48
	s_waitcnt vmcnt(3)
	buffer_store_dword v45, off, s[0:3], 0 offset:48
	s_waitcnt vmcnt(3)
	buffer_store_dword v46, off, s[0:3], 0 offset:52
	s_waitcnt vmcnt(3)
	buffer_store_dword v47, v0, s[0:3], 0 offen offset:4
	s_waitcnt vmcnt(3)
	buffer_store_dword v48, v0, s[0:3], 0 offen
.LBB21_170:
	v_mov_b32_e32 v0, 0
	global_load_dword v45, v0, s[20:21] offset:20
	s_waitcnt vmcnt(0)
	v_add_u32_e32 v45, -1, v45
	v_cmp_eq_u32_e32 vcc, 5, v45
	s_cbranch_vccnz .LBB21_172
; %bb.171:
	v_lshlrev_b32_e32 v45, 3, v45
	buffer_load_dword v46, v45, s[0:3], 0 offen
	buffer_load_dword v47, v45, s[0:3], 0 offen offset:4
	buffer_load_dword v48, off, s[0:3], 0 offset:40
	buffer_load_dword v49, off, s[0:3], 0 offset:44
	s_waitcnt vmcnt(3)
	buffer_store_dword v46, off, s[0:3], 0 offset:40
	s_waitcnt vmcnt(3)
	buffer_store_dword v47, off, s[0:3], 0 offset:44
	s_waitcnt vmcnt(3)
	buffer_store_dword v48, v45, s[0:3], 0 offen
	s_waitcnt vmcnt(3)
	buffer_store_dword v49, v45, s[0:3], 0 offen offset:4
.LBB21_172:
	global_load_dword v0, v0, s[20:21] offset:16
	s_waitcnt vmcnt(0)
	v_add_u32_e32 v0, -1, v0
	v_cmp_eq_u32_e32 vcc, 4, v0
	s_cbranch_vccnz .LBB21_174
; %bb.173:
	v_lshlrev_b32_e32 v0, 3, v0
	buffer_load_dword v45, v0, s[0:3], 0 offen
	buffer_load_dword v46, v0, s[0:3], 0 offen offset:4
	buffer_load_dword v47, off, s[0:3], 0 offset:36
	buffer_load_dword v48, off, s[0:3], 0 offset:32
	s_waitcnt vmcnt(3)
	buffer_store_dword v45, off, s[0:3], 0 offset:32
	s_waitcnt vmcnt(3)
	buffer_store_dword v46, off, s[0:3], 0 offset:36
	s_waitcnt vmcnt(3)
	buffer_store_dword v47, v0, s[0:3], 0 offen offset:4
	s_waitcnt vmcnt(3)
	buffer_store_dword v48, v0, s[0:3], 0 offen
.LBB21_174:
	v_mov_b32_e32 v0, 0
	global_load_dword v45, v0, s[20:21] offset:12
	s_waitcnt vmcnt(0)
	v_add_u32_e32 v45, -1, v45
	v_cmp_eq_u32_e32 vcc, 3, v45
	s_cbranch_vccnz .LBB21_176
; %bb.175:
	v_lshlrev_b32_e32 v45, 3, v45
	buffer_load_dword v46, v45, s[0:3], 0 offen
	buffer_load_dword v47, v45, s[0:3], 0 offen offset:4
	buffer_load_dword v48, off, s[0:3], 0 offset:24
	buffer_load_dword v49, off, s[0:3], 0 offset:28
	s_waitcnt vmcnt(3)
	buffer_store_dword v46, off, s[0:3], 0 offset:24
	s_waitcnt vmcnt(3)
	buffer_store_dword v47, off, s[0:3], 0 offset:28
	s_waitcnt vmcnt(3)
	buffer_store_dword v48, v45, s[0:3], 0 offen
	s_waitcnt vmcnt(3)
	buffer_store_dword v49, v45, s[0:3], 0 offen offset:4
.LBB21_176:
	global_load_dword v0, v0, s[20:21] offset:8
	s_waitcnt vmcnt(0)
	v_add_u32_e32 v0, -1, v0
	v_cmp_eq_u32_e32 vcc, 2, v0
	s_cbranch_vccnz .LBB21_178
; %bb.177:
	v_lshlrev_b32_e32 v0, 3, v0
	buffer_load_dword v45, v0, s[0:3], 0 offen
	buffer_load_dword v46, v0, s[0:3], 0 offen offset:4
	buffer_load_dword v47, off, s[0:3], 0 offset:20
	buffer_load_dword v48, off, s[0:3], 0 offset:16
	s_waitcnt vmcnt(3)
	buffer_store_dword v45, off, s[0:3], 0 offset:16
	s_waitcnt vmcnt(3)
	buffer_store_dword v46, off, s[0:3], 0 offset:20
	s_waitcnt vmcnt(3)
	buffer_store_dword v47, v0, s[0:3], 0 offen offset:4
	s_waitcnt vmcnt(3)
	buffer_store_dword v48, v0, s[0:3], 0 offen
.LBB21_178:
	v_mov_b32_e32 v0, 0
	global_load_dword v45, v0, s[20:21] offset:4
	s_waitcnt vmcnt(0)
	v_add_u32_e32 v45, -1, v45
	v_cmp_eq_u32_e32 vcc, 1, v45
	s_cbranch_vccnz .LBB21_180
; %bb.179:
	v_lshlrev_b32_e32 v45, 3, v45
	buffer_load_dword v46, v45, s[0:3], 0 offen
	buffer_load_dword v47, v45, s[0:3], 0 offen offset:4
	buffer_load_dword v48, off, s[0:3], 0 offset:8
	buffer_load_dword v49, off, s[0:3], 0 offset:12
	s_waitcnt vmcnt(3)
	buffer_store_dword v46, off, s[0:3], 0 offset:8
	s_waitcnt vmcnt(3)
	buffer_store_dword v47, off, s[0:3], 0 offset:12
	s_waitcnt vmcnt(3)
	buffer_store_dword v48, v45, s[0:3], 0 offen
	s_waitcnt vmcnt(3)
	buffer_store_dword v49, v45, s[0:3], 0 offen offset:4
.LBB21_180:
	global_load_dword v0, v0, s[20:21]
	s_nop 0
	buffer_load_dword v47, off, s[0:3], 0
	buffer_load_dword v48, off, s[0:3], 0 offset:4
	s_waitcnt vmcnt(2)
	v_add_u32_e32 v0, -1, v0
	v_cmp_eq_u32_e32 vcc, 0, v0
	s_cbranch_vccnz .LBB21_182
; %bb.181:
	v_lshlrev_b32_e32 v0, 3, v0
	buffer_load_dword v45, v0, s[0:3], 0 offen offset:4
	buffer_load_dword v46, v0, s[0:3], 0 offen
	s_waitcnt vmcnt(1)
	buffer_store_dword v45, off, s[0:3], 0 offset:4
	s_waitcnt vmcnt(1)
	buffer_store_dword v46, off, s[0:3], 0
	buffer_store_dword v48, v0, s[0:3], 0 offen offset:4
	buffer_store_dword v47, v0, s[0:3], 0 offen
	buffer_load_dword v47, off, s[0:3], 0
	s_nop 0
	buffer_load_dword v48, off, s[0:3], 0 offset:4
.LBB21_182:
	buffer_load_dword v45, off, s[0:3], 0 offset:8
	buffer_load_dword v46, off, s[0:3], 0 offset:12
	s_waitcnt vmcnt(2)
	global_store_dwordx2 v[43:44], v[47:48], off
	buffer_load_dword v43, off, s[0:3], 0 offset:16
	s_nop 0
	buffer_load_dword v44, off, s[0:3], 0 offset:20
	buffer_load_dword v47, off, s[0:3], 0 offset:24
	;; [unrolled: 1-line block ×29, first 2 shown]
	s_waitcnt vmcnt(31)
	global_store_dwordx2 v[37:38], v[45:46], off
	buffer_load_dword v37, off, s[0:3], 0 offset:136
	s_nop 0
	buffer_load_dword v38, off, s[0:3], 0 offset:140
	buffer_load_dword v45, off, s[0:3], 0 offset:144
	;; [unrolled: 1-line block ×9, first 2 shown]
	s_waitcnt vmcnt(39)
	global_store_dwordx2 v[1:2], v[43:44], off
	s_waitcnt vmcnt(38)
	global_store_dwordx2 v[3:4], v[47:48], off
	;; [unrolled: 2-line block ×20, first 2 shown]
	s_endpgm
	.section	.rodata,"a",@progbits
	.p2align	6, 0x0
	.amdhsa_kernel _ZN9rocsolver6v33100L18getri_kernel_smallILi22EdPdEEvT1_iilPiilS4_bb
		.amdhsa_group_segment_fixed_size 360
		.amdhsa_private_segment_fixed_size 192
		.amdhsa_kernarg_size 60
		.amdhsa_user_sgpr_count 6
		.amdhsa_user_sgpr_private_segment_buffer 1
		.amdhsa_user_sgpr_dispatch_ptr 0
		.amdhsa_user_sgpr_queue_ptr 0
		.amdhsa_user_sgpr_kernarg_segment_ptr 1
		.amdhsa_user_sgpr_dispatch_id 0
		.amdhsa_user_sgpr_flat_scratch_init 0
		.amdhsa_user_sgpr_private_segment_size 0
		.amdhsa_uses_dynamic_stack 0
		.amdhsa_system_sgpr_private_segment_wavefront_offset 1
		.amdhsa_system_sgpr_workgroup_id_x 1
		.amdhsa_system_sgpr_workgroup_id_y 0
		.amdhsa_system_sgpr_workgroup_id_z 0
		.amdhsa_system_sgpr_workgroup_info 0
		.amdhsa_system_vgpr_workitem_id 0
		.amdhsa_next_free_vgpr 81
		.amdhsa_next_free_sgpr 24
		.amdhsa_reserve_vcc 1
		.amdhsa_reserve_flat_scratch 0
		.amdhsa_float_round_mode_32 0
		.amdhsa_float_round_mode_16_64 0
		.amdhsa_float_denorm_mode_32 3
		.amdhsa_float_denorm_mode_16_64 3
		.amdhsa_dx10_clamp 1
		.amdhsa_ieee_mode 1
		.amdhsa_fp16_overflow 0
		.amdhsa_exception_fp_ieee_invalid_op 0
		.amdhsa_exception_fp_denorm_src 0
		.amdhsa_exception_fp_ieee_div_zero 0
		.amdhsa_exception_fp_ieee_overflow 0
		.amdhsa_exception_fp_ieee_underflow 0
		.amdhsa_exception_fp_ieee_inexact 0
		.amdhsa_exception_int_div_zero 0
	.end_amdhsa_kernel
	.section	.text._ZN9rocsolver6v33100L18getri_kernel_smallILi22EdPdEEvT1_iilPiilS4_bb,"axG",@progbits,_ZN9rocsolver6v33100L18getri_kernel_smallILi22EdPdEEvT1_iilPiilS4_bb,comdat
.Lfunc_end21:
	.size	_ZN9rocsolver6v33100L18getri_kernel_smallILi22EdPdEEvT1_iilPiilS4_bb, .Lfunc_end21-_ZN9rocsolver6v33100L18getri_kernel_smallILi22EdPdEEvT1_iilPiilS4_bb
                                        ; -- End function
	.set _ZN9rocsolver6v33100L18getri_kernel_smallILi22EdPdEEvT1_iilPiilS4_bb.num_vgpr, 81
	.set _ZN9rocsolver6v33100L18getri_kernel_smallILi22EdPdEEvT1_iilPiilS4_bb.num_agpr, 0
	.set _ZN9rocsolver6v33100L18getri_kernel_smallILi22EdPdEEvT1_iilPiilS4_bb.numbered_sgpr, 24
	.set _ZN9rocsolver6v33100L18getri_kernel_smallILi22EdPdEEvT1_iilPiilS4_bb.num_named_barrier, 0
	.set _ZN9rocsolver6v33100L18getri_kernel_smallILi22EdPdEEvT1_iilPiilS4_bb.private_seg_size, 192
	.set _ZN9rocsolver6v33100L18getri_kernel_smallILi22EdPdEEvT1_iilPiilS4_bb.uses_vcc, 1
	.set _ZN9rocsolver6v33100L18getri_kernel_smallILi22EdPdEEvT1_iilPiilS4_bb.uses_flat_scratch, 0
	.set _ZN9rocsolver6v33100L18getri_kernel_smallILi22EdPdEEvT1_iilPiilS4_bb.has_dyn_sized_stack, 0
	.set _ZN9rocsolver6v33100L18getri_kernel_smallILi22EdPdEEvT1_iilPiilS4_bb.has_recursion, 0
	.set _ZN9rocsolver6v33100L18getri_kernel_smallILi22EdPdEEvT1_iilPiilS4_bb.has_indirect_call, 0
	.section	.AMDGPU.csdata,"",@progbits
; Kernel info:
; codeLenInByte = 18368
; TotalNumSgprs: 28
; NumVgprs: 81
; ScratchSize: 192
; MemoryBound: 0
; FloatMode: 240
; IeeeMode: 1
; LDSByteSize: 360 bytes/workgroup (compile time only)
; SGPRBlocks: 3
; VGPRBlocks: 20
; NumSGPRsForWavesPerEU: 28
; NumVGPRsForWavesPerEU: 81
; Occupancy: 3
; WaveLimiterHint : 1
; COMPUTE_PGM_RSRC2:SCRATCH_EN: 1
; COMPUTE_PGM_RSRC2:USER_SGPR: 6
; COMPUTE_PGM_RSRC2:TRAP_HANDLER: 0
; COMPUTE_PGM_RSRC2:TGID_X_EN: 1
; COMPUTE_PGM_RSRC2:TGID_Y_EN: 0
; COMPUTE_PGM_RSRC2:TGID_Z_EN: 0
; COMPUTE_PGM_RSRC2:TIDIG_COMP_CNT: 0
	.section	.text._ZN9rocsolver6v33100L18getri_kernel_smallILi23EdPdEEvT1_iilPiilS4_bb,"axG",@progbits,_ZN9rocsolver6v33100L18getri_kernel_smallILi23EdPdEEvT1_iilPiilS4_bb,comdat
	.globl	_ZN9rocsolver6v33100L18getri_kernel_smallILi23EdPdEEvT1_iilPiilS4_bb ; -- Begin function _ZN9rocsolver6v33100L18getri_kernel_smallILi23EdPdEEvT1_iilPiilS4_bb
	.p2align	8
	.type	_ZN9rocsolver6v33100L18getri_kernel_smallILi23EdPdEEvT1_iilPiilS4_bb,@function
_ZN9rocsolver6v33100L18getri_kernel_smallILi23EdPdEEvT1_iilPiilS4_bb: ; @_ZN9rocsolver6v33100L18getri_kernel_smallILi23EdPdEEvT1_iilPiilS4_bb
; %bb.0:
	s_add_u32 s0, s0, s7
	s_addc_u32 s1, s1, 0
	v_cmp_gt_u32_e32 vcc, 23, v0
	s_and_saveexec_b64 s[8:9], vcc
	s_cbranch_execz .LBB22_100
; %bb.1:
	s_load_dword s12, s[4:5], 0x38
	s_load_dwordx4 s[16:19], s[4:5], 0x10
	s_load_dwordx4 s[8:11], s[4:5], 0x28
                                        ; implicit-def: $sgpr20_sgpr21
	s_waitcnt lgkmcnt(0)
	s_bitcmp1_b32 s12, 8
	s_cselect_b64 s[22:23], -1, 0
	s_ashr_i32 s7, s6, 31
	s_bfe_u32 s12, s12, 0x10008
	s_cmp_eq_u32 s12, 0
	s_cbranch_scc1 .LBB22_3
; %bb.2:
	s_load_dword s12, s[4:5], 0x20
	s_mul_i32 s13, s8, s7
	s_mul_hi_u32 s14, s8, s6
	s_mul_i32 s9, s9, s6
	s_add_i32 s14, s14, s13
	s_add_i32 s9, s14, s9
	s_mul_i32 s8, s8, s6
	s_waitcnt lgkmcnt(0)
	s_ashr_i32 s13, s12, 31
	s_lshl_b64 s[8:9], s[8:9], 2
	s_add_u32 s14, s18, s8
	s_addc_u32 s15, s19, s9
	s_lshl_b64 s[8:9], s[12:13], 2
	s_add_u32 s20, s14, s8
	s_addc_u32 s21, s15, s9
.LBB22_3:
	s_load_dwordx4 s[12:15], s[4:5], 0x0
	s_load_dword s8, s[4:5], 0x38
	s_mul_i32 s9, s16, s7
	s_mul_hi_u32 s18, s16, s6
	s_add_i32 s9, s18, s9
	s_waitcnt lgkmcnt(0)
	s_ashr_i32 s5, s14, 31
	s_mov_b32 s4, s14
	s_mul_i32 s14, s17, s6
	s_add_i32 s17, s9, s14
	s_mul_i32 s16, s16, s6
	s_lshl_b64 s[16:17], s[16:17], 3
	s_add_u32 s9, s12, s16
	s_addc_u32 s12, s13, s17
	s_lshl_b64 s[4:5], s[4:5], 3
	s_add_u32 s4, s9, s4
	s_addc_u32 s5, s12, s5
	s_add_i32 s9, s15, s15
	v_add_u32_e32 v3, s9, v0
	v_ashrrev_i32_e32 v4, 31, v3
	v_lshlrev_b64 v[1:2], 3, v[3:4]
	v_add_u32_e32 v5, s15, v3
	v_mov_b32_e32 v4, s5
	v_add_co_u32_e32 v1, vcc, s4, v1
	v_ashrrev_i32_e32 v6, 31, v5
	v_addc_co_u32_e32 v2, vcc, v4, v2, vcc
	v_lshlrev_b64 v[3:4], 3, v[5:6]
	v_add_u32_e32 v7, s15, v5
	v_mov_b32_e32 v6, s5
	v_add_co_u32_e32 v3, vcc, s4, v3
	v_ashrrev_i32_e32 v8, 31, v7
	v_addc_co_u32_e32 v4, vcc, v6, v4, vcc
	;; [unrolled: 6-line block ×8, first 2 shown]
	v_lshlrev_b64 v[17:18], 3, v[19:20]
	v_mov_b32_e32 v21, s5
	v_add_co_u32_e32 v17, vcc, s4, v17
	v_addc_co_u32_e32 v18, vcc, v21, v18, vcc
	v_add_u32_e32 v21, s15, v19
	v_ashrrev_i32_e32 v22, 31, v21
	v_lshlrev_b64 v[19:20], 3, v[21:22]
	v_mov_b32_e32 v23, s5
	v_add_co_u32_e32 v19, vcc, s4, v19
	v_addc_co_u32_e32 v20, vcc, v23, v20, vcc
	v_add_u32_e32 v23, s15, v21
	v_ashrrev_i32_e32 v24, 31, v23
	;; [unrolled: 6-line block ×3, first 2 shown]
	v_lshlrev_b64 v[23:24], 3, v[25:26]
	v_mov_b32_e32 v27, s5
	v_add_co_u32_e32 v23, vcc, s4, v23
	v_addc_co_u32_e32 v24, vcc, v27, v24, vcc
	v_add_u32_e32 v27, s15, v25
	v_lshlrev_b32_e32 v49, 3, v0
	v_ashrrev_i32_e32 v28, 31, v27
	global_load_dwordx2 v[47:48], v49, s[4:5]
	v_lshlrev_b64 v[25:26], 3, v[27:28]
	v_mov_b32_e32 v28, s5
	v_add_co_u32_e32 v45, vcc, s4, v49
	s_ashr_i32 s13, s15, 31
	s_mov_b32 s12, s15
	v_addc_co_u32_e32 v46, vcc, 0, v28, vcc
	s_lshl_b64 s[12:13], s[12:13], 3
	v_mov_b32_e32 v28, s13
	v_add_co_u32_e32 v37, vcc, s12, v45
	v_addc_co_u32_e32 v38, vcc, v46, v28, vcc
	global_load_dwordx2 v[50:51], v[37:38], off
	global_load_dwordx2 v[52:53], v[1:2], off
	;; [unrolled: 1-line block ×6, first 2 shown]
	v_mov_b32_e32 v29, s5
	v_add_co_u32_e32 v25, vcc, s4, v25
	v_addc_co_u32_e32 v26, vcc, v29, v26, vcc
	v_add_u32_e32 v29, s15, v27
	v_ashrrev_i32_e32 v30, 31, v29
	v_lshlrev_b64 v[27:28], 3, v[29:30]
	v_mov_b32_e32 v31, s5
	v_add_co_u32_e32 v27, vcc, s4, v27
	v_addc_co_u32_e32 v28, vcc, v31, v28, vcc
	v_add_u32_e32 v31, s15, v29
	v_ashrrev_i32_e32 v32, 31, v31
	v_lshlrev_b64 v[29:30], 3, v[31:32]
	;; [unrolled: 6-line block ×7, first 2 shown]
	v_add_u32_e32 v43, s15, v43
	v_ashrrev_i32_e32 v44, 31, v43
	v_mov_b32_e32 v62, s5
	v_add_co_u32_e32 v41, vcc, s4, v41
	v_lshlrev_b64 v[43:44], 3, v[43:44]
	v_addc_co_u32_e32 v42, vcc, v62, v42, vcc
	global_load_dwordx2 v[62:63], v[11:12], off
	global_load_dwordx2 v[66:67], v[15:16], off
	v_mov_b32_e32 v64, s5
	v_add_co_u32_e32 v43, vcc, s4, v43
	v_addc_co_u32_e32 v44, vcc, v64, v44, vcc
	global_load_dwordx2 v[64:65], v[13:14], off
	global_load_dwordx2 v[68:69], v[19:20], off
	global_load_dwordx2 v[70:71], v[23:24], off
	global_load_dwordx2 v[72:73], v[27:28], off
	global_load_dwordx2 v[74:75], v[31:32], off
	global_load_dwordx2 v[76:77], v[35:36], off
	global_load_dwordx2 v[78:79], v[41:42], off
	s_bitcmp0_b32 s8, 0
	s_waitcnt vmcnt(15)
	buffer_store_dword v48, off, s[0:3], 0 offset:4
	buffer_store_dword v47, off, s[0:3], 0
	global_load_dwordx2 v[47:48], v[17:18], off
	s_mov_b64 s[8:9], -1
	s_waitcnt vmcnt(17)
	buffer_store_dword v51, off, s[0:3], 0 offset:12
	buffer_store_dword v50, off, s[0:3], 0 offset:8
	global_load_dwordx2 v[50:51], v[21:22], off
	s_waitcnt vmcnt(19)
	buffer_store_dword v53, off, s[0:3], 0 offset:20
	buffer_store_dword v52, off, s[0:3], 0 offset:16
	global_load_dwordx2 v[52:53], v[25:26], off
	;; [unrolled: 4-line block ×6, first 2 shown]
	s_waitcnt vmcnt(29)
	buffer_store_dword v63, off, s[0:3], 0 offset:60
	buffer_store_dword v62, off, s[0:3], 0 offset:56
	s_waitcnt vmcnt(29)
	buffer_store_dword v65, off, s[0:3], 0 offset:68
	buffer_store_dword v64, off, s[0:3], 0 offset:64
	buffer_store_dword v66, off, s[0:3], 0 offset:72
	buffer_store_dword v67, off, s[0:3], 0 offset:76
	s_waitcnt vmcnt(24)
	buffer_store_dword v47, off, s[0:3], 0 offset:80
	buffer_store_dword v48, off, s[0:3], 0 offset:84
	;; [unrolled: 5-line block ×8, first 2 shown]
	s_cbranch_scc1 .LBB22_98
; %bb.4:
	v_cmp_eq_u32_e64 s[4:5], 0, v0
	s_and_saveexec_b64 s[8:9], s[4:5]
; %bb.5:
	v_mov_b32_e32 v47, 0
	ds_write_b32 v47, v47 offset:184
; %bb.6:
	s_or_b64 exec, exec, s[8:9]
	v_mov_b32_e32 v47, 0
	v_lshl_add_u32 v47, v0, 3, v47
	s_waitcnt lgkmcnt(0)
	; wave barrier
	buffer_load_dword v50, v47, s[0:3], 0 offen
	buffer_load_dword v51, v47, s[0:3], 0 offen offset:4
	s_waitcnt vmcnt(0)
	v_cmp_eq_f64_e32 vcc, 0, v[50:51]
	s_and_saveexec_b64 s[12:13], vcc
	s_cbranch_execz .LBB22_10
; %bb.7:
	v_mov_b32_e32 v48, 0
	ds_read_b32 v51, v48 offset:184
	v_add_u32_e32 v50, 1, v0
	s_waitcnt lgkmcnt(0)
	v_readfirstlane_b32 s8, v51
	s_cmp_eq_u32 s8, 0
	s_cselect_b64 s[14:15], -1, 0
	v_cmp_gt_i32_e32 vcc, s8, v50
	s_or_b64 s[14:15], s[14:15], vcc
	s_and_b64 exec, exec, s[14:15]
	s_cbranch_execz .LBB22_10
; %bb.8:
	s_mov_b64 s[14:15], 0
	v_mov_b32_e32 v51, s8
.LBB22_9:                               ; =>This Inner Loop Header: Depth=1
	ds_cmpst_rtn_b32 v51, v48, v51, v50 offset:184
	s_waitcnt lgkmcnt(0)
	v_cmp_ne_u32_e32 vcc, 0, v51
	v_cmp_le_i32_e64 s[8:9], v51, v50
	s_and_b64 s[8:9], vcc, s[8:9]
	s_and_b64 s[8:9], exec, s[8:9]
	s_or_b64 s[14:15], s[8:9], s[14:15]
	s_andn2_b64 exec, exec, s[14:15]
	s_cbranch_execnz .LBB22_9
.LBB22_10:
	s_or_b64 exec, exec, s[12:13]
	v_mov_b32_e32 v50, 0
	; wave barrier
	ds_read_b32 v48, v50 offset:184
	s_and_saveexec_b64 s[8:9], s[4:5]
	s_cbranch_execz .LBB22_12
; %bb.11:
	s_lshl_b64 s[12:13], s[6:7], 2
	s_add_u32 s12, s10, s12
	s_addc_u32 s13, s11, s13
	s_waitcnt lgkmcnt(0)
	global_store_dword v50, v48, s[12:13]
.LBB22_12:
	s_or_b64 exec, exec, s[8:9]
	s_waitcnt lgkmcnt(0)
	v_cmp_ne_u32_e32 vcc, 0, v48
	s_mov_b64 s[8:9], 0
	s_cbranch_vccnz .LBB22_98
; %bb.13:
	buffer_load_dword v50, v47, s[0:3], 0 offen
	buffer_load_dword v51, v47, s[0:3], 0 offen offset:4
	s_waitcnt vmcnt(0)
	v_div_scale_f64 v[52:53], s[8:9], v[50:51], v[50:51], 1.0
	v_rcp_f64_e32 v[54:55], v[52:53]
	v_fma_f64 v[56:57], -v[52:53], v[54:55], 1.0
	v_fma_f64 v[54:55], v[54:55], v[56:57], v[54:55]
	v_div_scale_f64 v[56:57], vcc, 1.0, v[50:51], 1.0
	v_fma_f64 v[58:59], -v[52:53], v[54:55], 1.0
	v_fma_f64 v[54:55], v[54:55], v[58:59], v[54:55]
	v_mul_f64 v[58:59], v[56:57], v[54:55]
	v_fma_f64 v[52:53], -v[52:53], v[58:59], v[56:57]
	v_div_fmas_f64 v[52:53], v[52:53], v[54:55], v[58:59]
	v_div_fixup_f64 v[51:52], v[52:53], v[50:51], 1.0
	v_add_u32_e32 v50, 0xc0, v49
	buffer_store_dword v52, v47, s[0:3], 0 offen offset:4
	buffer_store_dword v51, v47, s[0:3], 0 offen
	buffer_load_dword v54, off, s[0:3], 0 offset:12
	buffer_load_dword v53, off, s[0:3], 0 offset:8
	v_xor_b32_e32 v52, 0x80000000, v52
	s_waitcnt vmcnt(0)
	ds_write2_b64 v49, v[51:52], v[53:54] offset1:24
	s_waitcnt lgkmcnt(0)
	; wave barrier
	s_and_saveexec_b64 s[8:9], s[4:5]
	s_cbranch_execz .LBB22_15
; %bb.14:
	buffer_load_dword v51, v47, s[0:3], 0 offen
	buffer_load_dword v52, v47, s[0:3], 0 offen offset:4
	ds_read_b64 v[53:54], v50
	v_mov_b32_e32 v48, 0
	ds_read_b64 v[55:56], v48 offset:8
	s_waitcnt vmcnt(0) lgkmcnt(1)
	v_fma_f64 v[51:52], v[51:52], v[53:54], 0
	s_waitcnt lgkmcnt(0)
	v_mul_f64 v[51:52], v[51:52], v[55:56]
	buffer_store_dword v51, off, s[0:3], 0 offset:8
	buffer_store_dword v52, off, s[0:3], 0 offset:12
.LBB22_15:
	s_or_b64 exec, exec, s[8:9]
	; wave barrier
	buffer_load_dword v51, off, s[0:3], 0 offset:16
	buffer_load_dword v52, off, s[0:3], 0 offset:20
	v_cmp_gt_u32_e32 vcc, 2, v0
	s_waitcnt vmcnt(0)
	ds_write_b64 v50, v[51:52]
	s_waitcnt lgkmcnt(0)
	; wave barrier
	s_and_saveexec_b64 s[8:9], vcc
	s_cbranch_execz .LBB22_17
; %bb.16:
	buffer_load_dword v51, v47, s[0:3], 0 offen
	buffer_load_dword v52, v47, s[0:3], 0 offen offset:4
                                        ; kill: killed $vgpr47
	s_nop 0
	buffer_load_dword v47, off, s[0:3], 0 offset:8
	buffer_load_dword v48, off, s[0:3], 0 offset:12
	ds_read_b64 v[53:54], v50
	s_waitcnt vmcnt(2) lgkmcnt(0)
	v_fma_f64 v[55:56], v[51:52], v[53:54], 0
	v_mov_b32_e32 v51, 0
	ds_read2_b64 v[51:54], v51 offset0:2 offset1:25
	s_waitcnt vmcnt(0) lgkmcnt(0)
	v_fma_f64 v[47:48], v[47:48], v[53:54], v[55:56]
	v_cndmask_b32_e64 v48, v56, v48, s[4:5]
	v_cndmask_b32_e64 v47, v55, v47, s[4:5]
	v_mul_f64 v[47:48], v[47:48], v[51:52]
	buffer_store_dword v48, off, s[0:3], 0 offset:20
	buffer_store_dword v47, off, s[0:3], 0 offset:16
.LBB22_17:
	s_or_b64 exec, exec, s[8:9]
	; wave barrier
	buffer_load_dword v47, off, s[0:3], 0 offset:24
	buffer_load_dword v48, off, s[0:3], 0 offset:28
	v_cmp_gt_u32_e32 vcc, 3, v0
	v_add_u32_e32 v51, -1, v0
	s_waitcnt vmcnt(0)
	ds_write_b64 v50, v[47:48]
	s_waitcnt lgkmcnt(0)
	; wave barrier
	s_and_saveexec_b64 s[4:5], vcc
	s_cbranch_execz .LBB22_21
; %bb.18:
	v_mov_b32_e32 v47, 0
	v_add_u32_e32 v52, -1, v0
	v_add_u32_e32 v53, 0xc0, v49
	v_mov_b32_e32 v54, v49
	v_mov_b32_e32 v48, 0
	s_mov_b64 s[8:9], 0
.LBB22_19:                              ; =>This Inner Loop Header: Depth=1
	buffer_load_dword v55, v54, s[0:3], 0 offen
	buffer_load_dword v56, v54, s[0:3], 0 offen offset:4
	ds_read_b64 v[57:58], v53
	v_add_u32_e32 v52, 1, v52
	v_cmp_lt_u32_e32 vcc, 1, v52
	v_add_u32_e32 v53, 8, v53
	s_or_b64 s[8:9], vcc, s[8:9]
	v_add_u32_e32 v54, 8, v54
	s_waitcnt vmcnt(0) lgkmcnt(0)
	v_fma_f64 v[47:48], v[55:56], v[57:58], v[47:48]
	s_andn2_b64 exec, exec, s[8:9]
	s_cbranch_execnz .LBB22_19
; %bb.20:
	s_or_b64 exec, exec, s[8:9]
	v_mov_b32_e32 v52, 0
	ds_read_b64 v[52:53], v52 offset:24
	s_waitcnt lgkmcnt(0)
	v_mul_f64 v[47:48], v[47:48], v[52:53]
	buffer_store_dword v48, off, s[0:3], 0 offset:28
	buffer_store_dword v47, off, s[0:3], 0 offset:24
.LBB22_21:
	s_or_b64 exec, exec, s[4:5]
	; wave barrier
	buffer_load_dword v47, off, s[0:3], 0 offset:32
	buffer_load_dword v48, off, s[0:3], 0 offset:36
	v_cmp_gt_u32_e32 vcc, 4, v0
	s_waitcnt vmcnt(0)
	ds_write_b64 v50, v[47:48]
	s_waitcnt lgkmcnt(0)
	; wave barrier
	s_and_saveexec_b64 s[4:5], vcc
	s_cbranch_execz .LBB22_25
; %bb.22:
	v_mov_b32_e32 v47, 0
	v_add_u32_e32 v52, -1, v0
	v_add_u32_e32 v53, 0xc0, v49
	v_mov_b32_e32 v54, v49
	v_mov_b32_e32 v48, 0
	s_mov_b64 s[8:9], 0
.LBB22_23:                              ; =>This Inner Loop Header: Depth=1
	buffer_load_dword v55, v54, s[0:3], 0 offen
	buffer_load_dword v56, v54, s[0:3], 0 offen offset:4
	ds_read_b64 v[57:58], v53
	v_add_u32_e32 v52, 1, v52
	v_cmp_lt_u32_e32 vcc, 2, v52
	v_add_u32_e32 v53, 8, v53
	s_or_b64 s[8:9], vcc, s[8:9]
	v_add_u32_e32 v54, 8, v54
	s_waitcnt vmcnt(0) lgkmcnt(0)
	v_fma_f64 v[47:48], v[55:56], v[57:58], v[47:48]
	s_andn2_b64 exec, exec, s[8:9]
	s_cbranch_execnz .LBB22_23
; %bb.24:
	s_or_b64 exec, exec, s[8:9]
	v_mov_b32_e32 v52, 0
	ds_read_b64 v[52:53], v52 offset:32
	s_waitcnt lgkmcnt(0)
	v_mul_f64 v[47:48], v[47:48], v[52:53]
	buffer_store_dword v48, off, s[0:3], 0 offset:36
	buffer_store_dword v47, off, s[0:3], 0 offset:32
.LBB22_25:
	s_or_b64 exec, exec, s[4:5]
	; wave barrier
	buffer_load_dword v47, off, s[0:3], 0 offset:40
	buffer_load_dword v48, off, s[0:3], 0 offset:44
	v_cmp_gt_u32_e32 vcc, 5, v0
	;; [unrolled: 40-line block ×18, first 2 shown]
	s_waitcnt vmcnt(0)
	ds_write_b64 v50, v[47:48]
	s_waitcnt lgkmcnt(0)
	; wave barrier
	s_and_saveexec_b64 s[4:5], vcc
	s_cbranch_execz .LBB22_93
; %bb.90:
	v_mov_b32_e32 v47, 0
	v_add_u32_e32 v52, -1, v0
	v_add_u32_e32 v53, 0xc0, v49
	v_mov_b32_e32 v54, v49
	v_mov_b32_e32 v48, 0
	s_mov_b64 s[8:9], 0
.LBB22_91:                              ; =>This Inner Loop Header: Depth=1
	buffer_load_dword v55, v54, s[0:3], 0 offen
	buffer_load_dword v56, v54, s[0:3], 0 offen offset:4
	ds_read_b64 v[57:58], v53
	v_add_u32_e32 v52, 1, v52
	v_cmp_lt_u32_e32 vcc, 19, v52
	v_add_u32_e32 v53, 8, v53
	s_or_b64 s[8:9], vcc, s[8:9]
	v_add_u32_e32 v54, 8, v54
	s_waitcnt vmcnt(0) lgkmcnt(0)
	v_fma_f64 v[47:48], v[55:56], v[57:58], v[47:48]
	s_andn2_b64 exec, exec, s[8:9]
	s_cbranch_execnz .LBB22_91
; %bb.92:
	s_or_b64 exec, exec, s[8:9]
	v_mov_b32_e32 v52, 0
	ds_read_b64 v[52:53], v52 offset:168
	s_waitcnt lgkmcnt(0)
	v_mul_f64 v[47:48], v[47:48], v[52:53]
	buffer_store_dword v48, off, s[0:3], 0 offset:172
	buffer_store_dword v47, off, s[0:3], 0 offset:168
.LBB22_93:
	s_or_b64 exec, exec, s[4:5]
	; wave barrier
	buffer_load_dword v47, off, s[0:3], 0 offset:176
	buffer_load_dword v48, off, s[0:3], 0 offset:180
	v_cmp_ne_u32_e32 vcc, 22, v0
	s_waitcnt vmcnt(0)
	ds_write_b64 v50, v[47:48]
	s_waitcnt lgkmcnt(0)
	; wave barrier
	s_and_saveexec_b64 s[4:5], vcc
	s_cbranch_execz .LBB22_97
; %bb.94:
	v_mov_b32_e32 v47, 0
	v_add_u32_e32 v50, 0xc0, v49
	v_mov_b32_e32 v48, 0
	s_mov_b64 s[8:9], 0
.LBB22_95:                              ; =>This Inner Loop Header: Depth=1
	buffer_load_dword v52, v49, s[0:3], 0 offen
	buffer_load_dword v53, v49, s[0:3], 0 offen offset:4
	ds_read_b64 v[54:55], v50
	v_add_u32_e32 v51, 1, v51
	v_cmp_lt_u32_e32 vcc, 20, v51
	v_add_u32_e32 v50, 8, v50
	s_or_b64 s[8:9], vcc, s[8:9]
	v_add_u32_e32 v49, 8, v49
	s_waitcnt vmcnt(0) lgkmcnt(0)
	v_fma_f64 v[47:48], v[52:53], v[54:55], v[47:48]
	s_andn2_b64 exec, exec, s[8:9]
	s_cbranch_execnz .LBB22_95
; %bb.96:
	s_or_b64 exec, exec, s[8:9]
	v_mov_b32_e32 v49, 0
	ds_read_b64 v[49:50], v49 offset:176
	s_waitcnt lgkmcnt(0)
	v_mul_f64 v[47:48], v[47:48], v[49:50]
	buffer_store_dword v48, off, s[0:3], 0 offset:180
	buffer_store_dword v47, off, s[0:3], 0 offset:176
.LBB22_97:
	s_or_b64 exec, exec, s[4:5]
	s_mov_b64 s[8:9], -1
	; wave barrier
.LBB22_98:
	s_and_b64 vcc, exec, s[8:9]
	s_cbranch_vccz .LBB22_100
; %bb.99:
	s_lshl_b64 s[4:5], s[6:7], 2
	s_add_u32 s4, s10, s4
	s_addc_u32 s5, s11, s5
	v_mov_b32_e32 v47, 0
	global_load_dword v47, v47, s[4:5]
	s_waitcnt vmcnt(0)
	v_cmp_ne_u32_e32 vcc, 0, v47
	s_cbranch_vccz .LBB22_101
.LBB22_100:
	s_endpgm
.LBB22_101:
	v_mov_b32_e32 v47, 0xc0
	v_lshl_add_u32 v47, v0, 3, v47
	v_cmp_eq_u32_e32 vcc, 22, v0
	s_and_saveexec_b64 s[4:5], vcc
	s_cbranch_execz .LBB22_103
; %bb.102:
	buffer_load_dword v48, off, s[0:3], 0 offset:168
	buffer_load_dword v49, off, s[0:3], 0 offset:172
	v_mov_b32_e32 v50, 0
	buffer_store_dword v50, off, s[0:3], 0 offset:168
	buffer_store_dword v50, off, s[0:3], 0 offset:172
	s_waitcnt vmcnt(2)
	ds_write_b64 v47, v[48:49]
.LBB22_103:
	s_or_b64 exec, exec, s[4:5]
	s_waitcnt lgkmcnt(0)
	; wave barrier
	buffer_load_dword v49, off, s[0:3], 0 offset:176
	buffer_load_dword v50, off, s[0:3], 0 offset:180
	;; [unrolled: 1-line block ×4, first 2 shown]
	v_mov_b32_e32 v48, 0
	ds_read_b64 v[53:54], v48 offset:368
	v_cmp_lt_u32_e32 vcc, 20, v0
	s_waitcnt vmcnt(2) lgkmcnt(0)
	v_fma_f64 v[49:50], v[49:50], v[53:54], 0
	s_waitcnt vmcnt(0)
	v_add_f64 v[49:50], v[51:52], -v[49:50]
	buffer_store_dword v49, off, s[0:3], 0 offset:168
	buffer_store_dword v50, off, s[0:3], 0 offset:172
	s_and_saveexec_b64 s[4:5], vcc
	s_cbranch_execz .LBB22_105
; %bb.104:
	buffer_load_dword v49, off, s[0:3], 0 offset:160
	buffer_load_dword v50, off, s[0:3], 0 offset:164
	s_waitcnt vmcnt(0)
	ds_write_b64 v47, v[49:50]
	buffer_store_dword v48, off, s[0:3], 0 offset:160
	buffer_store_dword v48, off, s[0:3], 0 offset:164
.LBB22_105:
	s_or_b64 exec, exec, s[4:5]
	s_waitcnt lgkmcnt(0)
	; wave barrier
	buffer_load_dword v52, off, s[0:3], 0 offset:168
	buffer_load_dword v53, off, s[0:3], 0 offset:172
	;; [unrolled: 1-line block ×6, first 2 shown]
	ds_read2_b64 v[48:51], v48 offset0:45 offset1:46
	v_cmp_lt_u32_e32 vcc, 19, v0
	s_waitcnt vmcnt(4) lgkmcnt(0)
	v_fma_f64 v[48:49], v[52:53], v[48:49], 0
	s_waitcnt vmcnt(2)
	v_fma_f64 v[48:49], v[54:55], v[50:51], v[48:49]
	s_waitcnt vmcnt(0)
	v_add_f64 v[48:49], v[56:57], -v[48:49]
	buffer_store_dword v48, off, s[0:3], 0 offset:160
	buffer_store_dword v49, off, s[0:3], 0 offset:164
	s_and_saveexec_b64 s[4:5], vcc
	s_cbranch_execz .LBB22_107
; %bb.106:
	buffer_load_dword v48, off, s[0:3], 0 offset:152
	buffer_load_dword v49, off, s[0:3], 0 offset:156
	v_mov_b32_e32 v50, 0
	buffer_store_dword v50, off, s[0:3], 0 offset:152
	buffer_store_dword v50, off, s[0:3], 0 offset:156
	s_waitcnt vmcnt(2)
	ds_write_b64 v47, v[48:49]
.LBB22_107:
	s_or_b64 exec, exec, s[4:5]
	s_waitcnt lgkmcnt(0)
	; wave barrier
	buffer_load_dword v53, off, s[0:3], 0 offset:160
	buffer_load_dword v54, off, s[0:3], 0 offset:164
	;; [unrolled: 1-line block ×8, first 2 shown]
	v_mov_b32_e32 v48, 0
	ds_read_b128 v[49:52], v48 offset:352
	v_cmp_lt_u32_e32 vcc, 18, v0
	s_waitcnt vmcnt(6) lgkmcnt(0)
	v_fma_f64 v[49:50], v[53:54], v[49:50], 0
	s_waitcnt vmcnt(4)
	v_fma_f64 v[49:50], v[55:56], v[51:52], v[49:50]
	ds_read_b64 v[51:52], v48 offset:368
	s_waitcnt vmcnt(2) lgkmcnt(0)
	v_fma_f64 v[49:50], v[57:58], v[51:52], v[49:50]
	s_waitcnt vmcnt(0)
	v_add_f64 v[49:50], v[59:60], -v[49:50]
	buffer_store_dword v49, off, s[0:3], 0 offset:152
	buffer_store_dword v50, off, s[0:3], 0 offset:156
	s_and_saveexec_b64 s[4:5], vcc
	s_cbranch_execz .LBB22_109
; %bb.108:
	buffer_load_dword v49, off, s[0:3], 0 offset:144
	buffer_load_dword v50, off, s[0:3], 0 offset:148
	s_waitcnt vmcnt(0)
	ds_write_b64 v47, v[49:50]
	buffer_store_dword v48, off, s[0:3], 0 offset:144
	buffer_store_dword v48, off, s[0:3], 0 offset:148
.LBB22_109:
	s_or_b64 exec, exec, s[4:5]
	s_waitcnt lgkmcnt(0)
	; wave barrier
	buffer_load_dword v53, off, s[0:3], 0 offset:152
	buffer_load_dword v54, off, s[0:3], 0 offset:156
	;; [unrolled: 1-line block ×10, first 2 shown]
	ds_read2_b64 v[49:52], v48 offset0:43 offset1:44
	v_cmp_lt_u32_e32 vcc, 17, v0
	s_waitcnt vmcnt(8) lgkmcnt(0)
	v_fma_f64 v[49:50], v[53:54], v[49:50], 0
	s_waitcnt vmcnt(6)
	v_fma_f64 v[52:53], v[55:56], v[51:52], v[49:50]
	ds_read2_b64 v[48:51], v48 offset0:45 offset1:46
	s_waitcnt vmcnt(4) lgkmcnt(0)
	v_fma_f64 v[48:49], v[57:58], v[48:49], v[52:53]
	s_waitcnt vmcnt(2)
	v_fma_f64 v[48:49], v[59:60], v[50:51], v[48:49]
	s_waitcnt vmcnt(0)
	v_add_f64 v[48:49], v[61:62], -v[48:49]
	buffer_store_dword v48, off, s[0:3], 0 offset:144
	buffer_store_dword v49, off, s[0:3], 0 offset:148
	s_and_saveexec_b64 s[4:5], vcc
	s_cbranch_execz .LBB22_111
; %bb.110:
	buffer_load_dword v48, off, s[0:3], 0 offset:136
	buffer_load_dword v49, off, s[0:3], 0 offset:140
	v_mov_b32_e32 v50, 0
	buffer_store_dword v50, off, s[0:3], 0 offset:136
	buffer_store_dword v50, off, s[0:3], 0 offset:140
	s_waitcnt vmcnt(2)
	ds_write_b64 v47, v[48:49]
.LBB22_111:
	s_or_b64 exec, exec, s[4:5]
	s_waitcnt lgkmcnt(0)
	; wave barrier
	buffer_load_dword v57, off, s[0:3], 0 offset:144
	buffer_load_dword v58, off, s[0:3], 0 offset:148
	;; [unrolled: 1-line block ×12, first 2 shown]
	v_mov_b32_e32 v48, 0
	ds_read_b128 v[49:52], v48 offset:336
	ds_read_b128 v[53:56], v48 offset:352
	v_cmp_lt_u32_e32 vcc, 16, v0
	s_waitcnt vmcnt(10) lgkmcnt(1)
	v_fma_f64 v[49:50], v[57:58], v[49:50], 0
	s_waitcnt vmcnt(8)
	v_fma_f64 v[49:50], v[59:60], v[51:52], v[49:50]
	ds_read_b64 v[51:52], v48 offset:368
	s_waitcnt vmcnt(6) lgkmcnt(1)
	v_fma_f64 v[49:50], v[61:62], v[53:54], v[49:50]
	s_waitcnt vmcnt(4)
	v_fma_f64 v[49:50], v[63:64], v[55:56], v[49:50]
	s_waitcnt vmcnt(2) lgkmcnt(0)
	v_fma_f64 v[49:50], v[65:66], v[51:52], v[49:50]
	s_waitcnt vmcnt(0)
	v_add_f64 v[49:50], v[67:68], -v[49:50]
	buffer_store_dword v49, off, s[0:3], 0 offset:136
	buffer_store_dword v50, off, s[0:3], 0 offset:140
	s_and_saveexec_b64 s[4:5], vcc
	s_cbranch_execz .LBB22_113
; %bb.112:
	buffer_load_dword v49, off, s[0:3], 0 offset:128
	buffer_load_dword v50, off, s[0:3], 0 offset:132
	s_waitcnt vmcnt(0)
	ds_write_b64 v47, v[49:50]
	buffer_store_dword v48, off, s[0:3], 0 offset:128
	buffer_store_dword v48, off, s[0:3], 0 offset:132
.LBB22_113:
	s_or_b64 exec, exec, s[4:5]
	s_waitcnt lgkmcnt(0)
	; wave barrier
	buffer_load_dword v57, off, s[0:3], 0 offset:136
	buffer_load_dword v58, off, s[0:3], 0 offset:140
	;; [unrolled: 1-line block ×14, first 2 shown]
	ds_read2_b64 v[49:52], v48 offset0:41 offset1:42
	ds_read2_b64 v[53:56], v48 offset0:43 offset1:44
	v_cmp_lt_u32_e32 vcc, 15, v0
	s_waitcnt vmcnt(12) lgkmcnt(1)
	v_fma_f64 v[49:50], v[57:58], v[49:50], 0
	s_waitcnt vmcnt(10)
	v_fma_f64 v[49:50], v[59:60], v[51:52], v[49:50]
	s_waitcnt vmcnt(8) lgkmcnt(0)
	v_fma_f64 v[49:50], v[61:62], v[53:54], v[49:50]
	s_waitcnt vmcnt(6)
	v_fma_f64 v[52:53], v[63:64], v[55:56], v[49:50]
	ds_read2_b64 v[48:51], v48 offset0:45 offset1:46
	s_waitcnt vmcnt(4) lgkmcnt(0)
	v_fma_f64 v[48:49], v[65:66], v[48:49], v[52:53]
	s_waitcnt vmcnt(2)
	v_fma_f64 v[48:49], v[67:68], v[50:51], v[48:49]
	s_waitcnt vmcnt(0)
	v_add_f64 v[48:49], v[69:70], -v[48:49]
	buffer_store_dword v48, off, s[0:3], 0 offset:128
	buffer_store_dword v49, off, s[0:3], 0 offset:132
	s_and_saveexec_b64 s[4:5], vcc
	s_cbranch_execz .LBB22_115
; %bb.114:
	buffer_load_dword v48, off, s[0:3], 0 offset:120
	buffer_load_dword v49, off, s[0:3], 0 offset:124
	v_mov_b32_e32 v50, 0
	buffer_store_dword v50, off, s[0:3], 0 offset:120
	buffer_store_dword v50, off, s[0:3], 0 offset:124
	s_waitcnt vmcnt(2)
	ds_write_b64 v47, v[48:49]
.LBB22_115:
	s_or_b64 exec, exec, s[4:5]
	s_waitcnt lgkmcnt(0)
	; wave barrier
	buffer_load_dword v57, off, s[0:3], 0 offset:128
	buffer_load_dword v58, off, s[0:3], 0 offset:132
	;; [unrolled: 1-line block ×16, first 2 shown]
	v_mov_b32_e32 v48, 0
	ds_read_b128 v[49:52], v48 offset:320
	ds_read_b128 v[53:56], v48 offset:336
	v_cmp_lt_u32_e32 vcc, 14, v0
	s_waitcnt vmcnt(14) lgkmcnt(1)
	v_fma_f64 v[49:50], v[57:58], v[49:50], 0
	s_waitcnt vmcnt(12)
	v_fma_f64 v[49:50], v[59:60], v[51:52], v[49:50]
	s_waitcnt vmcnt(10) lgkmcnt(0)
	v_fma_f64 v[49:50], v[61:62], v[53:54], v[49:50]
	s_waitcnt vmcnt(8)
	v_fma_f64 v[53:54], v[63:64], v[55:56], v[49:50]
	ds_read_b128 v[49:52], v48 offset:352
	ds_read_b64 v[55:56], v48 offset:368
	s_waitcnt vmcnt(6) lgkmcnt(1)
	v_fma_f64 v[49:50], v[65:66], v[49:50], v[53:54]
	s_waitcnt vmcnt(4)
	v_fma_f64 v[49:50], v[67:68], v[51:52], v[49:50]
	s_waitcnt vmcnt(2) lgkmcnt(0)
	v_fma_f64 v[49:50], v[69:70], v[55:56], v[49:50]
	s_waitcnt vmcnt(0)
	v_add_f64 v[49:50], v[71:72], -v[49:50]
	buffer_store_dword v49, off, s[0:3], 0 offset:120
	buffer_store_dword v50, off, s[0:3], 0 offset:124
	s_and_saveexec_b64 s[4:5], vcc
	s_cbranch_execz .LBB22_117
; %bb.116:
	buffer_load_dword v49, off, s[0:3], 0 offset:112
	buffer_load_dword v50, off, s[0:3], 0 offset:116
	s_waitcnt vmcnt(0)
	ds_write_b64 v47, v[49:50]
	buffer_store_dword v48, off, s[0:3], 0 offset:112
	buffer_store_dword v48, off, s[0:3], 0 offset:116
.LBB22_117:
	s_or_b64 exec, exec, s[4:5]
	s_waitcnt lgkmcnt(0)
	; wave barrier
	buffer_load_dword v57, off, s[0:3], 0 offset:120
	buffer_load_dword v58, off, s[0:3], 0 offset:124
	;; [unrolled: 1-line block ×18, first 2 shown]
	ds_read2_b64 v[49:52], v48 offset0:39 offset1:40
	ds_read2_b64 v[53:56], v48 offset0:41 offset1:42
	v_cmp_lt_u32_e32 vcc, 13, v0
	s_waitcnt vmcnt(16) lgkmcnt(1)
	v_fma_f64 v[49:50], v[57:58], v[49:50], 0
	s_waitcnt vmcnt(14)
	v_fma_f64 v[49:50], v[59:60], v[51:52], v[49:50]
	s_waitcnt vmcnt(12) lgkmcnt(0)
	v_fma_f64 v[49:50], v[61:62], v[53:54], v[49:50]
	s_waitcnt vmcnt(10)
	v_fma_f64 v[57:58], v[63:64], v[55:56], v[49:50]
	ds_read2_b64 v[49:52], v48 offset0:43 offset1:44
	ds_read2_b64 v[53:56], v48 offset0:45 offset1:46
	s_waitcnt vmcnt(8) lgkmcnt(1)
	v_fma_f64 v[48:49], v[65:66], v[49:50], v[57:58]
	s_waitcnt vmcnt(6)
	v_fma_f64 v[48:49], v[67:68], v[51:52], v[48:49]
	s_waitcnt vmcnt(4) lgkmcnt(0)
	v_fma_f64 v[48:49], v[69:70], v[53:54], v[48:49]
	s_waitcnt vmcnt(2)
	v_fma_f64 v[48:49], v[71:72], v[55:56], v[48:49]
	s_waitcnt vmcnt(0)
	v_add_f64 v[48:49], v[73:74], -v[48:49]
	buffer_store_dword v48, off, s[0:3], 0 offset:112
	buffer_store_dword v49, off, s[0:3], 0 offset:116
	s_and_saveexec_b64 s[4:5], vcc
	s_cbranch_execz .LBB22_119
; %bb.118:
	buffer_load_dword v48, off, s[0:3], 0 offset:104
	buffer_load_dword v49, off, s[0:3], 0 offset:108
	v_mov_b32_e32 v50, 0
	buffer_store_dword v50, off, s[0:3], 0 offset:104
	buffer_store_dword v50, off, s[0:3], 0 offset:108
	s_waitcnt vmcnt(2)
	ds_write_b64 v47, v[48:49]
.LBB22_119:
	s_or_b64 exec, exec, s[4:5]
	s_waitcnt lgkmcnt(0)
	; wave barrier
	buffer_load_dword v57, off, s[0:3], 0 offset:112
	buffer_load_dword v58, off, s[0:3], 0 offset:116
	;; [unrolled: 1-line block ×20, first 2 shown]
	v_mov_b32_e32 v48, 0
	ds_read_b128 v[49:52], v48 offset:304
	ds_read_b128 v[53:56], v48 offset:320
	v_cmp_lt_u32_e32 vcc, 12, v0
	s_waitcnt vmcnt(18) lgkmcnt(1)
	v_fma_f64 v[49:50], v[57:58], v[49:50], 0
	s_waitcnt vmcnt(16)
	v_fma_f64 v[49:50], v[59:60], v[51:52], v[49:50]
	s_waitcnt vmcnt(14) lgkmcnt(0)
	v_fma_f64 v[49:50], v[61:62], v[53:54], v[49:50]
	s_waitcnt vmcnt(12)
	v_fma_f64 v[57:58], v[63:64], v[55:56], v[49:50]
	ds_read_b128 v[49:52], v48 offset:336
	ds_read_b128 v[53:56], v48 offset:352
	s_waitcnt vmcnt(10) lgkmcnt(1)
	v_fma_f64 v[49:50], v[65:66], v[49:50], v[57:58]
	s_waitcnt vmcnt(8)
	v_fma_f64 v[49:50], v[67:68], v[51:52], v[49:50]
	ds_read_b64 v[51:52], v48 offset:368
	s_waitcnt vmcnt(6) lgkmcnt(1)
	v_fma_f64 v[49:50], v[69:70], v[53:54], v[49:50]
	s_waitcnt vmcnt(3)
	v_fma_f64 v[49:50], v[71:72], v[55:56], v[49:50]
	s_waitcnt vmcnt(2) lgkmcnt(0)
	v_fma_f64 v[49:50], v[73:74], v[51:52], v[49:50]
	s_waitcnt vmcnt(0)
	v_add_f64 v[49:50], v[75:76], -v[49:50]
	buffer_store_dword v49, off, s[0:3], 0 offset:104
	buffer_store_dword v50, off, s[0:3], 0 offset:108
	s_and_saveexec_b64 s[4:5], vcc
	s_cbranch_execz .LBB22_121
; %bb.120:
	buffer_load_dword v49, off, s[0:3], 0 offset:96
	buffer_load_dword v50, off, s[0:3], 0 offset:100
	s_waitcnt vmcnt(0)
	ds_write_b64 v47, v[49:50]
	buffer_store_dword v48, off, s[0:3], 0 offset:96
	buffer_store_dword v48, off, s[0:3], 0 offset:100
.LBB22_121:
	s_or_b64 exec, exec, s[4:5]
	s_waitcnt lgkmcnt(0)
	; wave barrier
	buffer_load_dword v57, off, s[0:3], 0 offset:104
	buffer_load_dword v58, off, s[0:3], 0 offset:108
	;; [unrolled: 1-line block ×20, first 2 shown]
	ds_read2_b64 v[49:52], v48 offset0:37 offset1:38
	buffer_load_dword v77, off, s[0:3], 0 offset:96
	buffer_load_dword v78, off, s[0:3], 0 offset:100
	ds_read2_b64 v[53:56], v48 offset0:39 offset1:40
	v_cmp_lt_u32_e32 vcc, 11, v0
	s_waitcnt vmcnt(20) lgkmcnt(1)
	v_fma_f64 v[49:50], v[57:58], v[49:50], 0
	s_waitcnt vmcnt(18)
	v_fma_f64 v[49:50], v[59:60], v[51:52], v[49:50]
	s_waitcnt vmcnt(16) lgkmcnt(0)
	v_fma_f64 v[49:50], v[61:62], v[53:54], v[49:50]
	s_waitcnt vmcnt(14)
	v_fma_f64 v[57:58], v[63:64], v[55:56], v[49:50]
	ds_read2_b64 v[49:52], v48 offset0:41 offset1:42
	ds_read2_b64 v[53:56], v48 offset0:43 offset1:44
	s_waitcnt vmcnt(12) lgkmcnt(1)
	v_fma_f64 v[49:50], v[65:66], v[49:50], v[57:58]
	s_waitcnt vmcnt(10)
	v_fma_f64 v[49:50], v[67:68], v[51:52], v[49:50]
	s_waitcnt vmcnt(8) lgkmcnt(0)
	v_fma_f64 v[49:50], v[69:70], v[53:54], v[49:50]
	s_waitcnt vmcnt(4)
	v_fma_f64 v[52:53], v[71:72], v[55:56], v[49:50]
	ds_read2_b64 v[48:51], v48 offset0:45 offset1:46
	s_waitcnt vmcnt(3) lgkmcnt(0)
	v_fma_f64 v[48:49], v[75:76], v[48:49], v[52:53]
	s_waitcnt vmcnt(2)
	v_fma_f64 v[48:49], v[73:74], v[50:51], v[48:49]
	s_waitcnt vmcnt(0)
	v_add_f64 v[48:49], v[77:78], -v[48:49]
	buffer_store_dword v48, off, s[0:3], 0 offset:96
	buffer_store_dword v49, off, s[0:3], 0 offset:100
	s_and_saveexec_b64 s[4:5], vcc
	s_cbranch_execz .LBB22_123
; %bb.122:
	buffer_load_dword v48, off, s[0:3], 0 offset:88
	buffer_load_dword v49, off, s[0:3], 0 offset:92
	v_mov_b32_e32 v50, 0
	buffer_store_dword v50, off, s[0:3], 0 offset:88
	buffer_store_dword v50, off, s[0:3], 0 offset:92
	s_waitcnt vmcnt(2)
	ds_write_b64 v47, v[48:49]
.LBB22_123:
	s_or_b64 exec, exec, s[4:5]
	s_waitcnt lgkmcnt(0)
	; wave barrier
	buffer_load_dword v57, off, s[0:3], 0 offset:96
	buffer_load_dword v58, off, s[0:3], 0 offset:100
	;; [unrolled: 1-line block ×21, first 2 shown]
	v_mov_b32_e32 v48, 0
	ds_read_b128 v[49:52], v48 offset:288
	ds_read_b128 v[53:56], v48 offset:304
	buffer_load_dword v74, off, s[0:3], 0 offset:180
	v_cmp_lt_u32_e32 vcc, 10, v0
	s_waitcnt vmcnt(20) lgkmcnt(1)
	v_fma_f64 v[49:50], v[57:58], v[49:50], 0
	buffer_load_dword v57, off, s[0:3], 0 offset:88
	buffer_load_dword v58, off, s[0:3], 0 offset:92
	s_waitcnt vmcnt(20)
	v_fma_f64 v[49:50], v[59:60], v[51:52], v[49:50]
	s_waitcnt vmcnt(18) lgkmcnt(0)
	v_fma_f64 v[49:50], v[61:62], v[53:54], v[49:50]
	s_waitcnt vmcnt(16)
	v_fma_f64 v[59:60], v[63:64], v[55:56], v[49:50]
	ds_read_b128 v[49:52], v48 offset:320
	ds_read_b128 v[53:56], v48 offset:336
	s_waitcnt vmcnt(14) lgkmcnt(1)
	v_fma_f64 v[49:50], v[65:66], v[49:50], v[59:60]
	s_waitcnt vmcnt(12)
	v_fma_f64 v[49:50], v[67:68], v[51:52], v[49:50]
	s_waitcnt vmcnt(10) lgkmcnt(0)
	v_fma_f64 v[49:50], v[69:70], v[53:54], v[49:50]
	s_waitcnt vmcnt(5)
	v_fma_f64 v[53:54], v[71:72], v[55:56], v[49:50]
	ds_read_b128 v[49:52], v48 offset:352
	ds_read_b64 v[55:56], v48 offset:368
	s_waitcnt vmcnt(4) lgkmcnt(1)
	v_fma_f64 v[49:50], v[77:78], v[49:50], v[53:54]
	s_waitcnt vmcnt(3)
	v_fma_f64 v[49:50], v[75:76], v[51:52], v[49:50]
	s_waitcnt vmcnt(2) lgkmcnt(0)
	v_fma_f64 v[49:50], v[73:74], v[55:56], v[49:50]
	s_waitcnt vmcnt(0)
	v_add_f64 v[49:50], v[57:58], -v[49:50]
	buffer_store_dword v50, off, s[0:3], 0 offset:92
	buffer_store_dword v49, off, s[0:3], 0 offset:88
	s_and_saveexec_b64 s[4:5], vcc
	s_cbranch_execz .LBB22_125
; %bb.124:
	buffer_load_dword v49, off, s[0:3], 0 offset:80
	buffer_load_dword v50, off, s[0:3], 0 offset:84
	s_waitcnt vmcnt(0)
	ds_write_b64 v47, v[49:50]
	buffer_store_dword v48, off, s[0:3], 0 offset:80
	buffer_store_dword v48, off, s[0:3], 0 offset:84
.LBB22_125:
	s_or_b64 exec, exec, s[4:5]
	s_waitcnt lgkmcnt(0)
	; wave barrier
	buffer_load_dword v57, off, s[0:3], 0 offset:88
	buffer_load_dword v58, off, s[0:3], 0 offset:92
	buffer_load_dword v59, off, s[0:3], 0 offset:96
	buffer_load_dword v60, off, s[0:3], 0 offset:100
	buffer_load_dword v61, off, s[0:3], 0 offset:104
	buffer_load_dword v62, off, s[0:3], 0 offset:108
	buffer_load_dword v63, off, s[0:3], 0 offset:112
	buffer_load_dword v64, off, s[0:3], 0 offset:116
	buffer_load_dword v65, off, s[0:3], 0 offset:120
	buffer_load_dword v66, off, s[0:3], 0 offset:124
	buffer_load_dword v67, off, s[0:3], 0 offset:128
	buffer_load_dword v68, off, s[0:3], 0 offset:132
	buffer_load_dword v69, off, s[0:3], 0 offset:136
	buffer_load_dword v70, off, s[0:3], 0 offset:140
	buffer_load_dword v72, off, s[0:3], 0 offset:148
	buffer_load_dword v73, off, s[0:3], 0 offset:168
	buffer_load_dword v75, off, s[0:3], 0 offset:160
	buffer_load_dword v77, off, s[0:3], 0 offset:152
	buffer_load_dword v71, off, s[0:3], 0 offset:144
	buffer_load_dword v78, off, s[0:3], 0 offset:156
	buffer_load_dword v76, off, s[0:3], 0 offset:164
	ds_read2_b64 v[49:52], v48 offset0:35 offset1:36
	ds_read2_b64 v[53:56], v48 offset0:37 offset1:38
	buffer_load_dword v74, off, s[0:3], 0 offset:172
	v_cmp_lt_u32_e32 vcc, 9, v0
	s_waitcnt vmcnt(20) lgkmcnt(1)
	v_fma_f64 v[49:50], v[57:58], v[49:50], 0
	buffer_load_dword v58, off, s[0:3], 0 offset:180
	buffer_load_dword v57, off, s[0:3], 0 offset:176
	s_waitcnt vmcnt(20)
	v_fma_f64 v[49:50], v[59:60], v[51:52], v[49:50]
	buffer_load_dword v59, off, s[0:3], 0 offset:80
	buffer_load_dword v60, off, s[0:3], 0 offset:84
	s_waitcnt vmcnt(20) lgkmcnt(0)
	v_fma_f64 v[49:50], v[61:62], v[53:54], v[49:50]
	s_waitcnt vmcnt(18)
	v_fma_f64 v[61:62], v[63:64], v[55:56], v[49:50]
	ds_read2_b64 v[49:52], v48 offset0:39 offset1:40
	ds_read2_b64 v[53:56], v48 offset0:41 offset1:42
	s_waitcnt vmcnt(16) lgkmcnt(1)
	v_fma_f64 v[49:50], v[65:66], v[49:50], v[61:62]
	s_waitcnt vmcnt(14)
	v_fma_f64 v[49:50], v[67:68], v[51:52], v[49:50]
	s_waitcnt vmcnt(12) lgkmcnt(0)
	v_fma_f64 v[49:50], v[69:70], v[53:54], v[49:50]
	s_waitcnt vmcnt(7)
	v_fma_f64 v[61:62], v[71:72], v[55:56], v[49:50]
	ds_read2_b64 v[49:52], v48 offset0:43 offset1:44
	ds_read2_b64 v[53:56], v48 offset0:45 offset1:46
	s_waitcnt vmcnt(6) lgkmcnt(1)
	v_fma_f64 v[48:49], v[77:78], v[49:50], v[61:62]
	s_waitcnt vmcnt(5)
	v_fma_f64 v[48:49], v[75:76], v[51:52], v[48:49]
	s_waitcnt vmcnt(4) lgkmcnt(0)
	v_fma_f64 v[48:49], v[73:74], v[53:54], v[48:49]
	s_waitcnt vmcnt(2)
	v_fma_f64 v[48:49], v[57:58], v[55:56], v[48:49]
	s_waitcnt vmcnt(0)
	v_add_f64 v[48:49], v[59:60], -v[48:49]
	buffer_store_dword v49, off, s[0:3], 0 offset:84
	buffer_store_dword v48, off, s[0:3], 0 offset:80
	s_and_saveexec_b64 s[4:5], vcc
	s_cbranch_execz .LBB22_127
; %bb.126:
	buffer_load_dword v48, off, s[0:3], 0 offset:72
	buffer_load_dword v49, off, s[0:3], 0 offset:76
	v_mov_b32_e32 v50, 0
	buffer_store_dword v50, off, s[0:3], 0 offset:72
	buffer_store_dword v50, off, s[0:3], 0 offset:76
	s_waitcnt vmcnt(2)
	ds_write_b64 v47, v[48:49]
.LBB22_127:
	s_or_b64 exec, exec, s[4:5]
	s_waitcnt lgkmcnt(0)
	; wave barrier
	buffer_load_dword v57, off, s[0:3], 0 offset:80
	buffer_load_dword v58, off, s[0:3], 0 offset:84
	;; [unrolled: 1-line block ×21, first 2 shown]
	v_mov_b32_e32 v48, 0
	ds_read_b128 v[49:52], v48 offset:272
	ds_read_b128 v[53:56], v48 offset:288
	buffer_load_dword v74, off, s[0:3], 0 offset:164
	v_cmp_lt_u32_e32 vcc, 8, v0
	s_waitcnt vmcnt(20) lgkmcnt(1)
	v_fma_f64 v[49:50], v[57:58], v[49:50], 0
	s_waitcnt vmcnt(18)
	v_fma_f64 v[49:50], v[59:60], v[51:52], v[49:50]
	buffer_load_dword v58, off, s[0:3], 0 offset:172
	buffer_load_dword v59, off, s[0:3], 0 offset:176
	;; [unrolled: 1-line block ×4, first 2 shown]
	s_waitcnt vmcnt(20) lgkmcnt(0)
	v_fma_f64 v[49:50], v[61:62], v[53:54], v[49:50]
	buffer_load_dword v61, off, s[0:3], 0 offset:72
	buffer_load_dword v62, off, s[0:3], 0 offset:76
	s_waitcnt vmcnt(20)
	v_fma_f64 v[63:64], v[63:64], v[55:56], v[49:50]
	ds_read_b128 v[49:52], v48 offset:304
	ds_read_b128 v[53:56], v48 offset:320
	s_waitcnt vmcnt(18) lgkmcnt(1)
	v_fma_f64 v[49:50], v[65:66], v[49:50], v[63:64]
	s_waitcnt vmcnt(16)
	v_fma_f64 v[49:50], v[67:68], v[51:52], v[49:50]
	s_waitcnt vmcnt(14) lgkmcnt(0)
	v_fma_f64 v[49:50], v[69:70], v[53:54], v[49:50]
	s_waitcnt vmcnt(9)
	v_fma_f64 v[63:64], v[71:72], v[55:56], v[49:50]
	ds_read_b128 v[49:52], v48 offset:336
	ds_read_b128 v[53:56], v48 offset:352
	s_waitcnt vmcnt(8) lgkmcnt(1)
	v_fma_f64 v[49:50], v[77:78], v[49:50], v[63:64]
	s_waitcnt vmcnt(7)
	v_fma_f64 v[49:50], v[75:76], v[51:52], v[49:50]
	ds_read_b64 v[51:52], v48 offset:368
	s_waitcnt vmcnt(6) lgkmcnt(1)
	v_fma_f64 v[49:50], v[73:74], v[53:54], v[49:50]
	s_waitcnt vmcnt(3)
	v_fma_f64 v[49:50], v[57:58], v[55:56], v[49:50]
	s_waitcnt vmcnt(2) lgkmcnt(0)
	v_fma_f64 v[49:50], v[59:60], v[51:52], v[49:50]
	s_waitcnt vmcnt(0)
	v_add_f64 v[49:50], v[61:62], -v[49:50]
	buffer_store_dword v50, off, s[0:3], 0 offset:76
	buffer_store_dword v49, off, s[0:3], 0 offset:72
	s_and_saveexec_b64 s[4:5], vcc
	s_cbranch_execz .LBB22_129
; %bb.128:
	buffer_load_dword v49, off, s[0:3], 0 offset:64
	buffer_load_dword v50, off, s[0:3], 0 offset:68
	s_waitcnt vmcnt(0)
	ds_write_b64 v47, v[49:50]
	buffer_store_dword v48, off, s[0:3], 0 offset:64
	buffer_store_dword v48, off, s[0:3], 0 offset:68
.LBB22_129:
	s_or_b64 exec, exec, s[4:5]
	s_waitcnt lgkmcnt(0)
	; wave barrier
	buffer_load_dword v57, off, s[0:3], 0 offset:72
	buffer_load_dword v58, off, s[0:3], 0 offset:76
	buffer_load_dword v59, off, s[0:3], 0 offset:80
	buffer_load_dword v60, off, s[0:3], 0 offset:84
	buffer_load_dword v61, off, s[0:3], 0 offset:88
	buffer_load_dword v62, off, s[0:3], 0 offset:92
	buffer_load_dword v63, off, s[0:3], 0 offset:96
	buffer_load_dword v64, off, s[0:3], 0 offset:100
	buffer_load_dword v65, off, s[0:3], 0 offset:104
	buffer_load_dword v66, off, s[0:3], 0 offset:108
	buffer_load_dword v67, off, s[0:3], 0 offset:112
	buffer_load_dword v68, off, s[0:3], 0 offset:116
	buffer_load_dword v69, off, s[0:3], 0 offset:120
	buffer_load_dword v70, off, s[0:3], 0 offset:124
	buffer_load_dword v72, off, s[0:3], 0 offset:132
	buffer_load_dword v73, off, s[0:3], 0 offset:152
	buffer_load_dword v75, off, s[0:3], 0 offset:144
	buffer_load_dword v77, off, s[0:3], 0 offset:136
	buffer_load_dword v71, off, s[0:3], 0 offset:128
	buffer_load_dword v78, off, s[0:3], 0 offset:140
	buffer_load_dword v76, off, s[0:3], 0 offset:148
	buffer_load_dword v74, off, s[0:3], 0 offset:156
	ds_read2_b64 v[49:52], v48 offset0:33 offset1:34
	ds_read2_b64 v[53:56], v48 offset0:35 offset1:36
	v_cmp_lt_u32_e32 vcc, 7, v0
	s_waitcnt vmcnt(20) lgkmcnt(1)
	v_fma_f64 v[49:50], v[57:58], v[49:50], 0
	s_waitcnt vmcnt(18)
	v_fma_f64 v[49:50], v[59:60], v[51:52], v[49:50]
	buffer_load_dword v58, off, s[0:3], 0 offset:164
	buffer_load_dword v59, off, s[0:3], 0 offset:176
	;; [unrolled: 1-line block ×6, first 2 shown]
	s_waitcnt vmcnt(22) lgkmcnt(0)
	v_fma_f64 v[49:50], v[61:62], v[53:54], v[49:50]
	s_waitcnt vmcnt(20)
	v_fma_f64 v[61:62], v[63:64], v[55:56], v[49:50]
	ds_read2_b64 v[49:52], v48 offset0:37 offset1:38
	buffer_load_dword v63, off, s[0:3], 0 offset:64
	buffer_load_dword v64, off, s[0:3], 0 offset:68
	ds_read2_b64 v[53:56], v48 offset0:39 offset1:40
	s_waitcnt vmcnt(20) lgkmcnt(1)
	v_fma_f64 v[49:50], v[65:66], v[49:50], v[61:62]
	s_waitcnt vmcnt(18)
	v_fma_f64 v[49:50], v[67:68], v[51:52], v[49:50]
	s_waitcnt vmcnt(16) lgkmcnt(0)
	v_fma_f64 v[49:50], v[69:70], v[53:54], v[49:50]
	s_waitcnt vmcnt(11)
	v_fma_f64 v[61:62], v[71:72], v[55:56], v[49:50]
	ds_read2_b64 v[49:52], v48 offset0:41 offset1:42
	ds_read2_b64 v[53:56], v48 offset0:43 offset1:44
	s_waitcnt vmcnt(10) lgkmcnt(1)
	v_fma_f64 v[49:50], v[77:78], v[49:50], v[61:62]
	s_waitcnt vmcnt(9)
	v_fma_f64 v[49:50], v[75:76], v[51:52], v[49:50]
	s_waitcnt vmcnt(8) lgkmcnt(0)
	v_fma_f64 v[49:50], v[73:74], v[53:54], v[49:50]
	s_waitcnt vmcnt(4)
	v_fma_f64 v[52:53], v[57:58], v[55:56], v[49:50]
	ds_read2_b64 v[48:51], v48 offset0:45 offset1:46
	s_waitcnt vmcnt(3) lgkmcnt(0)
	v_fma_f64 v[48:49], v[79:80], v[48:49], v[52:53]
	s_waitcnt vmcnt(2)
	v_fma_f64 v[48:49], v[59:60], v[50:51], v[48:49]
	s_waitcnt vmcnt(0)
	v_add_f64 v[48:49], v[63:64], -v[48:49]
	buffer_store_dword v49, off, s[0:3], 0 offset:68
	buffer_store_dword v48, off, s[0:3], 0 offset:64
	s_and_saveexec_b64 s[4:5], vcc
	s_cbranch_execz .LBB22_131
; %bb.130:
	buffer_load_dword v48, off, s[0:3], 0 offset:56
	buffer_load_dword v49, off, s[0:3], 0 offset:60
	v_mov_b32_e32 v50, 0
	buffer_store_dword v50, off, s[0:3], 0 offset:56
	buffer_store_dword v50, off, s[0:3], 0 offset:60
	s_waitcnt vmcnt(2)
	ds_write_b64 v47, v[48:49]
.LBB22_131:
	s_or_b64 exec, exec, s[4:5]
	s_waitcnt lgkmcnt(0)
	; wave barrier
	buffer_load_dword v57, off, s[0:3], 0 offset:64
	buffer_load_dword v58, off, s[0:3], 0 offset:68
	;; [unrolled: 1-line block ×22, first 2 shown]
	v_mov_b32_e32 v48, 0
	ds_read_b128 v[49:52], v48 offset:256
	ds_read_b128 v[53:56], v48 offset:272
	v_cmp_lt_u32_e32 vcc, 6, v0
	s_waitcnt vmcnt(20) lgkmcnt(1)
	v_fma_f64 v[49:50], v[57:58], v[49:50], 0
	s_waitcnt vmcnt(18)
	v_fma_f64 v[49:50], v[59:60], v[51:52], v[49:50]
	buffer_load_dword v58, off, s[0:3], 0 offset:156
	buffer_load_dword v59, off, s[0:3], 0 offset:176
	;; [unrolled: 1-line block ×8, first 2 shown]
	s_waitcnt vmcnt(24) lgkmcnt(0)
	v_fma_f64 v[49:50], v[61:62], v[53:54], v[49:50]
	s_waitcnt vmcnt(22)
	v_fma_f64 v[61:62], v[63:64], v[55:56], v[49:50]
	ds_read_b128 v[49:52], v48 offset:288
	ds_read_b128 v[53:56], v48 offset:304
	s_waitcnt vmcnt(20) lgkmcnt(1)
	v_fma_f64 v[49:50], v[65:66], v[49:50], v[61:62]
	buffer_load_dword v61, off, s[0:3], 0 offset:56
	buffer_load_dword v62, off, s[0:3], 0 offset:60
	s_waitcnt vmcnt(20)
	v_fma_f64 v[49:50], v[67:68], v[51:52], v[49:50]
	s_waitcnt vmcnt(18) lgkmcnt(0)
	v_fma_f64 v[49:50], v[69:70], v[53:54], v[49:50]
	s_waitcnt vmcnt(13)
	v_fma_f64 v[63:64], v[71:72], v[55:56], v[49:50]
	ds_read_b128 v[49:52], v48 offset:320
	ds_read_b128 v[53:56], v48 offset:336
	s_waitcnt vmcnt(12) lgkmcnt(1)
	v_fma_f64 v[49:50], v[77:78], v[49:50], v[63:64]
	s_waitcnt vmcnt(11)
	v_fma_f64 v[49:50], v[75:76], v[51:52], v[49:50]
	s_waitcnt vmcnt(10) lgkmcnt(0)
	v_fma_f64 v[49:50], v[73:74], v[53:54], v[49:50]
	s_waitcnt vmcnt(5)
	v_fma_f64 v[53:54], v[57:58], v[55:56], v[49:50]
	ds_read_b128 v[49:52], v48 offset:352
	ds_read_b64 v[55:56], v48 offset:368
	s_waitcnt vmcnt(4) lgkmcnt(1)
	v_fma_f64 v[49:50], v[81:82], v[49:50], v[53:54]
	s_waitcnt vmcnt(3)
	v_fma_f64 v[49:50], v[79:80], v[51:52], v[49:50]
	s_waitcnt vmcnt(2) lgkmcnt(0)
	v_fma_f64 v[49:50], v[59:60], v[55:56], v[49:50]
	s_waitcnt vmcnt(0)
	v_add_f64 v[49:50], v[61:62], -v[49:50]
	buffer_store_dword v50, off, s[0:3], 0 offset:60
	buffer_store_dword v49, off, s[0:3], 0 offset:56
	s_and_saveexec_b64 s[4:5], vcc
	s_cbranch_execz .LBB22_133
; %bb.132:
	buffer_load_dword v49, off, s[0:3], 0 offset:48
	buffer_load_dword v50, off, s[0:3], 0 offset:52
	s_waitcnt vmcnt(0)
	ds_write_b64 v47, v[49:50]
	buffer_store_dword v48, off, s[0:3], 0 offset:48
	buffer_store_dword v48, off, s[0:3], 0 offset:52
.LBB22_133:
	s_or_b64 exec, exec, s[4:5]
	s_waitcnt lgkmcnt(0)
	; wave barrier
	buffer_load_dword v57, off, s[0:3], 0 offset:56
	buffer_load_dword v58, off, s[0:3], 0 offset:60
	;; [unrolled: 1-line block ×22, first 2 shown]
	ds_read2_b64 v[49:52], v48 offset0:31 offset1:32
	ds_read2_b64 v[53:56], v48 offset0:33 offset1:34
	v_cmp_lt_u32_e32 vcc, 5, v0
	s_waitcnt vmcnt(20) lgkmcnt(1)
	v_fma_f64 v[49:50], v[57:58], v[49:50], 0
	s_waitcnt vmcnt(18)
	v_fma_f64 v[49:50], v[59:60], v[51:52], v[49:50]
	buffer_load_dword v58, off, s[0:3], 0 offset:148
	buffer_load_dword v59, off, s[0:3], 0 offset:168
	;; [unrolled: 1-line block ×8, first 2 shown]
	s_waitcnt vmcnt(24) lgkmcnt(0)
	v_fma_f64 v[49:50], v[61:62], v[53:54], v[49:50]
	s_waitcnt vmcnt(22)
	v_fma_f64 v[61:62], v[63:64], v[55:56], v[49:50]
	ds_read2_b64 v[49:52], v48 offset0:35 offset1:36
	ds_read2_b64 v[53:56], v48 offset0:37 offset1:38
	s_waitcnt vmcnt(20) lgkmcnt(1)
	v_fma_f64 v[49:50], v[65:66], v[49:50], v[61:62]
	buffer_load_dword v62, off, s[0:3], 0 offset:180
	buffer_load_dword v61, off, s[0:3], 0 offset:176
	;; [unrolled: 1-line block ×4, first 2 shown]
	s_waitcnt vmcnt(22)
	v_fma_f64 v[49:50], v[67:68], v[51:52], v[49:50]
	s_waitcnt vmcnt(20) lgkmcnt(0)
	v_fma_f64 v[49:50], v[69:70], v[53:54], v[49:50]
	s_waitcnt vmcnt(15)
	v_fma_f64 v[65:66], v[71:72], v[55:56], v[49:50]
	ds_read2_b64 v[49:52], v48 offset0:39 offset1:40
	ds_read2_b64 v[53:56], v48 offset0:41 offset1:42
	s_waitcnt vmcnt(14) lgkmcnt(1)
	v_fma_f64 v[49:50], v[77:78], v[49:50], v[65:66]
	s_waitcnt vmcnt(13)
	v_fma_f64 v[49:50], v[75:76], v[51:52], v[49:50]
	s_waitcnt vmcnt(12) lgkmcnt(0)
	v_fma_f64 v[49:50], v[73:74], v[53:54], v[49:50]
	s_waitcnt vmcnt(7)
	v_fma_f64 v[57:58], v[57:58], v[55:56], v[49:50]
	ds_read2_b64 v[49:52], v48 offset0:43 offset1:44
	ds_read2_b64 v[53:56], v48 offset0:45 offset1:46
	s_waitcnt vmcnt(6) lgkmcnt(1)
	v_fma_f64 v[48:49], v[81:82], v[49:50], v[57:58]
	s_waitcnt vmcnt(5)
	v_fma_f64 v[48:49], v[79:80], v[51:52], v[48:49]
	s_waitcnt vmcnt(4) lgkmcnt(0)
	v_fma_f64 v[48:49], v[59:60], v[53:54], v[48:49]
	s_waitcnt vmcnt(2)
	v_fma_f64 v[48:49], v[61:62], v[55:56], v[48:49]
	s_waitcnt vmcnt(0)
	v_add_f64 v[48:49], v[63:64], -v[48:49]
	buffer_store_dword v49, off, s[0:3], 0 offset:52
	buffer_store_dword v48, off, s[0:3], 0 offset:48
	s_and_saveexec_b64 s[4:5], vcc
	s_cbranch_execz .LBB22_135
; %bb.134:
	buffer_load_dword v48, off, s[0:3], 0 offset:40
	buffer_load_dword v49, off, s[0:3], 0 offset:44
	v_mov_b32_e32 v50, 0
	buffer_store_dword v50, off, s[0:3], 0 offset:40
	buffer_store_dword v50, off, s[0:3], 0 offset:44
	s_waitcnt vmcnt(2)
	ds_write_b64 v47, v[48:49]
.LBB22_135:
	s_or_b64 exec, exec, s[4:5]
	s_waitcnt lgkmcnt(0)
	; wave barrier
	buffer_load_dword v57, off, s[0:3], 0 offset:48
	buffer_load_dword v58, off, s[0:3], 0 offset:52
	;; [unrolled: 1-line block ×22, first 2 shown]
	v_mov_b32_e32 v48, 0
	ds_read_b128 v[49:52], v48 offset:240
	ds_read_b128 v[53:56], v48 offset:256
	v_cmp_lt_u32_e32 vcc, 4, v0
	s_waitcnt vmcnt(20) lgkmcnt(1)
	v_fma_f64 v[49:50], v[57:58], v[49:50], 0
	s_waitcnt vmcnt(18)
	v_fma_f64 v[49:50], v[59:60], v[51:52], v[49:50]
	buffer_load_dword v58, off, s[0:3], 0 offset:140
	buffer_load_dword v59, off, s[0:3], 0 offset:160
	;; [unrolled: 1-line block ×7, first 2 shown]
	s_waitcnt vmcnt(23) lgkmcnt(0)
	v_fma_f64 v[49:50], v[61:62], v[53:54], v[49:50]
	s_waitcnt vmcnt(21)
	v_fma_f64 v[60:61], v[63:64], v[55:56], v[49:50]
	ds_read_b128 v[49:52], v48 offset:272
	ds_read_b128 v[53:56], v48 offset:288
	s_waitcnt vmcnt(19) lgkmcnt(1)
	v_fma_f64 v[49:50], v[65:66], v[49:50], v[60:61]
	buffer_load_dword v60, off, s[0:3], 0 offset:164
	buffer_load_dword v62, off, s[0:3], 0 offset:172
	;; [unrolled: 1-line block ×7, first 2 shown]
	s_waitcnt vmcnt(24)
	v_fma_f64 v[49:50], v[67:68], v[51:52], v[49:50]
	s_waitcnt vmcnt(22) lgkmcnt(0)
	v_fma_f64 v[49:50], v[69:70], v[53:54], v[49:50]
	s_waitcnt vmcnt(17)
	v_fma_f64 v[67:68], v[71:72], v[55:56], v[49:50]
	ds_read_b128 v[49:52], v48 offset:304
	ds_read_b128 v[53:56], v48 offset:320
	s_waitcnt vmcnt(16) lgkmcnt(1)
	v_fma_f64 v[49:50], v[77:78], v[49:50], v[67:68]
	s_waitcnt vmcnt(15)
	v_fma_f64 v[49:50], v[75:76], v[51:52], v[49:50]
	s_waitcnt vmcnt(14) lgkmcnt(0)
	v_fma_f64 v[49:50], v[73:74], v[53:54], v[49:50]
	s_waitcnt vmcnt(9)
	v_fma_f64 v[57:58], v[57:58], v[55:56], v[49:50]
	ds_read_b128 v[49:52], v48 offset:336
	ds_read_b128 v[53:56], v48 offset:352
	s_waitcnt vmcnt(8) lgkmcnt(1)
	v_fma_f64 v[49:50], v[81:82], v[49:50], v[57:58]
	s_waitcnt vmcnt(7)
	v_fma_f64 v[49:50], v[79:80], v[51:52], v[49:50]
	ds_read_b64 v[51:52], v48 offset:368
	s_waitcnt vmcnt(6) lgkmcnt(1)
	v_fma_f64 v[49:50], v[59:60], v[53:54], v[49:50]
	s_waitcnt vmcnt(3)
	v_fma_f64 v[49:50], v[61:62], v[55:56], v[49:50]
	s_waitcnt vmcnt(2) lgkmcnt(0)
	v_fma_f64 v[49:50], v[63:64], v[51:52], v[49:50]
	s_waitcnt vmcnt(0)
	v_add_f64 v[49:50], v[65:66], -v[49:50]
	buffer_store_dword v50, off, s[0:3], 0 offset:44
	buffer_store_dword v49, off, s[0:3], 0 offset:40
	s_and_saveexec_b64 s[4:5], vcc
	s_cbranch_execz .LBB22_137
; %bb.136:
	buffer_load_dword v49, off, s[0:3], 0 offset:32
	buffer_load_dword v50, off, s[0:3], 0 offset:36
	s_waitcnt vmcnt(0)
	ds_write_b64 v47, v[49:50]
	buffer_store_dword v48, off, s[0:3], 0 offset:32
	buffer_store_dword v48, off, s[0:3], 0 offset:36
.LBB22_137:
	s_or_b64 exec, exec, s[4:5]
	s_waitcnt lgkmcnt(0)
	; wave barrier
	buffer_load_dword v57, off, s[0:3], 0 offset:40
	buffer_load_dword v58, off, s[0:3], 0 offset:44
	;; [unrolled: 1-line block ×22, first 2 shown]
	ds_read2_b64 v[49:52], v48 offset0:29 offset1:30
	ds_read2_b64 v[53:56], v48 offset0:31 offset1:32
	v_cmp_lt_u32_e32 vcc, 3, v0
	s_waitcnt vmcnt(20) lgkmcnt(1)
	v_fma_f64 v[49:50], v[57:58], v[49:50], 0
	s_waitcnt vmcnt(18)
	v_fma_f64 v[49:50], v[59:60], v[51:52], v[49:50]
	buffer_load_dword v58, off, s[0:3], 0 offset:132
	buffer_load_dword v59, off, s[0:3], 0 offset:152
	;; [unrolled: 1-line block ×7, first 2 shown]
	s_waitcnt vmcnt(23) lgkmcnt(0)
	v_fma_f64 v[49:50], v[61:62], v[53:54], v[49:50]
	s_waitcnt vmcnt(21)
	v_fma_f64 v[60:61], v[63:64], v[55:56], v[49:50]
	ds_read2_b64 v[49:52], v48 offset0:33 offset1:34
	ds_read2_b64 v[53:56], v48 offset0:35 offset1:36
	s_waitcnt vmcnt(19) lgkmcnt(1)
	v_fma_f64 v[49:50], v[65:66], v[49:50], v[60:61]
	buffer_load_dword v60, off, s[0:3], 0 offset:156
	buffer_load_dword v62, off, s[0:3], 0 offset:164
	;; [unrolled: 1-line block ×7, first 2 shown]
	s_waitcnt vmcnt(24)
	v_fma_f64 v[49:50], v[67:68], v[51:52], v[49:50]
	s_waitcnt vmcnt(22) lgkmcnt(0)
	v_fma_f64 v[49:50], v[69:70], v[53:54], v[49:50]
	s_waitcnt vmcnt(17)
	v_fma_f64 v[67:68], v[71:72], v[55:56], v[49:50]
	ds_read2_b64 v[49:52], v48 offset0:37 offset1:38
	buffer_load_dword v69, off, s[0:3], 0 offset:32
	buffer_load_dword v70, off, s[0:3], 0 offset:36
	ds_read2_b64 v[53:56], v48 offset0:39 offset1:40
	s_waitcnt vmcnt(18) lgkmcnt(1)
	v_fma_f64 v[49:50], v[77:78], v[49:50], v[67:68]
	s_waitcnt vmcnt(17)
	v_fma_f64 v[49:50], v[75:76], v[51:52], v[49:50]
	s_waitcnt vmcnt(16) lgkmcnt(0)
	v_fma_f64 v[49:50], v[73:74], v[53:54], v[49:50]
	s_waitcnt vmcnt(11)
	v_fma_f64 v[57:58], v[57:58], v[55:56], v[49:50]
	ds_read2_b64 v[49:52], v48 offset0:41 offset1:42
	ds_read2_b64 v[53:56], v48 offset0:43 offset1:44
	s_waitcnt vmcnt(10) lgkmcnt(1)
	v_fma_f64 v[49:50], v[81:82], v[49:50], v[57:58]
	s_waitcnt vmcnt(9)
	v_fma_f64 v[49:50], v[79:80], v[51:52], v[49:50]
	s_waitcnt vmcnt(8) lgkmcnt(0)
	v_fma_f64 v[49:50], v[59:60], v[53:54], v[49:50]
	s_waitcnt vmcnt(4)
	v_fma_f64 v[52:53], v[61:62], v[55:56], v[49:50]
	ds_read2_b64 v[48:51], v48 offset0:45 offset1:46
	s_waitcnt vmcnt(3) lgkmcnt(0)
	v_fma_f64 v[48:49], v[65:66], v[48:49], v[52:53]
	s_waitcnt vmcnt(2)
	v_fma_f64 v[48:49], v[63:64], v[50:51], v[48:49]
	s_waitcnt vmcnt(0)
	v_add_f64 v[48:49], v[69:70], -v[48:49]
	buffer_store_dword v49, off, s[0:3], 0 offset:36
	buffer_store_dword v48, off, s[0:3], 0 offset:32
	s_and_saveexec_b64 s[4:5], vcc
	s_cbranch_execz .LBB22_139
; %bb.138:
	buffer_load_dword v48, off, s[0:3], 0 offset:24
	buffer_load_dword v49, off, s[0:3], 0 offset:28
	v_mov_b32_e32 v50, 0
	buffer_store_dword v50, off, s[0:3], 0 offset:24
	buffer_store_dword v50, off, s[0:3], 0 offset:28
	s_waitcnt vmcnt(2)
	ds_write_b64 v47, v[48:49]
.LBB22_139:
	s_or_b64 exec, exec, s[4:5]
	s_waitcnt lgkmcnt(0)
	; wave barrier
	buffer_load_dword v57, off, s[0:3], 0 offset:32
	buffer_load_dword v58, off, s[0:3], 0 offset:36
	;; [unrolled: 1-line block ×22, first 2 shown]
	v_mov_b32_e32 v48, 0
	ds_read_b128 v[49:52], v48 offset:224
	ds_read_b128 v[53:56], v48 offset:240
	v_cmp_lt_u32_e32 vcc, 2, v0
	s_waitcnt vmcnt(20) lgkmcnt(1)
	v_fma_f64 v[49:50], v[57:58], v[49:50], 0
	s_waitcnt vmcnt(18)
	v_fma_f64 v[49:50], v[59:60], v[51:52], v[49:50]
	buffer_load_dword v58, off, s[0:3], 0 offset:124
	buffer_load_dword v59, off, s[0:3], 0 offset:144
	buffer_load_dword v79, off, s[0:3], 0 offset:136
	buffer_load_dword v81, off, s[0:3], 0 offset:128
	buffer_load_dword v57, off, s[0:3], 0 offset:120
	buffer_load_dword v82, off, s[0:3], 0 offset:132
	buffer_load_dword v80, off, s[0:3], 0 offset:140
	s_waitcnt vmcnt(23) lgkmcnt(0)
	v_fma_f64 v[49:50], v[61:62], v[53:54], v[49:50]
	s_waitcnt vmcnt(21)
	v_fma_f64 v[60:61], v[63:64], v[55:56], v[49:50]
	ds_read_b128 v[49:52], v48 offset:256
	ds_read_b128 v[53:56], v48 offset:272
	s_waitcnt vmcnt(19) lgkmcnt(1)
	v_fma_f64 v[49:50], v[65:66], v[49:50], v[60:61]
	buffer_load_dword v60, off, s[0:3], 0 offset:148
	s_waitcnt vmcnt(18)
	v_fma_f64 v[49:50], v[67:68], v[51:52], v[49:50]
	buffer_load_dword v62, off, s[0:3], 0 offset:156
	buffer_load_dword v63, off, s[0:3], 0 offset:176
	;; [unrolled: 1-line block ×8, first 2 shown]
	s_waitcnt vmcnt(24) lgkmcnt(0)
	v_fma_f64 v[49:50], v[69:70], v[53:54], v[49:50]
	s_waitcnt vmcnt(19)
	v_fma_f64 v[69:70], v[71:72], v[55:56], v[49:50]
	ds_read_b128 v[49:52], v48 offset:288
	ds_read_b128 v[53:56], v48 offset:304
	s_waitcnt vmcnt(18) lgkmcnt(1)
	v_fma_f64 v[49:50], v[77:78], v[49:50], v[69:70]
	buffer_load_dword v69, off, s[0:3], 0 offset:24
	buffer_load_dword v70, off, s[0:3], 0 offset:28
	s_waitcnt vmcnt(19)
	v_fma_f64 v[49:50], v[75:76], v[51:52], v[49:50]
	s_waitcnt vmcnt(18) lgkmcnt(0)
	v_fma_f64 v[49:50], v[73:74], v[53:54], v[49:50]
	s_waitcnt vmcnt(13)
	v_fma_f64 v[57:58], v[57:58], v[55:56], v[49:50]
	ds_read_b128 v[49:52], v48 offset:320
	ds_read_b128 v[53:56], v48 offset:336
	s_waitcnt vmcnt(12) lgkmcnt(1)
	v_fma_f64 v[49:50], v[81:82], v[49:50], v[57:58]
	s_waitcnt vmcnt(11)
	v_fma_f64 v[49:50], v[79:80], v[51:52], v[49:50]
	s_waitcnt vmcnt(10) lgkmcnt(0)
	v_fma_f64 v[49:50], v[59:60], v[53:54], v[49:50]
	s_waitcnt vmcnt(5)
	v_fma_f64 v[53:54], v[61:62], v[55:56], v[49:50]
	ds_read_b128 v[49:52], v48 offset:352
	ds_read_b64 v[55:56], v48 offset:368
	s_waitcnt vmcnt(4) lgkmcnt(1)
	v_fma_f64 v[49:50], v[67:68], v[49:50], v[53:54]
	s_waitcnt vmcnt(3)
	v_fma_f64 v[49:50], v[65:66], v[51:52], v[49:50]
	s_waitcnt vmcnt(2) lgkmcnt(0)
	v_fma_f64 v[49:50], v[63:64], v[55:56], v[49:50]
	s_waitcnt vmcnt(0)
	v_add_f64 v[49:50], v[69:70], -v[49:50]
	buffer_store_dword v50, off, s[0:3], 0 offset:28
	buffer_store_dword v49, off, s[0:3], 0 offset:24
	s_and_saveexec_b64 s[4:5], vcc
	s_cbranch_execz .LBB22_141
; %bb.140:
	buffer_load_dword v49, off, s[0:3], 0 offset:16
	buffer_load_dword v50, off, s[0:3], 0 offset:20
	s_waitcnt vmcnt(0)
	ds_write_b64 v47, v[49:50]
	buffer_store_dword v48, off, s[0:3], 0 offset:16
	buffer_store_dword v48, off, s[0:3], 0 offset:20
.LBB22_141:
	s_or_b64 exec, exec, s[4:5]
	s_waitcnt lgkmcnt(0)
	; wave barrier
	buffer_load_dword v57, off, s[0:3], 0 offset:24
	buffer_load_dword v58, off, s[0:3], 0 offset:28
	;; [unrolled: 1-line block ×22, first 2 shown]
	ds_read2_b64 v[49:52], v48 offset0:27 offset1:28
	ds_read2_b64 v[53:56], v48 offset0:29 offset1:30
	v_cmp_lt_u32_e32 vcc, 1, v0
	s_waitcnt vmcnt(20) lgkmcnt(1)
	v_fma_f64 v[49:50], v[57:58], v[49:50], 0
	s_waitcnt vmcnt(18)
	v_fma_f64 v[49:50], v[59:60], v[51:52], v[49:50]
	buffer_load_dword v58, off, s[0:3], 0 offset:116
	buffer_load_dword v59, off, s[0:3], 0 offset:136
	;; [unrolled: 1-line block ×7, first 2 shown]
	s_waitcnt vmcnt(23) lgkmcnt(0)
	v_fma_f64 v[49:50], v[61:62], v[53:54], v[49:50]
	s_waitcnt vmcnt(21)
	v_fma_f64 v[60:61], v[63:64], v[55:56], v[49:50]
	ds_read2_b64 v[49:52], v48 offset0:31 offset1:32
	ds_read2_b64 v[53:56], v48 offset0:33 offset1:34
	s_waitcnt vmcnt(19) lgkmcnt(1)
	v_fma_f64 v[49:50], v[65:66], v[49:50], v[60:61]
	buffer_load_dword v60, off, s[0:3], 0 offset:140
	s_waitcnt vmcnt(18)
	v_fma_f64 v[49:50], v[67:68], v[51:52], v[49:50]
	buffer_load_dword v62, off, s[0:3], 0 offset:148
	buffer_load_dword v63, off, s[0:3], 0 offset:168
	;; [unrolled: 1-line block ×8, first 2 shown]
	s_waitcnt vmcnt(24) lgkmcnt(0)
	v_fma_f64 v[49:50], v[69:70], v[53:54], v[49:50]
	s_waitcnt vmcnt(19)
	v_fma_f64 v[69:70], v[71:72], v[55:56], v[49:50]
	ds_read2_b64 v[49:52], v48 offset0:35 offset1:36
	ds_read2_b64 v[53:56], v48 offset0:37 offset1:38
	s_waitcnt vmcnt(18) lgkmcnt(1)
	v_fma_f64 v[49:50], v[77:78], v[49:50], v[69:70]
	buffer_load_dword v70, off, s[0:3], 0 offset:180
	buffer_load_dword v69, off, s[0:3], 0 offset:176
	;; [unrolled: 1-line block ×4, first 2 shown]
	s_waitcnt vmcnt(21)
	v_fma_f64 v[49:50], v[75:76], v[51:52], v[49:50]
	s_waitcnt vmcnt(20) lgkmcnt(0)
	v_fma_f64 v[49:50], v[73:74], v[53:54], v[49:50]
	s_waitcnt vmcnt(15)
	v_fma_f64 v[57:58], v[57:58], v[55:56], v[49:50]
	ds_read2_b64 v[49:52], v48 offset0:39 offset1:40
	ds_read2_b64 v[53:56], v48 offset0:41 offset1:42
	s_waitcnt vmcnt(14) lgkmcnt(1)
	v_fma_f64 v[49:50], v[81:82], v[49:50], v[57:58]
	s_waitcnt vmcnt(13)
	v_fma_f64 v[49:50], v[79:80], v[51:52], v[49:50]
	s_waitcnt vmcnt(12) lgkmcnt(0)
	v_fma_f64 v[49:50], v[59:60], v[53:54], v[49:50]
	s_waitcnt vmcnt(7)
	v_fma_f64 v[57:58], v[61:62], v[55:56], v[49:50]
	ds_read2_b64 v[49:52], v48 offset0:43 offset1:44
	ds_read2_b64 v[53:56], v48 offset0:45 offset1:46
	s_waitcnt vmcnt(6) lgkmcnt(1)
	v_fma_f64 v[48:49], v[67:68], v[49:50], v[57:58]
	s_waitcnt vmcnt(5)
	v_fma_f64 v[48:49], v[65:66], v[51:52], v[48:49]
	s_waitcnt vmcnt(4) lgkmcnt(0)
	v_fma_f64 v[48:49], v[63:64], v[53:54], v[48:49]
	s_waitcnt vmcnt(2)
	v_fma_f64 v[48:49], v[69:70], v[55:56], v[48:49]
	s_waitcnt vmcnt(0)
	v_add_f64 v[48:49], v[71:72], -v[48:49]
	buffer_store_dword v49, off, s[0:3], 0 offset:20
	buffer_store_dword v48, off, s[0:3], 0 offset:16
	s_and_saveexec_b64 s[4:5], vcc
	s_cbranch_execz .LBB22_143
; %bb.142:
	buffer_load_dword v48, off, s[0:3], 0 offset:8
	buffer_load_dword v49, off, s[0:3], 0 offset:12
	v_mov_b32_e32 v50, 0
	buffer_store_dword v50, off, s[0:3], 0 offset:8
	buffer_store_dword v50, off, s[0:3], 0 offset:12
	s_waitcnt vmcnt(2)
	ds_write_b64 v47, v[48:49]
.LBB22_143:
	s_or_b64 exec, exec, s[4:5]
	s_waitcnt lgkmcnt(0)
	; wave barrier
	buffer_load_dword v58, off, s[0:3], 0 offset:16
	buffer_load_dword v59, off, s[0:3], 0 offset:20
	;; [unrolled: 1-line block ×21, first 2 shown]
	v_mov_b32_e32 v49, 0
	ds_read_b128 v[50:53], v49 offset:208
	ds_read_b128 v[54:57], v49 offset:224
	buffer_load_dword v75, off, s[0:3], 0 offset:100
	v_cmp_ne_u32_e32 vcc, 0, v0
	s_waitcnt vmcnt(20) lgkmcnt(1)
	v_fma_f64 v[50:51], v[58:59], v[50:51], 0
	s_waitcnt vmcnt(18)
	v_fma_f64 v[50:51], v[60:61], v[52:53], v[50:51]
	buffer_load_dword v59, off, s[0:3], 0 offset:108
	buffer_load_dword v60, off, s[0:3], 0 offset:128
	buffer_load_dword v80, off, s[0:3], 0 offset:120
	buffer_load_dword v82, off, s[0:3], 0 offset:112
	buffer_load_dword v58, off, s[0:3], 0 offset:104
	buffer_load_dword v83, off, s[0:3], 0 offset:116
	buffer_load_dword v81, off, s[0:3], 0 offset:124
	s_waitcnt vmcnt(23) lgkmcnt(0)
	v_fma_f64 v[50:51], v[62:63], v[54:55], v[50:51]
	s_waitcnt vmcnt(21)
	v_fma_f64 v[61:62], v[64:65], v[56:57], v[50:51]
	ds_read_b128 v[50:53], v49 offset:240
	ds_read_b128 v[54:57], v49 offset:256
	s_waitcnt vmcnt(19) lgkmcnt(1)
	v_fma_f64 v[50:51], v[66:67], v[50:51], v[61:62]
	buffer_load_dword v61, off, s[0:3], 0 offset:132
	s_waitcnt vmcnt(18)
	v_fma_f64 v[50:51], v[68:69], v[52:53], v[50:51]
	buffer_load_dword v63, off, s[0:3], 0 offset:140
	buffer_load_dword v64, off, s[0:3], 0 offset:160
	;; [unrolled: 1-line block ×7, first 2 shown]
	s_waitcnt vmcnt(23) lgkmcnt(0)
	v_fma_f64 v[50:51], v[70:71], v[54:55], v[50:51]
	s_waitcnt vmcnt(18)
	v_fma_f64 v[70:71], v[72:73], v[56:57], v[50:51]
	ds_read_b128 v[50:53], v49 offset:272
	ds_read_b128 v[54:57], v49 offset:288
	buffer_load_dword v65, off, s[0:3], 0 offset:164
	s_waitcnt vmcnt(18) lgkmcnt(1)
	v_fma_f64 v[50:51], v[78:79], v[50:51], v[70:71]
	buffer_load_dword v71, off, s[0:3], 0 offset:172
	buffer_load_dword v72, off, s[0:3], 0 offset:176
	;; [unrolled: 1-line block ×4, first 2 shown]
	s_waitcnt vmcnt(21)
	v_fma_f64 v[50:51], v[76:77], v[52:53], v[50:51]
	s_waitcnt vmcnt(20) lgkmcnt(0)
	v_fma_f64 v[50:51], v[74:75], v[54:55], v[50:51]
	buffer_load_dword v74, off, s[0:3], 0 offset:8
	buffer_load_dword v75, off, s[0:3], 0 offset:12
	s_waitcnt vmcnt(17)
	v_fma_f64 v[58:59], v[58:59], v[56:57], v[50:51]
	ds_read_b128 v[50:53], v49 offset:304
	ds_read_b128 v[54:57], v49 offset:320
	s_waitcnt vmcnt(16) lgkmcnt(1)
	v_fma_f64 v[50:51], v[82:83], v[50:51], v[58:59]
	s_waitcnt vmcnt(15)
	v_fma_f64 v[50:51], v[80:81], v[52:53], v[50:51]
	s_waitcnt vmcnt(14) lgkmcnt(0)
	v_fma_f64 v[50:51], v[60:61], v[54:55], v[50:51]
	s_waitcnt vmcnt(9)
	v_fma_f64 v[58:59], v[62:63], v[56:57], v[50:51]
	ds_read_b128 v[50:53], v49 offset:336
	ds_read_b128 v[54:57], v49 offset:352
	s_waitcnt vmcnt(8) lgkmcnt(1)
	v_fma_f64 v[50:51], v[68:69], v[50:51], v[58:59]
	s_waitcnt vmcnt(7)
	v_fma_f64 v[50:51], v[66:67], v[52:53], v[50:51]
	ds_read_b64 v[52:53], v49 offset:368
	s_waitcnt vmcnt(6) lgkmcnt(1)
	v_fma_f64 v[50:51], v[64:65], v[54:55], v[50:51]
	s_waitcnt vmcnt(3)
	v_fma_f64 v[50:51], v[70:71], v[56:57], v[50:51]
	s_waitcnt vmcnt(2) lgkmcnt(0)
	v_fma_f64 v[50:51], v[72:73], v[52:53], v[50:51]
	s_waitcnt vmcnt(0)
	v_add_f64 v[50:51], v[74:75], -v[50:51]
	buffer_store_dword v51, off, s[0:3], 0 offset:12
	buffer_store_dword v50, off, s[0:3], 0 offset:8
	s_and_saveexec_b64 s[4:5], vcc
	s_cbranch_execz .LBB22_145
; %bb.144:
	buffer_load_dword v50, off, s[0:3], 0
	buffer_load_dword v51, off, s[0:3], 0 offset:4
	s_waitcnt vmcnt(0)
	ds_write_b64 v47, v[50:51]
	buffer_store_dword v49, off, s[0:3], 0
	buffer_store_dword v49, off, s[0:3], 0 offset:4
.LBB22_145:
	s_or_b64 exec, exec, s[4:5]
	s_waitcnt lgkmcnt(0)
	; wave barrier
	buffer_load_dword v47, off, s[0:3], 0 offset:8
	buffer_load_dword v48, off, s[0:3], 0 offset:12
	;; [unrolled: 1-line block ×21, first 2 shown]
	ds_read2_b64 v[50:53], v49 offset0:25 offset1:26
	ds_read2_b64 v[54:57], v49 offset0:27 offset1:28
	buffer_load_dword v73, off, s[0:3], 0 offset:92
	s_and_b64 vcc, exec, s[22:23]
	s_waitcnt vmcnt(20) lgkmcnt(1)
	v_fma_f64 v[47:48], v[47:48], v[50:51], 0
	s_waitcnt vmcnt(18)
	v_fma_f64 v[47:48], v[58:59], v[52:53], v[47:48]
	buffer_load_dword v59, off, s[0:3], 0 offset:100
	buffer_load_dword v78, off, s[0:3], 0 offset:120
	;; [unrolled: 1-line block ×8, first 2 shown]
	ds_read2_b64 v[50:53], v49 offset0:29 offset1:30
	s_waitcnt vmcnt(24) lgkmcnt(1)
	v_fma_f64 v[47:48], v[60:61], v[54:55], v[47:48]
	s_waitcnt vmcnt(22)
	v_fma_f64 v[47:48], v[62:63], v[56:57], v[47:48]
	ds_read2_b64 v[54:57], v49 offset0:31 offset1:32
	s_waitcnt vmcnt(20) lgkmcnt(1)
	v_fma_f64 v[47:48], v[64:65], v[50:51], v[47:48]
	s_waitcnt vmcnt(18)
	v_fma_f64 v[47:48], v[66:67], v[52:53], v[47:48]
	buffer_load_dword v61, off, s[0:3], 0 offset:132
	buffer_load_dword v62, off, s[0:3], 0 offset:152
	;; [unrolled: 1-line block ×8, first 2 shown]
	ds_read2_b64 v[50:53], v49 offset0:33 offset1:34
	s_waitcnt vmcnt(24) lgkmcnt(1)
	v_fma_f64 v[47:48], v[68:69], v[54:55], v[47:48]
	s_waitcnt vmcnt(19)
	v_fma_f64 v[47:48], v[70:71], v[56:57], v[47:48]
	ds_read2_b64 v[54:57], v49 offset0:35 offset1:36
	s_waitcnt vmcnt(18) lgkmcnt(1)
	v_fma_f64 v[47:48], v[76:77], v[50:51], v[47:48]
	s_waitcnt vmcnt(17)
	v_fma_f64 v[50:51], v[74:75], v[52:53], v[47:48]
	buffer_load_dword v69, off, s[0:3], 0 offset:164
	buffer_load_dword v70, off, s[0:3], 0 offset:176
	;; [unrolled: 1-line block ×6, first 2 shown]
	s_waitcnt vmcnt(22) lgkmcnt(0)
	v_fma_f64 v[50:51], v[72:73], v[54:55], v[50:51]
	s_waitcnt vmcnt(17)
	v_fma_f64 v[58:59], v[58:59], v[56:57], v[50:51]
	ds_read2_b64 v[50:53], v49 offset0:37 offset1:38
	buffer_load_dword v72, off, s[0:3], 0
	buffer_load_dword v73, off, s[0:3], 0 offset:4
	ds_read2_b64 v[54:57], v49 offset0:39 offset1:40
	s_waitcnt vmcnt(18) lgkmcnt(1)
	v_fma_f64 v[50:51], v[82:83], v[50:51], v[58:59]
	s_waitcnt vmcnt(17)
	v_fma_f64 v[50:51], v[80:81], v[52:53], v[50:51]
	s_waitcnt vmcnt(16) lgkmcnt(0)
	v_fma_f64 v[50:51], v[78:79], v[54:55], v[50:51]
	s_waitcnt vmcnt(11)
	v_fma_f64 v[58:59], v[60:61], v[56:57], v[50:51]
	ds_read2_b64 v[50:53], v49 offset0:41 offset1:42
	ds_read2_b64 v[54:57], v49 offset0:43 offset1:44
	s_waitcnt vmcnt(10) lgkmcnt(1)
	v_fma_f64 v[50:51], v[66:67], v[50:51], v[58:59]
	s_waitcnt vmcnt(9)
	v_fma_f64 v[50:51], v[64:65], v[52:53], v[50:51]
	s_waitcnt vmcnt(8) lgkmcnt(0)
	v_fma_f64 v[50:51], v[62:63], v[54:55], v[50:51]
	s_waitcnt vmcnt(4)
	v_fma_f64 v[53:54], v[68:69], v[56:57], v[50:51]
	ds_read2_b64 v[49:52], v49 offset0:45 offset1:46
	s_waitcnt vmcnt(3) lgkmcnt(0)
	v_fma_f64 v[49:50], v[47:48], v[49:50], v[53:54]
	s_waitcnt vmcnt(2)
	v_fma_f64 v[49:50], v[70:71], v[51:52], v[49:50]
	s_waitcnt vmcnt(0)
	v_add_f64 v[49:50], v[72:73], -v[49:50]
	buffer_store_dword v50, off, s[0:3], 0 offset:4
	buffer_store_dword v49, off, s[0:3], 0
	s_cbranch_vccz .LBB22_190
; %bb.146:
	v_mov_b32_e32 v0, 0
	global_load_dword v49, v0, s[20:21] offset:84
	s_waitcnt vmcnt(0)
	v_add_u32_e32 v49, -1, v49
	v_cmp_ne_u32_e32 vcc, 21, v49
	s_cbranch_vccz .LBB22_148
; %bb.147:
	v_lshlrev_b32_e32 v49, 3, v49
	buffer_load_dword v50, v49, s[0:3], 0 offen
	buffer_load_dword v51, v49, s[0:3], 0 offen offset:4
	s_waitcnt vmcnt(1)
	buffer_store_dword v50, off, s[0:3], 0 offset:168
	s_waitcnt vmcnt(1)
	buffer_store_dword v51, off, s[0:3], 0 offset:172
	buffer_store_dword v47, v49, s[0:3], 0 offen
	buffer_store_dword v48, v49, s[0:3], 0 offen offset:4
.LBB22_148:
	global_load_dword v0, v0, s[20:21] offset:80
	s_waitcnt vmcnt(0)
	v_add_u32_e32 v0, -1, v0
	v_cmp_eq_u32_e32 vcc, 20, v0
	s_cbranch_vccnz .LBB22_150
; %bb.149:
	v_lshlrev_b32_e32 v0, 3, v0
	buffer_load_dword v47, v0, s[0:3], 0 offen
	buffer_load_dword v48, v0, s[0:3], 0 offen offset:4
	buffer_load_dword v49, off, s[0:3], 0 offset:164
	buffer_load_dword v50, off, s[0:3], 0 offset:160
	s_waitcnt vmcnt(3)
	buffer_store_dword v47, off, s[0:3], 0 offset:160
	s_waitcnt vmcnt(3)
	buffer_store_dword v48, off, s[0:3], 0 offset:164
	s_waitcnt vmcnt(3)
	buffer_store_dword v49, v0, s[0:3], 0 offen offset:4
	s_waitcnt vmcnt(3)
	buffer_store_dword v50, v0, s[0:3], 0 offen
.LBB22_150:
	v_mov_b32_e32 v0, 0
	global_load_dword v47, v0, s[20:21] offset:76
	s_waitcnt vmcnt(0)
	v_add_u32_e32 v47, -1, v47
	v_cmp_eq_u32_e32 vcc, 19, v47
	s_cbranch_vccnz .LBB22_152
; %bb.151:
	v_lshlrev_b32_e32 v47, 3, v47
	buffer_load_dword v48, v47, s[0:3], 0 offen
	buffer_load_dword v49, v47, s[0:3], 0 offen offset:4
	buffer_load_dword v50, off, s[0:3], 0 offset:152
	buffer_load_dword v51, off, s[0:3], 0 offset:156
	s_waitcnt vmcnt(3)
	buffer_store_dword v48, off, s[0:3], 0 offset:152
	s_waitcnt vmcnt(3)
	buffer_store_dword v49, off, s[0:3], 0 offset:156
	s_waitcnt vmcnt(3)
	buffer_store_dword v50, v47, s[0:3], 0 offen
	s_waitcnt vmcnt(3)
	buffer_store_dword v51, v47, s[0:3], 0 offen offset:4
.LBB22_152:
	global_load_dword v0, v0, s[20:21] offset:72
	s_waitcnt vmcnt(0)
	v_add_u32_e32 v0, -1, v0
	v_cmp_eq_u32_e32 vcc, 18, v0
	s_cbranch_vccnz .LBB22_154
; %bb.153:
	v_lshlrev_b32_e32 v0, 3, v0
	buffer_load_dword v47, v0, s[0:3], 0 offen
	buffer_load_dword v48, v0, s[0:3], 0 offen offset:4
	buffer_load_dword v49, off, s[0:3], 0 offset:148
	buffer_load_dword v50, off, s[0:3], 0 offset:144
	s_waitcnt vmcnt(3)
	buffer_store_dword v47, off, s[0:3], 0 offset:144
	s_waitcnt vmcnt(3)
	buffer_store_dword v48, off, s[0:3], 0 offset:148
	s_waitcnt vmcnt(3)
	buffer_store_dword v49, v0, s[0:3], 0 offen offset:4
	s_waitcnt vmcnt(3)
	buffer_store_dword v50, v0, s[0:3], 0 offen
.LBB22_154:
	v_mov_b32_e32 v0, 0
	global_load_dword v47, v0, s[20:21] offset:68
	s_waitcnt vmcnt(0)
	v_add_u32_e32 v47, -1, v47
	v_cmp_eq_u32_e32 vcc, 17, v47
	s_cbranch_vccnz .LBB22_156
; %bb.155:
	v_lshlrev_b32_e32 v47, 3, v47
	buffer_load_dword v48, v47, s[0:3], 0 offen
	buffer_load_dword v49, v47, s[0:3], 0 offen offset:4
	buffer_load_dword v50, off, s[0:3], 0 offset:136
	buffer_load_dword v51, off, s[0:3], 0 offset:140
	s_waitcnt vmcnt(3)
	buffer_store_dword v48, off, s[0:3], 0 offset:136
	s_waitcnt vmcnt(3)
	buffer_store_dword v49, off, s[0:3], 0 offset:140
	s_waitcnt vmcnt(3)
	buffer_store_dword v50, v47, s[0:3], 0 offen
	s_waitcnt vmcnt(3)
	buffer_store_dword v51, v47, s[0:3], 0 offen offset:4
.LBB22_156:
	;; [unrolled: 41-line block ×10, first 2 shown]
	global_load_dword v0, v0, s[20:21]
	s_nop 0
	buffer_load_dword v49, off, s[0:3], 0
	buffer_load_dword v50, off, s[0:3], 0 offset:4
	s_waitcnt vmcnt(2)
	v_add_u32_e32 v0, -1, v0
	v_cmp_eq_u32_e32 vcc, 0, v0
	s_cbranch_vccnz .LBB22_190
; %bb.189:
	v_lshlrev_b32_e32 v0, 3, v0
	buffer_load_dword v47, v0, s[0:3], 0 offen offset:4
	buffer_load_dword v48, v0, s[0:3], 0 offen
	s_waitcnt vmcnt(1)
	buffer_store_dword v47, off, s[0:3], 0 offset:4
	s_waitcnt vmcnt(1)
	buffer_store_dword v48, off, s[0:3], 0
	buffer_store_dword v50, v0, s[0:3], 0 offen offset:4
	buffer_store_dword v49, v0, s[0:3], 0 offen
	buffer_load_dword v49, off, s[0:3], 0
	s_nop 0
	buffer_load_dword v50, off, s[0:3], 0 offset:4
.LBB22_190:
	buffer_load_dword v47, off, s[0:3], 0 offset:8
	buffer_load_dword v48, off, s[0:3], 0 offset:12
	;; [unrolled: 1-line block ×4, first 2 shown]
	s_waitcnt vmcnt(4)
	global_store_dwordx2 v[45:46], v[49:50], off
	buffer_load_dword v45, off, s[0:3], 0 offset:24
	s_nop 0
	buffer_load_dword v46, off, s[0:3], 0 offset:28
	buffer_load_dword v49, off, s[0:3], 0 offset:32
	;; [unrolled: 1-line block ×27, first 2 shown]
	s_waitcnt vmcnt(31)
	global_store_dwordx2 v[37:38], v[47:48], off
	buffer_load_dword v37, off, s[0:3], 0 offset:136
	s_nop 0
	buffer_load_dword v38, off, s[0:3], 0 offset:140
	buffer_load_dword v47, off, s[0:3], 0 offset:144
	;; [unrolled: 1-line block ×7, first 2 shown]
	s_waitcnt vmcnt(38)
	global_store_dwordx2 v[1:2], v[51:52], off
	buffer_load_dword v0, off, s[0:3], 0 offset:168
	s_nop 0
	buffer_load_dword v1, off, s[0:3], 0 offset:172
	buffer_load_dword v51, off, s[0:3], 0 offset:176
	;; [unrolled: 1-line block ×3, first 2 shown]
	s_waitcnt vmcnt(40)
	global_store_dwordx2 v[3:4], v[45:46], off
	s_waitcnt vmcnt(39)
	global_store_dwordx2 v[5:6], v[49:50], off
	;; [unrolled: 2-line block ×20, first 2 shown]
	s_endpgm
	.section	.rodata,"a",@progbits
	.p2align	6, 0x0
	.amdhsa_kernel _ZN9rocsolver6v33100L18getri_kernel_smallILi23EdPdEEvT1_iilPiilS4_bb
		.amdhsa_group_segment_fixed_size 376
		.amdhsa_private_segment_fixed_size 192
		.amdhsa_kernarg_size 60
		.amdhsa_user_sgpr_count 6
		.amdhsa_user_sgpr_private_segment_buffer 1
		.amdhsa_user_sgpr_dispatch_ptr 0
		.amdhsa_user_sgpr_queue_ptr 0
		.amdhsa_user_sgpr_kernarg_segment_ptr 1
		.amdhsa_user_sgpr_dispatch_id 0
		.amdhsa_user_sgpr_flat_scratch_init 0
		.amdhsa_user_sgpr_private_segment_size 0
		.amdhsa_uses_dynamic_stack 0
		.amdhsa_system_sgpr_private_segment_wavefront_offset 1
		.amdhsa_system_sgpr_workgroup_id_x 1
		.amdhsa_system_sgpr_workgroup_id_y 0
		.amdhsa_system_sgpr_workgroup_id_z 0
		.amdhsa_system_sgpr_workgroup_info 0
		.amdhsa_system_vgpr_workitem_id 0
		.amdhsa_next_free_vgpr 84
		.amdhsa_next_free_sgpr 24
		.amdhsa_reserve_vcc 1
		.amdhsa_reserve_flat_scratch 0
		.amdhsa_float_round_mode_32 0
		.amdhsa_float_round_mode_16_64 0
		.amdhsa_float_denorm_mode_32 3
		.amdhsa_float_denorm_mode_16_64 3
		.amdhsa_dx10_clamp 1
		.amdhsa_ieee_mode 1
		.amdhsa_fp16_overflow 0
		.amdhsa_exception_fp_ieee_invalid_op 0
		.amdhsa_exception_fp_denorm_src 0
		.amdhsa_exception_fp_ieee_div_zero 0
		.amdhsa_exception_fp_ieee_overflow 0
		.amdhsa_exception_fp_ieee_underflow 0
		.amdhsa_exception_fp_ieee_inexact 0
		.amdhsa_exception_int_div_zero 0
	.end_amdhsa_kernel
	.section	.text._ZN9rocsolver6v33100L18getri_kernel_smallILi23EdPdEEvT1_iilPiilS4_bb,"axG",@progbits,_ZN9rocsolver6v33100L18getri_kernel_smallILi23EdPdEEvT1_iilPiilS4_bb,comdat
.Lfunc_end22:
	.size	_ZN9rocsolver6v33100L18getri_kernel_smallILi23EdPdEEvT1_iilPiilS4_bb, .Lfunc_end22-_ZN9rocsolver6v33100L18getri_kernel_smallILi23EdPdEEvT1_iilPiilS4_bb
                                        ; -- End function
	.set _ZN9rocsolver6v33100L18getri_kernel_smallILi23EdPdEEvT1_iilPiilS4_bb.num_vgpr, 84
	.set _ZN9rocsolver6v33100L18getri_kernel_smallILi23EdPdEEvT1_iilPiilS4_bb.num_agpr, 0
	.set _ZN9rocsolver6v33100L18getri_kernel_smallILi23EdPdEEvT1_iilPiilS4_bb.numbered_sgpr, 24
	.set _ZN9rocsolver6v33100L18getri_kernel_smallILi23EdPdEEvT1_iilPiilS4_bb.num_named_barrier, 0
	.set _ZN9rocsolver6v33100L18getri_kernel_smallILi23EdPdEEvT1_iilPiilS4_bb.private_seg_size, 192
	.set _ZN9rocsolver6v33100L18getri_kernel_smallILi23EdPdEEvT1_iilPiilS4_bb.uses_vcc, 1
	.set _ZN9rocsolver6v33100L18getri_kernel_smallILi23EdPdEEvT1_iilPiilS4_bb.uses_flat_scratch, 0
	.set _ZN9rocsolver6v33100L18getri_kernel_smallILi23EdPdEEvT1_iilPiilS4_bb.has_dyn_sized_stack, 0
	.set _ZN9rocsolver6v33100L18getri_kernel_smallILi23EdPdEEvT1_iilPiilS4_bb.has_recursion, 0
	.set _ZN9rocsolver6v33100L18getri_kernel_smallILi23EdPdEEvT1_iilPiilS4_bb.has_indirect_call, 0
	.section	.AMDGPU.csdata,"",@progbits
; Kernel info:
; codeLenInByte = 19556
; TotalNumSgprs: 28
; NumVgprs: 84
; ScratchSize: 192
; MemoryBound: 0
; FloatMode: 240
; IeeeMode: 1
; LDSByteSize: 376 bytes/workgroup (compile time only)
; SGPRBlocks: 3
; VGPRBlocks: 20
; NumSGPRsForWavesPerEU: 28
; NumVGPRsForWavesPerEU: 84
; Occupancy: 3
; WaveLimiterHint : 1
; COMPUTE_PGM_RSRC2:SCRATCH_EN: 1
; COMPUTE_PGM_RSRC2:USER_SGPR: 6
; COMPUTE_PGM_RSRC2:TRAP_HANDLER: 0
; COMPUTE_PGM_RSRC2:TGID_X_EN: 1
; COMPUTE_PGM_RSRC2:TGID_Y_EN: 0
; COMPUTE_PGM_RSRC2:TGID_Z_EN: 0
; COMPUTE_PGM_RSRC2:TIDIG_COMP_CNT: 0
	.section	.text._ZN9rocsolver6v33100L18getri_kernel_smallILi24EdPdEEvT1_iilPiilS4_bb,"axG",@progbits,_ZN9rocsolver6v33100L18getri_kernel_smallILi24EdPdEEvT1_iilPiilS4_bb,comdat
	.globl	_ZN9rocsolver6v33100L18getri_kernel_smallILi24EdPdEEvT1_iilPiilS4_bb ; -- Begin function _ZN9rocsolver6v33100L18getri_kernel_smallILi24EdPdEEvT1_iilPiilS4_bb
	.p2align	8
	.type	_ZN9rocsolver6v33100L18getri_kernel_smallILi24EdPdEEvT1_iilPiilS4_bb,@function
_ZN9rocsolver6v33100L18getri_kernel_smallILi24EdPdEEvT1_iilPiilS4_bb: ; @_ZN9rocsolver6v33100L18getri_kernel_smallILi24EdPdEEvT1_iilPiilS4_bb
; %bb.0:
	s_add_u32 s0, s0, s7
	s_addc_u32 s1, s1, 0
	v_cmp_gt_u32_e32 vcc, 24, v0
	s_and_saveexec_b64 s[8:9], vcc
	s_cbranch_execz .LBB23_104
; %bb.1:
	s_load_dword s12, s[4:5], 0x38
	s_load_dwordx4 s[16:19], s[4:5], 0x10
	s_load_dwordx4 s[8:11], s[4:5], 0x28
                                        ; implicit-def: $sgpr20_sgpr21
	s_waitcnt lgkmcnt(0)
	s_bitcmp1_b32 s12, 8
	s_cselect_b64 s[22:23], -1, 0
	s_ashr_i32 s7, s6, 31
	s_bfe_u32 s12, s12, 0x10008
	s_cmp_eq_u32 s12, 0
	s_cbranch_scc1 .LBB23_3
; %bb.2:
	s_load_dword s12, s[4:5], 0x20
	s_mul_i32 s13, s8, s7
	s_mul_hi_u32 s14, s8, s6
	s_mul_i32 s9, s9, s6
	s_add_i32 s14, s14, s13
	s_add_i32 s9, s14, s9
	s_mul_i32 s8, s8, s6
	s_waitcnt lgkmcnt(0)
	s_ashr_i32 s13, s12, 31
	s_lshl_b64 s[8:9], s[8:9], 2
	s_add_u32 s14, s18, s8
	s_addc_u32 s15, s19, s9
	s_lshl_b64 s[8:9], s[12:13], 2
	s_add_u32 s20, s14, s8
	s_addc_u32 s21, s15, s9
.LBB23_3:
	s_load_dwordx4 s[12:15], s[4:5], 0x0
	s_load_dword s8, s[4:5], 0x38
	s_mul_i32 s9, s16, s7
	s_mul_hi_u32 s18, s16, s6
	s_add_i32 s9, s18, s9
	s_waitcnt lgkmcnt(0)
	s_ashr_i32 s5, s14, 31
	s_mov_b32 s4, s14
	s_mul_i32 s14, s17, s6
	s_add_i32 s17, s9, s14
	s_mul_i32 s16, s16, s6
	s_lshl_b64 s[16:17], s[16:17], 3
	s_add_u32 s9, s12, s16
	s_addc_u32 s12, s13, s17
	s_lshl_b64 s[4:5], s[4:5], 3
	s_add_u32 s4, s9, s4
	s_addc_u32 s5, s12, s5
	s_add_i32 s9, s15, s15
	v_add_u32_e32 v3, s9, v0
	v_ashrrev_i32_e32 v4, 31, v3
	v_lshlrev_b64 v[1:2], 3, v[3:4]
	v_add_u32_e32 v5, s15, v3
	v_mov_b32_e32 v4, s5
	v_add_co_u32_e32 v1, vcc, s4, v1
	v_ashrrev_i32_e32 v6, 31, v5
	v_addc_co_u32_e32 v2, vcc, v4, v2, vcc
	v_lshlrev_b64 v[3:4], 3, v[5:6]
	v_add_u32_e32 v7, s15, v5
	v_mov_b32_e32 v6, s5
	v_add_co_u32_e32 v3, vcc, s4, v3
	v_ashrrev_i32_e32 v8, 31, v7
	v_addc_co_u32_e32 v4, vcc, v6, v4, vcc
	;; [unrolled: 6-line block ×8, first 2 shown]
	v_lshlrev_b64 v[17:18], 3, v[19:20]
	v_mov_b32_e32 v21, s5
	v_add_co_u32_e32 v17, vcc, s4, v17
	v_addc_co_u32_e32 v18, vcc, v21, v18, vcc
	v_add_u32_e32 v21, s15, v19
	v_ashrrev_i32_e32 v22, 31, v21
	v_lshlrev_b64 v[19:20], 3, v[21:22]
	v_mov_b32_e32 v23, s5
	v_add_co_u32_e32 v19, vcc, s4, v19
	v_addc_co_u32_e32 v20, vcc, v23, v20, vcc
	v_add_u32_e32 v23, s15, v21
	v_ashrrev_i32_e32 v24, 31, v23
	;; [unrolled: 6-line block ×4, first 2 shown]
	v_lshlrev_b64 v[25:26], 3, v[27:28]
	v_mov_b32_e32 v29, s5
	v_add_co_u32_e32 v25, vcc, s4, v25
	v_addc_co_u32_e32 v26, vcc, v29, v26, vcc
	v_lshlrev_b32_e32 v51, 3, v0
	v_add_u32_e32 v29, s15, v27
	v_mov_b32_e32 v27, s5
	v_add_co_u32_e32 v39, vcc, s4, v51
	s_ashr_i32 s13, s15, 31
	s_mov_b32 s12, s15
	v_addc_co_u32_e32 v40, vcc, 0, v27, vcc
	s_lshl_b64 s[12:13], s[12:13], 3
	global_load_dwordx2 v[49:50], v51, s[4:5]
	v_mov_b32_e32 v27, s13
	v_add_co_u32_e32 v33, vcc, s12, v39
	v_addc_co_u32_e32 v34, vcc, v40, v27, vcc
	global_load_dwordx2 v[52:53], v[33:34], off
	global_load_dwordx2 v[54:55], v[1:2], off
	;; [unrolled: 1-line block ×8, first 2 shown]
	v_ashrrev_i32_e32 v30, 31, v29
	v_lshlrev_b64 v[27:28], 3, v[29:30]
	v_mov_b32_e32 v31, s5
	v_add_co_u32_e32 v27, vcc, s4, v27
	v_addc_co_u32_e32 v28, vcc, v31, v28, vcc
	v_add_u32_e32 v31, s15, v29
	v_ashrrev_i32_e32 v32, 31, v31
	v_lshlrev_b64 v[29:30], 3, v[31:32]
	v_mov_b32_e32 v35, s5
	v_add_co_u32_e32 v29, vcc, s4, v29
	v_addc_co_u32_e32 v30, vcc, v35, v30, vcc
	v_add_u32_e32 v35, s15, v31
	;; [unrolled: 6-line block ×7, first 2 shown]
	s_waitcnt vmcnt(8)
	buffer_store_dword v50, off, s[0:3], 0 offset:4
	buffer_store_dword v49, off, s[0:3], 0
	s_waitcnt vmcnt(9)
	buffer_store_dword v53, off, s[0:3], 0 offset:12
	buffer_store_dword v52, off, s[0:3], 0 offset:8
	v_ashrrev_i32_e32 v48, 31, v47
	global_load_dwordx2 v[49:50], v[15:16], off
	global_load_dwordx2 v[52:53], v[17:18], off
	v_lshlrev_b64 v[45:46], 3, v[47:48]
	v_add_u32_e32 v47, s15, v47
	v_ashrrev_i32_e32 v48, 31, v47
	v_mov_b32_e32 v68, s5
	v_add_co_u32_e32 v45, vcc, s4, v45
	v_lshlrev_b64 v[47:48], 3, v[47:48]
	v_addc_co_u32_e32 v46, vcc, v68, v46, vcc
	s_waitcnt vmcnt(12)
	buffer_store_dword v55, off, s[0:3], 0 offset:20
	buffer_store_dword v54, off, s[0:3], 0 offset:16
	global_load_dwordx2 v[54:55], v[19:20], off
	v_add_co_u32_e32 v47, vcc, s4, v47
	v_addc_co_u32_e32 v48, vcc, v68, v48, vcc
	global_load_dwordx2 v[68:69], v[21:22], off
	global_load_dwordx2 v[70:71], v[25:26], off
	;; [unrolled: 1-line block ×6, first 2 shown]
	s_bitcmp0_b32 s8, 0
	s_waitcnt vmcnt(20)
	buffer_store_dword v57, off, s[0:3], 0 offset:28
	buffer_store_dword v56, off, s[0:3], 0 offset:24
	global_load_dwordx2 v[56:57], v[23:24], off
	s_mov_b64 s[8:9], -1
	s_waitcnt vmcnt(22)
	buffer_store_dword v59, off, s[0:3], 0 offset:36
	buffer_store_dword v58, off, s[0:3], 0 offset:32
	global_load_dwordx2 v[58:59], v[27:28], off
	s_waitcnt vmcnt(24)
	buffer_store_dword v61, off, s[0:3], 0 offset:44
	buffer_store_dword v60, off, s[0:3], 0 offset:40
	global_load_dwordx2 v[60:61], v[31:32], off
	;; [unrolled: 4-line block ×5, first 2 shown]
	s_waitcnt vmcnt(28)
	buffer_store_dword v49, off, s[0:3], 0 offset:72
	buffer_store_dword v50, off, s[0:3], 0 offset:76
	s_waitcnt vmcnt(29)
	buffer_store_dword v52, off, s[0:3], 0 offset:80
	buffer_store_dword v53, off, s[0:3], 0 offset:84
	;; [unrolled: 3-line block ×5, first 2 shown]
	buffer_store_dword v71, off, s[0:3], 0 offset:116
	buffer_store_dword v70, off, s[0:3], 0 offset:112
	s_waitcnt vmcnt(24)
	buffer_store_dword v58, off, s[0:3], 0 offset:120
	buffer_store_dword v59, off, s[0:3], 0 offset:124
	buffer_store_dword v72, off, s[0:3], 0 offset:128
	buffer_store_dword v73, off, s[0:3], 0 offset:132
	s_waitcnt vmcnt(25)
	buffer_store_dword v60, off, s[0:3], 0 offset:136
	buffer_store_dword v61, off, s[0:3], 0 offset:140
	;; [unrolled: 5-line block ×5, first 2 shown]
	s_cbranch_scc1 .LBB23_102
; %bb.4:
	v_cmp_eq_u32_e64 s[4:5], 0, v0
	s_and_saveexec_b64 s[8:9], s[4:5]
; %bb.5:
	v_mov_b32_e32 v49, 0
	ds_write_b32 v49, v49 offset:384
; %bb.6:
	s_or_b64 exec, exec, s[8:9]
	v_mov_b32_e32 v49, 0
	v_lshl_add_u32 v49, v0, 3, v49
	s_waitcnt lgkmcnt(0)
	; wave barrier
	buffer_load_dword v52, v49, s[0:3], 0 offen
	buffer_load_dword v53, v49, s[0:3], 0 offen offset:4
	s_waitcnt vmcnt(0)
	v_cmp_eq_f64_e32 vcc, 0, v[52:53]
	s_and_saveexec_b64 s[12:13], vcc
	s_cbranch_execz .LBB23_10
; %bb.7:
	v_mov_b32_e32 v50, 0
	ds_read_b32 v53, v50 offset:384
	v_add_u32_e32 v52, 1, v0
	s_waitcnt lgkmcnt(0)
	v_readfirstlane_b32 s8, v53
	s_cmp_eq_u32 s8, 0
	s_cselect_b64 s[14:15], -1, 0
	v_cmp_gt_i32_e32 vcc, s8, v52
	s_or_b64 s[14:15], s[14:15], vcc
	s_and_b64 exec, exec, s[14:15]
	s_cbranch_execz .LBB23_10
; %bb.8:
	s_mov_b64 s[14:15], 0
	v_mov_b32_e32 v53, s8
.LBB23_9:                               ; =>This Inner Loop Header: Depth=1
	ds_cmpst_rtn_b32 v53, v50, v53, v52 offset:384
	s_waitcnt lgkmcnt(0)
	v_cmp_ne_u32_e32 vcc, 0, v53
	v_cmp_le_i32_e64 s[8:9], v53, v52
	s_and_b64 s[8:9], vcc, s[8:9]
	s_and_b64 s[8:9], exec, s[8:9]
	s_or_b64 s[14:15], s[8:9], s[14:15]
	s_andn2_b64 exec, exec, s[14:15]
	s_cbranch_execnz .LBB23_9
.LBB23_10:
	s_or_b64 exec, exec, s[12:13]
	v_mov_b32_e32 v52, 0
	; wave barrier
	ds_read_b32 v50, v52 offset:384
	s_and_saveexec_b64 s[8:9], s[4:5]
	s_cbranch_execz .LBB23_12
; %bb.11:
	s_lshl_b64 s[12:13], s[6:7], 2
	s_add_u32 s12, s10, s12
	s_addc_u32 s13, s11, s13
	s_waitcnt lgkmcnt(0)
	global_store_dword v52, v50, s[12:13]
.LBB23_12:
	s_or_b64 exec, exec, s[8:9]
	s_waitcnt lgkmcnt(0)
	v_cmp_ne_u32_e32 vcc, 0, v50
	s_mov_b64 s[8:9], 0
	s_cbranch_vccnz .LBB23_102
; %bb.13:
	buffer_load_dword v52, v49, s[0:3], 0 offen
	buffer_load_dword v53, v49, s[0:3], 0 offen offset:4
	s_waitcnt vmcnt(0)
	v_div_scale_f64 v[54:55], s[8:9], v[52:53], v[52:53], 1.0
	v_rcp_f64_e32 v[56:57], v[54:55]
	v_fma_f64 v[58:59], -v[54:55], v[56:57], 1.0
	v_fma_f64 v[56:57], v[56:57], v[58:59], v[56:57]
	v_div_scale_f64 v[58:59], vcc, 1.0, v[52:53], 1.0
	v_fma_f64 v[60:61], -v[54:55], v[56:57], 1.0
	v_fma_f64 v[56:57], v[56:57], v[60:61], v[56:57]
	v_mul_f64 v[60:61], v[58:59], v[56:57]
	v_fma_f64 v[54:55], -v[54:55], v[60:61], v[58:59]
	v_div_fmas_f64 v[54:55], v[54:55], v[56:57], v[60:61]
	v_div_fixup_f64 v[53:54], v[54:55], v[52:53], 1.0
	v_add_u32_e32 v52, 0xc0, v51
	buffer_store_dword v54, v49, s[0:3], 0 offen offset:4
	buffer_store_dword v53, v49, s[0:3], 0 offen
	buffer_load_dword v56, off, s[0:3], 0 offset:12
	buffer_load_dword v55, off, s[0:3], 0 offset:8
	v_xor_b32_e32 v54, 0x80000000, v54
	s_waitcnt vmcnt(0)
	ds_write2_b64 v51, v[53:54], v[55:56] offset1:24
	s_waitcnt lgkmcnt(0)
	; wave barrier
	s_and_saveexec_b64 s[8:9], s[4:5]
	s_cbranch_execz .LBB23_15
; %bb.14:
	buffer_load_dword v53, v49, s[0:3], 0 offen
	buffer_load_dword v54, v49, s[0:3], 0 offen offset:4
	ds_read_b64 v[55:56], v52
	v_mov_b32_e32 v50, 0
	ds_read_b64 v[57:58], v50 offset:8
	s_waitcnt vmcnt(0) lgkmcnt(1)
	v_fma_f64 v[53:54], v[53:54], v[55:56], 0
	s_waitcnt lgkmcnt(0)
	v_mul_f64 v[53:54], v[53:54], v[57:58]
	buffer_store_dword v53, off, s[0:3], 0 offset:8
	buffer_store_dword v54, off, s[0:3], 0 offset:12
.LBB23_15:
	s_or_b64 exec, exec, s[8:9]
	; wave barrier
	buffer_load_dword v53, off, s[0:3], 0 offset:16
	buffer_load_dword v54, off, s[0:3], 0 offset:20
	v_cmp_gt_u32_e32 vcc, 2, v0
	s_waitcnt vmcnt(0)
	ds_write_b64 v52, v[53:54]
	s_waitcnt lgkmcnt(0)
	; wave barrier
	s_and_saveexec_b64 s[8:9], vcc
	s_cbranch_execz .LBB23_17
; %bb.16:
	buffer_load_dword v53, v49, s[0:3], 0 offen
	buffer_load_dword v54, v49, s[0:3], 0 offen offset:4
                                        ; kill: killed $vgpr49
	s_nop 0
	buffer_load_dword v49, off, s[0:3], 0 offset:8
	buffer_load_dword v50, off, s[0:3], 0 offset:12
	ds_read_b64 v[55:56], v52
	s_waitcnt vmcnt(2) lgkmcnt(0)
	v_fma_f64 v[57:58], v[53:54], v[55:56], 0
	v_mov_b32_e32 v53, 0
	ds_read2_b64 v[53:56], v53 offset0:2 offset1:25
	s_waitcnt vmcnt(0) lgkmcnt(0)
	v_fma_f64 v[49:50], v[49:50], v[55:56], v[57:58]
	v_cndmask_b32_e64 v50, v58, v50, s[4:5]
	v_cndmask_b32_e64 v49, v57, v49, s[4:5]
	v_mul_f64 v[49:50], v[49:50], v[53:54]
	buffer_store_dword v50, off, s[0:3], 0 offset:20
	buffer_store_dword v49, off, s[0:3], 0 offset:16
.LBB23_17:
	s_or_b64 exec, exec, s[8:9]
	; wave barrier
	buffer_load_dword v49, off, s[0:3], 0 offset:24
	buffer_load_dword v50, off, s[0:3], 0 offset:28
	v_cmp_gt_u32_e32 vcc, 3, v0
	v_add_u32_e32 v53, -1, v0
	s_waitcnt vmcnt(0)
	ds_write_b64 v52, v[49:50]
	s_waitcnt lgkmcnt(0)
	; wave barrier
	s_and_saveexec_b64 s[4:5], vcc
	s_cbranch_execz .LBB23_21
; %bb.18:
	v_mov_b32_e32 v49, 0
	v_add_u32_e32 v54, -1, v0
	v_add_u32_e32 v55, 0xc0, v51
	v_mov_b32_e32 v56, v51
	v_mov_b32_e32 v50, 0
	s_mov_b64 s[8:9], 0
.LBB23_19:                              ; =>This Inner Loop Header: Depth=1
	buffer_load_dword v57, v56, s[0:3], 0 offen
	buffer_load_dword v58, v56, s[0:3], 0 offen offset:4
	ds_read_b64 v[59:60], v55
	v_add_u32_e32 v54, 1, v54
	v_cmp_lt_u32_e32 vcc, 1, v54
	v_add_u32_e32 v55, 8, v55
	s_or_b64 s[8:9], vcc, s[8:9]
	v_add_u32_e32 v56, 8, v56
	s_waitcnt vmcnt(0) lgkmcnt(0)
	v_fma_f64 v[49:50], v[57:58], v[59:60], v[49:50]
	s_andn2_b64 exec, exec, s[8:9]
	s_cbranch_execnz .LBB23_19
; %bb.20:
	s_or_b64 exec, exec, s[8:9]
	v_mov_b32_e32 v54, 0
	ds_read_b64 v[54:55], v54 offset:24
	s_waitcnt lgkmcnt(0)
	v_mul_f64 v[49:50], v[49:50], v[54:55]
	buffer_store_dword v50, off, s[0:3], 0 offset:28
	buffer_store_dword v49, off, s[0:3], 0 offset:24
.LBB23_21:
	s_or_b64 exec, exec, s[4:5]
	; wave barrier
	buffer_load_dword v49, off, s[0:3], 0 offset:32
	buffer_load_dword v50, off, s[0:3], 0 offset:36
	v_cmp_gt_u32_e32 vcc, 4, v0
	s_waitcnt vmcnt(0)
	ds_write_b64 v52, v[49:50]
	s_waitcnt lgkmcnt(0)
	; wave barrier
	s_and_saveexec_b64 s[4:5], vcc
	s_cbranch_execz .LBB23_25
; %bb.22:
	v_mov_b32_e32 v49, 0
	v_add_u32_e32 v54, -1, v0
	v_add_u32_e32 v55, 0xc0, v51
	v_mov_b32_e32 v56, v51
	v_mov_b32_e32 v50, 0
	s_mov_b64 s[8:9], 0
.LBB23_23:                              ; =>This Inner Loop Header: Depth=1
	buffer_load_dword v57, v56, s[0:3], 0 offen
	buffer_load_dword v58, v56, s[0:3], 0 offen offset:4
	ds_read_b64 v[59:60], v55
	v_add_u32_e32 v54, 1, v54
	v_cmp_lt_u32_e32 vcc, 2, v54
	v_add_u32_e32 v55, 8, v55
	s_or_b64 s[8:9], vcc, s[8:9]
	v_add_u32_e32 v56, 8, v56
	s_waitcnt vmcnt(0) lgkmcnt(0)
	v_fma_f64 v[49:50], v[57:58], v[59:60], v[49:50]
	s_andn2_b64 exec, exec, s[8:9]
	s_cbranch_execnz .LBB23_23
; %bb.24:
	s_or_b64 exec, exec, s[8:9]
	v_mov_b32_e32 v54, 0
	ds_read_b64 v[54:55], v54 offset:32
	s_waitcnt lgkmcnt(0)
	v_mul_f64 v[49:50], v[49:50], v[54:55]
	buffer_store_dword v50, off, s[0:3], 0 offset:36
	buffer_store_dword v49, off, s[0:3], 0 offset:32
.LBB23_25:
	s_or_b64 exec, exec, s[4:5]
	; wave barrier
	buffer_load_dword v49, off, s[0:3], 0 offset:40
	buffer_load_dword v50, off, s[0:3], 0 offset:44
	v_cmp_gt_u32_e32 vcc, 5, v0
	;; [unrolled: 40-line block ×19, first 2 shown]
	s_waitcnt vmcnt(0)
	ds_write_b64 v52, v[49:50]
	s_waitcnt lgkmcnt(0)
	; wave barrier
	s_and_saveexec_b64 s[4:5], vcc
	s_cbranch_execz .LBB23_97
; %bb.94:
	v_mov_b32_e32 v49, 0
	v_add_u32_e32 v54, -1, v0
	v_add_u32_e32 v55, 0xc0, v51
	v_mov_b32_e32 v56, v51
	v_mov_b32_e32 v50, 0
	s_mov_b64 s[8:9], 0
.LBB23_95:                              ; =>This Inner Loop Header: Depth=1
	buffer_load_dword v57, v56, s[0:3], 0 offen
	buffer_load_dword v58, v56, s[0:3], 0 offen offset:4
	ds_read_b64 v[59:60], v55
	v_add_u32_e32 v54, 1, v54
	v_cmp_lt_u32_e32 vcc, 20, v54
	v_add_u32_e32 v55, 8, v55
	s_or_b64 s[8:9], vcc, s[8:9]
	v_add_u32_e32 v56, 8, v56
	s_waitcnt vmcnt(0) lgkmcnt(0)
	v_fma_f64 v[49:50], v[57:58], v[59:60], v[49:50]
	s_andn2_b64 exec, exec, s[8:9]
	s_cbranch_execnz .LBB23_95
; %bb.96:
	s_or_b64 exec, exec, s[8:9]
	v_mov_b32_e32 v54, 0
	ds_read_b64 v[54:55], v54 offset:176
	s_waitcnt lgkmcnt(0)
	v_mul_f64 v[49:50], v[49:50], v[54:55]
	buffer_store_dword v50, off, s[0:3], 0 offset:180
	buffer_store_dword v49, off, s[0:3], 0 offset:176
.LBB23_97:
	s_or_b64 exec, exec, s[4:5]
	; wave barrier
	buffer_load_dword v49, off, s[0:3], 0 offset:184
	buffer_load_dword v50, off, s[0:3], 0 offset:188
	v_cmp_ne_u32_e32 vcc, 23, v0
	s_waitcnt vmcnt(0)
	ds_write_b64 v52, v[49:50]
	s_waitcnt lgkmcnt(0)
	; wave barrier
	s_and_saveexec_b64 s[4:5], vcc
	s_cbranch_execz .LBB23_101
; %bb.98:
	v_mov_b32_e32 v49, 0
	v_add_u32_e32 v52, 0xc0, v51
	v_mov_b32_e32 v50, 0
	s_mov_b64 s[8:9], 0
.LBB23_99:                              ; =>This Inner Loop Header: Depth=1
	buffer_load_dword v54, v51, s[0:3], 0 offen
	buffer_load_dword v55, v51, s[0:3], 0 offen offset:4
	ds_read_b64 v[56:57], v52
	v_add_u32_e32 v53, 1, v53
	v_cmp_lt_u32_e32 vcc, 21, v53
	v_add_u32_e32 v52, 8, v52
	s_or_b64 s[8:9], vcc, s[8:9]
	v_add_u32_e32 v51, 8, v51
	s_waitcnt vmcnt(0) lgkmcnt(0)
	v_fma_f64 v[49:50], v[54:55], v[56:57], v[49:50]
	s_andn2_b64 exec, exec, s[8:9]
	s_cbranch_execnz .LBB23_99
; %bb.100:
	s_or_b64 exec, exec, s[8:9]
	v_mov_b32_e32 v51, 0
	ds_read_b64 v[51:52], v51 offset:184
	s_waitcnt lgkmcnt(0)
	v_mul_f64 v[49:50], v[49:50], v[51:52]
	buffer_store_dword v50, off, s[0:3], 0 offset:188
	buffer_store_dword v49, off, s[0:3], 0 offset:184
.LBB23_101:
	s_or_b64 exec, exec, s[4:5]
	s_mov_b64 s[8:9], -1
	; wave barrier
.LBB23_102:
	s_and_b64 vcc, exec, s[8:9]
	s_cbranch_vccz .LBB23_104
; %bb.103:
	s_lshl_b64 s[4:5], s[6:7], 2
	s_add_u32 s4, s10, s4
	s_addc_u32 s5, s11, s5
	v_mov_b32_e32 v49, 0
	global_load_dword v49, v49, s[4:5]
	s_waitcnt vmcnt(0)
	v_cmp_ne_u32_e32 vcc, 0, v49
	s_cbranch_vccz .LBB23_105
.LBB23_104:
	s_endpgm
.LBB23_105:
	v_mov_b32_e32 v49, 0xc0
	v_lshl_add_u32 v49, v0, 3, v49
	v_cmp_eq_u32_e32 vcc, 23, v0
	s_and_saveexec_b64 s[4:5], vcc
	s_cbranch_execz .LBB23_107
; %bb.106:
	buffer_load_dword v50, off, s[0:3], 0 offset:176
	buffer_load_dword v51, off, s[0:3], 0 offset:180
	v_mov_b32_e32 v52, 0
	buffer_store_dword v52, off, s[0:3], 0 offset:176
	buffer_store_dword v52, off, s[0:3], 0 offset:180
	s_waitcnt vmcnt(2)
	ds_write_b64 v49, v[50:51]
.LBB23_107:
	s_or_b64 exec, exec, s[4:5]
	s_waitcnt lgkmcnt(0)
	; wave barrier
	buffer_load_dword v51, off, s[0:3], 0 offset:184
	buffer_load_dword v52, off, s[0:3], 0 offset:188
	;; [unrolled: 1-line block ×4, first 2 shown]
	v_mov_b32_e32 v50, 0
	ds_read_b64 v[55:56], v50 offset:376
	v_cmp_lt_u32_e32 vcc, 21, v0
	s_waitcnt vmcnt(2) lgkmcnt(0)
	v_fma_f64 v[51:52], v[51:52], v[55:56], 0
	s_waitcnt vmcnt(0)
	v_add_f64 v[51:52], v[53:54], -v[51:52]
	buffer_store_dword v51, off, s[0:3], 0 offset:176
	buffer_store_dword v52, off, s[0:3], 0 offset:180
	s_and_saveexec_b64 s[4:5], vcc
	s_cbranch_execz .LBB23_109
; %bb.108:
	buffer_load_dword v51, off, s[0:3], 0 offset:168
	buffer_load_dword v52, off, s[0:3], 0 offset:172
	s_waitcnt vmcnt(0)
	ds_write_b64 v49, v[51:52]
	buffer_store_dword v50, off, s[0:3], 0 offset:168
	buffer_store_dword v50, off, s[0:3], 0 offset:172
.LBB23_109:
	s_or_b64 exec, exec, s[4:5]
	s_waitcnt lgkmcnt(0)
	; wave barrier
	buffer_load_dword v54, off, s[0:3], 0 offset:176
	buffer_load_dword v55, off, s[0:3], 0 offset:180
	;; [unrolled: 1-line block ×6, first 2 shown]
	ds_read_b128 v[50:53], v50 offset:368
	v_cmp_lt_u32_e32 vcc, 20, v0
	s_waitcnt vmcnt(4) lgkmcnt(0)
	v_fma_f64 v[50:51], v[54:55], v[50:51], 0
	s_waitcnt vmcnt(2)
	v_fma_f64 v[50:51], v[56:57], v[52:53], v[50:51]
	s_waitcnt vmcnt(0)
	v_add_f64 v[50:51], v[58:59], -v[50:51]
	buffer_store_dword v50, off, s[0:3], 0 offset:168
	buffer_store_dword v51, off, s[0:3], 0 offset:172
	s_and_saveexec_b64 s[4:5], vcc
	s_cbranch_execz .LBB23_111
; %bb.110:
	buffer_load_dword v50, off, s[0:3], 0 offset:160
	buffer_load_dword v51, off, s[0:3], 0 offset:164
	v_mov_b32_e32 v52, 0
	buffer_store_dword v52, off, s[0:3], 0 offset:160
	buffer_store_dword v52, off, s[0:3], 0 offset:164
	s_waitcnt vmcnt(2)
	ds_write_b64 v49, v[50:51]
.LBB23_111:
	s_or_b64 exec, exec, s[4:5]
	s_waitcnt lgkmcnt(0)
	; wave barrier
	buffer_load_dword v55, off, s[0:3], 0 offset:168
	buffer_load_dword v56, off, s[0:3], 0 offset:172
	;; [unrolled: 1-line block ×8, first 2 shown]
	v_mov_b32_e32 v50, 0
	ds_read2_b64 v[51:54], v50 offset0:45 offset1:46
	ds_read_b64 v[63:64], v50 offset:376
	v_cmp_lt_u32_e32 vcc, 19, v0
	s_waitcnt vmcnt(6) lgkmcnt(1)
	v_fma_f64 v[51:52], v[55:56], v[51:52], 0
	s_waitcnt vmcnt(4)
	v_fma_f64 v[51:52], v[57:58], v[53:54], v[51:52]
	s_waitcnt vmcnt(2) lgkmcnt(0)
	v_fma_f64 v[51:52], v[59:60], v[63:64], v[51:52]
	s_waitcnt vmcnt(0)
	v_add_f64 v[51:52], v[61:62], -v[51:52]
	buffer_store_dword v51, off, s[0:3], 0 offset:160
	buffer_store_dword v52, off, s[0:3], 0 offset:164
	s_and_saveexec_b64 s[4:5], vcc
	s_cbranch_execz .LBB23_113
; %bb.112:
	buffer_load_dword v51, off, s[0:3], 0 offset:152
	buffer_load_dword v52, off, s[0:3], 0 offset:156
	s_waitcnt vmcnt(0)
	ds_write_b64 v49, v[51:52]
	buffer_store_dword v50, off, s[0:3], 0 offset:152
	buffer_store_dword v50, off, s[0:3], 0 offset:156
.LBB23_113:
	s_or_b64 exec, exec, s[4:5]
	s_waitcnt lgkmcnt(0)
	; wave barrier
	buffer_load_dword v59, off, s[0:3], 0 offset:160
	buffer_load_dword v60, off, s[0:3], 0 offset:164
	;; [unrolled: 1-line block ×10, first 2 shown]
	ds_read_b128 v[51:54], v50 offset:352
	ds_read_b128 v[55:58], v50 offset:368
	v_cmp_lt_u32_e32 vcc, 18, v0
	s_waitcnt vmcnt(8) lgkmcnt(1)
	v_fma_f64 v[50:51], v[59:60], v[51:52], 0
	s_waitcnt vmcnt(6)
	v_fma_f64 v[50:51], v[61:62], v[53:54], v[50:51]
	s_waitcnt vmcnt(4) lgkmcnt(0)
	v_fma_f64 v[50:51], v[63:64], v[55:56], v[50:51]
	s_waitcnt vmcnt(2)
	v_fma_f64 v[50:51], v[65:66], v[57:58], v[50:51]
	s_waitcnt vmcnt(0)
	v_add_f64 v[50:51], v[67:68], -v[50:51]
	buffer_store_dword v50, off, s[0:3], 0 offset:152
	buffer_store_dword v51, off, s[0:3], 0 offset:156
	s_and_saveexec_b64 s[4:5], vcc
	s_cbranch_execz .LBB23_115
; %bb.114:
	buffer_load_dword v50, off, s[0:3], 0 offset:144
	buffer_load_dword v51, off, s[0:3], 0 offset:148
	v_mov_b32_e32 v52, 0
	buffer_store_dword v52, off, s[0:3], 0 offset:144
	buffer_store_dword v52, off, s[0:3], 0 offset:148
	s_waitcnt vmcnt(2)
	ds_write_b64 v49, v[50:51]
.LBB23_115:
	s_or_b64 exec, exec, s[4:5]
	s_waitcnt lgkmcnt(0)
	; wave barrier
	buffer_load_dword v59, off, s[0:3], 0 offset:152
	buffer_load_dword v60, off, s[0:3], 0 offset:156
	;; [unrolled: 1-line block ×12, first 2 shown]
	v_mov_b32_e32 v50, 0
	ds_read2_b64 v[51:54], v50 offset0:43 offset1:44
	ds_read2_b64 v[55:58], v50 offset0:45 offset1:46
	v_cmp_lt_u32_e32 vcc, 17, v0
	s_waitcnt vmcnt(10) lgkmcnt(1)
	v_fma_f64 v[51:52], v[59:60], v[51:52], 0
	s_waitcnt vmcnt(8)
	v_fma_f64 v[51:52], v[61:62], v[53:54], v[51:52]
	ds_read_b64 v[53:54], v50 offset:376
	s_waitcnt vmcnt(6) lgkmcnt(1)
	v_fma_f64 v[51:52], v[63:64], v[55:56], v[51:52]
	s_waitcnt vmcnt(4)
	v_fma_f64 v[51:52], v[65:66], v[57:58], v[51:52]
	s_waitcnt vmcnt(2) lgkmcnt(0)
	v_fma_f64 v[51:52], v[67:68], v[53:54], v[51:52]
	s_waitcnt vmcnt(0)
	v_add_f64 v[51:52], v[69:70], -v[51:52]
	buffer_store_dword v51, off, s[0:3], 0 offset:144
	buffer_store_dword v52, off, s[0:3], 0 offset:148
	s_and_saveexec_b64 s[4:5], vcc
	s_cbranch_execz .LBB23_117
; %bb.116:
	buffer_load_dword v51, off, s[0:3], 0 offset:136
	buffer_load_dword v52, off, s[0:3], 0 offset:140
	s_waitcnt vmcnt(0)
	ds_write_b64 v49, v[51:52]
	buffer_store_dword v50, off, s[0:3], 0 offset:136
	buffer_store_dword v50, off, s[0:3], 0 offset:140
.LBB23_117:
	s_or_b64 exec, exec, s[4:5]
	s_waitcnt lgkmcnt(0)
	; wave barrier
	buffer_load_dword v59, off, s[0:3], 0 offset:144
	buffer_load_dword v60, off, s[0:3], 0 offset:148
	;; [unrolled: 1-line block ×14, first 2 shown]
	ds_read_b128 v[51:54], v50 offset:336
	ds_read_b128 v[55:58], v50 offset:352
	v_cmp_lt_u32_e32 vcc, 16, v0
	s_waitcnt vmcnt(12) lgkmcnt(1)
	v_fma_f64 v[51:52], v[59:60], v[51:52], 0
	s_waitcnt vmcnt(10)
	v_fma_f64 v[51:52], v[61:62], v[53:54], v[51:52]
	s_waitcnt vmcnt(8) lgkmcnt(0)
	v_fma_f64 v[51:52], v[63:64], v[55:56], v[51:52]
	s_waitcnt vmcnt(6)
	v_fma_f64 v[54:55], v[65:66], v[57:58], v[51:52]
	ds_read_b128 v[50:53], v50 offset:368
	s_waitcnt vmcnt(4) lgkmcnt(0)
	v_fma_f64 v[50:51], v[67:68], v[50:51], v[54:55]
	s_waitcnt vmcnt(2)
	v_fma_f64 v[50:51], v[69:70], v[52:53], v[50:51]
	s_waitcnt vmcnt(0)
	v_add_f64 v[50:51], v[71:72], -v[50:51]
	buffer_store_dword v50, off, s[0:3], 0 offset:136
	buffer_store_dword v51, off, s[0:3], 0 offset:140
	s_and_saveexec_b64 s[4:5], vcc
	s_cbranch_execz .LBB23_119
; %bb.118:
	buffer_load_dword v50, off, s[0:3], 0 offset:128
	buffer_load_dword v51, off, s[0:3], 0 offset:132
	v_mov_b32_e32 v52, 0
	buffer_store_dword v52, off, s[0:3], 0 offset:128
	buffer_store_dword v52, off, s[0:3], 0 offset:132
	s_waitcnt vmcnt(2)
	ds_write_b64 v49, v[50:51]
.LBB23_119:
	s_or_b64 exec, exec, s[4:5]
	s_waitcnt lgkmcnt(0)
	; wave barrier
	buffer_load_dword v59, off, s[0:3], 0 offset:136
	buffer_load_dword v60, off, s[0:3], 0 offset:140
	;; [unrolled: 1-line block ×16, first 2 shown]
	v_mov_b32_e32 v50, 0
	ds_read2_b64 v[51:54], v50 offset0:41 offset1:42
	ds_read2_b64 v[55:58], v50 offset0:43 offset1:44
	v_cmp_lt_u32_e32 vcc, 15, v0
	s_waitcnt vmcnt(14) lgkmcnt(1)
	v_fma_f64 v[51:52], v[59:60], v[51:52], 0
	s_waitcnt vmcnt(12)
	v_fma_f64 v[51:52], v[61:62], v[53:54], v[51:52]
	s_waitcnt vmcnt(10) lgkmcnt(0)
	v_fma_f64 v[51:52], v[63:64], v[55:56], v[51:52]
	s_waitcnt vmcnt(8)
	v_fma_f64 v[55:56], v[65:66], v[57:58], v[51:52]
	ds_read2_b64 v[51:54], v50 offset0:45 offset1:46
	ds_read_b64 v[57:58], v50 offset:376
	s_waitcnt vmcnt(6) lgkmcnt(1)
	v_fma_f64 v[51:52], v[67:68], v[51:52], v[55:56]
	s_waitcnt vmcnt(4)
	v_fma_f64 v[51:52], v[69:70], v[53:54], v[51:52]
	s_waitcnt vmcnt(2) lgkmcnt(0)
	v_fma_f64 v[51:52], v[71:72], v[57:58], v[51:52]
	s_waitcnt vmcnt(0)
	v_add_f64 v[51:52], v[73:74], -v[51:52]
	buffer_store_dword v51, off, s[0:3], 0 offset:128
	buffer_store_dword v52, off, s[0:3], 0 offset:132
	s_and_saveexec_b64 s[4:5], vcc
	s_cbranch_execz .LBB23_121
; %bb.120:
	buffer_load_dword v51, off, s[0:3], 0 offset:120
	buffer_load_dword v52, off, s[0:3], 0 offset:124
	s_waitcnt vmcnt(0)
	ds_write_b64 v49, v[51:52]
	buffer_store_dword v50, off, s[0:3], 0 offset:120
	buffer_store_dword v50, off, s[0:3], 0 offset:124
.LBB23_121:
	s_or_b64 exec, exec, s[4:5]
	s_waitcnt lgkmcnt(0)
	; wave barrier
	buffer_load_dword v59, off, s[0:3], 0 offset:128
	buffer_load_dword v60, off, s[0:3], 0 offset:132
	buffer_load_dword v61, off, s[0:3], 0 offset:136
	buffer_load_dword v62, off, s[0:3], 0 offset:140
	buffer_load_dword v63, off, s[0:3], 0 offset:144
	buffer_load_dword v64, off, s[0:3], 0 offset:148
	buffer_load_dword v65, off, s[0:3], 0 offset:152
	buffer_load_dword v66, off, s[0:3], 0 offset:156
	buffer_load_dword v67, off, s[0:3], 0 offset:160
	buffer_load_dword v68, off, s[0:3], 0 offset:164
	buffer_load_dword v69, off, s[0:3], 0 offset:168
	buffer_load_dword v70, off, s[0:3], 0 offset:172
	buffer_load_dword v71, off, s[0:3], 0 offset:176
	buffer_load_dword v72, off, s[0:3], 0 offset:180
	buffer_load_dword v74, off, s[0:3], 0 offset:188
	buffer_load_dword v73, off, s[0:3], 0 offset:184
	buffer_load_dword v75, off, s[0:3], 0 offset:120
	buffer_load_dword v76, off, s[0:3], 0 offset:124
	ds_read_b128 v[51:54], v50 offset:320
	ds_read_b128 v[55:58], v50 offset:336
	v_cmp_lt_u32_e32 vcc, 14, v0
	s_waitcnt vmcnt(16) lgkmcnt(1)
	v_fma_f64 v[51:52], v[59:60], v[51:52], 0
	s_waitcnt vmcnt(14)
	v_fma_f64 v[51:52], v[61:62], v[53:54], v[51:52]
	s_waitcnt vmcnt(12) lgkmcnt(0)
	v_fma_f64 v[51:52], v[63:64], v[55:56], v[51:52]
	s_waitcnt vmcnt(10)
	v_fma_f64 v[59:60], v[65:66], v[57:58], v[51:52]
	ds_read_b128 v[51:54], v50 offset:352
	ds_read_b128 v[55:58], v50 offset:368
	s_waitcnt vmcnt(8) lgkmcnt(1)
	v_fma_f64 v[50:51], v[67:68], v[51:52], v[59:60]
	s_waitcnt vmcnt(6)
	v_fma_f64 v[50:51], v[69:70], v[53:54], v[50:51]
	s_waitcnt vmcnt(4) lgkmcnt(0)
	v_fma_f64 v[50:51], v[71:72], v[55:56], v[50:51]
	s_waitcnt vmcnt(2)
	v_fma_f64 v[50:51], v[73:74], v[57:58], v[50:51]
	s_waitcnt vmcnt(0)
	v_add_f64 v[50:51], v[75:76], -v[50:51]
	buffer_store_dword v50, off, s[0:3], 0 offset:120
	buffer_store_dword v51, off, s[0:3], 0 offset:124
	s_and_saveexec_b64 s[4:5], vcc
	s_cbranch_execz .LBB23_123
; %bb.122:
	buffer_load_dword v50, off, s[0:3], 0 offset:112
	buffer_load_dword v51, off, s[0:3], 0 offset:116
	v_mov_b32_e32 v52, 0
	buffer_store_dword v52, off, s[0:3], 0 offset:112
	buffer_store_dword v52, off, s[0:3], 0 offset:116
	s_waitcnt vmcnt(2)
	ds_write_b64 v49, v[50:51]
.LBB23_123:
	s_or_b64 exec, exec, s[4:5]
	s_waitcnt lgkmcnt(0)
	; wave barrier
	buffer_load_dword v59, off, s[0:3], 0 offset:120
	buffer_load_dword v60, off, s[0:3], 0 offset:124
	;; [unrolled: 1-line block ×20, first 2 shown]
	v_mov_b32_e32 v50, 0
	ds_read2_b64 v[51:54], v50 offset0:39 offset1:40
	ds_read2_b64 v[55:58], v50 offset0:41 offset1:42
	v_cmp_lt_u32_e32 vcc, 13, v0
	s_waitcnt vmcnt(18) lgkmcnt(1)
	v_fma_f64 v[51:52], v[59:60], v[51:52], 0
	s_waitcnt vmcnt(16)
	v_fma_f64 v[51:52], v[61:62], v[53:54], v[51:52]
	s_waitcnt vmcnt(14) lgkmcnt(0)
	v_fma_f64 v[51:52], v[63:64], v[55:56], v[51:52]
	s_waitcnt vmcnt(12)
	v_fma_f64 v[59:60], v[65:66], v[57:58], v[51:52]
	ds_read2_b64 v[51:54], v50 offset0:43 offset1:44
	ds_read2_b64 v[55:58], v50 offset0:45 offset1:46
	s_waitcnt vmcnt(10) lgkmcnt(1)
	v_fma_f64 v[51:52], v[67:68], v[51:52], v[59:60]
	s_waitcnt vmcnt(8)
	v_fma_f64 v[51:52], v[69:70], v[53:54], v[51:52]
	ds_read_b64 v[53:54], v50 offset:376
	s_waitcnt vmcnt(6) lgkmcnt(1)
	v_fma_f64 v[51:52], v[71:72], v[55:56], v[51:52]
	s_waitcnt vmcnt(3)
	v_fma_f64 v[51:52], v[73:74], v[57:58], v[51:52]
	s_waitcnt vmcnt(2) lgkmcnt(0)
	v_fma_f64 v[51:52], v[75:76], v[53:54], v[51:52]
	s_waitcnt vmcnt(0)
	v_add_f64 v[51:52], v[77:78], -v[51:52]
	buffer_store_dword v51, off, s[0:3], 0 offset:112
	buffer_store_dword v52, off, s[0:3], 0 offset:116
	s_and_saveexec_b64 s[4:5], vcc
	s_cbranch_execz .LBB23_125
; %bb.124:
	buffer_load_dword v51, off, s[0:3], 0 offset:104
	buffer_load_dword v52, off, s[0:3], 0 offset:108
	s_waitcnt vmcnt(0)
	ds_write_b64 v49, v[51:52]
	buffer_store_dword v50, off, s[0:3], 0 offset:104
	buffer_store_dword v50, off, s[0:3], 0 offset:108
.LBB23_125:
	s_or_b64 exec, exec, s[4:5]
	s_waitcnt lgkmcnt(0)
	; wave barrier
	buffer_load_dword v59, off, s[0:3], 0 offset:112
	buffer_load_dword v60, off, s[0:3], 0 offset:116
	;; [unrolled: 1-line block ×20, first 2 shown]
	ds_read_b128 v[51:54], v50 offset:304
	buffer_load_dword v79, off, s[0:3], 0 offset:104
	buffer_load_dword v80, off, s[0:3], 0 offset:108
	ds_read_b128 v[55:58], v50 offset:320
	v_cmp_lt_u32_e32 vcc, 12, v0
	s_waitcnt vmcnt(20) lgkmcnt(1)
	v_fma_f64 v[51:52], v[59:60], v[51:52], 0
	s_waitcnt vmcnt(18)
	v_fma_f64 v[51:52], v[61:62], v[53:54], v[51:52]
	s_waitcnt vmcnt(16) lgkmcnt(0)
	v_fma_f64 v[51:52], v[63:64], v[55:56], v[51:52]
	s_waitcnt vmcnt(14)
	v_fma_f64 v[59:60], v[65:66], v[57:58], v[51:52]
	ds_read_b128 v[51:54], v50 offset:336
	ds_read_b128 v[55:58], v50 offset:352
	s_waitcnt vmcnt(12) lgkmcnt(1)
	v_fma_f64 v[51:52], v[67:68], v[51:52], v[59:60]
	s_waitcnt vmcnt(10)
	v_fma_f64 v[51:52], v[69:70], v[53:54], v[51:52]
	s_waitcnt vmcnt(8) lgkmcnt(0)
	v_fma_f64 v[51:52], v[71:72], v[55:56], v[51:52]
	s_waitcnt vmcnt(4)
	v_fma_f64 v[54:55], v[73:74], v[57:58], v[51:52]
	ds_read_b128 v[50:53], v50 offset:368
	s_waitcnt vmcnt(3) lgkmcnt(0)
	v_fma_f64 v[50:51], v[77:78], v[50:51], v[54:55]
	s_waitcnt vmcnt(2)
	v_fma_f64 v[50:51], v[75:76], v[52:53], v[50:51]
	s_waitcnt vmcnt(0)
	v_add_f64 v[50:51], v[79:80], -v[50:51]
	buffer_store_dword v50, off, s[0:3], 0 offset:104
	buffer_store_dword v51, off, s[0:3], 0 offset:108
	s_and_saveexec_b64 s[4:5], vcc
	s_cbranch_execz .LBB23_127
; %bb.126:
	buffer_load_dword v50, off, s[0:3], 0 offset:96
	buffer_load_dword v51, off, s[0:3], 0 offset:100
	v_mov_b32_e32 v52, 0
	buffer_store_dword v52, off, s[0:3], 0 offset:96
	buffer_store_dword v52, off, s[0:3], 0 offset:100
	s_waitcnt vmcnt(2)
	ds_write_b64 v49, v[50:51]
.LBB23_127:
	s_or_b64 exec, exec, s[4:5]
	s_waitcnt lgkmcnt(0)
	; wave barrier
	buffer_load_dword v59, off, s[0:3], 0 offset:104
	buffer_load_dword v60, off, s[0:3], 0 offset:108
	;; [unrolled: 1-line block ×21, first 2 shown]
	v_mov_b32_e32 v50, 0
	ds_read2_b64 v[51:54], v50 offset0:37 offset1:38
	ds_read2_b64 v[55:58], v50 offset0:39 offset1:40
	buffer_load_dword v76, off, s[0:3], 0 offset:188
	v_cmp_lt_u32_e32 vcc, 11, v0
	s_waitcnt vmcnt(20) lgkmcnt(1)
	v_fma_f64 v[51:52], v[59:60], v[51:52], 0
	buffer_load_dword v59, off, s[0:3], 0 offset:96
	buffer_load_dword v60, off, s[0:3], 0 offset:100
	s_waitcnt vmcnt(20)
	v_fma_f64 v[51:52], v[61:62], v[53:54], v[51:52]
	s_waitcnt vmcnt(18) lgkmcnt(0)
	v_fma_f64 v[51:52], v[63:64], v[55:56], v[51:52]
	s_waitcnt vmcnt(16)
	v_fma_f64 v[61:62], v[65:66], v[57:58], v[51:52]
	ds_read2_b64 v[51:54], v50 offset0:41 offset1:42
	ds_read2_b64 v[55:58], v50 offset0:43 offset1:44
	s_waitcnt vmcnt(14) lgkmcnt(1)
	v_fma_f64 v[51:52], v[67:68], v[51:52], v[61:62]
	s_waitcnt vmcnt(12)
	v_fma_f64 v[51:52], v[69:70], v[53:54], v[51:52]
	s_waitcnt vmcnt(10) lgkmcnt(0)
	v_fma_f64 v[51:52], v[71:72], v[55:56], v[51:52]
	s_waitcnt vmcnt(5)
	v_fma_f64 v[55:56], v[73:74], v[57:58], v[51:52]
	ds_read2_b64 v[51:54], v50 offset0:45 offset1:46
	ds_read_b64 v[57:58], v50 offset:376
	s_waitcnt vmcnt(4) lgkmcnt(1)
	v_fma_f64 v[51:52], v[79:80], v[51:52], v[55:56]
	s_waitcnt vmcnt(3)
	v_fma_f64 v[51:52], v[77:78], v[53:54], v[51:52]
	s_waitcnt vmcnt(2) lgkmcnt(0)
	v_fma_f64 v[51:52], v[75:76], v[57:58], v[51:52]
	s_waitcnt vmcnt(0)
	v_add_f64 v[51:52], v[59:60], -v[51:52]
	buffer_store_dword v52, off, s[0:3], 0 offset:100
	buffer_store_dword v51, off, s[0:3], 0 offset:96
	s_and_saveexec_b64 s[4:5], vcc
	s_cbranch_execz .LBB23_129
; %bb.128:
	buffer_load_dword v51, off, s[0:3], 0 offset:88
	buffer_load_dword v52, off, s[0:3], 0 offset:92
	s_waitcnt vmcnt(0)
	ds_write_b64 v49, v[51:52]
	buffer_store_dword v50, off, s[0:3], 0 offset:88
	buffer_store_dword v50, off, s[0:3], 0 offset:92
.LBB23_129:
	s_or_b64 exec, exec, s[4:5]
	s_waitcnt lgkmcnt(0)
	; wave barrier
	buffer_load_dword v59, off, s[0:3], 0 offset:96
	buffer_load_dword v60, off, s[0:3], 0 offset:100
	;; [unrolled: 1-line block ×21, first 2 shown]
	ds_read_b128 v[51:54], v50 offset:288
	ds_read_b128 v[55:58], v50 offset:304
	buffer_load_dword v76, off, s[0:3], 0 offset:180
	v_cmp_lt_u32_e32 vcc, 10, v0
	s_waitcnt vmcnt(20) lgkmcnt(1)
	v_fma_f64 v[51:52], v[59:60], v[51:52], 0
	buffer_load_dword v60, off, s[0:3], 0 offset:188
	buffer_load_dword v59, off, s[0:3], 0 offset:184
	s_waitcnt vmcnt(20)
	v_fma_f64 v[51:52], v[61:62], v[53:54], v[51:52]
	buffer_load_dword v61, off, s[0:3], 0 offset:88
	buffer_load_dword v62, off, s[0:3], 0 offset:92
	s_waitcnt vmcnt(20) lgkmcnt(0)
	v_fma_f64 v[51:52], v[63:64], v[55:56], v[51:52]
	s_waitcnt vmcnt(18)
	v_fma_f64 v[63:64], v[65:66], v[57:58], v[51:52]
	ds_read_b128 v[51:54], v50 offset:320
	ds_read_b128 v[55:58], v50 offset:336
	s_waitcnt vmcnt(16) lgkmcnt(1)
	v_fma_f64 v[51:52], v[67:68], v[51:52], v[63:64]
	s_waitcnt vmcnt(14)
	v_fma_f64 v[51:52], v[69:70], v[53:54], v[51:52]
	s_waitcnt vmcnt(12) lgkmcnt(0)
	v_fma_f64 v[51:52], v[71:72], v[55:56], v[51:52]
	s_waitcnt vmcnt(7)
	v_fma_f64 v[63:64], v[73:74], v[57:58], v[51:52]
	ds_read_b128 v[51:54], v50 offset:352
	ds_read_b128 v[55:58], v50 offset:368
	s_waitcnt vmcnt(6) lgkmcnt(1)
	v_fma_f64 v[50:51], v[79:80], v[51:52], v[63:64]
	s_waitcnt vmcnt(5)
	v_fma_f64 v[50:51], v[77:78], v[53:54], v[50:51]
	s_waitcnt vmcnt(4) lgkmcnt(0)
	v_fma_f64 v[50:51], v[75:76], v[55:56], v[50:51]
	s_waitcnt vmcnt(2)
	v_fma_f64 v[50:51], v[59:60], v[57:58], v[50:51]
	s_waitcnt vmcnt(0)
	v_add_f64 v[50:51], v[61:62], -v[50:51]
	buffer_store_dword v51, off, s[0:3], 0 offset:92
	buffer_store_dword v50, off, s[0:3], 0 offset:88
	s_and_saveexec_b64 s[4:5], vcc
	s_cbranch_execz .LBB23_131
; %bb.130:
	buffer_load_dword v50, off, s[0:3], 0 offset:80
	buffer_load_dword v51, off, s[0:3], 0 offset:84
	v_mov_b32_e32 v52, 0
	buffer_store_dword v52, off, s[0:3], 0 offset:80
	buffer_store_dword v52, off, s[0:3], 0 offset:84
	s_waitcnt vmcnt(2)
	ds_write_b64 v49, v[50:51]
.LBB23_131:
	s_or_b64 exec, exec, s[4:5]
	s_waitcnt lgkmcnt(0)
	; wave barrier
	buffer_load_dword v59, off, s[0:3], 0 offset:88
	buffer_load_dword v60, off, s[0:3], 0 offset:92
	;; [unrolled: 1-line block ×21, first 2 shown]
	v_mov_b32_e32 v50, 0
	ds_read2_b64 v[51:54], v50 offset0:35 offset1:36
	ds_read2_b64 v[55:58], v50 offset0:37 offset1:38
	buffer_load_dword v76, off, s[0:3], 0 offset:172
	v_cmp_lt_u32_e32 vcc, 9, v0
	s_waitcnt vmcnt(20) lgkmcnt(1)
	v_fma_f64 v[51:52], v[59:60], v[51:52], 0
	s_waitcnt vmcnt(18)
	v_fma_f64 v[51:52], v[61:62], v[53:54], v[51:52]
	buffer_load_dword v60, off, s[0:3], 0 offset:180
	buffer_load_dword v61, off, s[0:3], 0 offset:184
	buffer_load_dword v59, off, s[0:3], 0 offset:176
	buffer_load_dword v62, off, s[0:3], 0 offset:188
	s_waitcnt vmcnt(20) lgkmcnt(0)
	v_fma_f64 v[51:52], v[63:64], v[55:56], v[51:52]
	buffer_load_dword v63, off, s[0:3], 0 offset:80
	buffer_load_dword v64, off, s[0:3], 0 offset:84
	s_waitcnt vmcnt(20)
	v_fma_f64 v[65:66], v[65:66], v[57:58], v[51:52]
	ds_read2_b64 v[51:54], v50 offset0:39 offset1:40
	ds_read2_b64 v[55:58], v50 offset0:41 offset1:42
	s_waitcnt vmcnt(18) lgkmcnt(1)
	v_fma_f64 v[51:52], v[67:68], v[51:52], v[65:66]
	s_waitcnt vmcnt(16)
	v_fma_f64 v[51:52], v[69:70], v[53:54], v[51:52]
	s_waitcnt vmcnt(14) lgkmcnt(0)
	v_fma_f64 v[51:52], v[71:72], v[55:56], v[51:52]
	s_waitcnt vmcnt(9)
	v_fma_f64 v[65:66], v[73:74], v[57:58], v[51:52]
	ds_read2_b64 v[51:54], v50 offset0:43 offset1:44
	ds_read2_b64 v[55:58], v50 offset0:45 offset1:46
	s_waitcnt vmcnt(8) lgkmcnt(1)
	v_fma_f64 v[51:52], v[79:80], v[51:52], v[65:66]
	s_waitcnt vmcnt(7)
	v_fma_f64 v[51:52], v[77:78], v[53:54], v[51:52]
	ds_read_b64 v[53:54], v50 offset:376
	s_waitcnt vmcnt(6) lgkmcnt(1)
	v_fma_f64 v[51:52], v[75:76], v[55:56], v[51:52]
	s_waitcnt vmcnt(3)
	v_fma_f64 v[51:52], v[59:60], v[57:58], v[51:52]
	s_waitcnt vmcnt(2) lgkmcnt(0)
	v_fma_f64 v[51:52], v[61:62], v[53:54], v[51:52]
	s_waitcnt vmcnt(0)
	v_add_f64 v[51:52], v[63:64], -v[51:52]
	buffer_store_dword v52, off, s[0:3], 0 offset:84
	buffer_store_dword v51, off, s[0:3], 0 offset:80
	s_and_saveexec_b64 s[4:5], vcc
	s_cbranch_execz .LBB23_133
; %bb.132:
	buffer_load_dword v51, off, s[0:3], 0 offset:72
	buffer_load_dword v52, off, s[0:3], 0 offset:76
	s_waitcnt vmcnt(0)
	ds_write_b64 v49, v[51:52]
	buffer_store_dword v50, off, s[0:3], 0 offset:72
	buffer_store_dword v50, off, s[0:3], 0 offset:76
.LBB23_133:
	s_or_b64 exec, exec, s[4:5]
	s_waitcnt lgkmcnt(0)
	; wave barrier
	buffer_load_dword v55, off, s[0:3], 0 offset:80
	buffer_load_dword v56, off, s[0:3], 0 offset:84
	;; [unrolled: 1-line block ×20, first 2 shown]
	ds_read_b128 v[51:54], v50 offset:272
	buffer_load_dword v75, off, s[0:3], 0 offset:160
	buffer_load_dword v76, off, s[0:3], 0 offset:164
	v_cmp_lt_u32_e32 vcc, 8, v0
	s_waitcnt vmcnt(20) lgkmcnt(0)
	v_fma_f64 v[51:52], v[55:56], v[51:52], 0
	buffer_load_dword v56, off, s[0:3], 0 offset:172
	buffer_load_dword v55, off, s[0:3], 0 offset:168
	s_waitcnt vmcnt(20)
	v_fma_f64 v[57:58], v[57:58], v[53:54], v[51:52]
	ds_read_b128 v[51:54], v50 offset:288
	buffer_load_dword v77, off, s[0:3], 0 offset:176
	buffer_load_dword v78, off, s[0:3], 0 offset:180
	s_waitcnt vmcnt(20) lgkmcnt(0)
	v_fma_f64 v[51:52], v[59:60], v[51:52], v[57:58]
	buffer_load_dword v57, off, s[0:3], 0 offset:184
	buffer_load_dword v58, off, s[0:3], 0 offset:188
	s_waitcnt vmcnt(20)
	v_fma_f64 v[59:60], v[61:62], v[53:54], v[51:52]
	ds_read_b128 v[51:54], v50 offset:304
	buffer_load_dword v61, off, s[0:3], 0 offset:72
	buffer_load_dword v62, off, s[0:3], 0 offset:76
	s_waitcnt vmcnt(20) lgkmcnt(0)
	v_fma_f64 v[51:52], v[63:64], v[51:52], v[59:60]
	s_waitcnt vmcnt(18)
	v_fma_f64 v[59:60], v[65:66], v[53:54], v[51:52]
	ds_read_b128 v[51:54], v50 offset:320
	s_waitcnt vmcnt(16) lgkmcnt(0)
	v_fma_f64 v[51:52], v[67:68], v[51:52], v[59:60]
	s_waitcnt vmcnt(14)
	v_fma_f64 v[59:60], v[69:70], v[53:54], v[51:52]
	ds_read_b128 v[51:54], v50 offset:336
	s_waitcnt vmcnt(12) lgkmcnt(0)
	v_fma_f64 v[51:52], v[71:72], v[51:52], v[59:60]
	s_waitcnt vmcnt(10)
	v_fma_f64 v[59:60], v[73:74], v[53:54], v[51:52]
	ds_read_b128 v[51:54], v50 offset:352
	s_waitcnt vmcnt(8) lgkmcnt(0)
	v_fma_f64 v[51:52], v[75:76], v[51:52], v[59:60]
	s_waitcnt vmcnt(6)
	v_fma_f64 v[54:55], v[55:56], v[53:54], v[51:52]
	ds_read_b128 v[50:53], v50 offset:368
	s_waitcnt vmcnt(4) lgkmcnt(0)
	v_fma_f64 v[50:51], v[77:78], v[50:51], v[54:55]
	s_waitcnt vmcnt(2)
	v_fma_f64 v[50:51], v[57:58], v[52:53], v[50:51]
	s_waitcnt vmcnt(0)
	v_add_f64 v[50:51], v[61:62], -v[50:51]
	buffer_store_dword v51, off, s[0:3], 0 offset:76
	buffer_store_dword v50, off, s[0:3], 0 offset:72
	s_and_saveexec_b64 s[4:5], vcc
	s_cbranch_execz .LBB23_135
; %bb.134:
	buffer_load_dword v50, off, s[0:3], 0 offset:64
	buffer_load_dword v51, off, s[0:3], 0 offset:68
	v_mov_b32_e32 v52, 0
	buffer_store_dword v52, off, s[0:3], 0 offset:64
	buffer_store_dword v52, off, s[0:3], 0 offset:68
	s_waitcnt vmcnt(2)
	ds_write_b64 v49, v[50:51]
.LBB23_135:
	s_or_b64 exec, exec, s[4:5]
	s_waitcnt lgkmcnt(0)
	; wave barrier
	buffer_load_dword v55, off, s[0:3], 0 offset:72
	buffer_load_dword v56, off, s[0:3], 0 offset:76
	;; [unrolled: 1-line block ×20, first 2 shown]
	v_mov_b32_e32 v50, 0
	ds_read2_b64 v[51:54], v50 offset0:33 offset1:34
	buffer_load_dword v75, off, s[0:3], 0 offset:152
	buffer_load_dword v76, off, s[0:3], 0 offset:156
	v_cmp_lt_u32_e32 vcc, 7, v0
	s_waitcnt vmcnt(20) lgkmcnt(0)
	v_fma_f64 v[51:52], v[55:56], v[51:52], 0
	buffer_load_dword v56, off, s[0:3], 0 offset:164
	buffer_load_dword v55, off, s[0:3], 0 offset:160
	s_waitcnt vmcnt(20)
	v_fma_f64 v[57:58], v[57:58], v[53:54], v[51:52]
	ds_read2_b64 v[51:54], v50 offset0:35 offset1:36
	buffer_load_dword v77, off, s[0:3], 0 offset:168
	buffer_load_dword v78, off, s[0:3], 0 offset:172
	s_waitcnt vmcnt(20) lgkmcnt(0)
	v_fma_f64 v[51:52], v[59:60], v[51:52], v[57:58]
	buffer_load_dword v57, off, s[0:3], 0 offset:176
	buffer_load_dword v58, off, s[0:3], 0 offset:180
	s_waitcnt vmcnt(20)
	v_fma_f64 v[59:60], v[61:62], v[53:54], v[51:52]
	ds_read2_b64 v[51:54], v50 offset0:37 offset1:38
	buffer_load_dword v61, off, s[0:3], 0 offset:184
	buffer_load_dword v62, off, s[0:3], 0 offset:188
	s_waitcnt vmcnt(20) lgkmcnt(0)
	v_fma_f64 v[51:52], v[63:64], v[51:52], v[59:60]
	buffer_load_dword v59, off, s[0:3], 0 offset:64
	buffer_load_dword v60, off, s[0:3], 0 offset:68
	s_waitcnt vmcnt(20)
	v_fma_f64 v[63:64], v[65:66], v[53:54], v[51:52]
	ds_read2_b64 v[51:54], v50 offset0:39 offset1:40
	s_waitcnt vmcnt(18) lgkmcnt(0)
	v_fma_f64 v[51:52], v[67:68], v[51:52], v[63:64]
	s_waitcnt vmcnt(16)
	v_fma_f64 v[63:64], v[69:70], v[53:54], v[51:52]
	ds_read2_b64 v[51:54], v50 offset0:41 offset1:42
	s_waitcnt vmcnt(14) lgkmcnt(0)
	v_fma_f64 v[51:52], v[71:72], v[51:52], v[63:64]
	;; [unrolled: 5-line block ×4, first 2 shown]
	s_waitcnt vmcnt(4)
	v_fma_f64 v[51:52], v[57:58], v[53:54], v[51:52]
	ds_read_b64 v[53:54], v50 offset:376
	s_waitcnt vmcnt(2) lgkmcnt(0)
	v_fma_f64 v[51:52], v[61:62], v[53:54], v[51:52]
	s_waitcnt vmcnt(0)
	v_add_f64 v[51:52], v[59:60], -v[51:52]
	buffer_store_dword v52, off, s[0:3], 0 offset:68
	buffer_store_dword v51, off, s[0:3], 0 offset:64
	s_and_saveexec_b64 s[4:5], vcc
	s_cbranch_execz .LBB23_137
; %bb.136:
	buffer_load_dword v51, off, s[0:3], 0 offset:56
	buffer_load_dword v52, off, s[0:3], 0 offset:60
	s_waitcnt vmcnt(0)
	ds_write_b64 v49, v[51:52]
	buffer_store_dword v50, off, s[0:3], 0 offset:56
	buffer_store_dword v50, off, s[0:3], 0 offset:60
.LBB23_137:
	s_or_b64 exec, exec, s[4:5]
	s_waitcnt lgkmcnt(0)
	; wave barrier
	buffer_load_dword v55, off, s[0:3], 0 offset:64
	buffer_load_dword v56, off, s[0:3], 0 offset:68
	;; [unrolled: 1-line block ×20, first 2 shown]
	ds_read_b128 v[51:54], v50 offset:256
	buffer_load_dword v75, off, s[0:3], 0 offset:144
	buffer_load_dword v76, off, s[0:3], 0 offset:148
	v_cmp_lt_u32_e32 vcc, 6, v0
	s_waitcnt vmcnt(20) lgkmcnt(0)
	v_fma_f64 v[51:52], v[55:56], v[51:52], 0
	buffer_load_dword v56, off, s[0:3], 0 offset:156
	buffer_load_dword v55, off, s[0:3], 0 offset:152
	s_waitcnt vmcnt(20)
	v_fma_f64 v[57:58], v[57:58], v[53:54], v[51:52]
	ds_read_b128 v[51:54], v50 offset:272
	buffer_load_dword v77, off, s[0:3], 0 offset:160
	buffer_load_dword v78, off, s[0:3], 0 offset:164
	s_waitcnt vmcnt(20) lgkmcnt(0)
	v_fma_f64 v[51:52], v[59:60], v[51:52], v[57:58]
	buffer_load_dword v57, off, s[0:3], 0 offset:168
	buffer_load_dword v58, off, s[0:3], 0 offset:172
	s_waitcnt vmcnt(20)
	v_fma_f64 v[59:60], v[61:62], v[53:54], v[51:52]
	ds_read_b128 v[51:54], v50 offset:288
	buffer_load_dword v61, off, s[0:3], 0 offset:176
	buffer_load_dword v62, off, s[0:3], 0 offset:180
	;; [unrolled: 9-line block ×3, first 2 shown]
	s_waitcnt vmcnt(20) lgkmcnt(0)
	v_fma_f64 v[51:52], v[67:68], v[51:52], v[63:64]
	s_waitcnt vmcnt(18)
	v_fma_f64 v[63:64], v[69:70], v[53:54], v[51:52]
	ds_read_b128 v[51:54], v50 offset:320
	s_waitcnt vmcnt(16) lgkmcnt(0)
	v_fma_f64 v[51:52], v[71:72], v[51:52], v[63:64]
	s_waitcnt vmcnt(14)
	v_fma_f64 v[63:64], v[73:74], v[53:54], v[51:52]
	ds_read_b128 v[51:54], v50 offset:336
	;; [unrolled: 5-line block ×4, first 2 shown]
	s_waitcnt vmcnt(4) lgkmcnt(0)
	v_fma_f64 v[50:51], v[61:62], v[50:51], v[54:55]
	s_waitcnt vmcnt(2)
	v_fma_f64 v[50:51], v[59:60], v[52:53], v[50:51]
	s_waitcnt vmcnt(0)
	v_add_f64 v[50:51], v[65:66], -v[50:51]
	buffer_store_dword v51, off, s[0:3], 0 offset:60
	buffer_store_dword v50, off, s[0:3], 0 offset:56
	s_and_saveexec_b64 s[4:5], vcc
	s_cbranch_execz .LBB23_139
; %bb.138:
	buffer_load_dword v50, off, s[0:3], 0 offset:48
	buffer_load_dword v51, off, s[0:3], 0 offset:52
	v_mov_b32_e32 v52, 0
	buffer_store_dword v52, off, s[0:3], 0 offset:48
	buffer_store_dword v52, off, s[0:3], 0 offset:52
	s_waitcnt vmcnt(2)
	ds_write_b64 v49, v[50:51]
.LBB23_139:
	s_or_b64 exec, exec, s[4:5]
	s_waitcnt lgkmcnt(0)
	; wave barrier
	buffer_load_dword v59, off, s[0:3], 0 offset:56
	buffer_load_dword v60, off, s[0:3], 0 offset:60
	buffer_load_dword v61, off, s[0:3], 0 offset:64
	buffer_load_dword v62, off, s[0:3], 0 offset:68
	buffer_load_dword v63, off, s[0:3], 0 offset:72
	buffer_load_dword v64, off, s[0:3], 0 offset:76
	buffer_load_dword v65, off, s[0:3], 0 offset:80
	buffer_load_dword v66, off, s[0:3], 0 offset:84
	buffer_load_dword v67, off, s[0:3], 0 offset:88
	buffer_load_dword v68, off, s[0:3], 0 offset:92
	buffer_load_dword v69, off, s[0:3], 0 offset:96
	buffer_load_dword v70, off, s[0:3], 0 offset:100
	buffer_load_dword v71, off, s[0:3], 0 offset:104
	buffer_load_dword v72, off, s[0:3], 0 offset:108
	buffer_load_dword v74, off, s[0:3], 0 offset:116
	buffer_load_dword v75, off, s[0:3], 0 offset:136
	buffer_load_dword v77, off, s[0:3], 0 offset:128
	buffer_load_dword v79, off, s[0:3], 0 offset:120
	buffer_load_dword v73, off, s[0:3], 0 offset:112
	buffer_load_dword v80, off, s[0:3], 0 offset:124
	buffer_load_dword v78, off, s[0:3], 0 offset:132
	buffer_load_dword v76, off, s[0:3], 0 offset:140
	v_mov_b32_e32 v50, 0
	ds_read2_b64 v[51:54], v50 offset0:31 offset1:32
	ds_read2_b64 v[55:58], v50 offset0:33 offset1:34
	v_cmp_lt_u32_e32 vcc, 5, v0
	s_waitcnt vmcnt(20) lgkmcnt(1)
	v_fma_f64 v[51:52], v[59:60], v[51:52], 0
	s_waitcnt vmcnt(18)
	v_fma_f64 v[51:52], v[61:62], v[53:54], v[51:52]
	buffer_load_dword v60, off, s[0:3], 0 offset:148
	buffer_load_dword v61, off, s[0:3], 0 offset:168
	;; [unrolled: 1-line block ×7, first 2 shown]
	s_waitcnt vmcnt(23) lgkmcnt(0)
	v_fma_f64 v[51:52], v[63:64], v[55:56], v[51:52]
	s_waitcnt vmcnt(21)
	v_fma_f64 v[62:63], v[65:66], v[57:58], v[51:52]
	ds_read2_b64 v[51:54], v50 offset0:35 offset1:36
	ds_read2_b64 v[55:58], v50 offset0:37 offset1:38
	s_waitcnt vmcnt(19) lgkmcnt(1)
	v_fma_f64 v[51:52], v[67:68], v[51:52], v[62:63]
	buffer_load_dword v62, off, s[0:3], 0 offset:172
	buffer_load_dword v64, off, s[0:3], 0 offset:180
	;; [unrolled: 1-line block ×7, first 2 shown]
	s_waitcnt vmcnt(24)
	v_fma_f64 v[51:52], v[69:70], v[53:54], v[51:52]
	s_waitcnt vmcnt(22) lgkmcnt(0)
	v_fma_f64 v[51:52], v[71:72], v[55:56], v[51:52]
	s_waitcnt vmcnt(17)
	v_fma_f64 v[69:70], v[73:74], v[57:58], v[51:52]
	ds_read2_b64 v[51:54], v50 offset0:39 offset1:40
	ds_read2_b64 v[55:58], v50 offset0:41 offset1:42
	s_waitcnt vmcnt(16) lgkmcnt(1)
	v_fma_f64 v[51:52], v[79:80], v[51:52], v[69:70]
	s_waitcnt vmcnt(15)
	v_fma_f64 v[51:52], v[77:78], v[53:54], v[51:52]
	s_waitcnt vmcnt(14) lgkmcnt(0)
	v_fma_f64 v[51:52], v[75:76], v[55:56], v[51:52]
	s_waitcnt vmcnt(9)
	v_fma_f64 v[59:60], v[59:60], v[57:58], v[51:52]
	ds_read2_b64 v[51:54], v50 offset0:43 offset1:44
	ds_read2_b64 v[55:58], v50 offset0:45 offset1:46
	s_waitcnt vmcnt(8) lgkmcnt(1)
	v_fma_f64 v[51:52], v[83:84], v[51:52], v[59:60]
	s_waitcnt vmcnt(7)
	v_fma_f64 v[51:52], v[81:82], v[53:54], v[51:52]
	ds_read_b64 v[53:54], v50 offset:376
	s_waitcnt vmcnt(6) lgkmcnt(1)
	v_fma_f64 v[51:52], v[61:62], v[55:56], v[51:52]
	s_waitcnt vmcnt(3)
	v_fma_f64 v[51:52], v[63:64], v[57:58], v[51:52]
	s_waitcnt vmcnt(2) lgkmcnt(0)
	v_fma_f64 v[51:52], v[65:66], v[53:54], v[51:52]
	s_waitcnt vmcnt(0)
	v_add_f64 v[51:52], v[67:68], -v[51:52]
	buffer_store_dword v52, off, s[0:3], 0 offset:52
	buffer_store_dword v51, off, s[0:3], 0 offset:48
	s_and_saveexec_b64 s[4:5], vcc
	s_cbranch_execz .LBB23_141
; %bb.140:
	buffer_load_dword v51, off, s[0:3], 0 offset:40
	buffer_load_dword v52, off, s[0:3], 0 offset:44
	s_waitcnt vmcnt(0)
	ds_write_b64 v49, v[51:52]
	buffer_store_dword v50, off, s[0:3], 0 offset:40
	buffer_store_dword v50, off, s[0:3], 0 offset:44
.LBB23_141:
	s_or_b64 exec, exec, s[4:5]
	s_waitcnt lgkmcnt(0)
	; wave barrier
	buffer_load_dword v55, off, s[0:3], 0 offset:48
	buffer_load_dword v56, off, s[0:3], 0 offset:52
	;; [unrolled: 1-line block ×20, first 2 shown]
	ds_read_b128 v[51:54], v50 offset:240
	buffer_load_dword v75, off, s[0:3], 0 offset:128
	buffer_load_dword v76, off, s[0:3], 0 offset:132
	v_cmp_lt_u32_e32 vcc, 4, v0
	s_waitcnt vmcnt(20) lgkmcnt(0)
	v_fma_f64 v[51:52], v[55:56], v[51:52], 0
	buffer_load_dword v56, off, s[0:3], 0 offset:140
	buffer_load_dword v55, off, s[0:3], 0 offset:136
	s_waitcnt vmcnt(20)
	v_fma_f64 v[57:58], v[57:58], v[53:54], v[51:52]
	ds_read_b128 v[51:54], v50 offset:256
	buffer_load_dword v77, off, s[0:3], 0 offset:144
	buffer_load_dword v78, off, s[0:3], 0 offset:148
	s_waitcnt vmcnt(20) lgkmcnt(0)
	v_fma_f64 v[51:52], v[59:60], v[51:52], v[57:58]
	buffer_load_dword v57, off, s[0:3], 0 offset:152
	buffer_load_dword v58, off, s[0:3], 0 offset:156
	s_waitcnt vmcnt(20)
	v_fma_f64 v[59:60], v[61:62], v[53:54], v[51:52]
	ds_read_b128 v[51:54], v50 offset:272
	buffer_load_dword v61, off, s[0:3], 0 offset:160
	buffer_load_dword v62, off, s[0:3], 0 offset:164
	;; [unrolled: 9-line block ×4, first 2 shown]
	s_waitcnt vmcnt(20) lgkmcnt(0)
	v_fma_f64 v[51:52], v[71:72], v[51:52], v[67:68]
	s_waitcnt vmcnt(18)
	v_fma_f64 v[67:68], v[73:74], v[53:54], v[51:52]
	ds_read_b128 v[51:54], v50 offset:320
	s_waitcnt vmcnt(16) lgkmcnt(0)
	v_fma_f64 v[51:52], v[75:76], v[51:52], v[67:68]
	s_waitcnt vmcnt(14)
	v_fma_f64 v[55:56], v[55:56], v[53:54], v[51:52]
	ds_read_b128 v[51:54], v50 offset:336
	;; [unrolled: 5-line block ×4, first 2 shown]
	s_waitcnt vmcnt(4) lgkmcnt(0)
	v_fma_f64 v[50:51], v[65:66], v[50:51], v[54:55]
	s_waitcnt vmcnt(2)
	v_fma_f64 v[50:51], v[63:64], v[52:53], v[50:51]
	s_waitcnt vmcnt(0)
	v_add_f64 v[50:51], v[69:70], -v[50:51]
	buffer_store_dword v51, off, s[0:3], 0 offset:44
	buffer_store_dword v50, off, s[0:3], 0 offset:40
	s_and_saveexec_b64 s[4:5], vcc
	s_cbranch_execz .LBB23_143
; %bb.142:
	buffer_load_dword v50, off, s[0:3], 0 offset:32
	buffer_load_dword v51, off, s[0:3], 0 offset:36
	v_mov_b32_e32 v52, 0
	buffer_store_dword v52, off, s[0:3], 0 offset:32
	buffer_store_dword v52, off, s[0:3], 0 offset:36
	s_waitcnt vmcnt(2)
	ds_write_b64 v49, v[50:51]
.LBB23_143:
	s_or_b64 exec, exec, s[4:5]
	s_waitcnt lgkmcnt(0)
	; wave barrier
	buffer_load_dword v55, off, s[0:3], 0 offset:40
	buffer_load_dword v56, off, s[0:3], 0 offset:44
	buffer_load_dword v57, off, s[0:3], 0 offset:48
	buffer_load_dword v58, off, s[0:3], 0 offset:52
	buffer_load_dword v59, off, s[0:3], 0 offset:56
	buffer_load_dword v60, off, s[0:3], 0 offset:60
	buffer_load_dword v61, off, s[0:3], 0 offset:64
	buffer_load_dword v62, off, s[0:3], 0 offset:68
	buffer_load_dword v63, off, s[0:3], 0 offset:72
	buffer_load_dword v64, off, s[0:3], 0 offset:76
	buffer_load_dword v65, off, s[0:3], 0 offset:80
	buffer_load_dword v66, off, s[0:3], 0 offset:84
	buffer_load_dword v67, off, s[0:3], 0 offset:88
	buffer_load_dword v68, off, s[0:3], 0 offset:92
	buffer_load_dword v70, off, s[0:3], 0 offset:100
	buffer_load_dword v69, off, s[0:3], 0 offset:96
	buffer_load_dword v71, off, s[0:3], 0 offset:104
	buffer_load_dword v72, off, s[0:3], 0 offset:108
	buffer_load_dword v73, off, s[0:3], 0 offset:112
	buffer_load_dword v74, off, s[0:3], 0 offset:116
	v_mov_b32_e32 v50, 0
	ds_read2_b64 v[51:54], v50 offset0:29 offset1:30
	buffer_load_dword v75, off, s[0:3], 0 offset:120
	buffer_load_dword v76, off, s[0:3], 0 offset:124
	v_cmp_lt_u32_e32 vcc, 3, v0
	s_waitcnt vmcnt(20) lgkmcnt(0)
	v_fma_f64 v[51:52], v[55:56], v[51:52], 0
	buffer_load_dword v56, off, s[0:3], 0 offset:132
	buffer_load_dword v55, off, s[0:3], 0 offset:128
	s_waitcnt vmcnt(20)
	v_fma_f64 v[57:58], v[57:58], v[53:54], v[51:52]
	ds_read2_b64 v[51:54], v50 offset0:31 offset1:32
	buffer_load_dword v77, off, s[0:3], 0 offset:136
	buffer_load_dword v78, off, s[0:3], 0 offset:140
	s_waitcnt vmcnt(20) lgkmcnt(0)
	v_fma_f64 v[51:52], v[59:60], v[51:52], v[57:58]
	buffer_load_dword v57, off, s[0:3], 0 offset:144
	buffer_load_dword v58, off, s[0:3], 0 offset:148
	s_waitcnt vmcnt(20)
	v_fma_f64 v[59:60], v[61:62], v[53:54], v[51:52]
	ds_read2_b64 v[51:54], v50 offset0:33 offset1:34
	buffer_load_dword v61, off, s[0:3], 0 offset:152
	buffer_load_dword v62, off, s[0:3], 0 offset:156
	;; [unrolled: 9-line block ×4, first 2 shown]
	s_waitcnt vmcnt(20) lgkmcnt(0)
	v_fma_f64 v[51:52], v[71:72], v[51:52], v[67:68]
	buffer_load_dword v67, off, s[0:3], 0 offset:32
	buffer_load_dword v68, off, s[0:3], 0 offset:36
	s_waitcnt vmcnt(20)
	v_fma_f64 v[71:72], v[73:74], v[53:54], v[51:52]
	ds_read2_b64 v[51:54], v50 offset0:39 offset1:40
	s_waitcnt vmcnt(18) lgkmcnt(0)
	v_fma_f64 v[51:52], v[75:76], v[51:52], v[71:72]
	s_waitcnt vmcnt(16)
	v_fma_f64 v[55:56], v[55:56], v[53:54], v[51:52]
	ds_read2_b64 v[51:54], v50 offset0:41 offset1:42
	s_waitcnt vmcnt(14) lgkmcnt(0)
	v_fma_f64 v[51:52], v[77:78], v[51:52], v[55:56]
	;; [unrolled: 5-line block ×4, first 2 shown]
	s_waitcnt vmcnt(4)
	v_fma_f64 v[51:52], v[63:64], v[53:54], v[51:52]
	ds_read_b64 v[53:54], v50 offset:376
	s_waitcnt vmcnt(2) lgkmcnt(0)
	v_fma_f64 v[51:52], v[69:70], v[53:54], v[51:52]
	s_waitcnt vmcnt(0)
	v_add_f64 v[51:52], v[67:68], -v[51:52]
	buffer_store_dword v52, off, s[0:3], 0 offset:36
	buffer_store_dword v51, off, s[0:3], 0 offset:32
	s_and_saveexec_b64 s[4:5], vcc
	s_cbranch_execz .LBB23_145
; %bb.144:
	buffer_load_dword v51, off, s[0:3], 0 offset:24
	buffer_load_dword v52, off, s[0:3], 0 offset:28
	s_waitcnt vmcnt(0)
	ds_write_b64 v49, v[51:52]
	buffer_store_dword v50, off, s[0:3], 0 offset:24
	buffer_store_dword v50, off, s[0:3], 0 offset:28
.LBB23_145:
	s_or_b64 exec, exec, s[4:5]
	s_waitcnt lgkmcnt(0)
	; wave barrier
	buffer_load_dword v55, off, s[0:3], 0 offset:32
	buffer_load_dword v56, off, s[0:3], 0 offset:36
	;; [unrolled: 1-line block ×20, first 2 shown]
	ds_read_b128 v[51:54], v50 offset:224
	buffer_load_dword v75, off, s[0:3], 0 offset:112
	buffer_load_dword v76, off, s[0:3], 0 offset:116
	v_cmp_lt_u32_e32 vcc, 2, v0
	s_waitcnt vmcnt(20) lgkmcnt(0)
	v_fma_f64 v[51:52], v[55:56], v[51:52], 0
	buffer_load_dword v56, off, s[0:3], 0 offset:124
	buffer_load_dword v55, off, s[0:3], 0 offset:120
	s_waitcnt vmcnt(20)
	v_fma_f64 v[57:58], v[57:58], v[53:54], v[51:52]
	ds_read_b128 v[51:54], v50 offset:240
	buffer_load_dword v77, off, s[0:3], 0 offset:128
	buffer_load_dword v78, off, s[0:3], 0 offset:132
	s_waitcnt vmcnt(20) lgkmcnt(0)
	v_fma_f64 v[51:52], v[59:60], v[51:52], v[57:58]
	buffer_load_dword v57, off, s[0:3], 0 offset:136
	buffer_load_dword v58, off, s[0:3], 0 offset:140
	s_waitcnt vmcnt(20)
	v_fma_f64 v[59:60], v[61:62], v[53:54], v[51:52]
	ds_read_b128 v[51:54], v50 offset:256
	buffer_load_dword v61, off, s[0:3], 0 offset:144
	buffer_load_dword v62, off, s[0:3], 0 offset:148
	;; [unrolled: 9-line block ×5, first 2 shown]
	s_waitcnt vmcnt(20) lgkmcnt(0)
	v_fma_f64 v[51:52], v[75:76], v[51:52], v[71:72]
	s_waitcnt vmcnt(18)
	v_fma_f64 v[55:56], v[55:56], v[53:54], v[51:52]
	ds_read_b128 v[51:54], v50 offset:320
	s_waitcnt vmcnt(16) lgkmcnt(0)
	v_fma_f64 v[51:52], v[77:78], v[51:52], v[55:56]
	s_waitcnt vmcnt(14)
	v_fma_f64 v[55:56], v[57:58], v[53:54], v[51:52]
	ds_read_b128 v[51:54], v50 offset:336
	;; [unrolled: 5-line block ×4, first 2 shown]
	s_waitcnt vmcnt(4) lgkmcnt(0)
	v_fma_f64 v[50:51], v[69:70], v[50:51], v[54:55]
	s_waitcnt vmcnt(2)
	v_fma_f64 v[50:51], v[67:68], v[52:53], v[50:51]
	s_waitcnt vmcnt(0)
	v_add_f64 v[50:51], v[73:74], -v[50:51]
	buffer_store_dword v51, off, s[0:3], 0 offset:28
	buffer_store_dword v50, off, s[0:3], 0 offset:24
	s_and_saveexec_b64 s[4:5], vcc
	s_cbranch_execz .LBB23_147
; %bb.146:
	buffer_load_dword v50, off, s[0:3], 0 offset:16
	buffer_load_dword v51, off, s[0:3], 0 offset:20
	v_mov_b32_e32 v52, 0
	buffer_store_dword v52, off, s[0:3], 0 offset:16
	buffer_store_dword v52, off, s[0:3], 0 offset:20
	s_waitcnt vmcnt(2)
	ds_write_b64 v49, v[50:51]
.LBB23_147:
	s_or_b64 exec, exec, s[4:5]
	s_waitcnt lgkmcnt(0)
	; wave barrier
	buffer_load_dword v59, off, s[0:3], 0 offset:24
	buffer_load_dword v60, off, s[0:3], 0 offset:28
	;; [unrolled: 1-line block ×21, first 2 shown]
	v_mov_b32_e32 v50, 0
	ds_read2_b64 v[51:54], v50 offset0:27 offset1:28
	ds_read2_b64 v[55:58], v50 offset0:29 offset1:30
	buffer_load_dword v76, off, s[0:3], 0 offset:108
	v_cmp_lt_u32_e32 vcc, 1, v0
	s_waitcnt vmcnt(20) lgkmcnt(1)
	v_fma_f64 v[51:52], v[59:60], v[51:52], 0
	s_waitcnt vmcnt(18)
	v_fma_f64 v[51:52], v[61:62], v[53:54], v[51:52]
	buffer_load_dword v60, off, s[0:3], 0 offset:116
	buffer_load_dword v61, off, s[0:3], 0 offset:136
	;; [unrolled: 1-line block ×7, first 2 shown]
	s_waitcnt vmcnt(23) lgkmcnt(0)
	v_fma_f64 v[51:52], v[63:64], v[55:56], v[51:52]
	s_waitcnt vmcnt(21)
	v_fma_f64 v[62:63], v[65:66], v[57:58], v[51:52]
	ds_read2_b64 v[51:54], v50 offset0:31 offset1:32
	ds_read2_b64 v[55:58], v50 offset0:33 offset1:34
	s_waitcnt vmcnt(19) lgkmcnt(1)
	v_fma_f64 v[51:52], v[67:68], v[51:52], v[62:63]
	buffer_load_dword v62, off, s[0:3], 0 offset:140
	s_waitcnt vmcnt(18)
	v_fma_f64 v[51:52], v[69:70], v[53:54], v[51:52]
	buffer_load_dword v64, off, s[0:3], 0 offset:148
	buffer_load_dword v65, off, s[0:3], 0 offset:168
	;; [unrolled: 1-line block ×7, first 2 shown]
	s_waitcnt vmcnt(23) lgkmcnt(0)
	v_fma_f64 v[51:52], v[71:72], v[55:56], v[51:52]
	s_waitcnt vmcnt(18)
	v_fma_f64 v[71:72], v[73:74], v[57:58], v[51:52]
	ds_read2_b64 v[51:54], v50 offset0:35 offset1:36
	ds_read2_b64 v[55:58], v50 offset0:37 offset1:38
	buffer_load_dword v66, off, s[0:3], 0 offset:172
	s_waitcnt vmcnt(18) lgkmcnt(1)
	v_fma_f64 v[51:52], v[79:80], v[51:52], v[71:72]
	buffer_load_dword v72, off, s[0:3], 0 offset:180
	buffer_load_dword v73, off, s[0:3], 0 offset:184
	;; [unrolled: 1-line block ×4, first 2 shown]
	s_waitcnt vmcnt(21)
	v_fma_f64 v[51:52], v[77:78], v[53:54], v[51:52]
	s_waitcnt vmcnt(20) lgkmcnt(0)
	v_fma_f64 v[51:52], v[75:76], v[55:56], v[51:52]
	buffer_load_dword v75, off, s[0:3], 0 offset:16
	buffer_load_dword v76, off, s[0:3], 0 offset:20
	s_waitcnt vmcnt(17)
	v_fma_f64 v[59:60], v[59:60], v[57:58], v[51:52]
	ds_read2_b64 v[51:54], v50 offset0:39 offset1:40
	ds_read2_b64 v[55:58], v50 offset0:41 offset1:42
	s_waitcnt vmcnt(16) lgkmcnt(1)
	v_fma_f64 v[51:52], v[83:84], v[51:52], v[59:60]
	s_waitcnt vmcnt(15)
	v_fma_f64 v[51:52], v[81:82], v[53:54], v[51:52]
	s_waitcnt vmcnt(14) lgkmcnt(0)
	v_fma_f64 v[51:52], v[61:62], v[55:56], v[51:52]
	s_waitcnt vmcnt(9)
	v_fma_f64 v[59:60], v[63:64], v[57:58], v[51:52]
	ds_read2_b64 v[51:54], v50 offset0:43 offset1:44
	ds_read2_b64 v[55:58], v50 offset0:45 offset1:46
	s_waitcnt vmcnt(8) lgkmcnt(1)
	v_fma_f64 v[51:52], v[69:70], v[51:52], v[59:60]
	s_waitcnt vmcnt(7)
	v_fma_f64 v[51:52], v[67:68], v[53:54], v[51:52]
	ds_read_b64 v[53:54], v50 offset:376
	s_waitcnt vmcnt(6) lgkmcnt(1)
	v_fma_f64 v[51:52], v[65:66], v[55:56], v[51:52]
	s_waitcnt vmcnt(3)
	v_fma_f64 v[51:52], v[71:72], v[57:58], v[51:52]
	s_waitcnt vmcnt(2) lgkmcnt(0)
	v_fma_f64 v[51:52], v[73:74], v[53:54], v[51:52]
	s_waitcnt vmcnt(0)
	v_add_f64 v[51:52], v[75:76], -v[51:52]
	buffer_store_dword v52, off, s[0:3], 0 offset:20
	buffer_store_dword v51, off, s[0:3], 0 offset:16
	s_and_saveexec_b64 s[4:5], vcc
	s_cbranch_execz .LBB23_149
; %bb.148:
	buffer_load_dword v51, off, s[0:3], 0 offset:8
	buffer_load_dword v52, off, s[0:3], 0 offset:12
	s_waitcnt vmcnt(0)
	ds_write_b64 v49, v[51:52]
	buffer_store_dword v50, off, s[0:3], 0 offset:8
	buffer_store_dword v50, off, s[0:3], 0 offset:12
.LBB23_149:
	s_or_b64 exec, exec, s[4:5]
	s_waitcnt lgkmcnt(0)
	; wave barrier
	buffer_load_dword v55, off, s[0:3], 0 offset:16
	buffer_load_dword v56, off, s[0:3], 0 offset:20
	;; [unrolled: 1-line block ×20, first 2 shown]
	ds_read_b128 v[51:54], v50 offset:208
	buffer_load_dword v75, off, s[0:3], 0 offset:96
	buffer_load_dword v76, off, s[0:3], 0 offset:100
	v_cmp_ne_u32_e32 vcc, 0, v0
	s_waitcnt vmcnt(20) lgkmcnt(0)
	v_fma_f64 v[51:52], v[55:56], v[51:52], 0
	buffer_load_dword v56, off, s[0:3], 0 offset:108
	buffer_load_dword v55, off, s[0:3], 0 offset:104
	s_waitcnt vmcnt(20)
	v_fma_f64 v[57:58], v[57:58], v[53:54], v[51:52]
	ds_read_b128 v[51:54], v50 offset:224
	buffer_load_dword v77, off, s[0:3], 0 offset:112
	buffer_load_dword v78, off, s[0:3], 0 offset:116
	s_waitcnt vmcnt(20) lgkmcnt(0)
	v_fma_f64 v[51:52], v[59:60], v[51:52], v[57:58]
	buffer_load_dword v57, off, s[0:3], 0 offset:120
	buffer_load_dword v58, off, s[0:3], 0 offset:124
	s_waitcnt vmcnt(20)
	v_fma_f64 v[59:60], v[61:62], v[53:54], v[51:52]
	ds_read_b128 v[51:54], v50 offset:240
	buffer_load_dword v61, off, s[0:3], 0 offset:128
	buffer_load_dword v62, off, s[0:3], 0 offset:132
	s_waitcnt vmcnt(20) lgkmcnt(0)
	v_fma_f64 v[51:52], v[63:64], v[51:52], v[59:60]
	buffer_load_dword v60, off, s[0:3], 0 offset:140
	buffer_load_dword v59, off, s[0:3], 0 offset:136
	s_waitcnt vmcnt(20)
	v_fma_f64 v[63:64], v[65:66], v[53:54], v[51:52]
	ds_read_b128 v[51:54], v50 offset:256
	buffer_load_dword v65, off, s[0:3], 0 offset:144
	buffer_load_dword v66, off, s[0:3], 0 offset:148
	s_waitcnt vmcnt(20) lgkmcnt(0)
	v_fma_f64 v[51:52], v[67:68], v[51:52], v[63:64]
	buffer_load_dword v63, off, s[0:3], 0 offset:152
	buffer_load_dword v64, off, s[0:3], 0 offset:156
	s_waitcnt vmcnt(20)
	v_fma_f64 v[67:68], v[69:70], v[53:54], v[51:52]
	ds_read_b128 v[51:54], v50 offset:272
	buffer_load_dword v69, off, s[0:3], 0 offset:160
	buffer_load_dword v70, off, s[0:3], 0 offset:164
	s_waitcnt vmcnt(20) lgkmcnt(0)
	v_fma_f64 v[51:52], v[71:72], v[51:52], v[67:68]
	buffer_load_dword v68, off, s[0:3], 0 offset:172
	buffer_load_dword v67, off, s[0:3], 0 offset:168
	s_waitcnt vmcnt(20)
	v_fma_f64 v[71:72], v[73:74], v[53:54], v[51:52]
	ds_read_b128 v[51:54], v50 offset:288
	buffer_load_dword v73, off, s[0:3], 0 offset:176
	buffer_load_dword v74, off, s[0:3], 0 offset:180
	s_waitcnt vmcnt(20) lgkmcnt(0)
	v_fma_f64 v[51:52], v[75:76], v[51:52], v[71:72]
	buffer_load_dword v71, off, s[0:3], 0 offset:184
	buffer_load_dword v72, off, s[0:3], 0 offset:188
	s_waitcnt vmcnt(20)
	v_fma_f64 v[55:56], v[55:56], v[53:54], v[51:52]
	ds_read_b128 v[51:54], v50 offset:304
	buffer_load_dword v75, off, s[0:3], 0 offset:8
	buffer_load_dword v76, off, s[0:3], 0 offset:12
	s_waitcnt vmcnt(20) lgkmcnt(0)
	v_fma_f64 v[51:52], v[77:78], v[51:52], v[55:56]
	s_waitcnt vmcnt(18)
	v_fma_f64 v[55:56], v[57:58], v[53:54], v[51:52]
	ds_read_b128 v[51:54], v50 offset:320
	s_waitcnt vmcnt(16) lgkmcnt(0)
	v_fma_f64 v[51:52], v[61:62], v[51:52], v[55:56]
	s_waitcnt vmcnt(14)
	v_fma_f64 v[55:56], v[59:60], v[53:54], v[51:52]
	ds_read_b128 v[51:54], v50 offset:336
	s_waitcnt vmcnt(12) lgkmcnt(0)
	v_fma_f64 v[51:52], v[65:66], v[51:52], v[55:56]
	s_waitcnt vmcnt(10)
	v_fma_f64 v[55:56], v[63:64], v[53:54], v[51:52]
	ds_read_b128 v[51:54], v50 offset:352
	s_waitcnt vmcnt(8) lgkmcnt(0)
	v_fma_f64 v[51:52], v[69:70], v[51:52], v[55:56]
	s_waitcnt vmcnt(6)
	v_fma_f64 v[54:55], v[67:68], v[53:54], v[51:52]
	ds_read_b128 v[50:53], v50 offset:368
	s_waitcnt vmcnt(4) lgkmcnt(0)
	v_fma_f64 v[50:51], v[73:74], v[50:51], v[54:55]
	s_waitcnt vmcnt(2)
	v_fma_f64 v[50:51], v[71:72], v[52:53], v[50:51]
	s_waitcnt vmcnt(0)
	v_add_f64 v[50:51], v[75:76], -v[50:51]
	buffer_store_dword v51, off, s[0:3], 0 offset:12
	buffer_store_dword v50, off, s[0:3], 0 offset:8
	s_and_saveexec_b64 s[4:5], vcc
	s_cbranch_execz .LBB23_151
; %bb.150:
	buffer_load_dword v50, off, s[0:3], 0
	buffer_load_dword v51, off, s[0:3], 0 offset:4
	v_mov_b32_e32 v0, 0
	buffer_store_dword v0, off, s[0:3], 0
	buffer_store_dword v0, off, s[0:3], 0 offset:4
	s_waitcnt vmcnt(2)
	ds_write_b64 v49, v[50:51]
.LBB23_151:
	s_or_b64 exec, exec, s[4:5]
	s_waitcnt lgkmcnt(0)
	; wave barrier
	buffer_load_dword v57, off, s[0:3], 0 offset:8
	buffer_load_dword v58, off, s[0:3], 0 offset:12
	;; [unrolled: 1-line block ×21, first 2 shown]
	v_mov_b32_e32 v0, 0
	ds_read2_b64 v[49:52], v0 offset0:25 offset1:26
	ds_read2_b64 v[53:56], v0 offset0:27 offset1:28
	buffer_load_dword v74, off, s[0:3], 0 offset:92
	s_and_b64 vcc, exec, s[22:23]
	s_waitcnt vmcnt(20) lgkmcnt(1)
	v_fma_f64 v[49:50], v[57:58], v[49:50], 0
	buffer_load_dword v58, off, s[0:3], 0 offset:100
	buffer_load_dword v79, off, s[0:3], 0 offset:120
	;; [unrolled: 1-line block ×8, first 2 shown]
	s_waitcnt vmcnt(26)
	v_fma_f64 v[49:50], v[59:60], v[51:52], v[49:50]
	s_waitcnt vmcnt(24) lgkmcnt(0)
	v_fma_f64 v[49:50], v[61:62], v[53:54], v[49:50]
	s_waitcnt vmcnt(22)
	v_fma_f64 v[59:60], v[63:64], v[55:56], v[49:50]
	ds_read2_b64 v[49:52], v0 offset0:29 offset1:30
	ds_read2_b64 v[53:56], v0 offset0:31 offset1:32
	s_waitcnt vmcnt(20) lgkmcnt(1)
	v_fma_f64 v[49:50], v[65:66], v[49:50], v[59:60]
	s_waitcnt vmcnt(18)
	v_fma_f64 v[49:50], v[67:68], v[51:52], v[49:50]
	buffer_load_dword v62, off, s[0:3], 0 offset:132
	buffer_load_dword v63, off, s[0:3], 0 offset:152
	buffer_load_dword v65, off, s[0:3], 0 offset:144
	buffer_load_dword v67, off, s[0:3], 0 offset:136
	buffer_load_dword v61, off, s[0:3], 0 offset:128
	buffer_load_dword v68, off, s[0:3], 0 offset:140
	buffer_load_dword v66, off, s[0:3], 0 offset:148
	buffer_load_dword v64, off, s[0:3], 0 offset:156
	s_waitcnt vmcnt(24) lgkmcnt(0)
	v_fma_f64 v[49:50], v[69:70], v[53:54], v[49:50]
	s_waitcnt vmcnt(19)
	v_fma_f64 v[59:60], v[71:72], v[55:56], v[49:50]
	ds_read2_b64 v[49:52], v0 offset0:33 offset1:34
	ds_read2_b64 v[53:56], v0 offset0:35 offset1:36
	s_waitcnt vmcnt(18) lgkmcnt(1)
	v_fma_f64 v[49:50], v[77:78], v[49:50], v[59:60]
	s_waitcnt vmcnt(17)
	v_fma_f64 v[49:50], v[75:76], v[51:52], v[49:50]
	buffer_load_dword v70, off, s[0:3], 0 offset:164
	buffer_load_dword v71, off, s[0:3], 0 offset:184
	;; [unrolled: 1-line block ×8, first 2 shown]
	s_waitcnt vmcnt(24) lgkmcnt(0)
	v_fma_f64 v[49:50], v[73:74], v[53:54], v[49:50]
	s_waitcnt vmcnt(19)
	v_fma_f64 v[49:50], v[57:58], v[55:56], v[49:50]
	ds_read2_b64 v[53:56], v0 offset0:37 offset1:38
	ds_read2_b64 v[57:60], v0 offset0:39 offset1:40
	buffer_load_dword v73, off, s[0:3], 0
	buffer_load_dword v74, off, s[0:3], 0 offset:4
	s_waitcnt vmcnt(20) lgkmcnt(1)
	v_fma_f64 v[49:50], v[83:84], v[53:54], v[49:50]
	s_waitcnt vmcnt(19)
	v_fma_f64 v[49:50], v[81:82], v[55:56], v[49:50]
	s_waitcnt vmcnt(18) lgkmcnt(0)
	v_fma_f64 v[49:50], v[79:80], v[57:58], v[49:50]
	s_waitcnt vmcnt(13)
	v_fma_f64 v[49:50], v[61:62], v[59:60], v[49:50]
	ds_read2_b64 v[53:56], v0 offset0:41 offset1:42
	ds_read2_b64 v[57:60], v0 offset0:43 offset1:44
	s_waitcnt vmcnt(12) lgkmcnt(1)
	v_fma_f64 v[49:50], v[67:68], v[53:54], v[49:50]
	s_waitcnt vmcnt(11)
	v_fma_f64 v[49:50], v[65:66], v[55:56], v[49:50]
	s_waitcnt vmcnt(10) lgkmcnt(0)
	v_fma_f64 v[49:50], v[63:64], v[57:58], v[49:50]
	ds_read2_b64 v[53:56], v0 offset0:45 offset1:46
	ds_read_b64 v[57:58], v0 offset:376
	s_waitcnt vmcnt(5)
	v_fma_f64 v[49:50], v[69:70], v[59:60], v[49:50]
	s_waitcnt vmcnt(4) lgkmcnt(1)
	v_fma_f64 v[49:50], v[75:76], v[53:54], v[49:50]
	s_waitcnt vmcnt(3)
	v_fma_f64 v[49:50], v[51:52], v[55:56], v[49:50]
	s_waitcnt vmcnt(2) lgkmcnt(0)
	v_fma_f64 v[49:50], v[71:72], v[57:58], v[49:50]
	s_waitcnt vmcnt(0)
	v_add_f64 v[49:50], v[73:74], -v[49:50]
	buffer_store_dword v50, off, s[0:3], 0 offset:4
	buffer_store_dword v49, off, s[0:3], 0
	s_cbranch_vccz .LBB23_198
; %bb.152:
	global_load_dword v0, v0, s[20:21] offset:88
	s_waitcnt vmcnt(0)
	v_add_u32_e32 v0, -1, v0
	v_cmp_ne_u32_e32 vcc, 22, v0
	s_cbranch_vccz .LBB23_154
; %bb.153:
	v_lshlrev_b32_e32 v0, 3, v0
	buffer_load_dword v49, v0, s[0:3], 0 offen offset:4
	buffer_load_dword v50, v0, s[0:3], 0 offen
	s_waitcnt vmcnt(1)
	buffer_store_dword v49, off, s[0:3], 0 offset:180
	s_waitcnt vmcnt(1)
	buffer_store_dword v50, off, s[0:3], 0 offset:176
	buffer_store_dword v52, v0, s[0:3], 0 offen offset:4
	buffer_store_dword v51, v0, s[0:3], 0 offen
.LBB23_154:
	v_mov_b32_e32 v0, 0
	global_load_dword v49, v0, s[20:21] offset:84
	s_waitcnt vmcnt(0)
	v_add_u32_e32 v49, -1, v49
	v_cmp_eq_u32_e32 vcc, 21, v49
	s_cbranch_vccnz .LBB23_156
; %bb.155:
	v_lshlrev_b32_e32 v49, 3, v49
	buffer_load_dword v50, v49, s[0:3], 0 offen
	buffer_load_dword v51, v49, s[0:3], 0 offen offset:4
	buffer_load_dword v52, off, s[0:3], 0 offset:168
	buffer_load_dword v53, off, s[0:3], 0 offset:172
	s_waitcnt vmcnt(3)
	buffer_store_dword v50, off, s[0:3], 0 offset:168
	s_waitcnt vmcnt(3)
	buffer_store_dword v51, off, s[0:3], 0 offset:172
	s_waitcnt vmcnt(3)
	buffer_store_dword v52, v49, s[0:3], 0 offen
	s_waitcnt vmcnt(3)
	buffer_store_dword v53, v49, s[0:3], 0 offen offset:4
.LBB23_156:
	global_load_dword v0, v0, s[20:21] offset:80
	s_waitcnt vmcnt(0)
	v_add_u32_e32 v0, -1, v0
	v_cmp_eq_u32_e32 vcc, 20, v0
	s_cbranch_vccnz .LBB23_158
; %bb.157:
	v_lshlrev_b32_e32 v0, 3, v0
	buffer_load_dword v49, v0, s[0:3], 0 offen
	buffer_load_dword v50, v0, s[0:3], 0 offen offset:4
	buffer_load_dword v51, off, s[0:3], 0 offset:164
	buffer_load_dword v52, off, s[0:3], 0 offset:160
	s_waitcnt vmcnt(3)
	buffer_store_dword v49, off, s[0:3], 0 offset:160
	s_waitcnt vmcnt(3)
	buffer_store_dword v50, off, s[0:3], 0 offset:164
	s_waitcnt vmcnt(3)
	buffer_store_dword v51, v0, s[0:3], 0 offen offset:4
	s_waitcnt vmcnt(3)
	buffer_store_dword v52, v0, s[0:3], 0 offen
.LBB23_158:
	v_mov_b32_e32 v0, 0
	global_load_dword v49, v0, s[20:21] offset:76
	s_waitcnt vmcnt(0)
	v_add_u32_e32 v49, -1, v49
	v_cmp_eq_u32_e32 vcc, 19, v49
	s_cbranch_vccnz .LBB23_160
; %bb.159:
	v_lshlrev_b32_e32 v49, 3, v49
	buffer_load_dword v50, v49, s[0:3], 0 offen
	buffer_load_dword v51, v49, s[0:3], 0 offen offset:4
	buffer_load_dword v52, off, s[0:3], 0 offset:152
	buffer_load_dword v53, off, s[0:3], 0 offset:156
	s_waitcnt vmcnt(3)
	buffer_store_dword v50, off, s[0:3], 0 offset:152
	s_waitcnt vmcnt(3)
	buffer_store_dword v51, off, s[0:3], 0 offset:156
	s_waitcnt vmcnt(3)
	buffer_store_dword v52, v49, s[0:3], 0 offen
	s_waitcnt vmcnt(3)
	buffer_store_dword v53, v49, s[0:3], 0 offen offset:4
.LBB23_160:
	global_load_dword v0, v0, s[20:21] offset:72
	s_waitcnt vmcnt(0)
	v_add_u32_e32 v0, -1, v0
	v_cmp_eq_u32_e32 vcc, 18, v0
	s_cbranch_vccnz .LBB23_162
; %bb.161:
	v_lshlrev_b32_e32 v0, 3, v0
	buffer_load_dword v49, v0, s[0:3], 0 offen
	buffer_load_dword v50, v0, s[0:3], 0 offen offset:4
	buffer_load_dword v51, off, s[0:3], 0 offset:148
	buffer_load_dword v52, off, s[0:3], 0 offset:144
	s_waitcnt vmcnt(3)
	buffer_store_dword v49, off, s[0:3], 0 offset:144
	s_waitcnt vmcnt(3)
	buffer_store_dword v50, off, s[0:3], 0 offset:148
	s_waitcnt vmcnt(3)
	buffer_store_dword v51, v0, s[0:3], 0 offen offset:4
	s_waitcnt vmcnt(3)
	buffer_store_dword v52, v0, s[0:3], 0 offen
.LBB23_162:
	;; [unrolled: 41-line block ×10, first 2 shown]
	v_mov_b32_e32 v0, 0
	global_load_dword v49, v0, s[20:21] offset:4
	s_waitcnt vmcnt(0)
	v_add_u32_e32 v49, -1, v49
	v_cmp_eq_u32_e32 vcc, 1, v49
	s_cbranch_vccnz .LBB23_196
; %bb.195:
	v_lshlrev_b32_e32 v49, 3, v49
	buffer_load_dword v50, v49, s[0:3], 0 offen
	buffer_load_dword v51, v49, s[0:3], 0 offen offset:4
	buffer_load_dword v52, off, s[0:3], 0 offset:8
	buffer_load_dword v53, off, s[0:3], 0 offset:12
	s_waitcnt vmcnt(3)
	buffer_store_dword v50, off, s[0:3], 0 offset:8
	s_waitcnt vmcnt(3)
	buffer_store_dword v51, off, s[0:3], 0 offset:12
	s_waitcnt vmcnt(3)
	buffer_store_dword v52, v49, s[0:3], 0 offen
	s_waitcnt vmcnt(3)
	buffer_store_dword v53, v49, s[0:3], 0 offen offset:4
.LBB23_196:
	global_load_dword v0, v0, s[20:21]
	s_nop 0
	buffer_load_dword v49, off, s[0:3], 0
	buffer_load_dword v50, off, s[0:3], 0 offset:4
	s_waitcnt vmcnt(2)
	v_add_u32_e32 v0, -1, v0
	v_cmp_eq_u32_e32 vcc, 0, v0
	s_cbranch_vccnz .LBB23_198
; %bb.197:
	v_lshlrev_b32_e32 v0, 3, v0
	buffer_load_dword v51, v0, s[0:3], 0 offen offset:4
	buffer_load_dword v52, v0, s[0:3], 0 offen
	s_waitcnt vmcnt(1)
	buffer_store_dword v51, off, s[0:3], 0 offset:4
	s_waitcnt vmcnt(1)
	buffer_store_dword v52, off, s[0:3], 0
	buffer_store_dword v50, v0, s[0:3], 0 offen offset:4
	buffer_store_dword v49, v0, s[0:3], 0 offen
	buffer_load_dword v49, off, s[0:3], 0
	s_nop 0
	buffer_load_dword v50, off, s[0:3], 0 offset:4
.LBB23_198:
	buffer_load_dword v51, off, s[0:3], 0 offset:8
	buffer_load_dword v52, off, s[0:3], 0 offset:12
	;; [unrolled: 1-line block ×16, first 2 shown]
	s_waitcnt vmcnt(16)
	global_store_dwordx2 v[39:40], v[49:50], off
	buffer_load_dword v39, off, s[0:3], 0 offset:72
	s_nop 0
	buffer_load_dword v40, off, s[0:3], 0 offset:76
	buffer_load_dword v49, off, s[0:3], 0 offset:80
	buffer_load_dword v50, off, s[0:3], 0 offset:84
	buffer_load_dword v67, off, s[0:3], 0 offset:88
	buffer_load_dword v68, off, s[0:3], 0 offset:92
	buffer_load_dword v69, off, s[0:3], 0 offset:96
	buffer_load_dword v70, off, s[0:3], 0 offset:100
	buffer_load_dword v71, off, s[0:3], 0 offset:104
	buffer_load_dword v72, off, s[0:3], 0 offset:108
	buffer_load_dword v73, off, s[0:3], 0 offset:112
	buffer_load_dword v74, off, s[0:3], 0 offset:116
	buffer_load_dword v75, off, s[0:3], 0 offset:120
	buffer_load_dword v76, off, s[0:3], 0 offset:124
	buffer_load_dword v77, off, s[0:3], 0 offset:128
	buffer_load_dword v78, off, s[0:3], 0 offset:132
	s_waitcnt vmcnt(31)
	global_store_dwordx2 v[33:34], v[51:52], off
	s_waitcnt vmcnt(30)
	global_store_dwordx2 v[1:2], v[53:54], off
	buffer_load_dword v0, off, s[0:3], 0 offset:136
	s_nop 0
	buffer_load_dword v1, off, s[0:3], 0 offset:140
	buffer_load_dword v33, off, s[0:3], 0 offset:144
	;; [unrolled: 1-line block ×7, first 2 shown]
	s_waitcnt vmcnt(37)
	global_store_dwordx2 v[3:4], v[55:56], off
	buffer_load_dword v2, off, s[0:3], 0 offset:168
	s_nop 0
	buffer_load_dword v3, off, s[0:3], 0 offset:172
	buffer_load_dword v55, off, s[0:3], 0 offset:176
	;; [unrolled: 1-line block ×5, first 2 shown]
	s_waitcnt vmcnt(42)
	global_store_dwordx2 v[5:6], v[57:58], off
	s_waitcnt vmcnt(41)
	global_store_dwordx2 v[7:8], v[59:60], off
	;; [unrolled: 2-line block ×20, first 2 shown]
	s_endpgm
	.section	.rodata,"a",@progbits
	.p2align	6, 0x0
	.amdhsa_kernel _ZN9rocsolver6v33100L18getri_kernel_smallILi24EdPdEEvT1_iilPiilS4_bb
		.amdhsa_group_segment_fixed_size 392
		.amdhsa_private_segment_fixed_size 208
		.amdhsa_kernarg_size 60
		.amdhsa_user_sgpr_count 6
		.amdhsa_user_sgpr_private_segment_buffer 1
		.amdhsa_user_sgpr_dispatch_ptr 0
		.amdhsa_user_sgpr_queue_ptr 0
		.amdhsa_user_sgpr_kernarg_segment_ptr 1
		.amdhsa_user_sgpr_dispatch_id 0
		.amdhsa_user_sgpr_flat_scratch_init 0
		.amdhsa_user_sgpr_private_segment_size 0
		.amdhsa_uses_dynamic_stack 0
		.amdhsa_system_sgpr_private_segment_wavefront_offset 1
		.amdhsa_system_sgpr_workgroup_id_x 1
		.amdhsa_system_sgpr_workgroup_id_y 0
		.amdhsa_system_sgpr_workgroup_id_z 0
		.amdhsa_system_sgpr_workgroup_info 0
		.amdhsa_system_vgpr_workitem_id 0
		.amdhsa_next_free_vgpr 85
		.amdhsa_next_free_sgpr 24
		.amdhsa_reserve_vcc 1
		.amdhsa_reserve_flat_scratch 0
		.amdhsa_float_round_mode_32 0
		.amdhsa_float_round_mode_16_64 0
		.amdhsa_float_denorm_mode_32 3
		.amdhsa_float_denorm_mode_16_64 3
		.amdhsa_dx10_clamp 1
		.amdhsa_ieee_mode 1
		.amdhsa_fp16_overflow 0
		.amdhsa_exception_fp_ieee_invalid_op 0
		.amdhsa_exception_fp_denorm_src 0
		.amdhsa_exception_fp_ieee_div_zero 0
		.amdhsa_exception_fp_ieee_overflow 0
		.amdhsa_exception_fp_ieee_underflow 0
		.amdhsa_exception_fp_ieee_inexact 0
		.amdhsa_exception_int_div_zero 0
	.end_amdhsa_kernel
	.section	.text._ZN9rocsolver6v33100L18getri_kernel_smallILi24EdPdEEvT1_iilPiilS4_bb,"axG",@progbits,_ZN9rocsolver6v33100L18getri_kernel_smallILi24EdPdEEvT1_iilPiilS4_bb,comdat
.Lfunc_end23:
	.size	_ZN9rocsolver6v33100L18getri_kernel_smallILi24EdPdEEvT1_iilPiilS4_bb, .Lfunc_end23-_ZN9rocsolver6v33100L18getri_kernel_smallILi24EdPdEEvT1_iilPiilS4_bb
                                        ; -- End function
	.set _ZN9rocsolver6v33100L18getri_kernel_smallILi24EdPdEEvT1_iilPiilS4_bb.num_vgpr, 85
	.set _ZN9rocsolver6v33100L18getri_kernel_smallILi24EdPdEEvT1_iilPiilS4_bb.num_agpr, 0
	.set _ZN9rocsolver6v33100L18getri_kernel_smallILi24EdPdEEvT1_iilPiilS4_bb.numbered_sgpr, 24
	.set _ZN9rocsolver6v33100L18getri_kernel_smallILi24EdPdEEvT1_iilPiilS4_bb.num_named_barrier, 0
	.set _ZN9rocsolver6v33100L18getri_kernel_smallILi24EdPdEEvT1_iilPiilS4_bb.private_seg_size, 208
	.set _ZN9rocsolver6v33100L18getri_kernel_smallILi24EdPdEEvT1_iilPiilS4_bb.uses_vcc, 1
	.set _ZN9rocsolver6v33100L18getri_kernel_smallILi24EdPdEEvT1_iilPiilS4_bb.uses_flat_scratch, 0
	.set _ZN9rocsolver6v33100L18getri_kernel_smallILi24EdPdEEvT1_iilPiilS4_bb.has_dyn_sized_stack, 0
	.set _ZN9rocsolver6v33100L18getri_kernel_smallILi24EdPdEEvT1_iilPiilS4_bb.has_recursion, 0
	.set _ZN9rocsolver6v33100L18getri_kernel_smallILi24EdPdEEvT1_iilPiilS4_bb.has_indirect_call, 0
	.section	.AMDGPU.csdata,"",@progbits
; Kernel info:
; codeLenInByte = 20792
; TotalNumSgprs: 28
; NumVgprs: 85
; ScratchSize: 208
; MemoryBound: 0
; FloatMode: 240
; IeeeMode: 1
; LDSByteSize: 392 bytes/workgroup (compile time only)
; SGPRBlocks: 3
; VGPRBlocks: 21
; NumSGPRsForWavesPerEU: 28
; NumVGPRsForWavesPerEU: 85
; Occupancy: 2
; WaveLimiterHint : 1
; COMPUTE_PGM_RSRC2:SCRATCH_EN: 1
; COMPUTE_PGM_RSRC2:USER_SGPR: 6
; COMPUTE_PGM_RSRC2:TRAP_HANDLER: 0
; COMPUTE_PGM_RSRC2:TGID_X_EN: 1
; COMPUTE_PGM_RSRC2:TGID_Y_EN: 0
; COMPUTE_PGM_RSRC2:TGID_Z_EN: 0
; COMPUTE_PGM_RSRC2:TIDIG_COMP_CNT: 0
	.section	.text._ZN9rocsolver6v33100L18getri_kernel_smallILi25EdPdEEvT1_iilPiilS4_bb,"axG",@progbits,_ZN9rocsolver6v33100L18getri_kernel_smallILi25EdPdEEvT1_iilPiilS4_bb,comdat
	.globl	_ZN9rocsolver6v33100L18getri_kernel_smallILi25EdPdEEvT1_iilPiilS4_bb ; -- Begin function _ZN9rocsolver6v33100L18getri_kernel_smallILi25EdPdEEvT1_iilPiilS4_bb
	.p2align	8
	.type	_ZN9rocsolver6v33100L18getri_kernel_smallILi25EdPdEEvT1_iilPiilS4_bb,@function
_ZN9rocsolver6v33100L18getri_kernel_smallILi25EdPdEEvT1_iilPiilS4_bb: ; @_ZN9rocsolver6v33100L18getri_kernel_smallILi25EdPdEEvT1_iilPiilS4_bb
; %bb.0:
	s_add_u32 s0, s0, s7
	s_addc_u32 s1, s1, 0
	v_cmp_gt_u32_e32 vcc, 25, v0
	s_and_saveexec_b64 s[8:9], vcc
	s_cbranch_execz .LBB24_108
; %bb.1:
	s_load_dword s12, s[4:5], 0x38
	s_load_dwordx4 s[16:19], s[4:5], 0x10
	s_load_dwordx4 s[8:11], s[4:5], 0x28
                                        ; implicit-def: $sgpr20_sgpr21
	s_waitcnt lgkmcnt(0)
	s_bitcmp1_b32 s12, 8
	s_cselect_b64 s[22:23], -1, 0
	s_ashr_i32 s7, s6, 31
	s_bfe_u32 s12, s12, 0x10008
	s_cmp_eq_u32 s12, 0
	s_cbranch_scc1 .LBB24_3
; %bb.2:
	s_load_dword s12, s[4:5], 0x20
	s_mul_i32 s13, s8, s7
	s_mul_hi_u32 s14, s8, s6
	s_mul_i32 s9, s9, s6
	s_add_i32 s14, s14, s13
	s_add_i32 s9, s14, s9
	s_mul_i32 s8, s8, s6
	s_waitcnt lgkmcnt(0)
	s_ashr_i32 s13, s12, 31
	s_lshl_b64 s[8:9], s[8:9], 2
	s_add_u32 s14, s18, s8
	s_addc_u32 s15, s19, s9
	s_lshl_b64 s[8:9], s[12:13], 2
	s_add_u32 s20, s14, s8
	s_addc_u32 s21, s15, s9
.LBB24_3:
	s_load_dwordx4 s[12:15], s[4:5], 0x0
	s_load_dword s8, s[4:5], 0x38
	s_mul_i32 s9, s16, s7
	s_mul_hi_u32 s18, s16, s6
	s_add_i32 s9, s18, s9
	s_waitcnt lgkmcnt(0)
	s_ashr_i32 s5, s14, 31
	s_mov_b32 s4, s14
	s_mul_i32 s14, s17, s6
	s_add_i32 s17, s9, s14
	s_mul_i32 s16, s16, s6
	s_lshl_b64 s[16:17], s[16:17], 3
	s_add_u32 s9, s12, s16
	s_addc_u32 s12, s13, s17
	s_lshl_b64 s[4:5], s[4:5], 3
	s_add_u32 s4, s9, s4
	s_addc_u32 s5, s12, s5
	s_add_i32 s9, s15, s15
	v_add_u32_e32 v3, s9, v0
	v_ashrrev_i32_e32 v4, 31, v3
	v_lshlrev_b64 v[1:2], 3, v[3:4]
	v_add_u32_e32 v5, s15, v3
	v_mov_b32_e32 v4, s5
	v_add_co_u32_e32 v1, vcc, s4, v1
	v_ashrrev_i32_e32 v6, 31, v5
	v_addc_co_u32_e32 v2, vcc, v4, v2, vcc
	v_lshlrev_b64 v[3:4], 3, v[5:6]
	v_add_u32_e32 v7, s15, v5
	v_mov_b32_e32 v6, s5
	v_add_co_u32_e32 v3, vcc, s4, v3
	v_ashrrev_i32_e32 v8, 31, v7
	v_addc_co_u32_e32 v4, vcc, v6, v4, vcc
	;; [unrolled: 6-line block ×8, first 2 shown]
	v_lshlrev_b64 v[17:18], 3, v[19:20]
	v_mov_b32_e32 v21, s5
	v_add_co_u32_e32 v17, vcc, s4, v17
	v_addc_co_u32_e32 v18, vcc, v21, v18, vcc
	v_add_u32_e32 v21, s15, v19
	v_ashrrev_i32_e32 v22, 31, v21
	v_lshlrev_b64 v[19:20], 3, v[21:22]
	v_mov_b32_e32 v23, s5
	v_add_co_u32_e32 v19, vcc, s4, v19
	v_addc_co_u32_e32 v20, vcc, v23, v20, vcc
	v_add_u32_e32 v23, s15, v21
	v_ashrrev_i32_e32 v24, 31, v23
	;; [unrolled: 6-line block ×6, first 2 shown]
	v_lshlrev_b32_e32 v53, 3, v0
	v_lshlrev_b64 v[29:30], 3, v[31:32]
	v_mov_b32_e32 v32, s5
	v_add_co_u32_e32 v39, vcc, s4, v53
	s_ashr_i32 s13, s15, 31
	s_mov_b32 s12, s15
	v_addc_co_u32_e32 v40, vcc, 0, v32, vcc
	s_lshl_b64 s[12:13], s[12:13], 3
	v_mov_b32_e32 v32, s13
	v_add_co_u32_e32 v33, vcc, s12, v39
	v_addc_co_u32_e32 v34, vcc, v40, v32, vcc
	global_load_dwordx2 v[51:52], v53, s[4:5]
	global_load_dwordx2 v[54:55], v[33:34], off
	global_load_dwordx2 v[56:57], v[1:2], off
	;; [unrolled: 1-line block ×10, first 2 shown]
	v_mov_b32_e32 v35, s5
	v_add_co_u32_e32 v29, vcc, s4, v29
	v_addc_co_u32_e32 v30, vcc, v35, v30, vcc
	v_add_u32_e32 v35, s15, v31
	v_ashrrev_i32_e32 v36, 31, v35
	v_lshlrev_b64 v[31:32], 3, v[35:36]
	v_mov_b32_e32 v37, s5
	v_add_co_u32_e32 v31, vcc, s4, v31
	v_addc_co_u32_e32 v32, vcc, v37, v32, vcc
	v_add_u32_e32 v37, s15, v35
	v_ashrrev_i32_e32 v38, 31, v37
	v_lshlrev_b64 v[35:36], 3, v[37:38]
	v_mov_b32_e32 v41, s5
	v_add_co_u32_e32 v35, vcc, s4, v35
	v_addc_co_u32_e32 v36, vcc, v41, v36, vcc
	v_add_u32_e32 v41, s15, v37
	v_ashrrev_i32_e32 v42, 31, v41
	v_lshlrev_b64 v[37:38], 3, v[41:42]
	v_mov_b32_e32 v43, s5
	v_add_co_u32_e32 v37, vcc, s4, v37
	v_addc_co_u32_e32 v38, vcc, v43, v38, vcc
	v_add_u32_e32 v43, s15, v41
	v_ashrrev_i32_e32 v44, 31, v43
	v_lshlrev_b64 v[41:42], 3, v[43:44]
	v_mov_b32_e32 v45, s5
	v_add_co_u32_e32 v41, vcc, s4, v41
	v_addc_co_u32_e32 v42, vcc, v45, v42, vcc
	v_add_u32_e32 v45, s15, v43
	s_waitcnt vmcnt(10)
	buffer_store_dword v52, off, s[0:3], 0 offset:4
	buffer_store_dword v51, off, s[0:3], 0
	s_waitcnt vmcnt(11)
	buffer_store_dword v55, off, s[0:3], 0 offset:12
	buffer_store_dword v54, off, s[0:3], 0 offset:8
	s_waitcnt vmcnt(12)
	buffer_store_dword v57, off, s[0:3], 0 offset:20
	buffer_store_dword v56, off, s[0:3], 0 offset:16
	;; [unrolled: 3-line block ×3, first 2 shown]
	s_waitcnt vmcnt(14)
	buffer_store_dword v61, off, s[0:3], 0 offset:36
	v_ashrrev_i32_e32 v46, 31, v45
	global_load_dwordx2 v[51:52], v[19:20], off
	global_load_dwordx2 v[54:55], v[21:22], off
	;; [unrolled: 1-line block ×4, first 2 shown]
	v_lshlrev_b64 v[43:44], 3, v[45:46]
	v_mov_b32_e32 v47, s5
	v_add_co_u32_e32 v43, vcc, s4, v43
	v_addc_co_u32_e32 v44, vcc, v47, v44, vcc
	v_add_u32_e32 v47, s15, v45
	v_ashrrev_i32_e32 v48, 31, v47
	v_lshlrev_b64 v[45:46], 3, v[47:48]
	v_mov_b32_e32 v49, s5
	v_add_co_u32_e32 v45, vcc, s4, v45
	buffer_store_dword v60, off, s[0:3], 0 offset:32
	global_load_dwordx2 v[60:61], v[27:28], off
	v_addc_co_u32_e32 v46, vcc, v49, v46, vcc
	v_add_u32_e32 v49, s15, v47
	v_ashrrev_i32_e32 v50, 31, v49
	s_waitcnt vmcnt(20)
	buffer_store_dword v63, off, s[0:3], 0 offset:44
	buffer_store_dword v62, off, s[0:3], 0 offset:40
	global_load_dwordx2 v[62:63], v[29:30], off
	v_lshlrev_b64 v[47:48], 3, v[49:50]
	v_add_u32_e32 v49, s15, v49
	v_ashrrev_i32_e32 v50, 31, v49
	s_waitcnt vmcnt(22)
	buffer_store_dword v65, off, s[0:3], 0 offset:52
	buffer_store_dword v64, off, s[0:3], 0 offset:48
	global_load_dwordx2 v[64:65], v[31:32], off
	v_mov_b32_e32 v74, s5
	v_add_co_u32_e32 v47, vcc, s4, v47
	v_lshlrev_b64 v[49:50], 3, v[49:50]
	v_addc_co_u32_e32 v48, vcc, v74, v48, vcc
	s_waitcnt vmcnt(24)
	buffer_store_dword v67, off, s[0:3], 0 offset:60
	buffer_store_dword v66, off, s[0:3], 0 offset:56
	global_load_dwordx2 v[66:67], v[35:36], off
	v_add_co_u32_e32 v49, vcc, s4, v49
	v_addc_co_u32_e32 v50, vcc, v74, v50, vcc
	global_load_dwordx2 v[74:75], v[37:38], off
	global_load_dwordx2 v[76:77], v[43:44], off
	;; [unrolled: 1-line block ×3, first 2 shown]
	s_bitcmp0_b32 s8, 0
	s_waitcnt vmcnt(29)
	buffer_store_dword v69, off, s[0:3], 0 offset:68
	buffer_store_dword v68, off, s[0:3], 0 offset:64
	global_load_dwordx2 v[68:69], v[41:42], off
	s_mov_b64 s[8:9], -1
	s_waitcnt vmcnt(31)
	buffer_store_dword v70, off, s[0:3], 0 offset:72
	buffer_store_dword v71, off, s[0:3], 0 offset:76
	global_load_dwordx2 v[70:71], v[45:46], off
	s_waitcnt vmcnt(33)
	buffer_store_dword v72, off, s[0:3], 0 offset:80
	buffer_store_dword v73, off, s[0:3], 0 offset:84
	global_load_dwordx2 v[72:73], v[49:50], off
	s_waitcnt vmcnt(26)
	buffer_store_dword v51, off, s[0:3], 0 offset:88
	buffer_store_dword v52, off, s[0:3], 0 offset:92
	s_waitcnt vmcnt(27)
	buffer_store_dword v54, off, s[0:3], 0 offset:96
	buffer_store_dword v55, off, s[0:3], 0 offset:100
	s_waitcnt vmcnt(28)
	buffer_store_dword v56, off, s[0:3], 0 offset:104
	buffer_store_dword v57, off, s[0:3], 0 offset:108
	s_waitcnt vmcnt(29)
	buffer_store_dword v59, off, s[0:3], 0 offset:116
	buffer_store_dword v58, off, s[0:3], 0 offset:112
	s_waitcnt vmcnt(29)
	buffer_store_dword v60, off, s[0:3], 0 offset:120
	buffer_store_dword v61, off, s[0:3], 0 offset:124
	s_waitcnt vmcnt(28)
	buffer_store_dword v62, off, s[0:3], 0 offset:128
	buffer_store_dword v63, off, s[0:3], 0 offset:132
	s_waitcnt vmcnt(27)
	buffer_store_dword v64, off, s[0:3], 0 offset:136
	buffer_store_dword v65, off, s[0:3], 0 offset:140
	s_waitcnt vmcnt(26)
	buffer_store_dword v66, off, s[0:3], 0 offset:144
	buffer_store_dword v67, off, s[0:3], 0 offset:148
	s_waitcnt vmcnt(27)
	buffer_store_dword v75, off, s[0:3], 0 offset:156
	buffer_store_dword v74, off, s[0:3], 0 offset:152
	s_waitcnt vmcnt(24)
	buffer_store_dword v69, off, s[0:3], 0 offset:164
	buffer_store_dword v68, off, s[0:3], 0 offset:160
	buffer_store_dword v76, off, s[0:3], 0 offset:168
	buffer_store_dword v77, off, s[0:3], 0 offset:172
	s_waitcnt vmcnt(25)
	buffer_store_dword v70, off, s[0:3], 0 offset:176
	buffer_store_dword v71, off, s[0:3], 0 offset:180
	buffer_store_dword v78, off, s[0:3], 0 offset:184
	buffer_store_dword v79, off, s[0:3], 0 offset:188
	s_waitcnt vmcnt(26)
	buffer_store_dword v72, off, s[0:3], 0 offset:192
	buffer_store_dword v73, off, s[0:3], 0 offset:196
	s_cbranch_scc1 .LBB24_106
; %bb.4:
	v_cmp_eq_u32_e64 s[4:5], 0, v0
	s_and_saveexec_b64 s[8:9], s[4:5]
; %bb.5:
	v_mov_b32_e32 v51, 0
	ds_write_b32 v51, v51 offset:200
; %bb.6:
	s_or_b64 exec, exec, s[8:9]
	v_mov_b32_e32 v51, 0
	v_lshl_add_u32 v51, v0, 3, v51
	s_waitcnt lgkmcnt(0)
	; wave barrier
	buffer_load_dword v54, v51, s[0:3], 0 offen
	buffer_load_dword v55, v51, s[0:3], 0 offen offset:4
	s_waitcnt vmcnt(0)
	v_cmp_eq_f64_e32 vcc, 0, v[54:55]
	s_and_saveexec_b64 s[12:13], vcc
	s_cbranch_execz .LBB24_10
; %bb.7:
	v_mov_b32_e32 v52, 0
	ds_read_b32 v55, v52 offset:200
	v_add_u32_e32 v54, 1, v0
	s_waitcnt lgkmcnt(0)
	v_readfirstlane_b32 s8, v55
	s_cmp_eq_u32 s8, 0
	s_cselect_b64 s[14:15], -1, 0
	v_cmp_gt_i32_e32 vcc, s8, v54
	s_or_b64 s[14:15], s[14:15], vcc
	s_and_b64 exec, exec, s[14:15]
	s_cbranch_execz .LBB24_10
; %bb.8:
	s_mov_b64 s[14:15], 0
	v_mov_b32_e32 v55, s8
.LBB24_9:                               ; =>This Inner Loop Header: Depth=1
	ds_cmpst_rtn_b32 v55, v52, v55, v54 offset:200
	s_waitcnt lgkmcnt(0)
	v_cmp_ne_u32_e32 vcc, 0, v55
	v_cmp_le_i32_e64 s[8:9], v55, v54
	s_and_b64 s[8:9], vcc, s[8:9]
	s_and_b64 s[8:9], exec, s[8:9]
	s_or_b64 s[14:15], s[8:9], s[14:15]
	s_andn2_b64 exec, exec, s[14:15]
	s_cbranch_execnz .LBB24_9
.LBB24_10:
	s_or_b64 exec, exec, s[12:13]
	v_mov_b32_e32 v54, 0
	; wave barrier
	ds_read_b32 v52, v54 offset:200
	s_and_saveexec_b64 s[8:9], s[4:5]
	s_cbranch_execz .LBB24_12
; %bb.11:
	s_lshl_b64 s[12:13], s[6:7], 2
	s_add_u32 s12, s10, s12
	s_addc_u32 s13, s11, s13
	s_waitcnt lgkmcnt(0)
	global_store_dword v54, v52, s[12:13]
.LBB24_12:
	s_or_b64 exec, exec, s[8:9]
	s_waitcnt lgkmcnt(0)
	v_cmp_ne_u32_e32 vcc, 0, v52
	s_mov_b64 s[8:9], 0
	s_cbranch_vccnz .LBB24_106
; %bb.13:
	buffer_load_dword v54, v51, s[0:3], 0 offen
	buffer_load_dword v55, v51, s[0:3], 0 offen offset:4
	s_waitcnt vmcnt(0)
	v_div_scale_f64 v[56:57], s[8:9], v[54:55], v[54:55], 1.0
	v_rcp_f64_e32 v[58:59], v[56:57]
	v_fma_f64 v[60:61], -v[56:57], v[58:59], 1.0
	v_fma_f64 v[58:59], v[58:59], v[60:61], v[58:59]
	v_div_scale_f64 v[60:61], vcc, 1.0, v[54:55], 1.0
	v_fma_f64 v[62:63], -v[56:57], v[58:59], 1.0
	v_fma_f64 v[58:59], v[58:59], v[62:63], v[58:59]
	v_mul_f64 v[62:63], v[60:61], v[58:59]
	v_fma_f64 v[56:57], -v[56:57], v[62:63], v[60:61]
	v_div_fmas_f64 v[56:57], v[56:57], v[58:59], v[62:63]
	v_div_fixup_f64 v[55:56], v[56:57], v[54:55], 1.0
	v_add_u32_e32 v54, 0xd0, v53
	buffer_store_dword v56, v51, s[0:3], 0 offen offset:4
	buffer_store_dword v55, v51, s[0:3], 0 offen
	buffer_load_dword v58, off, s[0:3], 0 offset:12
	buffer_load_dword v57, off, s[0:3], 0 offset:8
	v_xor_b32_e32 v56, 0x80000000, v56
	s_waitcnt vmcnt(0)
	ds_write2_b64 v53, v[55:56], v[57:58] offset1:26
	s_waitcnt lgkmcnt(0)
	; wave barrier
	s_and_saveexec_b64 s[8:9], s[4:5]
	s_cbranch_execz .LBB24_15
; %bb.14:
	buffer_load_dword v55, v51, s[0:3], 0 offen
	buffer_load_dword v56, v51, s[0:3], 0 offen offset:4
	ds_read_b64 v[57:58], v54
	v_mov_b32_e32 v52, 0
	ds_read_b64 v[59:60], v52 offset:8
	s_waitcnt vmcnt(0) lgkmcnt(1)
	v_fma_f64 v[55:56], v[55:56], v[57:58], 0
	s_waitcnt lgkmcnt(0)
	v_mul_f64 v[55:56], v[55:56], v[59:60]
	buffer_store_dword v55, off, s[0:3], 0 offset:8
	buffer_store_dword v56, off, s[0:3], 0 offset:12
.LBB24_15:
	s_or_b64 exec, exec, s[8:9]
	; wave barrier
	buffer_load_dword v55, off, s[0:3], 0 offset:16
	buffer_load_dword v56, off, s[0:3], 0 offset:20
	v_cmp_gt_u32_e32 vcc, 2, v0
	s_waitcnt vmcnt(0)
	ds_write_b64 v54, v[55:56]
	s_waitcnt lgkmcnt(0)
	; wave barrier
	s_and_saveexec_b64 s[8:9], vcc
	s_cbranch_execz .LBB24_17
; %bb.16:
	buffer_load_dword v55, v51, s[0:3], 0 offen
	buffer_load_dword v56, v51, s[0:3], 0 offen offset:4
                                        ; kill: killed $vgpr51
	s_nop 0
	buffer_load_dword v51, off, s[0:3], 0 offset:8
	buffer_load_dword v52, off, s[0:3], 0 offset:12
	ds_read_b64 v[57:58], v54
	s_waitcnt vmcnt(2) lgkmcnt(0)
	v_fma_f64 v[59:60], v[55:56], v[57:58], 0
	v_mov_b32_e32 v55, 0
	ds_read2_b64 v[55:58], v55 offset0:2 offset1:27
	s_waitcnt vmcnt(0) lgkmcnt(0)
	v_fma_f64 v[51:52], v[51:52], v[57:58], v[59:60]
	v_cndmask_b32_e64 v52, v60, v52, s[4:5]
	v_cndmask_b32_e64 v51, v59, v51, s[4:5]
	v_mul_f64 v[51:52], v[51:52], v[55:56]
	buffer_store_dword v52, off, s[0:3], 0 offset:20
	buffer_store_dword v51, off, s[0:3], 0 offset:16
.LBB24_17:
	s_or_b64 exec, exec, s[8:9]
	; wave barrier
	buffer_load_dword v51, off, s[0:3], 0 offset:24
	buffer_load_dword v52, off, s[0:3], 0 offset:28
	v_cmp_gt_u32_e32 vcc, 3, v0
	v_add_u32_e32 v55, -1, v0
	s_waitcnt vmcnt(0)
	ds_write_b64 v54, v[51:52]
	s_waitcnt lgkmcnt(0)
	; wave barrier
	s_and_saveexec_b64 s[4:5], vcc
	s_cbranch_execz .LBB24_21
; %bb.18:
	v_mov_b32_e32 v51, 0
	v_add_u32_e32 v56, -1, v0
	v_add_u32_e32 v57, 0xd0, v53
	v_mov_b32_e32 v58, v53
	v_mov_b32_e32 v52, 0
	s_mov_b64 s[8:9], 0
.LBB24_19:                              ; =>This Inner Loop Header: Depth=1
	buffer_load_dword v59, v58, s[0:3], 0 offen
	buffer_load_dword v60, v58, s[0:3], 0 offen offset:4
	ds_read_b64 v[61:62], v57
	v_add_u32_e32 v56, 1, v56
	v_cmp_lt_u32_e32 vcc, 1, v56
	v_add_u32_e32 v57, 8, v57
	s_or_b64 s[8:9], vcc, s[8:9]
	v_add_u32_e32 v58, 8, v58
	s_waitcnt vmcnt(0) lgkmcnt(0)
	v_fma_f64 v[51:52], v[59:60], v[61:62], v[51:52]
	s_andn2_b64 exec, exec, s[8:9]
	s_cbranch_execnz .LBB24_19
; %bb.20:
	s_or_b64 exec, exec, s[8:9]
	v_mov_b32_e32 v56, 0
	ds_read_b64 v[56:57], v56 offset:24
	s_waitcnt lgkmcnt(0)
	v_mul_f64 v[51:52], v[51:52], v[56:57]
	buffer_store_dword v52, off, s[0:3], 0 offset:28
	buffer_store_dword v51, off, s[0:3], 0 offset:24
.LBB24_21:
	s_or_b64 exec, exec, s[4:5]
	; wave barrier
	buffer_load_dword v51, off, s[0:3], 0 offset:32
	buffer_load_dword v52, off, s[0:3], 0 offset:36
	v_cmp_gt_u32_e32 vcc, 4, v0
	s_waitcnt vmcnt(0)
	ds_write_b64 v54, v[51:52]
	s_waitcnt lgkmcnt(0)
	; wave barrier
	s_and_saveexec_b64 s[4:5], vcc
	s_cbranch_execz .LBB24_25
; %bb.22:
	v_mov_b32_e32 v51, 0
	v_add_u32_e32 v56, -1, v0
	v_add_u32_e32 v57, 0xd0, v53
	v_mov_b32_e32 v58, v53
	v_mov_b32_e32 v52, 0
	s_mov_b64 s[8:9], 0
.LBB24_23:                              ; =>This Inner Loop Header: Depth=1
	buffer_load_dword v59, v58, s[0:3], 0 offen
	buffer_load_dword v60, v58, s[0:3], 0 offen offset:4
	ds_read_b64 v[61:62], v57
	v_add_u32_e32 v56, 1, v56
	v_cmp_lt_u32_e32 vcc, 2, v56
	v_add_u32_e32 v57, 8, v57
	s_or_b64 s[8:9], vcc, s[8:9]
	v_add_u32_e32 v58, 8, v58
	s_waitcnt vmcnt(0) lgkmcnt(0)
	v_fma_f64 v[51:52], v[59:60], v[61:62], v[51:52]
	s_andn2_b64 exec, exec, s[8:9]
	s_cbranch_execnz .LBB24_23
; %bb.24:
	s_or_b64 exec, exec, s[8:9]
	v_mov_b32_e32 v56, 0
	ds_read_b64 v[56:57], v56 offset:32
	s_waitcnt lgkmcnt(0)
	v_mul_f64 v[51:52], v[51:52], v[56:57]
	buffer_store_dword v52, off, s[0:3], 0 offset:36
	buffer_store_dword v51, off, s[0:3], 0 offset:32
.LBB24_25:
	s_or_b64 exec, exec, s[4:5]
	; wave barrier
	buffer_load_dword v51, off, s[0:3], 0 offset:40
	buffer_load_dword v52, off, s[0:3], 0 offset:44
	v_cmp_gt_u32_e32 vcc, 5, v0
	;; [unrolled: 40-line block ×20, first 2 shown]
	s_waitcnt vmcnt(0)
	ds_write_b64 v54, v[51:52]
	s_waitcnt lgkmcnt(0)
	; wave barrier
	s_and_saveexec_b64 s[4:5], vcc
	s_cbranch_execz .LBB24_101
; %bb.98:
	v_mov_b32_e32 v51, 0
	v_add_u32_e32 v56, -1, v0
	v_add_u32_e32 v57, 0xd0, v53
	v_mov_b32_e32 v58, v53
	v_mov_b32_e32 v52, 0
	s_mov_b64 s[8:9], 0
.LBB24_99:                              ; =>This Inner Loop Header: Depth=1
	buffer_load_dword v59, v58, s[0:3], 0 offen
	buffer_load_dword v60, v58, s[0:3], 0 offen offset:4
	ds_read_b64 v[61:62], v57
	v_add_u32_e32 v56, 1, v56
	v_cmp_lt_u32_e32 vcc, 21, v56
	v_add_u32_e32 v57, 8, v57
	s_or_b64 s[8:9], vcc, s[8:9]
	v_add_u32_e32 v58, 8, v58
	s_waitcnt vmcnt(0) lgkmcnt(0)
	v_fma_f64 v[51:52], v[59:60], v[61:62], v[51:52]
	s_andn2_b64 exec, exec, s[8:9]
	s_cbranch_execnz .LBB24_99
; %bb.100:
	s_or_b64 exec, exec, s[8:9]
	v_mov_b32_e32 v56, 0
	ds_read_b64 v[56:57], v56 offset:184
	s_waitcnt lgkmcnt(0)
	v_mul_f64 v[51:52], v[51:52], v[56:57]
	buffer_store_dword v52, off, s[0:3], 0 offset:188
	buffer_store_dword v51, off, s[0:3], 0 offset:184
.LBB24_101:
	s_or_b64 exec, exec, s[4:5]
	; wave barrier
	buffer_load_dword v51, off, s[0:3], 0 offset:192
	buffer_load_dword v52, off, s[0:3], 0 offset:196
	v_cmp_ne_u32_e32 vcc, 24, v0
	s_waitcnt vmcnt(0)
	ds_write_b64 v54, v[51:52]
	s_waitcnt lgkmcnt(0)
	; wave barrier
	s_and_saveexec_b64 s[4:5], vcc
	s_cbranch_execz .LBB24_105
; %bb.102:
	v_mov_b32_e32 v51, 0
	v_add_u32_e32 v54, 0xd0, v53
	v_mov_b32_e32 v52, 0
	s_mov_b64 s[8:9], 0
.LBB24_103:                             ; =>This Inner Loop Header: Depth=1
	buffer_load_dword v56, v53, s[0:3], 0 offen
	buffer_load_dword v57, v53, s[0:3], 0 offen offset:4
	ds_read_b64 v[58:59], v54
	v_add_u32_e32 v55, 1, v55
	v_cmp_lt_u32_e32 vcc, 22, v55
	v_add_u32_e32 v54, 8, v54
	s_or_b64 s[8:9], vcc, s[8:9]
	v_add_u32_e32 v53, 8, v53
	s_waitcnt vmcnt(0) lgkmcnt(0)
	v_fma_f64 v[51:52], v[56:57], v[58:59], v[51:52]
	s_andn2_b64 exec, exec, s[8:9]
	s_cbranch_execnz .LBB24_103
; %bb.104:
	s_or_b64 exec, exec, s[8:9]
	v_mov_b32_e32 v53, 0
	ds_read_b64 v[53:54], v53 offset:192
	s_waitcnt lgkmcnt(0)
	v_mul_f64 v[51:52], v[51:52], v[53:54]
	buffer_store_dword v52, off, s[0:3], 0 offset:196
	buffer_store_dword v51, off, s[0:3], 0 offset:192
.LBB24_105:
	s_or_b64 exec, exec, s[4:5]
	s_mov_b64 s[8:9], -1
	; wave barrier
.LBB24_106:
	s_and_b64 vcc, exec, s[8:9]
	s_cbranch_vccz .LBB24_108
; %bb.107:
	s_lshl_b64 s[4:5], s[6:7], 2
	s_add_u32 s4, s10, s4
	s_addc_u32 s5, s11, s5
	v_mov_b32_e32 v51, 0
	global_load_dword v51, v51, s[4:5]
	s_waitcnt vmcnt(0)
	v_cmp_ne_u32_e32 vcc, 0, v51
	s_cbranch_vccz .LBB24_109
.LBB24_108:
	s_endpgm
.LBB24_109:
	v_mov_b32_e32 v51, 0xd0
	v_lshl_add_u32 v51, v0, 3, v51
	v_cmp_eq_u32_e32 vcc, 24, v0
	s_and_saveexec_b64 s[4:5], vcc
	s_cbranch_execz .LBB24_111
; %bb.110:
	buffer_load_dword v52, off, s[0:3], 0 offset:184
	buffer_load_dword v53, off, s[0:3], 0 offset:188
	v_mov_b32_e32 v54, 0
	buffer_store_dword v54, off, s[0:3], 0 offset:184
	buffer_store_dword v54, off, s[0:3], 0 offset:188
	s_waitcnt vmcnt(2)
	ds_write_b64 v51, v[52:53]
.LBB24_111:
	s_or_b64 exec, exec, s[4:5]
	s_waitcnt lgkmcnt(0)
	; wave barrier
	buffer_load_dword v53, off, s[0:3], 0 offset:192
	buffer_load_dword v54, off, s[0:3], 0 offset:196
	;; [unrolled: 1-line block ×4, first 2 shown]
	v_mov_b32_e32 v52, 0
	ds_read_b64 v[57:58], v52 offset:400
	v_cmp_lt_u32_e32 vcc, 22, v0
	s_waitcnt vmcnt(2) lgkmcnt(0)
	v_fma_f64 v[53:54], v[53:54], v[57:58], 0
	s_waitcnt vmcnt(0)
	v_add_f64 v[53:54], v[55:56], -v[53:54]
	buffer_store_dword v53, off, s[0:3], 0 offset:184
	buffer_store_dword v54, off, s[0:3], 0 offset:188
	s_and_saveexec_b64 s[4:5], vcc
	s_cbranch_execz .LBB24_113
; %bb.112:
	buffer_load_dword v53, off, s[0:3], 0 offset:176
	buffer_load_dword v54, off, s[0:3], 0 offset:180
	s_waitcnt vmcnt(0)
	ds_write_b64 v51, v[53:54]
	buffer_store_dword v52, off, s[0:3], 0 offset:176
	buffer_store_dword v52, off, s[0:3], 0 offset:180
.LBB24_113:
	s_or_b64 exec, exec, s[4:5]
	s_waitcnt lgkmcnt(0)
	; wave barrier
	buffer_load_dword v56, off, s[0:3], 0 offset:184
	buffer_load_dword v57, off, s[0:3], 0 offset:188
	;; [unrolled: 1-line block ×6, first 2 shown]
	ds_read2_b64 v[52:55], v52 offset0:49 offset1:50
	v_cmp_lt_u32_e32 vcc, 21, v0
	s_waitcnt vmcnt(4) lgkmcnt(0)
	v_fma_f64 v[52:53], v[56:57], v[52:53], 0
	s_waitcnt vmcnt(2)
	v_fma_f64 v[52:53], v[58:59], v[54:55], v[52:53]
	s_waitcnt vmcnt(0)
	v_add_f64 v[52:53], v[60:61], -v[52:53]
	buffer_store_dword v52, off, s[0:3], 0 offset:176
	buffer_store_dword v53, off, s[0:3], 0 offset:180
	s_and_saveexec_b64 s[4:5], vcc
	s_cbranch_execz .LBB24_115
; %bb.114:
	buffer_load_dword v52, off, s[0:3], 0 offset:168
	buffer_load_dword v53, off, s[0:3], 0 offset:172
	v_mov_b32_e32 v54, 0
	buffer_store_dword v54, off, s[0:3], 0 offset:168
	buffer_store_dword v54, off, s[0:3], 0 offset:172
	s_waitcnt vmcnt(2)
	ds_write_b64 v51, v[52:53]
.LBB24_115:
	s_or_b64 exec, exec, s[4:5]
	s_waitcnt lgkmcnt(0)
	; wave barrier
	buffer_load_dword v57, off, s[0:3], 0 offset:176
	buffer_load_dword v58, off, s[0:3], 0 offset:180
	;; [unrolled: 1-line block ×8, first 2 shown]
	v_mov_b32_e32 v52, 0
	ds_read_b128 v[53:56], v52 offset:384
	ds_read_b64 v[65:66], v52 offset:400
	v_cmp_lt_u32_e32 vcc, 20, v0
	s_waitcnt vmcnt(6) lgkmcnt(1)
	v_fma_f64 v[53:54], v[57:58], v[53:54], 0
	s_waitcnt vmcnt(4)
	v_fma_f64 v[53:54], v[59:60], v[55:56], v[53:54]
	s_waitcnt vmcnt(2) lgkmcnt(0)
	v_fma_f64 v[53:54], v[61:62], v[65:66], v[53:54]
	s_waitcnt vmcnt(0)
	v_add_f64 v[53:54], v[63:64], -v[53:54]
	buffer_store_dword v53, off, s[0:3], 0 offset:168
	buffer_store_dword v54, off, s[0:3], 0 offset:172
	s_and_saveexec_b64 s[4:5], vcc
	s_cbranch_execz .LBB24_117
; %bb.116:
	buffer_load_dword v53, off, s[0:3], 0 offset:160
	buffer_load_dword v54, off, s[0:3], 0 offset:164
	s_waitcnt vmcnt(0)
	ds_write_b64 v51, v[53:54]
	buffer_store_dword v52, off, s[0:3], 0 offset:160
	buffer_store_dword v52, off, s[0:3], 0 offset:164
.LBB24_117:
	s_or_b64 exec, exec, s[4:5]
	s_waitcnt lgkmcnt(0)
	; wave barrier
	buffer_load_dword v61, off, s[0:3], 0 offset:168
	buffer_load_dword v62, off, s[0:3], 0 offset:172
	;; [unrolled: 1-line block ×10, first 2 shown]
	ds_read2_b64 v[53:56], v52 offset0:47 offset1:48
	ds_read2_b64 v[57:60], v52 offset0:49 offset1:50
	v_cmp_lt_u32_e32 vcc, 19, v0
	s_waitcnt vmcnt(8) lgkmcnt(1)
	v_fma_f64 v[52:53], v[61:62], v[53:54], 0
	s_waitcnt vmcnt(6)
	v_fma_f64 v[52:53], v[63:64], v[55:56], v[52:53]
	s_waitcnt vmcnt(4) lgkmcnt(0)
	v_fma_f64 v[52:53], v[65:66], v[57:58], v[52:53]
	s_waitcnt vmcnt(2)
	v_fma_f64 v[52:53], v[67:68], v[59:60], v[52:53]
	s_waitcnt vmcnt(0)
	v_add_f64 v[52:53], v[69:70], -v[52:53]
	buffer_store_dword v52, off, s[0:3], 0 offset:160
	buffer_store_dword v53, off, s[0:3], 0 offset:164
	s_and_saveexec_b64 s[4:5], vcc
	s_cbranch_execz .LBB24_119
; %bb.118:
	buffer_load_dword v52, off, s[0:3], 0 offset:152
	buffer_load_dword v53, off, s[0:3], 0 offset:156
	v_mov_b32_e32 v54, 0
	buffer_store_dword v54, off, s[0:3], 0 offset:152
	buffer_store_dword v54, off, s[0:3], 0 offset:156
	s_waitcnt vmcnt(2)
	ds_write_b64 v51, v[52:53]
.LBB24_119:
	s_or_b64 exec, exec, s[4:5]
	s_waitcnt lgkmcnt(0)
	; wave barrier
	buffer_load_dword v61, off, s[0:3], 0 offset:160
	buffer_load_dword v62, off, s[0:3], 0 offset:164
	;; [unrolled: 1-line block ×12, first 2 shown]
	v_mov_b32_e32 v52, 0
	ds_read_b128 v[53:56], v52 offset:368
	ds_read_b128 v[57:60], v52 offset:384
	v_cmp_lt_u32_e32 vcc, 18, v0
	s_waitcnt vmcnt(10) lgkmcnt(1)
	v_fma_f64 v[53:54], v[61:62], v[53:54], 0
	s_waitcnt vmcnt(8)
	v_fma_f64 v[53:54], v[63:64], v[55:56], v[53:54]
	ds_read_b64 v[55:56], v52 offset:400
	s_waitcnt vmcnt(6) lgkmcnt(1)
	v_fma_f64 v[53:54], v[65:66], v[57:58], v[53:54]
	s_waitcnt vmcnt(4)
	v_fma_f64 v[53:54], v[67:68], v[59:60], v[53:54]
	s_waitcnt vmcnt(2) lgkmcnt(0)
	v_fma_f64 v[53:54], v[69:70], v[55:56], v[53:54]
	s_waitcnt vmcnt(0)
	v_add_f64 v[53:54], v[71:72], -v[53:54]
	buffer_store_dword v53, off, s[0:3], 0 offset:152
	buffer_store_dword v54, off, s[0:3], 0 offset:156
	s_and_saveexec_b64 s[4:5], vcc
	s_cbranch_execz .LBB24_121
; %bb.120:
	buffer_load_dword v53, off, s[0:3], 0 offset:144
	buffer_load_dword v54, off, s[0:3], 0 offset:148
	s_waitcnt vmcnt(0)
	ds_write_b64 v51, v[53:54]
	buffer_store_dword v52, off, s[0:3], 0 offset:144
	buffer_store_dword v52, off, s[0:3], 0 offset:148
.LBB24_121:
	s_or_b64 exec, exec, s[4:5]
	s_waitcnt lgkmcnt(0)
	; wave barrier
	buffer_load_dword v61, off, s[0:3], 0 offset:152
	buffer_load_dword v62, off, s[0:3], 0 offset:156
	;; [unrolled: 1-line block ×14, first 2 shown]
	ds_read2_b64 v[53:56], v52 offset0:45 offset1:46
	ds_read2_b64 v[57:60], v52 offset0:47 offset1:48
	v_cmp_lt_u32_e32 vcc, 17, v0
	s_waitcnt vmcnt(12) lgkmcnt(1)
	v_fma_f64 v[53:54], v[61:62], v[53:54], 0
	s_waitcnt vmcnt(10)
	v_fma_f64 v[53:54], v[63:64], v[55:56], v[53:54]
	s_waitcnt vmcnt(8) lgkmcnt(0)
	v_fma_f64 v[53:54], v[65:66], v[57:58], v[53:54]
	s_waitcnt vmcnt(6)
	v_fma_f64 v[56:57], v[67:68], v[59:60], v[53:54]
	ds_read2_b64 v[52:55], v52 offset0:49 offset1:50
	s_waitcnt vmcnt(4) lgkmcnt(0)
	v_fma_f64 v[52:53], v[69:70], v[52:53], v[56:57]
	s_waitcnt vmcnt(2)
	v_fma_f64 v[52:53], v[71:72], v[54:55], v[52:53]
	s_waitcnt vmcnt(0)
	v_add_f64 v[52:53], v[73:74], -v[52:53]
	buffer_store_dword v52, off, s[0:3], 0 offset:144
	buffer_store_dword v53, off, s[0:3], 0 offset:148
	s_and_saveexec_b64 s[4:5], vcc
	s_cbranch_execz .LBB24_123
; %bb.122:
	buffer_load_dword v52, off, s[0:3], 0 offset:136
	buffer_load_dword v53, off, s[0:3], 0 offset:140
	v_mov_b32_e32 v54, 0
	buffer_store_dword v54, off, s[0:3], 0 offset:136
	buffer_store_dword v54, off, s[0:3], 0 offset:140
	s_waitcnt vmcnt(2)
	ds_write_b64 v51, v[52:53]
.LBB24_123:
	s_or_b64 exec, exec, s[4:5]
	s_waitcnt lgkmcnt(0)
	; wave barrier
	buffer_load_dword v61, off, s[0:3], 0 offset:144
	buffer_load_dword v62, off, s[0:3], 0 offset:148
	;; [unrolled: 1-line block ×16, first 2 shown]
	v_mov_b32_e32 v52, 0
	ds_read_b128 v[53:56], v52 offset:352
	ds_read_b128 v[57:60], v52 offset:368
	v_cmp_lt_u32_e32 vcc, 16, v0
	s_waitcnt vmcnt(14) lgkmcnt(1)
	v_fma_f64 v[53:54], v[61:62], v[53:54], 0
	s_waitcnt vmcnt(12)
	v_fma_f64 v[53:54], v[63:64], v[55:56], v[53:54]
	s_waitcnt vmcnt(10) lgkmcnt(0)
	v_fma_f64 v[53:54], v[65:66], v[57:58], v[53:54]
	s_waitcnt vmcnt(8)
	v_fma_f64 v[57:58], v[67:68], v[59:60], v[53:54]
	ds_read_b128 v[53:56], v52 offset:384
	ds_read_b64 v[59:60], v52 offset:400
	s_waitcnt vmcnt(6) lgkmcnt(1)
	v_fma_f64 v[53:54], v[69:70], v[53:54], v[57:58]
	s_waitcnt vmcnt(4)
	v_fma_f64 v[53:54], v[71:72], v[55:56], v[53:54]
	s_waitcnt vmcnt(2) lgkmcnt(0)
	v_fma_f64 v[53:54], v[73:74], v[59:60], v[53:54]
	s_waitcnt vmcnt(0)
	v_add_f64 v[53:54], v[75:76], -v[53:54]
	buffer_store_dword v53, off, s[0:3], 0 offset:136
	buffer_store_dword v54, off, s[0:3], 0 offset:140
	s_and_saveexec_b64 s[4:5], vcc
	s_cbranch_execz .LBB24_125
; %bb.124:
	buffer_load_dword v53, off, s[0:3], 0 offset:128
	buffer_load_dword v54, off, s[0:3], 0 offset:132
	s_waitcnt vmcnt(0)
	ds_write_b64 v51, v[53:54]
	buffer_store_dword v52, off, s[0:3], 0 offset:128
	buffer_store_dword v52, off, s[0:3], 0 offset:132
.LBB24_125:
	s_or_b64 exec, exec, s[4:5]
	s_waitcnt lgkmcnt(0)
	; wave barrier
	buffer_load_dword v61, off, s[0:3], 0 offset:136
	buffer_load_dword v62, off, s[0:3], 0 offset:140
	;; [unrolled: 1-line block ×18, first 2 shown]
	ds_read2_b64 v[53:56], v52 offset0:43 offset1:44
	ds_read2_b64 v[57:60], v52 offset0:45 offset1:46
	v_cmp_lt_u32_e32 vcc, 15, v0
	s_waitcnt vmcnt(16) lgkmcnt(1)
	v_fma_f64 v[53:54], v[61:62], v[53:54], 0
	s_waitcnt vmcnt(14)
	v_fma_f64 v[53:54], v[63:64], v[55:56], v[53:54]
	s_waitcnt vmcnt(12) lgkmcnt(0)
	v_fma_f64 v[53:54], v[65:66], v[57:58], v[53:54]
	s_waitcnt vmcnt(10)
	v_fma_f64 v[61:62], v[67:68], v[59:60], v[53:54]
	ds_read2_b64 v[53:56], v52 offset0:47 offset1:48
	ds_read2_b64 v[57:60], v52 offset0:49 offset1:50
	s_waitcnt vmcnt(8) lgkmcnt(1)
	v_fma_f64 v[52:53], v[69:70], v[53:54], v[61:62]
	s_waitcnt vmcnt(6)
	v_fma_f64 v[52:53], v[71:72], v[55:56], v[52:53]
	s_waitcnt vmcnt(4) lgkmcnt(0)
	v_fma_f64 v[52:53], v[73:74], v[57:58], v[52:53]
	s_waitcnt vmcnt(2)
	v_fma_f64 v[52:53], v[75:76], v[59:60], v[52:53]
	s_waitcnt vmcnt(0)
	v_add_f64 v[52:53], v[77:78], -v[52:53]
	buffer_store_dword v52, off, s[0:3], 0 offset:128
	buffer_store_dword v53, off, s[0:3], 0 offset:132
	s_and_saveexec_b64 s[4:5], vcc
	s_cbranch_execz .LBB24_127
; %bb.126:
	buffer_load_dword v52, off, s[0:3], 0 offset:120
	buffer_load_dword v53, off, s[0:3], 0 offset:124
	v_mov_b32_e32 v54, 0
	buffer_store_dword v54, off, s[0:3], 0 offset:120
	buffer_store_dword v54, off, s[0:3], 0 offset:124
	s_waitcnt vmcnt(2)
	ds_write_b64 v51, v[52:53]
.LBB24_127:
	s_or_b64 exec, exec, s[4:5]
	s_waitcnt lgkmcnt(0)
	; wave barrier
	buffer_load_dword v61, off, s[0:3], 0 offset:128
	buffer_load_dword v62, off, s[0:3], 0 offset:132
	;; [unrolled: 1-line block ×20, first 2 shown]
	v_mov_b32_e32 v52, 0
	ds_read_b128 v[53:56], v52 offset:336
	ds_read_b128 v[57:60], v52 offset:352
	v_cmp_lt_u32_e32 vcc, 14, v0
	s_waitcnt vmcnt(18) lgkmcnt(1)
	v_fma_f64 v[53:54], v[61:62], v[53:54], 0
	s_waitcnt vmcnt(16)
	v_fma_f64 v[53:54], v[63:64], v[55:56], v[53:54]
	s_waitcnt vmcnt(14) lgkmcnt(0)
	v_fma_f64 v[53:54], v[65:66], v[57:58], v[53:54]
	s_waitcnt vmcnt(12)
	v_fma_f64 v[61:62], v[67:68], v[59:60], v[53:54]
	ds_read_b128 v[53:56], v52 offset:368
	ds_read_b128 v[57:60], v52 offset:384
	s_waitcnt vmcnt(10) lgkmcnt(1)
	v_fma_f64 v[53:54], v[69:70], v[53:54], v[61:62]
	s_waitcnt vmcnt(8)
	v_fma_f64 v[53:54], v[71:72], v[55:56], v[53:54]
	ds_read_b64 v[55:56], v52 offset:400
	s_waitcnt vmcnt(6) lgkmcnt(1)
	v_fma_f64 v[53:54], v[73:74], v[57:58], v[53:54]
	s_waitcnt vmcnt(3)
	v_fma_f64 v[53:54], v[75:76], v[59:60], v[53:54]
	s_waitcnt vmcnt(2) lgkmcnt(0)
	v_fma_f64 v[53:54], v[77:78], v[55:56], v[53:54]
	s_waitcnt vmcnt(0)
	v_add_f64 v[53:54], v[79:80], -v[53:54]
	buffer_store_dword v53, off, s[0:3], 0 offset:120
	buffer_store_dword v54, off, s[0:3], 0 offset:124
	s_and_saveexec_b64 s[4:5], vcc
	s_cbranch_execz .LBB24_129
; %bb.128:
	buffer_load_dword v53, off, s[0:3], 0 offset:112
	buffer_load_dword v54, off, s[0:3], 0 offset:116
	s_waitcnt vmcnt(0)
	ds_write_b64 v51, v[53:54]
	buffer_store_dword v52, off, s[0:3], 0 offset:112
	buffer_store_dword v52, off, s[0:3], 0 offset:116
.LBB24_129:
	s_or_b64 exec, exec, s[4:5]
	s_waitcnt lgkmcnt(0)
	; wave barrier
	buffer_load_dword v57, off, s[0:3], 0 offset:112
	buffer_load_dword v58, off, s[0:3], 0 offset:116
	;; [unrolled: 1-line block ×16, first 2 shown]
	ds_read2_b64 v[53:56], v52 offset0:41 offset1:42
	v_cmp_lt_u32_e32 vcc, 13, v0
	s_waitcnt vmcnt(12) lgkmcnt(0)
	v_fma_f64 v[53:54], v[59:60], v[53:54], 0
	s_waitcnt vmcnt(10)
	v_fma_f64 v[59:60], v[61:62], v[55:56], v[53:54]
	ds_read2_b64 v[53:56], v52 offset0:43 offset1:44
	s_waitcnt vmcnt(8) lgkmcnt(0)
	v_fma_f64 v[53:54], v[63:64], v[53:54], v[59:60]
	s_waitcnt vmcnt(6)
	v_fma_f64 v[59:60], v[65:66], v[55:56], v[53:54]
	ds_read2_b64 v[53:56], v52 offset0:45 offset1:46
	;; [unrolled: 5-line block ×3, first 2 shown]
	s_waitcnt vmcnt(0) lgkmcnt(0)
	v_fma_f64 v[53:54], v[71:72], v[53:54], v[59:60]
	buffer_load_dword v60, off, s[0:3], 0 offset:180
	buffer_load_dword v59, off, s[0:3], 0 offset:176
	;; [unrolled: 1-line block ×4, first 2 shown]
	s_waitcnt vmcnt(2)
	v_fma_f64 v[59:60], v[59:60], v[55:56], v[53:54]
	ds_read2_b64 v[52:55], v52 offset0:49 offset1:50
	s_waitcnt vmcnt(0) lgkmcnt(0)
	v_fma_f64 v[52:53], v[61:62], v[52:53], v[59:60]
	buffer_load_dword v60, off, s[0:3], 0 offset:196
	buffer_load_dword v59, off, s[0:3], 0 offset:192
	s_waitcnt vmcnt(0)
	v_fma_f64 v[52:53], v[59:60], v[54:55], v[52:53]
	v_add_f64 v[52:53], v[57:58], -v[52:53]
	buffer_store_dword v52, off, s[0:3], 0 offset:112
	buffer_store_dword v53, off, s[0:3], 0 offset:116
	s_and_saveexec_b64 s[4:5], vcc
	s_cbranch_execz .LBB24_131
; %bb.130:
	buffer_load_dword v52, off, s[0:3], 0 offset:104
	buffer_load_dword v53, off, s[0:3], 0 offset:108
	v_mov_b32_e32 v54, 0
	buffer_store_dword v54, off, s[0:3], 0 offset:104
	buffer_store_dword v54, off, s[0:3], 0 offset:108
	s_waitcnt vmcnt(2)
	ds_write_b64 v51, v[52:53]
.LBB24_131:
	s_or_b64 exec, exec, s[4:5]
	s_waitcnt lgkmcnt(0)
	; wave barrier
	buffer_load_dword v57, off, s[0:3], 0 offset:112
	buffer_load_dword v58, off, s[0:3], 0 offset:116
	buffer_load_dword v59, off, s[0:3], 0 offset:120
	buffer_load_dword v60, off, s[0:3], 0 offset:124
	buffer_load_dword v61, off, s[0:3], 0 offset:128
	buffer_load_dword v62, off, s[0:3], 0 offset:132
	buffer_load_dword v63, off, s[0:3], 0 offset:136
	buffer_load_dword v64, off, s[0:3], 0 offset:140
	buffer_load_dword v65, off, s[0:3], 0 offset:144
	buffer_load_dword v66, off, s[0:3], 0 offset:148
	buffer_load_dword v67, off, s[0:3], 0 offset:152
	buffer_load_dword v68, off, s[0:3], 0 offset:156
	buffer_load_dword v69, off, s[0:3], 0 offset:160
	buffer_load_dword v70, off, s[0:3], 0 offset:164
	buffer_load_dword v72, off, s[0:3], 0 offset:172
	buffer_load_dword v71, off, s[0:3], 0 offset:168
	buffer_load_dword v73, off, s[0:3], 0 offset:176
	buffer_load_dword v74, off, s[0:3], 0 offset:180
	buffer_load_dword v75, off, s[0:3], 0 offset:184
	buffer_load_dword v76, off, s[0:3], 0 offset:188
	v_mov_b32_e32 v52, 0
	ds_read_b128 v[53:56], v52 offset:320
	buffer_load_dword v77, off, s[0:3], 0 offset:192
	buffer_load_dword v78, off, s[0:3], 0 offset:196
	v_cmp_lt_u32_e32 vcc, 12, v0
	s_waitcnt vmcnt(20) lgkmcnt(0)
	v_fma_f64 v[53:54], v[57:58], v[53:54], 0
	buffer_load_dword v57, off, s[0:3], 0 offset:104
	buffer_load_dword v58, off, s[0:3], 0 offset:108
	s_waitcnt vmcnt(20)
	v_fma_f64 v[59:60], v[59:60], v[55:56], v[53:54]
	ds_read_b128 v[53:56], v52 offset:336
	s_waitcnt vmcnt(18) lgkmcnt(0)
	v_fma_f64 v[53:54], v[61:62], v[53:54], v[59:60]
	s_waitcnt vmcnt(16)
	v_fma_f64 v[59:60], v[63:64], v[55:56], v[53:54]
	ds_read_b128 v[53:56], v52 offset:352
	s_waitcnt vmcnt(14) lgkmcnt(0)
	v_fma_f64 v[53:54], v[65:66], v[53:54], v[59:60]
	s_waitcnt vmcnt(12)
	v_fma_f64 v[59:60], v[67:68], v[55:56], v[53:54]
	ds_read_b128 v[53:56], v52 offset:368
	s_waitcnt vmcnt(10) lgkmcnt(0)
	v_fma_f64 v[53:54], v[69:70], v[53:54], v[59:60]
	s_waitcnt vmcnt(8)
	v_fma_f64 v[59:60], v[71:72], v[55:56], v[53:54]
	ds_read_b128 v[53:56], v52 offset:384
	s_waitcnt vmcnt(6) lgkmcnt(0)
	v_fma_f64 v[53:54], v[73:74], v[53:54], v[59:60]
	s_waitcnt vmcnt(4)
	v_fma_f64 v[53:54], v[75:76], v[55:56], v[53:54]
	ds_read_b64 v[55:56], v52 offset:400
	s_waitcnt vmcnt(2) lgkmcnt(0)
	v_fma_f64 v[53:54], v[77:78], v[55:56], v[53:54]
	s_waitcnt vmcnt(0)
	v_add_f64 v[53:54], v[57:58], -v[53:54]
	buffer_store_dword v54, off, s[0:3], 0 offset:108
	buffer_store_dword v53, off, s[0:3], 0 offset:104
	s_and_saveexec_b64 s[4:5], vcc
	s_cbranch_execz .LBB24_133
; %bb.132:
	buffer_load_dword v53, off, s[0:3], 0 offset:96
	buffer_load_dword v54, off, s[0:3], 0 offset:100
	s_waitcnt vmcnt(0)
	ds_write_b64 v51, v[53:54]
	buffer_store_dword v52, off, s[0:3], 0 offset:96
	buffer_store_dword v52, off, s[0:3], 0 offset:100
.LBB24_133:
	s_or_b64 exec, exec, s[4:5]
	s_waitcnt lgkmcnt(0)
	; wave barrier
	buffer_load_dword v57, off, s[0:3], 0 offset:104
	buffer_load_dword v58, off, s[0:3], 0 offset:108
	;; [unrolled: 1-line block ×20, first 2 shown]
	ds_read2_b64 v[53:56], v52 offset0:39 offset1:40
	buffer_load_dword v77, off, s[0:3], 0 offset:184
	buffer_load_dword v78, off, s[0:3], 0 offset:188
	v_cmp_lt_u32_e32 vcc, 11, v0
	s_waitcnt vmcnt(20) lgkmcnt(0)
	v_fma_f64 v[53:54], v[57:58], v[53:54], 0
	buffer_load_dword v58, off, s[0:3], 0 offset:196
	buffer_load_dword v57, off, s[0:3], 0 offset:192
	s_waitcnt vmcnt(20)
	v_fma_f64 v[59:60], v[59:60], v[55:56], v[53:54]
	ds_read2_b64 v[53:56], v52 offset0:41 offset1:42
	buffer_load_dword v79, off, s[0:3], 0 offset:96
	buffer_load_dword v80, off, s[0:3], 0 offset:100
	s_waitcnt vmcnt(20) lgkmcnt(0)
	v_fma_f64 v[53:54], v[61:62], v[53:54], v[59:60]
	s_waitcnt vmcnt(18)
	v_fma_f64 v[59:60], v[63:64], v[55:56], v[53:54]
	ds_read2_b64 v[53:56], v52 offset0:43 offset1:44
	s_waitcnt vmcnt(16) lgkmcnt(0)
	v_fma_f64 v[53:54], v[65:66], v[53:54], v[59:60]
	s_waitcnt vmcnt(14)
	v_fma_f64 v[59:60], v[67:68], v[55:56], v[53:54]
	ds_read2_b64 v[53:56], v52 offset0:45 offset1:46
	s_waitcnt vmcnt(12) lgkmcnt(0)
	v_fma_f64 v[53:54], v[69:70], v[53:54], v[59:60]
	s_waitcnt vmcnt(10)
	v_fma_f64 v[59:60], v[71:72], v[55:56], v[53:54]
	ds_read2_b64 v[53:56], v52 offset0:47 offset1:48
	s_waitcnt vmcnt(8) lgkmcnt(0)
	v_fma_f64 v[53:54], v[73:74], v[53:54], v[59:60]
	s_waitcnt vmcnt(6)
	v_fma_f64 v[59:60], v[75:76], v[55:56], v[53:54]
	ds_read2_b64 v[52:55], v52 offset0:49 offset1:50
	s_waitcnt vmcnt(4) lgkmcnt(0)
	v_fma_f64 v[52:53], v[77:78], v[52:53], v[59:60]
	s_waitcnt vmcnt(2)
	v_fma_f64 v[52:53], v[57:58], v[54:55], v[52:53]
	s_waitcnt vmcnt(0)
	v_add_f64 v[52:53], v[79:80], -v[52:53]
	buffer_store_dword v53, off, s[0:3], 0 offset:100
	buffer_store_dword v52, off, s[0:3], 0 offset:96
	s_and_saveexec_b64 s[4:5], vcc
	s_cbranch_execz .LBB24_135
; %bb.134:
	buffer_load_dword v52, off, s[0:3], 0 offset:88
	buffer_load_dword v53, off, s[0:3], 0 offset:92
	v_mov_b32_e32 v54, 0
	buffer_store_dword v54, off, s[0:3], 0 offset:88
	buffer_store_dword v54, off, s[0:3], 0 offset:92
	s_waitcnt vmcnt(2)
	ds_write_b64 v51, v[52:53]
.LBB24_135:
	s_or_b64 exec, exec, s[4:5]
	s_waitcnt lgkmcnt(0)
	; wave barrier
	buffer_load_dword v57, off, s[0:3], 0 offset:96
	buffer_load_dword v58, off, s[0:3], 0 offset:100
	;; [unrolled: 1-line block ×20, first 2 shown]
	v_mov_b32_e32 v52, 0
	ds_read_b128 v[53:56], v52 offset:304
	buffer_load_dword v77, off, s[0:3], 0 offset:176
	buffer_load_dword v78, off, s[0:3], 0 offset:180
	v_cmp_lt_u32_e32 vcc, 10, v0
	s_waitcnt vmcnt(20) lgkmcnt(0)
	v_fma_f64 v[53:54], v[57:58], v[53:54], 0
	buffer_load_dword v58, off, s[0:3], 0 offset:188
	buffer_load_dword v57, off, s[0:3], 0 offset:184
	s_waitcnt vmcnt(20)
	v_fma_f64 v[59:60], v[59:60], v[55:56], v[53:54]
	ds_read_b128 v[53:56], v52 offset:320
	buffer_load_dword v79, off, s[0:3], 0 offset:192
	buffer_load_dword v80, off, s[0:3], 0 offset:196
	s_waitcnt vmcnt(20) lgkmcnt(0)
	v_fma_f64 v[53:54], v[61:62], v[53:54], v[59:60]
	buffer_load_dword v59, off, s[0:3], 0 offset:88
	buffer_load_dword v60, off, s[0:3], 0 offset:92
	s_waitcnt vmcnt(20)
	v_fma_f64 v[61:62], v[63:64], v[55:56], v[53:54]
	ds_read_b128 v[53:56], v52 offset:336
	s_waitcnt vmcnt(18) lgkmcnt(0)
	v_fma_f64 v[53:54], v[65:66], v[53:54], v[61:62]
	s_waitcnt vmcnt(16)
	v_fma_f64 v[61:62], v[67:68], v[55:56], v[53:54]
	ds_read_b128 v[53:56], v52 offset:352
	s_waitcnt vmcnt(14) lgkmcnt(0)
	v_fma_f64 v[53:54], v[69:70], v[53:54], v[61:62]
	s_waitcnt vmcnt(12)
	v_fma_f64 v[61:62], v[71:72], v[55:56], v[53:54]
	ds_read_b128 v[53:56], v52 offset:368
	s_waitcnt vmcnt(10) lgkmcnt(0)
	v_fma_f64 v[53:54], v[73:74], v[53:54], v[61:62]
	s_waitcnt vmcnt(8)
	v_fma_f64 v[61:62], v[75:76], v[55:56], v[53:54]
	ds_read_b128 v[53:56], v52 offset:384
	s_waitcnt vmcnt(6) lgkmcnt(0)
	v_fma_f64 v[53:54], v[77:78], v[53:54], v[61:62]
	s_waitcnt vmcnt(4)
	v_fma_f64 v[53:54], v[57:58], v[55:56], v[53:54]
	ds_read_b64 v[55:56], v52 offset:400
	s_waitcnt vmcnt(2) lgkmcnt(0)
	v_fma_f64 v[53:54], v[79:80], v[55:56], v[53:54]
	s_waitcnt vmcnt(0)
	v_add_f64 v[53:54], v[59:60], -v[53:54]
	buffer_store_dword v54, off, s[0:3], 0 offset:92
	buffer_store_dword v53, off, s[0:3], 0 offset:88
	s_and_saveexec_b64 s[4:5], vcc
	s_cbranch_execz .LBB24_137
; %bb.136:
	buffer_load_dword v53, off, s[0:3], 0 offset:80
	buffer_load_dword v54, off, s[0:3], 0 offset:84
	s_waitcnt vmcnt(0)
	ds_write_b64 v51, v[53:54]
	buffer_store_dword v52, off, s[0:3], 0 offset:80
	buffer_store_dword v52, off, s[0:3], 0 offset:84
.LBB24_137:
	s_or_b64 exec, exec, s[4:5]
	s_waitcnt lgkmcnt(0)
	; wave barrier
	buffer_load_dword v57, off, s[0:3], 0 offset:88
	buffer_load_dword v58, off, s[0:3], 0 offset:92
	;; [unrolled: 1-line block ×20, first 2 shown]
	ds_read2_b64 v[53:56], v52 offset0:37 offset1:38
	buffer_load_dword v77, off, s[0:3], 0 offset:168
	buffer_load_dword v78, off, s[0:3], 0 offset:172
	v_cmp_lt_u32_e32 vcc, 9, v0
	s_waitcnt vmcnt(20) lgkmcnt(0)
	v_fma_f64 v[53:54], v[57:58], v[53:54], 0
	buffer_load_dword v58, off, s[0:3], 0 offset:180
	buffer_load_dword v57, off, s[0:3], 0 offset:176
	s_waitcnt vmcnt(20)
	v_fma_f64 v[59:60], v[59:60], v[55:56], v[53:54]
	ds_read2_b64 v[53:56], v52 offset0:39 offset1:40
	buffer_load_dword v79, off, s[0:3], 0 offset:184
	buffer_load_dword v80, off, s[0:3], 0 offset:188
	s_waitcnt vmcnt(20) lgkmcnt(0)
	v_fma_f64 v[53:54], v[61:62], v[53:54], v[59:60]
	buffer_load_dword v59, off, s[0:3], 0 offset:192
	buffer_load_dword v60, off, s[0:3], 0 offset:196
	s_waitcnt vmcnt(20)
	v_fma_f64 v[61:62], v[63:64], v[55:56], v[53:54]
	ds_read2_b64 v[53:56], v52 offset0:41 offset1:42
	buffer_load_dword v63, off, s[0:3], 0 offset:80
	buffer_load_dword v64, off, s[0:3], 0 offset:84
	s_waitcnt vmcnt(20) lgkmcnt(0)
	v_fma_f64 v[53:54], v[65:66], v[53:54], v[61:62]
	s_waitcnt vmcnt(18)
	v_fma_f64 v[61:62], v[67:68], v[55:56], v[53:54]
	ds_read2_b64 v[53:56], v52 offset0:43 offset1:44
	s_waitcnt vmcnt(16) lgkmcnt(0)
	v_fma_f64 v[53:54], v[69:70], v[53:54], v[61:62]
	s_waitcnt vmcnt(14)
	v_fma_f64 v[61:62], v[71:72], v[55:56], v[53:54]
	ds_read2_b64 v[53:56], v52 offset0:45 offset1:46
	;; [unrolled: 5-line block ×4, first 2 shown]
	s_waitcnt vmcnt(4) lgkmcnt(0)
	v_fma_f64 v[52:53], v[79:80], v[52:53], v[56:57]
	s_waitcnt vmcnt(2)
	v_fma_f64 v[52:53], v[59:60], v[54:55], v[52:53]
	s_waitcnt vmcnt(0)
	v_add_f64 v[52:53], v[63:64], -v[52:53]
	buffer_store_dword v53, off, s[0:3], 0 offset:84
	buffer_store_dword v52, off, s[0:3], 0 offset:80
	s_and_saveexec_b64 s[4:5], vcc
	s_cbranch_execz .LBB24_139
; %bb.138:
	buffer_load_dword v52, off, s[0:3], 0 offset:72
	buffer_load_dword v53, off, s[0:3], 0 offset:76
	v_mov_b32_e32 v54, 0
	buffer_store_dword v54, off, s[0:3], 0 offset:72
	buffer_store_dword v54, off, s[0:3], 0 offset:76
	s_waitcnt vmcnt(2)
	ds_write_b64 v51, v[52:53]
.LBB24_139:
	s_or_b64 exec, exec, s[4:5]
	s_waitcnt lgkmcnt(0)
	; wave barrier
	buffer_load_dword v57, off, s[0:3], 0 offset:80
	buffer_load_dword v58, off, s[0:3], 0 offset:84
	buffer_load_dword v59, off, s[0:3], 0 offset:88
	buffer_load_dword v60, off, s[0:3], 0 offset:92
	buffer_load_dword v61, off, s[0:3], 0 offset:96
	buffer_load_dword v62, off, s[0:3], 0 offset:100
	buffer_load_dword v63, off, s[0:3], 0 offset:104
	buffer_load_dword v64, off, s[0:3], 0 offset:108
	buffer_load_dword v65, off, s[0:3], 0 offset:112
	buffer_load_dword v66, off, s[0:3], 0 offset:116
	buffer_load_dword v67, off, s[0:3], 0 offset:120
	buffer_load_dword v68, off, s[0:3], 0 offset:124
	buffer_load_dword v69, off, s[0:3], 0 offset:128
	buffer_load_dword v70, off, s[0:3], 0 offset:132
	buffer_load_dword v72, off, s[0:3], 0 offset:140
	buffer_load_dword v71, off, s[0:3], 0 offset:136
	buffer_load_dword v73, off, s[0:3], 0 offset:144
	buffer_load_dword v74, off, s[0:3], 0 offset:148
	buffer_load_dword v75, off, s[0:3], 0 offset:152
	buffer_load_dword v76, off, s[0:3], 0 offset:156
	v_mov_b32_e32 v52, 0
	ds_read_b128 v[53:56], v52 offset:288
	buffer_load_dword v77, off, s[0:3], 0 offset:160
	buffer_load_dword v78, off, s[0:3], 0 offset:164
	v_cmp_lt_u32_e32 vcc, 8, v0
	s_waitcnt vmcnt(20) lgkmcnt(0)
	v_fma_f64 v[53:54], v[57:58], v[53:54], 0
	buffer_load_dword v58, off, s[0:3], 0 offset:172
	buffer_load_dword v57, off, s[0:3], 0 offset:168
	s_waitcnt vmcnt(20)
	v_fma_f64 v[59:60], v[59:60], v[55:56], v[53:54]
	ds_read_b128 v[53:56], v52 offset:304
	buffer_load_dword v79, off, s[0:3], 0 offset:176
	buffer_load_dword v80, off, s[0:3], 0 offset:180
	s_waitcnt vmcnt(20) lgkmcnt(0)
	v_fma_f64 v[53:54], v[61:62], v[53:54], v[59:60]
	buffer_load_dword v59, off, s[0:3], 0 offset:184
	buffer_load_dword v60, off, s[0:3], 0 offset:188
	s_waitcnt vmcnt(20)
	v_fma_f64 v[61:62], v[63:64], v[55:56], v[53:54]
	ds_read_b128 v[53:56], v52 offset:320
	buffer_load_dword v63, off, s[0:3], 0 offset:192
	buffer_load_dword v64, off, s[0:3], 0 offset:196
	s_waitcnt vmcnt(20) lgkmcnt(0)
	v_fma_f64 v[53:54], v[65:66], v[53:54], v[61:62]
	buffer_load_dword v61, off, s[0:3], 0 offset:72
	buffer_load_dword v62, off, s[0:3], 0 offset:76
	s_waitcnt vmcnt(20)
	v_fma_f64 v[65:66], v[67:68], v[55:56], v[53:54]
	ds_read_b128 v[53:56], v52 offset:336
	s_waitcnt vmcnt(18) lgkmcnt(0)
	v_fma_f64 v[53:54], v[69:70], v[53:54], v[65:66]
	s_waitcnt vmcnt(16)
	v_fma_f64 v[65:66], v[71:72], v[55:56], v[53:54]
	ds_read_b128 v[53:56], v52 offset:352
	s_waitcnt vmcnt(14) lgkmcnt(0)
	v_fma_f64 v[53:54], v[73:74], v[53:54], v[65:66]
	;; [unrolled: 5-line block ×4, first 2 shown]
	s_waitcnt vmcnt(4)
	v_fma_f64 v[53:54], v[59:60], v[55:56], v[53:54]
	ds_read_b64 v[55:56], v52 offset:400
	s_waitcnt vmcnt(2) lgkmcnt(0)
	v_fma_f64 v[53:54], v[63:64], v[55:56], v[53:54]
	s_waitcnt vmcnt(0)
	v_add_f64 v[53:54], v[61:62], -v[53:54]
	buffer_store_dword v54, off, s[0:3], 0 offset:76
	buffer_store_dword v53, off, s[0:3], 0 offset:72
	s_and_saveexec_b64 s[4:5], vcc
	s_cbranch_execz .LBB24_141
; %bb.140:
	buffer_load_dword v53, off, s[0:3], 0 offset:64
	buffer_load_dword v54, off, s[0:3], 0 offset:68
	s_waitcnt vmcnt(0)
	ds_write_b64 v51, v[53:54]
	buffer_store_dword v52, off, s[0:3], 0 offset:64
	buffer_store_dword v52, off, s[0:3], 0 offset:68
.LBB24_141:
	s_or_b64 exec, exec, s[4:5]
	s_waitcnt lgkmcnt(0)
	; wave barrier
	buffer_load_dword v57, off, s[0:3], 0 offset:72
	buffer_load_dword v58, off, s[0:3], 0 offset:76
	;; [unrolled: 1-line block ×20, first 2 shown]
	ds_read2_b64 v[53:56], v52 offset0:35 offset1:36
	buffer_load_dword v77, off, s[0:3], 0 offset:152
	buffer_load_dword v78, off, s[0:3], 0 offset:156
	v_cmp_lt_u32_e32 vcc, 7, v0
	s_waitcnt vmcnt(20) lgkmcnt(0)
	v_fma_f64 v[53:54], v[57:58], v[53:54], 0
	buffer_load_dword v58, off, s[0:3], 0 offset:164
	buffer_load_dword v57, off, s[0:3], 0 offset:160
	s_waitcnt vmcnt(20)
	v_fma_f64 v[59:60], v[59:60], v[55:56], v[53:54]
	ds_read2_b64 v[53:56], v52 offset0:37 offset1:38
	buffer_load_dword v79, off, s[0:3], 0 offset:168
	buffer_load_dword v80, off, s[0:3], 0 offset:172
	s_waitcnt vmcnt(20) lgkmcnt(0)
	v_fma_f64 v[53:54], v[61:62], v[53:54], v[59:60]
	buffer_load_dword v59, off, s[0:3], 0 offset:176
	buffer_load_dword v60, off, s[0:3], 0 offset:180
	s_waitcnt vmcnt(20)
	v_fma_f64 v[61:62], v[63:64], v[55:56], v[53:54]
	ds_read2_b64 v[53:56], v52 offset0:39 offset1:40
	buffer_load_dword v63, off, s[0:3], 0 offset:184
	buffer_load_dword v64, off, s[0:3], 0 offset:188
	;; [unrolled: 9-line block ×3, first 2 shown]
	s_waitcnt vmcnt(20) lgkmcnt(0)
	v_fma_f64 v[53:54], v[69:70], v[53:54], v[65:66]
	s_waitcnt vmcnt(18)
	v_fma_f64 v[65:66], v[71:72], v[55:56], v[53:54]
	ds_read2_b64 v[53:56], v52 offset0:43 offset1:44
	s_waitcnt vmcnt(16) lgkmcnt(0)
	v_fma_f64 v[53:54], v[73:74], v[53:54], v[65:66]
	s_waitcnt vmcnt(14)
	v_fma_f64 v[65:66], v[75:76], v[55:56], v[53:54]
	ds_read2_b64 v[53:56], v52 offset0:45 offset1:46
	;; [unrolled: 5-line block ×4, first 2 shown]
	s_waitcnt vmcnt(4) lgkmcnt(0)
	v_fma_f64 v[52:53], v[63:64], v[52:53], v[56:57]
	s_waitcnt vmcnt(2)
	v_fma_f64 v[52:53], v[61:62], v[54:55], v[52:53]
	s_waitcnt vmcnt(0)
	v_add_f64 v[52:53], v[67:68], -v[52:53]
	buffer_store_dword v53, off, s[0:3], 0 offset:68
	buffer_store_dword v52, off, s[0:3], 0 offset:64
	s_and_saveexec_b64 s[4:5], vcc
	s_cbranch_execz .LBB24_143
; %bb.142:
	buffer_load_dword v52, off, s[0:3], 0 offset:56
	buffer_load_dword v53, off, s[0:3], 0 offset:60
	v_mov_b32_e32 v54, 0
	buffer_store_dword v54, off, s[0:3], 0 offset:56
	buffer_store_dword v54, off, s[0:3], 0 offset:60
	s_waitcnt vmcnt(2)
	ds_write_b64 v51, v[52:53]
.LBB24_143:
	s_or_b64 exec, exec, s[4:5]
	s_waitcnt lgkmcnt(0)
	; wave barrier
	buffer_load_dword v57, off, s[0:3], 0 offset:64
	buffer_load_dword v58, off, s[0:3], 0 offset:68
	;; [unrolled: 1-line block ×20, first 2 shown]
	v_mov_b32_e32 v52, 0
	ds_read_b128 v[53:56], v52 offset:272
	buffer_load_dword v77, off, s[0:3], 0 offset:144
	buffer_load_dword v78, off, s[0:3], 0 offset:148
	v_cmp_lt_u32_e32 vcc, 6, v0
	s_waitcnt vmcnt(20) lgkmcnt(0)
	v_fma_f64 v[53:54], v[57:58], v[53:54], 0
	buffer_load_dword v58, off, s[0:3], 0 offset:156
	buffer_load_dword v57, off, s[0:3], 0 offset:152
	s_waitcnt vmcnt(20)
	v_fma_f64 v[59:60], v[59:60], v[55:56], v[53:54]
	ds_read_b128 v[53:56], v52 offset:288
	buffer_load_dword v79, off, s[0:3], 0 offset:160
	buffer_load_dword v80, off, s[0:3], 0 offset:164
	s_waitcnt vmcnt(20) lgkmcnt(0)
	v_fma_f64 v[53:54], v[61:62], v[53:54], v[59:60]
	buffer_load_dword v59, off, s[0:3], 0 offset:168
	buffer_load_dword v60, off, s[0:3], 0 offset:172
	s_waitcnt vmcnt(20)
	v_fma_f64 v[61:62], v[63:64], v[55:56], v[53:54]
	ds_read_b128 v[53:56], v52 offset:304
	buffer_load_dword v63, off, s[0:3], 0 offset:176
	buffer_load_dword v64, off, s[0:3], 0 offset:180
	;; [unrolled: 9-line block ×3, first 2 shown]
	s_waitcnt vmcnt(20) lgkmcnt(0)
	v_fma_f64 v[53:54], v[69:70], v[53:54], v[65:66]
	buffer_load_dword v65, off, s[0:3], 0 offset:56
	buffer_load_dword v66, off, s[0:3], 0 offset:60
	s_waitcnt vmcnt(20)
	v_fma_f64 v[69:70], v[71:72], v[55:56], v[53:54]
	ds_read_b128 v[53:56], v52 offset:336
	s_waitcnt vmcnt(18) lgkmcnt(0)
	v_fma_f64 v[53:54], v[73:74], v[53:54], v[69:70]
	s_waitcnt vmcnt(16)
	v_fma_f64 v[69:70], v[75:76], v[55:56], v[53:54]
	ds_read_b128 v[53:56], v52 offset:352
	s_waitcnt vmcnt(14) lgkmcnt(0)
	v_fma_f64 v[53:54], v[77:78], v[53:54], v[69:70]
	;; [unrolled: 5-line block ×4, first 2 shown]
	s_waitcnt vmcnt(4)
	v_fma_f64 v[53:54], v[61:62], v[55:56], v[53:54]
	ds_read_b64 v[55:56], v52 offset:400
	s_waitcnt vmcnt(2) lgkmcnt(0)
	v_fma_f64 v[53:54], v[67:68], v[55:56], v[53:54]
	s_waitcnt vmcnt(0)
	v_add_f64 v[53:54], v[65:66], -v[53:54]
	buffer_store_dword v54, off, s[0:3], 0 offset:60
	buffer_store_dword v53, off, s[0:3], 0 offset:56
	s_and_saveexec_b64 s[4:5], vcc
	s_cbranch_execz .LBB24_145
; %bb.144:
	buffer_load_dword v53, off, s[0:3], 0 offset:48
	buffer_load_dword v54, off, s[0:3], 0 offset:52
	s_waitcnt vmcnt(0)
	ds_write_b64 v51, v[53:54]
	buffer_store_dword v52, off, s[0:3], 0 offset:48
	buffer_store_dword v52, off, s[0:3], 0 offset:52
.LBB24_145:
	s_or_b64 exec, exec, s[4:5]
	s_waitcnt lgkmcnt(0)
	; wave barrier
	buffer_load_dword v57, off, s[0:3], 0 offset:56
	buffer_load_dword v58, off, s[0:3], 0 offset:60
	;; [unrolled: 1-line block ×20, first 2 shown]
	ds_read2_b64 v[53:56], v52 offset0:33 offset1:34
	buffer_load_dword v77, off, s[0:3], 0 offset:136
	buffer_load_dword v78, off, s[0:3], 0 offset:140
	v_cmp_lt_u32_e32 vcc, 5, v0
	s_waitcnt vmcnt(20) lgkmcnt(0)
	v_fma_f64 v[53:54], v[57:58], v[53:54], 0
	buffer_load_dword v58, off, s[0:3], 0 offset:148
	buffer_load_dword v57, off, s[0:3], 0 offset:144
	s_waitcnt vmcnt(20)
	v_fma_f64 v[59:60], v[59:60], v[55:56], v[53:54]
	ds_read2_b64 v[53:56], v52 offset0:35 offset1:36
	buffer_load_dword v79, off, s[0:3], 0 offset:152
	buffer_load_dword v80, off, s[0:3], 0 offset:156
	s_waitcnt vmcnt(20) lgkmcnt(0)
	v_fma_f64 v[53:54], v[61:62], v[53:54], v[59:60]
	buffer_load_dword v59, off, s[0:3], 0 offset:160
	buffer_load_dword v60, off, s[0:3], 0 offset:164
	s_waitcnt vmcnt(20)
	v_fma_f64 v[61:62], v[63:64], v[55:56], v[53:54]
	ds_read2_b64 v[53:56], v52 offset0:37 offset1:38
	buffer_load_dword v63, off, s[0:3], 0 offset:168
	buffer_load_dword v64, off, s[0:3], 0 offset:172
	;; [unrolled: 9-line block ×4, first 2 shown]
	s_waitcnt vmcnt(20) lgkmcnt(0)
	v_fma_f64 v[53:54], v[73:74], v[53:54], v[69:70]
	s_waitcnt vmcnt(18)
	v_fma_f64 v[69:70], v[75:76], v[55:56], v[53:54]
	ds_read2_b64 v[53:56], v52 offset0:43 offset1:44
	s_waitcnt vmcnt(16) lgkmcnt(0)
	v_fma_f64 v[53:54], v[77:78], v[53:54], v[69:70]
	s_waitcnt vmcnt(14)
	v_fma_f64 v[57:58], v[57:58], v[55:56], v[53:54]
	ds_read2_b64 v[53:56], v52 offset0:45 offset1:46
	s_waitcnt vmcnt(12) lgkmcnt(0)
	v_fma_f64 v[53:54], v[79:80], v[53:54], v[57:58]
	s_waitcnt vmcnt(10)
	v_fma_f64 v[57:58], v[59:60], v[55:56], v[53:54]
	ds_read2_b64 v[53:56], v52 offset0:47 offset1:48
	s_waitcnt vmcnt(8) lgkmcnt(0)
	v_fma_f64 v[53:54], v[63:64], v[53:54], v[57:58]
	s_waitcnt vmcnt(6)
	v_fma_f64 v[56:57], v[61:62], v[55:56], v[53:54]
	ds_read2_b64 v[52:55], v52 offset0:49 offset1:50
	s_waitcnt vmcnt(4) lgkmcnt(0)
	v_fma_f64 v[52:53], v[67:68], v[52:53], v[56:57]
	s_waitcnt vmcnt(2)
	v_fma_f64 v[52:53], v[65:66], v[54:55], v[52:53]
	s_waitcnt vmcnt(0)
	v_add_f64 v[52:53], v[71:72], -v[52:53]
	buffer_store_dword v53, off, s[0:3], 0 offset:52
	buffer_store_dword v52, off, s[0:3], 0 offset:48
	s_and_saveexec_b64 s[4:5], vcc
	s_cbranch_execz .LBB24_147
; %bb.146:
	buffer_load_dword v52, off, s[0:3], 0 offset:40
	buffer_load_dword v53, off, s[0:3], 0 offset:44
	v_mov_b32_e32 v54, 0
	buffer_store_dword v54, off, s[0:3], 0 offset:40
	buffer_store_dword v54, off, s[0:3], 0 offset:44
	s_waitcnt vmcnt(2)
	ds_write_b64 v51, v[52:53]
.LBB24_147:
	s_or_b64 exec, exec, s[4:5]
	s_waitcnt lgkmcnt(0)
	; wave barrier
	buffer_load_dword v57, off, s[0:3], 0 offset:48
	buffer_load_dword v58, off, s[0:3], 0 offset:52
	;; [unrolled: 1-line block ×20, first 2 shown]
	v_mov_b32_e32 v52, 0
	ds_read_b128 v[53:56], v52 offset:256
	buffer_load_dword v77, off, s[0:3], 0 offset:128
	buffer_load_dword v78, off, s[0:3], 0 offset:132
	v_cmp_lt_u32_e32 vcc, 4, v0
	s_waitcnt vmcnt(20) lgkmcnt(0)
	v_fma_f64 v[53:54], v[57:58], v[53:54], 0
	buffer_load_dword v58, off, s[0:3], 0 offset:140
	buffer_load_dword v57, off, s[0:3], 0 offset:136
	s_waitcnt vmcnt(20)
	v_fma_f64 v[59:60], v[59:60], v[55:56], v[53:54]
	ds_read_b128 v[53:56], v52 offset:272
	buffer_load_dword v79, off, s[0:3], 0 offset:144
	buffer_load_dword v80, off, s[0:3], 0 offset:148
	s_waitcnt vmcnt(20) lgkmcnt(0)
	v_fma_f64 v[53:54], v[61:62], v[53:54], v[59:60]
	buffer_load_dword v59, off, s[0:3], 0 offset:152
	buffer_load_dword v60, off, s[0:3], 0 offset:156
	s_waitcnt vmcnt(20)
	v_fma_f64 v[61:62], v[63:64], v[55:56], v[53:54]
	ds_read_b128 v[53:56], v52 offset:288
	buffer_load_dword v63, off, s[0:3], 0 offset:160
	buffer_load_dword v64, off, s[0:3], 0 offset:164
	;; [unrolled: 9-line block ×4, first 2 shown]
	s_waitcnt vmcnt(20) lgkmcnt(0)
	v_fma_f64 v[53:54], v[73:74], v[53:54], v[69:70]
	buffer_load_dword v69, off, s[0:3], 0 offset:40
	buffer_load_dword v70, off, s[0:3], 0 offset:44
	s_waitcnt vmcnt(20)
	v_fma_f64 v[73:74], v[75:76], v[55:56], v[53:54]
	ds_read_b128 v[53:56], v52 offset:336
	s_waitcnt vmcnt(18) lgkmcnt(0)
	v_fma_f64 v[53:54], v[77:78], v[53:54], v[73:74]
	s_waitcnt vmcnt(16)
	v_fma_f64 v[57:58], v[57:58], v[55:56], v[53:54]
	ds_read_b128 v[53:56], v52 offset:352
	s_waitcnt vmcnt(14) lgkmcnt(0)
	v_fma_f64 v[53:54], v[79:80], v[53:54], v[57:58]
	;; [unrolled: 5-line block ×4, first 2 shown]
	s_waitcnt vmcnt(4)
	v_fma_f64 v[53:54], v[65:66], v[55:56], v[53:54]
	ds_read_b64 v[55:56], v52 offset:400
	s_waitcnt vmcnt(2) lgkmcnt(0)
	v_fma_f64 v[53:54], v[71:72], v[55:56], v[53:54]
	s_waitcnt vmcnt(0)
	v_add_f64 v[53:54], v[69:70], -v[53:54]
	buffer_store_dword v54, off, s[0:3], 0 offset:44
	buffer_store_dword v53, off, s[0:3], 0 offset:40
	s_and_saveexec_b64 s[4:5], vcc
	s_cbranch_execz .LBB24_149
; %bb.148:
	buffer_load_dword v53, off, s[0:3], 0 offset:32
	buffer_load_dword v54, off, s[0:3], 0 offset:36
	s_waitcnt vmcnt(0)
	ds_write_b64 v51, v[53:54]
	buffer_store_dword v52, off, s[0:3], 0 offset:32
	buffer_store_dword v52, off, s[0:3], 0 offset:36
.LBB24_149:
	s_or_b64 exec, exec, s[4:5]
	s_waitcnt lgkmcnt(0)
	; wave barrier
	buffer_load_dword v57, off, s[0:3], 0 offset:40
	buffer_load_dword v58, off, s[0:3], 0 offset:44
	;; [unrolled: 1-line block ×20, first 2 shown]
	ds_read2_b64 v[53:56], v52 offset0:31 offset1:32
	buffer_load_dword v77, off, s[0:3], 0 offset:120
	buffer_load_dword v78, off, s[0:3], 0 offset:124
	v_cmp_lt_u32_e32 vcc, 3, v0
	s_waitcnt vmcnt(20) lgkmcnt(0)
	v_fma_f64 v[53:54], v[57:58], v[53:54], 0
	buffer_load_dword v58, off, s[0:3], 0 offset:132
	buffer_load_dword v57, off, s[0:3], 0 offset:128
	s_waitcnt vmcnt(20)
	v_fma_f64 v[59:60], v[59:60], v[55:56], v[53:54]
	ds_read2_b64 v[53:56], v52 offset0:33 offset1:34
	buffer_load_dword v79, off, s[0:3], 0 offset:136
	buffer_load_dword v80, off, s[0:3], 0 offset:140
	s_waitcnt vmcnt(20) lgkmcnt(0)
	v_fma_f64 v[53:54], v[61:62], v[53:54], v[59:60]
	buffer_load_dword v59, off, s[0:3], 0 offset:144
	buffer_load_dword v60, off, s[0:3], 0 offset:148
	s_waitcnt vmcnt(20)
	v_fma_f64 v[61:62], v[63:64], v[55:56], v[53:54]
	ds_read2_b64 v[53:56], v52 offset0:35 offset1:36
	buffer_load_dword v63, off, s[0:3], 0 offset:152
	buffer_load_dword v64, off, s[0:3], 0 offset:156
	;; [unrolled: 9-line block ×5, first 2 shown]
	s_waitcnt vmcnt(20) lgkmcnt(0)
	v_fma_f64 v[53:54], v[77:78], v[53:54], v[73:74]
	s_waitcnt vmcnt(18)
	v_fma_f64 v[57:58], v[57:58], v[55:56], v[53:54]
	ds_read2_b64 v[53:56], v52 offset0:43 offset1:44
	s_waitcnt vmcnt(16) lgkmcnt(0)
	v_fma_f64 v[53:54], v[79:80], v[53:54], v[57:58]
	s_waitcnt vmcnt(14)
	v_fma_f64 v[57:58], v[59:60], v[55:56], v[53:54]
	ds_read2_b64 v[53:56], v52 offset0:45 offset1:46
	;; [unrolled: 5-line block ×4, first 2 shown]
	s_waitcnt vmcnt(4) lgkmcnt(0)
	v_fma_f64 v[52:53], v[71:72], v[52:53], v[56:57]
	s_waitcnt vmcnt(2)
	v_fma_f64 v[52:53], v[69:70], v[54:55], v[52:53]
	s_waitcnt vmcnt(0)
	v_add_f64 v[52:53], v[75:76], -v[52:53]
	buffer_store_dword v53, off, s[0:3], 0 offset:36
	buffer_store_dword v52, off, s[0:3], 0 offset:32
	s_and_saveexec_b64 s[4:5], vcc
	s_cbranch_execz .LBB24_151
; %bb.150:
	buffer_load_dword v52, off, s[0:3], 0 offset:24
	buffer_load_dword v53, off, s[0:3], 0 offset:28
	v_mov_b32_e32 v54, 0
	buffer_store_dword v54, off, s[0:3], 0 offset:24
	buffer_store_dword v54, off, s[0:3], 0 offset:28
	s_waitcnt vmcnt(2)
	ds_write_b64 v51, v[52:53]
.LBB24_151:
	s_or_b64 exec, exec, s[4:5]
	s_waitcnt lgkmcnt(0)
	; wave barrier
	buffer_load_dword v57, off, s[0:3], 0 offset:32
	buffer_load_dword v58, off, s[0:3], 0 offset:36
	;; [unrolled: 1-line block ×20, first 2 shown]
	v_mov_b32_e32 v52, 0
	ds_read_b128 v[53:56], v52 offset:240
	buffer_load_dword v77, off, s[0:3], 0 offset:112
	buffer_load_dword v78, off, s[0:3], 0 offset:116
	v_cmp_lt_u32_e32 vcc, 2, v0
	s_waitcnt vmcnt(20) lgkmcnt(0)
	v_fma_f64 v[53:54], v[57:58], v[53:54], 0
	buffer_load_dword v58, off, s[0:3], 0 offset:124
	buffer_load_dword v57, off, s[0:3], 0 offset:120
	s_waitcnt vmcnt(20)
	v_fma_f64 v[59:60], v[59:60], v[55:56], v[53:54]
	ds_read_b128 v[53:56], v52 offset:256
	buffer_load_dword v79, off, s[0:3], 0 offset:128
	buffer_load_dword v80, off, s[0:3], 0 offset:132
	s_waitcnt vmcnt(20) lgkmcnt(0)
	v_fma_f64 v[53:54], v[61:62], v[53:54], v[59:60]
	buffer_load_dword v59, off, s[0:3], 0 offset:136
	buffer_load_dword v60, off, s[0:3], 0 offset:140
	s_waitcnt vmcnt(20)
	v_fma_f64 v[61:62], v[63:64], v[55:56], v[53:54]
	ds_read_b128 v[53:56], v52 offset:272
	buffer_load_dword v63, off, s[0:3], 0 offset:144
	buffer_load_dword v64, off, s[0:3], 0 offset:148
	;; [unrolled: 9-line block ×5, first 2 shown]
	s_waitcnt vmcnt(20) lgkmcnt(0)
	v_fma_f64 v[53:54], v[77:78], v[53:54], v[73:74]
	buffer_load_dword v73, off, s[0:3], 0 offset:24
	buffer_load_dword v74, off, s[0:3], 0 offset:28
	s_waitcnt vmcnt(20)
	v_fma_f64 v[57:58], v[57:58], v[55:56], v[53:54]
	ds_read_b128 v[53:56], v52 offset:336
	s_waitcnt vmcnt(18) lgkmcnt(0)
	v_fma_f64 v[53:54], v[79:80], v[53:54], v[57:58]
	s_waitcnt vmcnt(16)
	v_fma_f64 v[57:58], v[59:60], v[55:56], v[53:54]
	ds_read_b128 v[53:56], v52 offset:352
	s_waitcnt vmcnt(14) lgkmcnt(0)
	v_fma_f64 v[53:54], v[63:64], v[53:54], v[57:58]
	;; [unrolled: 5-line block ×4, first 2 shown]
	s_waitcnt vmcnt(4)
	v_fma_f64 v[53:54], v[69:70], v[55:56], v[53:54]
	ds_read_b64 v[55:56], v52 offset:400
	s_waitcnt vmcnt(2) lgkmcnt(0)
	v_fma_f64 v[53:54], v[75:76], v[55:56], v[53:54]
	s_waitcnt vmcnt(0)
	v_add_f64 v[53:54], v[73:74], -v[53:54]
	buffer_store_dword v54, off, s[0:3], 0 offset:28
	buffer_store_dword v53, off, s[0:3], 0 offset:24
	s_and_saveexec_b64 s[4:5], vcc
	s_cbranch_execz .LBB24_153
; %bb.152:
	buffer_load_dword v53, off, s[0:3], 0 offset:16
	buffer_load_dword v54, off, s[0:3], 0 offset:20
	s_waitcnt vmcnt(0)
	ds_write_b64 v51, v[53:54]
	buffer_store_dword v52, off, s[0:3], 0 offset:16
	buffer_store_dword v52, off, s[0:3], 0 offset:20
.LBB24_153:
	s_or_b64 exec, exec, s[4:5]
	s_waitcnt lgkmcnt(0)
	; wave barrier
	buffer_load_dword v57, off, s[0:3], 0 offset:24
	buffer_load_dword v58, off, s[0:3], 0 offset:28
	;; [unrolled: 1-line block ×20, first 2 shown]
	ds_read2_b64 v[53:56], v52 offset0:29 offset1:30
	buffer_load_dword v77, off, s[0:3], 0 offset:104
	buffer_load_dword v78, off, s[0:3], 0 offset:108
	v_cmp_lt_u32_e32 vcc, 1, v0
	s_waitcnt vmcnt(20) lgkmcnt(0)
	v_fma_f64 v[53:54], v[57:58], v[53:54], 0
	buffer_load_dword v58, off, s[0:3], 0 offset:116
	buffer_load_dword v57, off, s[0:3], 0 offset:112
	s_waitcnt vmcnt(20)
	v_fma_f64 v[59:60], v[59:60], v[55:56], v[53:54]
	ds_read2_b64 v[53:56], v52 offset0:31 offset1:32
	buffer_load_dword v79, off, s[0:3], 0 offset:120
	buffer_load_dword v80, off, s[0:3], 0 offset:124
	s_waitcnt vmcnt(20) lgkmcnt(0)
	v_fma_f64 v[53:54], v[61:62], v[53:54], v[59:60]
	buffer_load_dword v59, off, s[0:3], 0 offset:128
	buffer_load_dword v60, off, s[0:3], 0 offset:132
	s_waitcnt vmcnt(20)
	v_fma_f64 v[61:62], v[63:64], v[55:56], v[53:54]
	ds_read2_b64 v[53:56], v52 offset0:33 offset1:34
	buffer_load_dword v63, off, s[0:3], 0 offset:136
	buffer_load_dword v64, off, s[0:3], 0 offset:140
	;; [unrolled: 9-line block ×6, first 2 shown]
	s_waitcnt vmcnt(20) lgkmcnt(0)
	v_fma_f64 v[53:54], v[79:80], v[53:54], v[57:58]
	s_waitcnt vmcnt(18)
	v_fma_f64 v[57:58], v[59:60], v[55:56], v[53:54]
	ds_read2_b64 v[53:56], v52 offset0:43 offset1:44
	s_waitcnt vmcnt(16) lgkmcnt(0)
	v_fma_f64 v[53:54], v[63:64], v[53:54], v[57:58]
	s_waitcnt vmcnt(14)
	v_fma_f64 v[57:58], v[61:62], v[55:56], v[53:54]
	ds_read2_b64 v[53:56], v52 offset0:45 offset1:46
	;; [unrolled: 5-line block ×4, first 2 shown]
	s_waitcnt vmcnt(4) lgkmcnt(0)
	v_fma_f64 v[52:53], v[75:76], v[52:53], v[56:57]
	s_waitcnt vmcnt(2)
	v_fma_f64 v[52:53], v[73:74], v[54:55], v[52:53]
	s_waitcnt vmcnt(0)
	v_add_f64 v[52:53], v[77:78], -v[52:53]
	buffer_store_dword v53, off, s[0:3], 0 offset:20
	buffer_store_dword v52, off, s[0:3], 0 offset:16
	s_and_saveexec_b64 s[4:5], vcc
	s_cbranch_execz .LBB24_155
; %bb.154:
	buffer_load_dword v52, off, s[0:3], 0 offset:8
	buffer_load_dword v53, off, s[0:3], 0 offset:12
	v_mov_b32_e32 v54, 0
	buffer_store_dword v54, off, s[0:3], 0 offset:8
	buffer_store_dword v54, off, s[0:3], 0 offset:12
	s_waitcnt vmcnt(2)
	ds_write_b64 v51, v[52:53]
.LBB24_155:
	s_or_b64 exec, exec, s[4:5]
	s_waitcnt lgkmcnt(0)
	; wave barrier
	buffer_load_dword v57, off, s[0:3], 0 offset:16
	buffer_load_dword v58, off, s[0:3], 0 offset:20
	;; [unrolled: 1-line block ×20, first 2 shown]
	v_mov_b32_e32 v52, 0
	ds_read_b128 v[53:56], v52 offset:224
	buffer_load_dword v77, off, s[0:3], 0 offset:96
	buffer_load_dword v78, off, s[0:3], 0 offset:100
	v_cmp_ne_u32_e32 vcc, 0, v0
	s_waitcnt vmcnt(20) lgkmcnt(0)
	v_fma_f64 v[53:54], v[57:58], v[53:54], 0
	buffer_load_dword v58, off, s[0:3], 0 offset:108
	buffer_load_dword v57, off, s[0:3], 0 offset:104
	s_waitcnt vmcnt(20)
	v_fma_f64 v[59:60], v[59:60], v[55:56], v[53:54]
	ds_read_b128 v[53:56], v52 offset:240
	buffer_load_dword v79, off, s[0:3], 0 offset:112
	buffer_load_dword v80, off, s[0:3], 0 offset:116
	s_waitcnt vmcnt(20) lgkmcnt(0)
	v_fma_f64 v[53:54], v[61:62], v[53:54], v[59:60]
	buffer_load_dword v59, off, s[0:3], 0 offset:120
	buffer_load_dword v60, off, s[0:3], 0 offset:124
	s_waitcnt vmcnt(20)
	v_fma_f64 v[61:62], v[63:64], v[55:56], v[53:54]
	ds_read_b128 v[53:56], v52 offset:256
	buffer_load_dword v63, off, s[0:3], 0 offset:128
	buffer_load_dword v64, off, s[0:3], 0 offset:132
	;; [unrolled: 9-line block ×6, first 2 shown]
	s_waitcnt vmcnt(20) lgkmcnt(0)
	v_fma_f64 v[53:54], v[79:80], v[53:54], v[57:58]
	buffer_load_dword v57, off, s[0:3], 0 offset:8
	buffer_load_dword v58, off, s[0:3], 0 offset:12
	s_waitcnt vmcnt(20)
	v_fma_f64 v[59:60], v[59:60], v[55:56], v[53:54]
	ds_read_b128 v[53:56], v52 offset:336
	s_waitcnt vmcnt(18) lgkmcnt(0)
	v_fma_f64 v[53:54], v[63:64], v[53:54], v[59:60]
	s_waitcnt vmcnt(16)
	v_fma_f64 v[59:60], v[61:62], v[55:56], v[53:54]
	ds_read_b128 v[53:56], v52 offset:352
	s_waitcnt vmcnt(14) lgkmcnt(0)
	v_fma_f64 v[53:54], v[67:68], v[53:54], v[59:60]
	;; [unrolled: 5-line block ×4, first 2 shown]
	s_waitcnt vmcnt(4)
	v_fma_f64 v[53:54], v[73:74], v[55:56], v[53:54]
	ds_read_b64 v[55:56], v52 offset:400
	s_waitcnt vmcnt(2) lgkmcnt(0)
	v_fma_f64 v[53:54], v[77:78], v[55:56], v[53:54]
	s_waitcnt vmcnt(0)
	v_add_f64 v[53:54], v[57:58], -v[53:54]
	buffer_store_dword v54, off, s[0:3], 0 offset:12
	buffer_store_dword v53, off, s[0:3], 0 offset:8
	s_and_saveexec_b64 s[4:5], vcc
	s_cbranch_execz .LBB24_157
; %bb.156:
	buffer_load_dword v53, off, s[0:3], 0
	buffer_load_dword v54, off, s[0:3], 0 offset:4
	s_waitcnt vmcnt(0)
	ds_write_b64 v51, v[53:54]
	buffer_store_dword v52, off, s[0:3], 0
	buffer_store_dword v52, off, s[0:3], 0 offset:4
.LBB24_157:
	s_or_b64 exec, exec, s[4:5]
	s_waitcnt lgkmcnt(0)
	; wave barrier
	buffer_load_dword v57, off, s[0:3], 0 offset:8
	buffer_load_dword v58, off, s[0:3], 0 offset:12
	;; [unrolled: 1-line block ×20, first 2 shown]
	ds_read2_b64 v[53:56], v52 offset0:27 offset1:28
	buffer_load_dword v77, off, s[0:3], 0 offset:88
	buffer_load_dword v78, off, s[0:3], 0 offset:92
	s_and_b64 vcc, exec, s[22:23]
	s_waitcnt vmcnt(20) lgkmcnt(0)
	v_fma_f64 v[53:54], v[57:58], v[53:54], 0
	buffer_load_dword v58, off, s[0:3], 0 offset:100
	buffer_load_dword v57, off, s[0:3], 0 offset:96
	s_waitcnt vmcnt(20)
	v_fma_f64 v[59:60], v[59:60], v[55:56], v[53:54]
	ds_read2_b64 v[53:56], v52 offset0:29 offset1:30
	buffer_load_dword v79, off, s[0:3], 0 offset:104
	buffer_load_dword v80, off, s[0:3], 0 offset:108
	s_waitcnt vmcnt(20) lgkmcnt(0)
	v_fma_f64 v[53:54], v[61:62], v[53:54], v[59:60]
	buffer_load_dword v59, off, s[0:3], 0 offset:112
	buffer_load_dword v60, off, s[0:3], 0 offset:116
	s_waitcnt vmcnt(20)
	v_fma_f64 v[61:62], v[63:64], v[55:56], v[53:54]
	ds_read2_b64 v[53:56], v52 offset0:31 offset1:32
	buffer_load_dword v63, off, s[0:3], 0 offset:120
	buffer_load_dword v64, off, s[0:3], 0 offset:124
	;; [unrolled: 9-line block ×6, first 2 shown]
	s_waitcnt vmcnt(20) lgkmcnt(0)
	v_fma_f64 v[55:56], v[79:80], v[55:56], v[77:78]
	buffer_load_dword v78, off, s[0:3], 0 offset:196
	buffer_load_dword v77, off, s[0:3], 0 offset:192
	s_waitcnt vmcnt(20)
	v_fma_f64 v[59:60], v[59:60], v[57:58], v[55:56]
	ds_read2_b64 v[55:58], v52 offset0:41 offset1:42
	buffer_load_dword v79, off, s[0:3], 0
	buffer_load_dword v80, off, s[0:3], 0 offset:4
	s_waitcnt vmcnt(20) lgkmcnt(0)
	v_fma_f64 v[55:56], v[63:64], v[55:56], v[59:60]
	s_waitcnt vmcnt(18)
	v_fma_f64 v[59:60], v[61:62], v[57:58], v[55:56]
	ds_read2_b64 v[55:58], v52 offset0:43 offset1:44
	s_waitcnt vmcnt(16) lgkmcnt(0)
	v_fma_f64 v[55:56], v[67:68], v[55:56], v[59:60]
	s_waitcnt vmcnt(14)
	v_fma_f64 v[59:60], v[65:66], v[57:58], v[55:56]
	ds_read2_b64 v[55:58], v52 offset0:45 offset1:46
	;; [unrolled: 5-line block ×4, first 2 shown]
	s_waitcnt vmcnt(4) lgkmcnt(0)
	v_fma_f64 v[51:52], v[53:54], v[55:56], v[59:60]
	s_waitcnt vmcnt(2)
	v_fma_f64 v[51:52], v[77:78], v[57:58], v[51:52]
	s_waitcnt vmcnt(0)
	v_add_f64 v[51:52], v[79:80], -v[51:52]
	buffer_store_dword v52, off, s[0:3], 0 offset:4
	buffer_store_dword v51, off, s[0:3], 0
	s_cbranch_vccz .LBB24_206
; %bb.158:
	v_mov_b32_e32 v0, 0
	global_load_dword v51, v0, s[20:21] offset:92
	s_waitcnt vmcnt(0)
	v_add_u32_e32 v51, -1, v51
	v_cmp_ne_u32_e32 vcc, 23, v51
	s_cbranch_vccz .LBB24_160
; %bb.159:
	v_lshlrev_b32_e32 v51, 3, v51
	buffer_load_dword v52, v51, s[0:3], 0 offen
	buffer_load_dword v55, v51, s[0:3], 0 offen offset:4
	s_waitcnt vmcnt(1)
	buffer_store_dword v52, off, s[0:3], 0 offset:184
	s_waitcnt vmcnt(1)
	buffer_store_dword v55, off, s[0:3], 0 offset:188
	buffer_store_dword v53, v51, s[0:3], 0 offen
	buffer_store_dword v54, v51, s[0:3], 0 offen offset:4
.LBB24_160:
	global_load_dword v0, v0, s[20:21] offset:88
	s_waitcnt vmcnt(0)
	v_add_u32_e32 v0, -1, v0
	v_cmp_eq_u32_e32 vcc, 22, v0
	s_cbranch_vccnz .LBB24_162
; %bb.161:
	v_lshlrev_b32_e32 v0, 3, v0
	buffer_load_dword v51, v0, s[0:3], 0 offen
	buffer_load_dword v52, v0, s[0:3], 0 offen offset:4
	buffer_load_dword v53, off, s[0:3], 0 offset:180
	buffer_load_dword v54, off, s[0:3], 0 offset:176
	s_waitcnt vmcnt(3)
	buffer_store_dword v51, off, s[0:3], 0 offset:176
	s_waitcnt vmcnt(3)
	buffer_store_dword v52, off, s[0:3], 0 offset:180
	s_waitcnt vmcnt(3)
	buffer_store_dword v53, v0, s[0:3], 0 offen offset:4
	s_waitcnt vmcnt(3)
	buffer_store_dword v54, v0, s[0:3], 0 offen
.LBB24_162:
	v_mov_b32_e32 v0, 0
	global_load_dword v51, v0, s[20:21] offset:84
	s_waitcnt vmcnt(0)
	v_add_u32_e32 v51, -1, v51
	v_cmp_eq_u32_e32 vcc, 21, v51
	s_cbranch_vccnz .LBB24_164
; %bb.163:
	v_lshlrev_b32_e32 v51, 3, v51
	buffer_load_dword v52, v51, s[0:3], 0 offen
	buffer_load_dword v53, v51, s[0:3], 0 offen offset:4
	buffer_load_dword v54, off, s[0:3], 0 offset:168
	buffer_load_dword v55, off, s[0:3], 0 offset:172
	s_waitcnt vmcnt(3)
	buffer_store_dword v52, off, s[0:3], 0 offset:168
	s_waitcnt vmcnt(3)
	buffer_store_dword v53, off, s[0:3], 0 offset:172
	s_waitcnt vmcnt(3)
	buffer_store_dword v54, v51, s[0:3], 0 offen
	s_waitcnt vmcnt(3)
	buffer_store_dword v55, v51, s[0:3], 0 offen offset:4
.LBB24_164:
	global_load_dword v0, v0, s[20:21] offset:80
	s_waitcnt vmcnt(0)
	v_add_u32_e32 v0, -1, v0
	v_cmp_eq_u32_e32 vcc, 20, v0
	s_cbranch_vccnz .LBB24_166
; %bb.165:
	v_lshlrev_b32_e32 v0, 3, v0
	buffer_load_dword v51, v0, s[0:3], 0 offen
	buffer_load_dword v52, v0, s[0:3], 0 offen offset:4
	buffer_load_dword v53, off, s[0:3], 0 offset:164
	buffer_load_dword v54, off, s[0:3], 0 offset:160
	s_waitcnt vmcnt(3)
	buffer_store_dword v51, off, s[0:3], 0 offset:160
	s_waitcnt vmcnt(3)
	buffer_store_dword v52, off, s[0:3], 0 offset:164
	s_waitcnt vmcnt(3)
	buffer_store_dword v53, v0, s[0:3], 0 offen offset:4
	s_waitcnt vmcnt(3)
	buffer_store_dword v54, v0, s[0:3], 0 offen
.LBB24_166:
	v_mov_b32_e32 v0, 0
	global_load_dword v51, v0, s[20:21] offset:76
	s_waitcnt vmcnt(0)
	v_add_u32_e32 v51, -1, v51
	v_cmp_eq_u32_e32 vcc, 19, v51
	s_cbranch_vccnz .LBB24_168
; %bb.167:
	v_lshlrev_b32_e32 v51, 3, v51
	buffer_load_dword v52, v51, s[0:3], 0 offen
	buffer_load_dword v53, v51, s[0:3], 0 offen offset:4
	buffer_load_dword v54, off, s[0:3], 0 offset:152
	buffer_load_dword v55, off, s[0:3], 0 offset:156
	s_waitcnt vmcnt(3)
	buffer_store_dword v52, off, s[0:3], 0 offset:152
	s_waitcnt vmcnt(3)
	buffer_store_dword v53, off, s[0:3], 0 offset:156
	s_waitcnt vmcnt(3)
	buffer_store_dword v54, v51, s[0:3], 0 offen
	s_waitcnt vmcnt(3)
	buffer_store_dword v55, v51, s[0:3], 0 offen offset:4
.LBB24_168:
	;; [unrolled: 41-line block ×11, first 2 shown]
	global_load_dword v0, v0, s[20:21]
	s_nop 0
	buffer_load_dword v51, off, s[0:3], 0
	buffer_load_dword v52, off, s[0:3], 0 offset:4
	s_waitcnt vmcnt(2)
	v_add_u32_e32 v0, -1, v0
	v_cmp_eq_u32_e32 vcc, 0, v0
	s_cbranch_vccnz .LBB24_206
; %bb.205:
	v_lshlrev_b32_e32 v0, 3, v0
	buffer_load_dword v53, v0, s[0:3], 0 offen offset:4
	buffer_load_dword v54, v0, s[0:3], 0 offen
	s_waitcnt vmcnt(1)
	buffer_store_dword v53, off, s[0:3], 0 offset:4
	s_waitcnt vmcnt(1)
	buffer_store_dword v54, off, s[0:3], 0
	buffer_store_dword v52, v0, s[0:3], 0 offen offset:4
	buffer_store_dword v51, v0, s[0:3], 0 offen
	buffer_load_dword v51, off, s[0:3], 0
	s_nop 0
	buffer_load_dword v52, off, s[0:3], 0 offset:4
.LBB24_206:
	buffer_load_dword v53, off, s[0:3], 0 offset:8
	buffer_load_dword v54, off, s[0:3], 0 offset:12
	;; [unrolled: 1-line block ×16, first 2 shown]
	s_waitcnt vmcnt(16)
	global_store_dwordx2 v[39:40], v[51:52], off
	buffer_load_dword v39, off, s[0:3], 0 offset:72
	s_nop 0
	buffer_load_dword v40, off, s[0:3], 0 offset:76
	buffer_load_dword v51, off, s[0:3], 0 offset:80
	;; [unrolled: 1-line block ×15, first 2 shown]
	s_waitcnt vmcnt(31)
	global_store_dwordx2 v[33:34], v[53:54], off
	s_waitcnt vmcnt(30)
	global_store_dwordx2 v[1:2], v[55:56], off
	buffer_load_dword v0, off, s[0:3], 0 offset:136
	s_nop 0
	buffer_load_dword v1, off, s[0:3], 0 offset:140
	buffer_load_dword v33, off, s[0:3], 0 offset:144
	;; [unrolled: 1-line block ×7, first 2 shown]
	s_waitcnt vmcnt(37)
	global_store_dwordx2 v[3:4], v[57:58], off
	s_waitcnt vmcnt(36)
	global_store_dwordx2 v[5:6], v[59:60], off
	buffer_load_dword v2, off, s[0:3], 0 offset:168
	buffer_load_dword v3, off, s[0:3], 0 offset:172
	;; [unrolled: 1-line block ×3, first 2 shown]
	s_nop 0
	buffer_load_dword v5, off, s[0:3], 0 offset:180
	buffer_load_dword v57, off, s[0:3], 0 offset:184
	;; [unrolled: 1-line block ×5, first 2 shown]
	s_waitcnt vmcnt(43)
	global_store_dwordx2 v[7:8], v[61:62], off
	s_waitcnt vmcnt(42)
	global_store_dwordx2 v[9:10], v[63:64], off
	;; [unrolled: 2-line block ×20, first 2 shown]
	s_endpgm
	.section	.rodata,"a",@progbits
	.p2align	6, 0x0
	.amdhsa_kernel _ZN9rocsolver6v33100L18getri_kernel_smallILi25EdPdEEvT1_iilPiilS4_bb
		.amdhsa_group_segment_fixed_size 408
		.amdhsa_private_segment_fixed_size 208
		.amdhsa_kernarg_size 60
		.amdhsa_user_sgpr_count 6
		.amdhsa_user_sgpr_private_segment_buffer 1
		.amdhsa_user_sgpr_dispatch_ptr 0
		.amdhsa_user_sgpr_queue_ptr 0
		.amdhsa_user_sgpr_kernarg_segment_ptr 1
		.amdhsa_user_sgpr_dispatch_id 0
		.amdhsa_user_sgpr_flat_scratch_init 0
		.amdhsa_user_sgpr_private_segment_size 0
		.amdhsa_uses_dynamic_stack 0
		.amdhsa_system_sgpr_private_segment_wavefront_offset 1
		.amdhsa_system_sgpr_workgroup_id_x 1
		.amdhsa_system_sgpr_workgroup_id_y 0
		.amdhsa_system_sgpr_workgroup_id_z 0
		.amdhsa_system_sgpr_workgroup_info 0
		.amdhsa_system_vgpr_workitem_id 0
		.amdhsa_next_free_vgpr 81
		.amdhsa_next_free_sgpr 24
		.amdhsa_reserve_vcc 1
		.amdhsa_reserve_flat_scratch 0
		.amdhsa_float_round_mode_32 0
		.amdhsa_float_round_mode_16_64 0
		.amdhsa_float_denorm_mode_32 3
		.amdhsa_float_denorm_mode_16_64 3
		.amdhsa_dx10_clamp 1
		.amdhsa_ieee_mode 1
		.amdhsa_fp16_overflow 0
		.amdhsa_exception_fp_ieee_invalid_op 0
		.amdhsa_exception_fp_denorm_src 0
		.amdhsa_exception_fp_ieee_div_zero 0
		.amdhsa_exception_fp_ieee_overflow 0
		.amdhsa_exception_fp_ieee_underflow 0
		.amdhsa_exception_fp_ieee_inexact 0
		.amdhsa_exception_int_div_zero 0
	.end_amdhsa_kernel
	.section	.text._ZN9rocsolver6v33100L18getri_kernel_smallILi25EdPdEEvT1_iilPiilS4_bb,"axG",@progbits,_ZN9rocsolver6v33100L18getri_kernel_smallILi25EdPdEEvT1_iilPiilS4_bb,comdat
.Lfunc_end24:
	.size	_ZN9rocsolver6v33100L18getri_kernel_smallILi25EdPdEEvT1_iilPiilS4_bb, .Lfunc_end24-_ZN9rocsolver6v33100L18getri_kernel_smallILi25EdPdEEvT1_iilPiilS4_bb
                                        ; -- End function
	.set _ZN9rocsolver6v33100L18getri_kernel_smallILi25EdPdEEvT1_iilPiilS4_bb.num_vgpr, 81
	.set _ZN9rocsolver6v33100L18getri_kernel_smallILi25EdPdEEvT1_iilPiilS4_bb.num_agpr, 0
	.set _ZN9rocsolver6v33100L18getri_kernel_smallILi25EdPdEEvT1_iilPiilS4_bb.numbered_sgpr, 24
	.set _ZN9rocsolver6v33100L18getri_kernel_smallILi25EdPdEEvT1_iilPiilS4_bb.num_named_barrier, 0
	.set _ZN9rocsolver6v33100L18getri_kernel_smallILi25EdPdEEvT1_iilPiilS4_bb.private_seg_size, 208
	.set _ZN9rocsolver6v33100L18getri_kernel_smallILi25EdPdEEvT1_iilPiilS4_bb.uses_vcc, 1
	.set _ZN9rocsolver6v33100L18getri_kernel_smallILi25EdPdEEvT1_iilPiilS4_bb.uses_flat_scratch, 0
	.set _ZN9rocsolver6v33100L18getri_kernel_smallILi25EdPdEEvT1_iilPiilS4_bb.has_dyn_sized_stack, 0
	.set _ZN9rocsolver6v33100L18getri_kernel_smallILi25EdPdEEvT1_iilPiilS4_bb.has_recursion, 0
	.set _ZN9rocsolver6v33100L18getri_kernel_smallILi25EdPdEEvT1_iilPiilS4_bb.has_indirect_call, 0
	.section	.AMDGPU.csdata,"",@progbits
; Kernel info:
; codeLenInByte = 22056
; TotalNumSgprs: 28
; NumVgprs: 81
; ScratchSize: 208
; MemoryBound: 0
; FloatMode: 240
; IeeeMode: 1
; LDSByteSize: 408 bytes/workgroup (compile time only)
; SGPRBlocks: 3
; VGPRBlocks: 20
; NumSGPRsForWavesPerEU: 28
; NumVGPRsForWavesPerEU: 81
; Occupancy: 3
; WaveLimiterHint : 1
; COMPUTE_PGM_RSRC2:SCRATCH_EN: 1
; COMPUTE_PGM_RSRC2:USER_SGPR: 6
; COMPUTE_PGM_RSRC2:TRAP_HANDLER: 0
; COMPUTE_PGM_RSRC2:TGID_X_EN: 1
; COMPUTE_PGM_RSRC2:TGID_Y_EN: 0
; COMPUTE_PGM_RSRC2:TGID_Z_EN: 0
; COMPUTE_PGM_RSRC2:TIDIG_COMP_CNT: 0
	.section	.text._ZN9rocsolver6v33100L18getri_kernel_smallILi26EdPdEEvT1_iilPiilS4_bb,"axG",@progbits,_ZN9rocsolver6v33100L18getri_kernel_smallILi26EdPdEEvT1_iilPiilS4_bb,comdat
	.globl	_ZN9rocsolver6v33100L18getri_kernel_smallILi26EdPdEEvT1_iilPiilS4_bb ; -- Begin function _ZN9rocsolver6v33100L18getri_kernel_smallILi26EdPdEEvT1_iilPiilS4_bb
	.p2align	8
	.type	_ZN9rocsolver6v33100L18getri_kernel_smallILi26EdPdEEvT1_iilPiilS4_bb,@function
_ZN9rocsolver6v33100L18getri_kernel_smallILi26EdPdEEvT1_iilPiilS4_bb: ; @_ZN9rocsolver6v33100L18getri_kernel_smallILi26EdPdEEvT1_iilPiilS4_bb
; %bb.0:
	s_add_u32 s0, s0, s7
	s_addc_u32 s1, s1, 0
	v_cmp_gt_u32_e32 vcc, 26, v0
	s_and_saveexec_b64 s[8:9], vcc
	s_cbranch_execz .LBB25_112
; %bb.1:
	s_load_dword s12, s[4:5], 0x38
	s_load_dwordx4 s[16:19], s[4:5], 0x10
	s_load_dwordx4 s[8:11], s[4:5], 0x28
                                        ; implicit-def: $sgpr20_sgpr21
	s_waitcnt lgkmcnt(0)
	s_bitcmp1_b32 s12, 8
	s_cselect_b64 s[22:23], -1, 0
	s_ashr_i32 s7, s6, 31
	s_bfe_u32 s12, s12, 0x10008
	s_cmp_eq_u32 s12, 0
	s_cbranch_scc1 .LBB25_3
; %bb.2:
	s_load_dword s12, s[4:5], 0x20
	s_mul_i32 s13, s8, s7
	s_mul_hi_u32 s14, s8, s6
	s_mul_i32 s9, s9, s6
	s_add_i32 s14, s14, s13
	s_add_i32 s9, s14, s9
	s_mul_i32 s8, s8, s6
	s_waitcnt lgkmcnt(0)
	s_ashr_i32 s13, s12, 31
	s_lshl_b64 s[8:9], s[8:9], 2
	s_add_u32 s14, s18, s8
	s_addc_u32 s15, s19, s9
	s_lshl_b64 s[8:9], s[12:13], 2
	s_add_u32 s20, s14, s8
	s_addc_u32 s21, s15, s9
.LBB25_3:
	s_load_dwordx4 s[12:15], s[4:5], 0x0
	s_load_dword s8, s[4:5], 0x38
	s_mul_i32 s9, s16, s7
	s_mul_hi_u32 s18, s16, s6
	s_add_i32 s9, s18, s9
	s_waitcnt lgkmcnt(0)
	s_ashr_i32 s5, s14, 31
	s_mov_b32 s4, s14
	s_mul_i32 s14, s17, s6
	s_add_i32 s17, s9, s14
	s_mul_i32 s16, s16, s6
	s_lshl_b64 s[16:17], s[16:17], 3
	s_add_u32 s9, s12, s16
	s_addc_u32 s12, s13, s17
	s_lshl_b64 s[4:5], s[4:5], 3
	s_add_u32 s4, s9, s4
	s_addc_u32 s5, s12, s5
	s_add_i32 s9, s15, s15
	v_add_u32_e32 v3, s9, v0
	v_ashrrev_i32_e32 v4, 31, v3
	v_lshlrev_b64 v[1:2], 3, v[3:4]
	v_add_u32_e32 v5, s15, v3
	v_mov_b32_e32 v4, s5
	v_add_co_u32_e32 v1, vcc, s4, v1
	v_ashrrev_i32_e32 v6, 31, v5
	v_addc_co_u32_e32 v2, vcc, v4, v2, vcc
	v_lshlrev_b64 v[3:4], 3, v[5:6]
	v_add_u32_e32 v7, s15, v5
	v_mov_b32_e32 v6, s5
	v_add_co_u32_e32 v3, vcc, s4, v3
	v_ashrrev_i32_e32 v8, 31, v7
	v_addc_co_u32_e32 v4, vcc, v6, v4, vcc
	;; [unrolled: 6-line block ×8, first 2 shown]
	v_lshlrev_b64 v[17:18], 3, v[19:20]
	v_mov_b32_e32 v21, s5
	v_add_co_u32_e32 v17, vcc, s4, v17
	v_addc_co_u32_e32 v18, vcc, v21, v18, vcc
	v_add_u32_e32 v21, s15, v19
	v_ashrrev_i32_e32 v22, 31, v21
	v_lshlrev_b64 v[19:20], 3, v[21:22]
	v_mov_b32_e32 v23, s5
	v_add_co_u32_e32 v19, vcc, s4, v19
	v_addc_co_u32_e32 v20, vcc, v23, v20, vcc
	v_add_u32_e32 v23, s15, v21
	v_ashrrev_i32_e32 v24, 31, v23
	;; [unrolled: 6-line block ×11, first 2 shown]
	v_lshlrev_b64 v[39:40], 3, v[41:42]
	v_add_u32_e32 v47, s15, v41
	v_ashrrev_i32_e32 v48, 31, v47
	v_mov_b32_e32 v43, s5
	v_add_co_u32_e32 v39, vcc, s4, v39
	v_lshlrev_b64 v[41:42], 3, v[47:48]
	v_addc_co_u32_e32 v40, vcc, v43, v40, vcc
	v_add_co_u32_e32 v41, vcc, s4, v41
	v_addc_co_u32_e32 v42, vcc, v43, v42, vcc
	v_lshlrev_b32_e32 v55, 3, v0
	v_mov_b32_e32 v44, s5
	v_add_co_u32_e32 v43, vcc, s4, v55
	s_ashr_i32 s13, s15, 31
	s_mov_b32 s12, s15
	v_add_u32_e32 v49, s15, v47
	v_addc_co_u32_e32 v44, vcc, 0, v44, vcc
	s_lshl_b64 s[12:13], s[12:13], 3
	v_ashrrev_i32_e32 v50, 31, v49
	v_mov_b32_e32 v46, s13
	v_add_co_u32_e32 v45, vcc, s12, v43
	v_lshlrev_b64 v[47:48], 3, v[49:50]
	v_addc_co_u32_e32 v46, vcc, v44, v46, vcc
	v_mov_b32_e32 v51, s5
	v_add_co_u32_e32 v47, vcc, s4, v47
	v_addc_co_u32_e32 v48, vcc, v51, v48, vcc
	v_add_u32_e32 v51, s15, v49
	v_ashrrev_i32_e32 v52, 31, v51
	v_lshlrev_b64 v[49:50], 3, v[51:52]
	v_mov_b32_e32 v88, s5
	v_add_co_u32_e32 v49, vcc, s4, v49
	global_load_dwordx2 v[53:54], v55, s[4:5]
	global_load_dwordx2 v[58:59], v[1:2], off
	global_load_dwordx2 v[60:61], v[3:4], off
	;; [unrolled: 1-line block ×16, first 2 shown]
	v_addc_co_u32_e32 v50, vcc, v88, v50, vcc
	global_load_dwordx2 v[88:89], v[31:32], off
	global_load_dwordx2 v[90:91], v[33:34], off
	;; [unrolled: 1-line block ×8, first 2 shown]
	v_add_u32_e32 v51, s15, v51
	v_ashrrev_i32_e32 v52, 31, v51
	v_lshlrev_b64 v[51:52], 3, v[51:52]
	v_mov_b32_e32 v104, s5
	v_add_co_u32_e32 v51, vcc, s4, v51
	v_addc_co_u32_e32 v52, vcc, v104, v52, vcc
	global_load_dwordx2 v[104:105], v[51:52], off
	s_bitcmp0_b32 s8, 0
	s_mov_b64 s[8:9], -1
	s_waitcnt vmcnt(25)
	buffer_store_dword v54, off, s[0:3], 0 offset:4
	buffer_store_dword v53, off, s[0:3], 0
	s_waitcnt vmcnt(23)
	buffer_store_dword v57, off, s[0:3], 0 offset:12
	buffer_store_dword v56, off, s[0:3], 0 offset:8
	;; [unrolled: 1-line block ×8, first 2 shown]
	s_waitcnt vmcnt(30)
	buffer_store_dword v65, off, s[0:3], 0 offset:44
	buffer_store_dword v64, off, s[0:3], 0 offset:40
	s_waitcnt vmcnt(31)
	buffer_store_dword v67, off, s[0:3], 0 offset:52
	buffer_store_dword v66, off, s[0:3], 0 offset:48
	;; [unrolled: 3-line block ×21, first 2 shown]
	s_cbranch_scc1 .LBB25_110
; %bb.4:
	v_cmp_eq_u32_e64 s[4:5], 0, v0
	s_and_saveexec_b64 s[8:9], s[4:5]
; %bb.5:
	v_mov_b32_e32 v53, 0
	ds_write_b32 v53, v53 offset:416
; %bb.6:
	s_or_b64 exec, exec, s[8:9]
	v_mov_b32_e32 v53, 0
	v_lshl_add_u32 v53, v0, 3, v53
	s_waitcnt lgkmcnt(0)
	; wave barrier
	buffer_load_dword v56, v53, s[0:3], 0 offen
	buffer_load_dword v57, v53, s[0:3], 0 offen offset:4
	s_waitcnt vmcnt(0)
	v_cmp_eq_f64_e32 vcc, 0, v[56:57]
	s_and_saveexec_b64 s[12:13], vcc
	s_cbranch_execz .LBB25_10
; %bb.7:
	v_mov_b32_e32 v54, 0
	ds_read_b32 v57, v54 offset:416
	v_add_u32_e32 v56, 1, v0
	s_waitcnt lgkmcnt(0)
	v_readfirstlane_b32 s8, v57
	s_cmp_eq_u32 s8, 0
	s_cselect_b64 s[14:15], -1, 0
	v_cmp_gt_i32_e32 vcc, s8, v56
	s_or_b64 s[14:15], s[14:15], vcc
	s_and_b64 exec, exec, s[14:15]
	s_cbranch_execz .LBB25_10
; %bb.8:
	s_mov_b64 s[14:15], 0
	v_mov_b32_e32 v57, s8
.LBB25_9:                               ; =>This Inner Loop Header: Depth=1
	ds_cmpst_rtn_b32 v57, v54, v57, v56 offset:416
	s_waitcnt lgkmcnt(0)
	v_cmp_ne_u32_e32 vcc, 0, v57
	v_cmp_le_i32_e64 s[8:9], v57, v56
	s_and_b64 s[8:9], vcc, s[8:9]
	s_and_b64 s[8:9], exec, s[8:9]
	s_or_b64 s[14:15], s[8:9], s[14:15]
	s_andn2_b64 exec, exec, s[14:15]
	s_cbranch_execnz .LBB25_9
.LBB25_10:
	s_or_b64 exec, exec, s[12:13]
	v_mov_b32_e32 v56, 0
	; wave barrier
	ds_read_b32 v54, v56 offset:416
	s_and_saveexec_b64 s[8:9], s[4:5]
	s_cbranch_execz .LBB25_12
; %bb.11:
	s_lshl_b64 s[12:13], s[6:7], 2
	s_add_u32 s12, s10, s12
	s_addc_u32 s13, s11, s13
	s_waitcnt lgkmcnt(0)
	global_store_dword v56, v54, s[12:13]
.LBB25_12:
	s_or_b64 exec, exec, s[8:9]
	s_waitcnt lgkmcnt(0)
	v_cmp_ne_u32_e32 vcc, 0, v54
	s_mov_b64 s[8:9], 0
	s_cbranch_vccnz .LBB25_110
; %bb.13:
	buffer_load_dword v56, v53, s[0:3], 0 offen
	buffer_load_dword v57, v53, s[0:3], 0 offen offset:4
	s_waitcnt vmcnt(0)
	v_div_scale_f64 v[58:59], s[8:9], v[56:57], v[56:57], 1.0
	v_rcp_f64_e32 v[60:61], v[58:59]
	v_fma_f64 v[62:63], -v[58:59], v[60:61], 1.0
	v_fma_f64 v[60:61], v[60:61], v[62:63], v[60:61]
	v_div_scale_f64 v[62:63], vcc, 1.0, v[56:57], 1.0
	v_fma_f64 v[64:65], -v[58:59], v[60:61], 1.0
	v_fma_f64 v[60:61], v[60:61], v[64:65], v[60:61]
	v_mul_f64 v[64:65], v[62:63], v[60:61]
	v_fma_f64 v[58:59], -v[58:59], v[64:65], v[62:63]
	v_div_fmas_f64 v[58:59], v[58:59], v[60:61], v[64:65]
	v_div_fixup_f64 v[57:58], v[58:59], v[56:57], 1.0
	v_add_u32_e32 v56, 0xd0, v55
	buffer_store_dword v58, v53, s[0:3], 0 offen offset:4
	buffer_store_dword v57, v53, s[0:3], 0 offen
	buffer_load_dword v60, off, s[0:3], 0 offset:12
	buffer_load_dword v59, off, s[0:3], 0 offset:8
	v_xor_b32_e32 v58, 0x80000000, v58
	s_waitcnt vmcnt(0)
	ds_write2_b64 v55, v[57:58], v[59:60] offset1:26
	s_waitcnt lgkmcnt(0)
	; wave barrier
	s_and_saveexec_b64 s[8:9], s[4:5]
	s_cbranch_execz .LBB25_15
; %bb.14:
	buffer_load_dword v57, v53, s[0:3], 0 offen
	buffer_load_dword v58, v53, s[0:3], 0 offen offset:4
	ds_read_b64 v[59:60], v56
	v_mov_b32_e32 v54, 0
	ds_read_b64 v[61:62], v54 offset:8
	s_waitcnt vmcnt(0) lgkmcnt(1)
	v_fma_f64 v[57:58], v[57:58], v[59:60], 0
	s_waitcnt lgkmcnt(0)
	v_mul_f64 v[57:58], v[57:58], v[61:62]
	buffer_store_dword v57, off, s[0:3], 0 offset:8
	buffer_store_dword v58, off, s[0:3], 0 offset:12
.LBB25_15:
	s_or_b64 exec, exec, s[8:9]
	; wave barrier
	buffer_load_dword v57, off, s[0:3], 0 offset:16
	buffer_load_dword v58, off, s[0:3], 0 offset:20
	v_cmp_gt_u32_e32 vcc, 2, v0
	s_waitcnt vmcnt(0)
	ds_write_b64 v56, v[57:58]
	s_waitcnt lgkmcnt(0)
	; wave barrier
	s_and_saveexec_b64 s[8:9], vcc
	s_cbranch_execz .LBB25_17
; %bb.16:
	buffer_load_dword v57, v53, s[0:3], 0 offen
	buffer_load_dword v58, v53, s[0:3], 0 offen offset:4
                                        ; kill: killed $vgpr53
	s_nop 0
	buffer_load_dword v53, off, s[0:3], 0 offset:8
	buffer_load_dword v54, off, s[0:3], 0 offset:12
	ds_read_b64 v[59:60], v56
	s_waitcnt vmcnt(2) lgkmcnt(0)
	v_fma_f64 v[61:62], v[57:58], v[59:60], 0
	v_mov_b32_e32 v57, 0
	ds_read2_b64 v[57:60], v57 offset0:2 offset1:27
	s_waitcnt vmcnt(0) lgkmcnt(0)
	v_fma_f64 v[53:54], v[53:54], v[59:60], v[61:62]
	v_cndmask_b32_e64 v54, v62, v54, s[4:5]
	v_cndmask_b32_e64 v53, v61, v53, s[4:5]
	v_mul_f64 v[53:54], v[53:54], v[57:58]
	buffer_store_dword v54, off, s[0:3], 0 offset:20
	buffer_store_dword v53, off, s[0:3], 0 offset:16
.LBB25_17:
	s_or_b64 exec, exec, s[8:9]
	; wave barrier
	buffer_load_dword v53, off, s[0:3], 0 offset:24
	buffer_load_dword v54, off, s[0:3], 0 offset:28
	v_cmp_gt_u32_e32 vcc, 3, v0
	v_add_u32_e32 v57, -1, v0
	s_waitcnt vmcnt(0)
	ds_write_b64 v56, v[53:54]
	s_waitcnt lgkmcnt(0)
	; wave barrier
	s_and_saveexec_b64 s[4:5], vcc
	s_cbranch_execz .LBB25_21
; %bb.18:
	v_mov_b32_e32 v53, 0
	v_add_u32_e32 v58, -1, v0
	v_add_u32_e32 v59, 0xd0, v55
	v_mov_b32_e32 v60, v55
	v_mov_b32_e32 v54, 0
	s_mov_b64 s[8:9], 0
.LBB25_19:                              ; =>This Inner Loop Header: Depth=1
	buffer_load_dword v61, v60, s[0:3], 0 offen
	buffer_load_dword v62, v60, s[0:3], 0 offen offset:4
	ds_read_b64 v[63:64], v59
	v_add_u32_e32 v58, 1, v58
	v_cmp_lt_u32_e32 vcc, 1, v58
	v_add_u32_e32 v59, 8, v59
	s_or_b64 s[8:9], vcc, s[8:9]
	v_add_u32_e32 v60, 8, v60
	s_waitcnt vmcnt(0) lgkmcnt(0)
	v_fma_f64 v[53:54], v[61:62], v[63:64], v[53:54]
	s_andn2_b64 exec, exec, s[8:9]
	s_cbranch_execnz .LBB25_19
; %bb.20:
	s_or_b64 exec, exec, s[8:9]
	v_mov_b32_e32 v58, 0
	ds_read_b64 v[58:59], v58 offset:24
	s_waitcnt lgkmcnt(0)
	v_mul_f64 v[53:54], v[53:54], v[58:59]
	buffer_store_dword v54, off, s[0:3], 0 offset:28
	buffer_store_dword v53, off, s[0:3], 0 offset:24
.LBB25_21:
	s_or_b64 exec, exec, s[4:5]
	; wave barrier
	buffer_load_dword v53, off, s[0:3], 0 offset:32
	buffer_load_dword v54, off, s[0:3], 0 offset:36
	v_cmp_gt_u32_e32 vcc, 4, v0
	s_waitcnt vmcnt(0)
	ds_write_b64 v56, v[53:54]
	s_waitcnt lgkmcnt(0)
	; wave barrier
	s_and_saveexec_b64 s[4:5], vcc
	s_cbranch_execz .LBB25_25
; %bb.22:
	v_mov_b32_e32 v53, 0
	v_add_u32_e32 v58, -1, v0
	v_add_u32_e32 v59, 0xd0, v55
	v_mov_b32_e32 v60, v55
	v_mov_b32_e32 v54, 0
	s_mov_b64 s[8:9], 0
.LBB25_23:                              ; =>This Inner Loop Header: Depth=1
	buffer_load_dword v61, v60, s[0:3], 0 offen
	buffer_load_dword v62, v60, s[0:3], 0 offen offset:4
	ds_read_b64 v[63:64], v59
	v_add_u32_e32 v58, 1, v58
	v_cmp_lt_u32_e32 vcc, 2, v58
	v_add_u32_e32 v59, 8, v59
	s_or_b64 s[8:9], vcc, s[8:9]
	v_add_u32_e32 v60, 8, v60
	s_waitcnt vmcnt(0) lgkmcnt(0)
	v_fma_f64 v[53:54], v[61:62], v[63:64], v[53:54]
	s_andn2_b64 exec, exec, s[8:9]
	s_cbranch_execnz .LBB25_23
; %bb.24:
	s_or_b64 exec, exec, s[8:9]
	v_mov_b32_e32 v58, 0
	ds_read_b64 v[58:59], v58 offset:32
	s_waitcnt lgkmcnt(0)
	v_mul_f64 v[53:54], v[53:54], v[58:59]
	buffer_store_dword v54, off, s[0:3], 0 offset:36
	buffer_store_dword v53, off, s[0:3], 0 offset:32
.LBB25_25:
	s_or_b64 exec, exec, s[4:5]
	; wave barrier
	buffer_load_dword v53, off, s[0:3], 0 offset:40
	buffer_load_dword v54, off, s[0:3], 0 offset:44
	v_cmp_gt_u32_e32 vcc, 5, v0
	;; [unrolled: 40-line block ×21, first 2 shown]
	s_waitcnt vmcnt(0)
	ds_write_b64 v56, v[53:54]
	s_waitcnt lgkmcnt(0)
	; wave barrier
	s_and_saveexec_b64 s[4:5], vcc
	s_cbranch_execz .LBB25_105
; %bb.102:
	v_mov_b32_e32 v53, 0
	v_add_u32_e32 v58, -1, v0
	v_add_u32_e32 v59, 0xd0, v55
	v_mov_b32_e32 v60, v55
	v_mov_b32_e32 v54, 0
	s_mov_b64 s[8:9], 0
.LBB25_103:                             ; =>This Inner Loop Header: Depth=1
	buffer_load_dword v61, v60, s[0:3], 0 offen
	buffer_load_dword v62, v60, s[0:3], 0 offen offset:4
	ds_read_b64 v[63:64], v59
	v_add_u32_e32 v58, 1, v58
	v_cmp_lt_u32_e32 vcc, 22, v58
	v_add_u32_e32 v59, 8, v59
	s_or_b64 s[8:9], vcc, s[8:9]
	v_add_u32_e32 v60, 8, v60
	s_waitcnt vmcnt(0) lgkmcnt(0)
	v_fma_f64 v[53:54], v[61:62], v[63:64], v[53:54]
	s_andn2_b64 exec, exec, s[8:9]
	s_cbranch_execnz .LBB25_103
; %bb.104:
	s_or_b64 exec, exec, s[8:9]
	v_mov_b32_e32 v58, 0
	ds_read_b64 v[58:59], v58 offset:192
	s_waitcnt lgkmcnt(0)
	v_mul_f64 v[53:54], v[53:54], v[58:59]
	buffer_store_dword v54, off, s[0:3], 0 offset:196
	buffer_store_dword v53, off, s[0:3], 0 offset:192
.LBB25_105:
	s_or_b64 exec, exec, s[4:5]
	; wave barrier
	buffer_load_dword v53, off, s[0:3], 0 offset:200
	buffer_load_dword v54, off, s[0:3], 0 offset:204
	v_cmp_ne_u32_e32 vcc, 25, v0
	s_waitcnt vmcnt(0)
	ds_write_b64 v56, v[53:54]
	s_waitcnt lgkmcnt(0)
	; wave barrier
	s_and_saveexec_b64 s[4:5], vcc
	s_cbranch_execz .LBB25_109
; %bb.106:
	v_mov_b32_e32 v53, 0
	v_add_u32_e32 v56, 0xd0, v55
	v_mov_b32_e32 v54, 0
	s_mov_b64 s[8:9], 0
.LBB25_107:                             ; =>This Inner Loop Header: Depth=1
	buffer_load_dword v58, v55, s[0:3], 0 offen
	buffer_load_dword v59, v55, s[0:3], 0 offen offset:4
	ds_read_b64 v[60:61], v56
	v_add_u32_e32 v57, 1, v57
	v_cmp_lt_u32_e32 vcc, 23, v57
	v_add_u32_e32 v56, 8, v56
	s_or_b64 s[8:9], vcc, s[8:9]
	v_add_u32_e32 v55, 8, v55
	s_waitcnt vmcnt(0) lgkmcnt(0)
	v_fma_f64 v[53:54], v[58:59], v[60:61], v[53:54]
	s_andn2_b64 exec, exec, s[8:9]
	s_cbranch_execnz .LBB25_107
; %bb.108:
	s_or_b64 exec, exec, s[8:9]
	v_mov_b32_e32 v55, 0
	ds_read_b64 v[55:56], v55 offset:200
	s_waitcnt lgkmcnt(0)
	v_mul_f64 v[53:54], v[53:54], v[55:56]
	buffer_store_dword v54, off, s[0:3], 0 offset:204
	buffer_store_dword v53, off, s[0:3], 0 offset:200
.LBB25_109:
	s_or_b64 exec, exec, s[4:5]
	s_mov_b64 s[8:9], -1
	; wave barrier
.LBB25_110:
	s_and_b64 vcc, exec, s[8:9]
	s_cbranch_vccz .LBB25_112
; %bb.111:
	s_lshl_b64 s[4:5], s[6:7], 2
	s_add_u32 s4, s10, s4
	s_addc_u32 s5, s11, s5
	v_mov_b32_e32 v53, 0
	global_load_dword v53, v53, s[4:5]
	s_waitcnt vmcnt(0)
	v_cmp_ne_u32_e32 vcc, 0, v53
	s_cbranch_vccz .LBB25_113
.LBB25_112:
	s_endpgm
.LBB25_113:
	v_mov_b32_e32 v53, 0xd0
	v_lshl_add_u32 v53, v0, 3, v53
	v_cmp_eq_u32_e32 vcc, 25, v0
	s_and_saveexec_b64 s[4:5], vcc
	s_cbranch_execz .LBB25_115
; %bb.114:
	buffer_load_dword v54, off, s[0:3], 0 offset:192
	buffer_load_dword v55, off, s[0:3], 0 offset:196
	v_mov_b32_e32 v56, 0
	buffer_store_dword v56, off, s[0:3], 0 offset:192
	buffer_store_dword v56, off, s[0:3], 0 offset:196
	s_waitcnt vmcnt(2)
	ds_write_b64 v53, v[54:55]
.LBB25_115:
	s_or_b64 exec, exec, s[4:5]
	s_waitcnt lgkmcnt(0)
	; wave barrier
	buffer_load_dword v55, off, s[0:3], 0 offset:200
	buffer_load_dword v56, off, s[0:3], 0 offset:204
	buffer_load_dword v57, off, s[0:3], 0 offset:192
	buffer_load_dword v58, off, s[0:3], 0 offset:196
	v_mov_b32_e32 v54, 0
	ds_read_b64 v[59:60], v54 offset:408
	v_cmp_lt_u32_e32 vcc, 23, v0
	s_waitcnt vmcnt(2) lgkmcnt(0)
	v_fma_f64 v[55:56], v[55:56], v[59:60], 0
	s_waitcnt vmcnt(0)
	v_add_f64 v[55:56], v[57:58], -v[55:56]
	buffer_store_dword v55, off, s[0:3], 0 offset:192
	buffer_store_dword v56, off, s[0:3], 0 offset:196
	s_and_saveexec_b64 s[4:5], vcc
	s_cbranch_execz .LBB25_117
; %bb.116:
	buffer_load_dword v55, off, s[0:3], 0 offset:184
	buffer_load_dword v56, off, s[0:3], 0 offset:188
	s_waitcnt vmcnt(0)
	ds_write_b64 v53, v[55:56]
	buffer_store_dword v54, off, s[0:3], 0 offset:184
	buffer_store_dword v54, off, s[0:3], 0 offset:188
.LBB25_117:
	s_or_b64 exec, exec, s[4:5]
	s_waitcnt lgkmcnt(0)
	; wave barrier
	buffer_load_dword v58, off, s[0:3], 0 offset:192
	buffer_load_dword v59, off, s[0:3], 0 offset:196
	;; [unrolled: 1-line block ×6, first 2 shown]
	ds_read_b128 v[54:57], v54 offset:400
	v_cmp_lt_u32_e32 vcc, 22, v0
	s_waitcnt vmcnt(4) lgkmcnt(0)
	v_fma_f64 v[54:55], v[58:59], v[54:55], 0
	s_waitcnt vmcnt(2)
	v_fma_f64 v[54:55], v[60:61], v[56:57], v[54:55]
	s_waitcnt vmcnt(0)
	v_add_f64 v[54:55], v[62:63], -v[54:55]
	buffer_store_dword v54, off, s[0:3], 0 offset:184
	buffer_store_dword v55, off, s[0:3], 0 offset:188
	s_and_saveexec_b64 s[4:5], vcc
	s_cbranch_execz .LBB25_119
; %bb.118:
	buffer_load_dword v54, off, s[0:3], 0 offset:176
	buffer_load_dword v55, off, s[0:3], 0 offset:180
	v_mov_b32_e32 v56, 0
	buffer_store_dword v56, off, s[0:3], 0 offset:176
	buffer_store_dword v56, off, s[0:3], 0 offset:180
	s_waitcnt vmcnt(2)
	ds_write_b64 v53, v[54:55]
.LBB25_119:
	s_or_b64 exec, exec, s[4:5]
	s_waitcnt lgkmcnt(0)
	; wave barrier
	buffer_load_dword v59, off, s[0:3], 0 offset:184
	buffer_load_dword v60, off, s[0:3], 0 offset:188
	;; [unrolled: 1-line block ×8, first 2 shown]
	v_mov_b32_e32 v54, 0
	ds_read2_b64 v[55:58], v54 offset0:49 offset1:50
	ds_read_b64 v[67:68], v54 offset:408
	v_cmp_lt_u32_e32 vcc, 21, v0
	s_waitcnt vmcnt(6) lgkmcnt(1)
	v_fma_f64 v[55:56], v[59:60], v[55:56], 0
	s_waitcnt vmcnt(4)
	v_fma_f64 v[55:56], v[61:62], v[57:58], v[55:56]
	s_waitcnt vmcnt(2) lgkmcnt(0)
	v_fma_f64 v[55:56], v[63:64], v[67:68], v[55:56]
	s_waitcnt vmcnt(0)
	v_add_f64 v[55:56], v[65:66], -v[55:56]
	buffer_store_dword v55, off, s[0:3], 0 offset:176
	buffer_store_dword v56, off, s[0:3], 0 offset:180
	s_and_saveexec_b64 s[4:5], vcc
	s_cbranch_execz .LBB25_121
; %bb.120:
	buffer_load_dword v55, off, s[0:3], 0 offset:168
	buffer_load_dword v56, off, s[0:3], 0 offset:172
	s_waitcnt vmcnt(0)
	ds_write_b64 v53, v[55:56]
	buffer_store_dword v54, off, s[0:3], 0 offset:168
	buffer_store_dword v54, off, s[0:3], 0 offset:172
.LBB25_121:
	s_or_b64 exec, exec, s[4:5]
	s_waitcnt lgkmcnt(0)
	; wave barrier
	buffer_load_dword v63, off, s[0:3], 0 offset:176
	buffer_load_dword v64, off, s[0:3], 0 offset:180
	;; [unrolled: 1-line block ×10, first 2 shown]
	ds_read_b128 v[55:58], v54 offset:384
	ds_read_b128 v[59:62], v54 offset:400
	v_cmp_lt_u32_e32 vcc, 20, v0
	s_waitcnt vmcnt(8) lgkmcnt(1)
	v_fma_f64 v[54:55], v[63:64], v[55:56], 0
	s_waitcnt vmcnt(6)
	v_fma_f64 v[54:55], v[65:66], v[57:58], v[54:55]
	s_waitcnt vmcnt(4) lgkmcnt(0)
	v_fma_f64 v[54:55], v[67:68], v[59:60], v[54:55]
	s_waitcnt vmcnt(2)
	v_fma_f64 v[54:55], v[69:70], v[61:62], v[54:55]
	s_waitcnt vmcnt(0)
	v_add_f64 v[54:55], v[71:72], -v[54:55]
	buffer_store_dword v54, off, s[0:3], 0 offset:168
	buffer_store_dword v55, off, s[0:3], 0 offset:172
	s_and_saveexec_b64 s[4:5], vcc
	s_cbranch_execz .LBB25_123
; %bb.122:
	buffer_load_dword v54, off, s[0:3], 0 offset:160
	buffer_load_dword v55, off, s[0:3], 0 offset:164
	v_mov_b32_e32 v56, 0
	buffer_store_dword v56, off, s[0:3], 0 offset:160
	buffer_store_dword v56, off, s[0:3], 0 offset:164
	s_waitcnt vmcnt(2)
	ds_write_b64 v53, v[54:55]
.LBB25_123:
	s_or_b64 exec, exec, s[4:5]
	s_waitcnt lgkmcnt(0)
	; wave barrier
	buffer_load_dword v63, off, s[0:3], 0 offset:168
	buffer_load_dword v64, off, s[0:3], 0 offset:172
	;; [unrolled: 1-line block ×12, first 2 shown]
	v_mov_b32_e32 v54, 0
	ds_read2_b64 v[55:58], v54 offset0:47 offset1:48
	ds_read2_b64 v[59:62], v54 offset0:49 offset1:50
	v_cmp_lt_u32_e32 vcc, 19, v0
	s_waitcnt vmcnt(10) lgkmcnt(1)
	v_fma_f64 v[55:56], v[63:64], v[55:56], 0
	s_waitcnt vmcnt(8)
	v_fma_f64 v[55:56], v[65:66], v[57:58], v[55:56]
	ds_read_b64 v[57:58], v54 offset:408
	s_waitcnt vmcnt(6) lgkmcnt(1)
	v_fma_f64 v[55:56], v[67:68], v[59:60], v[55:56]
	s_waitcnt vmcnt(4)
	v_fma_f64 v[55:56], v[69:70], v[61:62], v[55:56]
	s_waitcnt vmcnt(2) lgkmcnt(0)
	v_fma_f64 v[55:56], v[71:72], v[57:58], v[55:56]
	s_waitcnt vmcnt(0)
	v_add_f64 v[55:56], v[73:74], -v[55:56]
	buffer_store_dword v55, off, s[0:3], 0 offset:160
	buffer_store_dword v56, off, s[0:3], 0 offset:164
	s_and_saveexec_b64 s[4:5], vcc
	s_cbranch_execz .LBB25_125
; %bb.124:
	buffer_load_dword v55, off, s[0:3], 0 offset:152
	buffer_load_dword v56, off, s[0:3], 0 offset:156
	s_waitcnt vmcnt(0)
	ds_write_b64 v53, v[55:56]
	buffer_store_dword v54, off, s[0:3], 0 offset:152
	buffer_store_dword v54, off, s[0:3], 0 offset:156
.LBB25_125:
	s_or_b64 exec, exec, s[4:5]
	s_waitcnt lgkmcnt(0)
	; wave barrier
	buffer_load_dword v63, off, s[0:3], 0 offset:160
	buffer_load_dword v64, off, s[0:3], 0 offset:164
	;; [unrolled: 1-line block ×14, first 2 shown]
	ds_read_b128 v[55:58], v54 offset:368
	ds_read_b128 v[59:62], v54 offset:384
	v_cmp_lt_u32_e32 vcc, 18, v0
	s_waitcnt vmcnt(12) lgkmcnt(1)
	v_fma_f64 v[55:56], v[63:64], v[55:56], 0
	s_waitcnt vmcnt(10)
	v_fma_f64 v[55:56], v[65:66], v[57:58], v[55:56]
	s_waitcnt vmcnt(8) lgkmcnt(0)
	v_fma_f64 v[55:56], v[67:68], v[59:60], v[55:56]
	s_waitcnt vmcnt(6)
	v_fma_f64 v[58:59], v[69:70], v[61:62], v[55:56]
	ds_read_b128 v[54:57], v54 offset:400
	s_waitcnt vmcnt(4) lgkmcnt(0)
	v_fma_f64 v[54:55], v[71:72], v[54:55], v[58:59]
	s_waitcnt vmcnt(2)
	v_fma_f64 v[54:55], v[73:74], v[56:57], v[54:55]
	s_waitcnt vmcnt(0)
	v_add_f64 v[54:55], v[75:76], -v[54:55]
	buffer_store_dword v54, off, s[0:3], 0 offset:152
	buffer_store_dword v55, off, s[0:3], 0 offset:156
	s_and_saveexec_b64 s[4:5], vcc
	s_cbranch_execz .LBB25_127
; %bb.126:
	buffer_load_dword v54, off, s[0:3], 0 offset:144
	buffer_load_dword v55, off, s[0:3], 0 offset:148
	v_mov_b32_e32 v56, 0
	buffer_store_dword v56, off, s[0:3], 0 offset:144
	buffer_store_dword v56, off, s[0:3], 0 offset:148
	s_waitcnt vmcnt(2)
	ds_write_b64 v53, v[54:55]
.LBB25_127:
	s_or_b64 exec, exec, s[4:5]
	s_waitcnt lgkmcnt(0)
	; wave barrier
	buffer_load_dword v63, off, s[0:3], 0 offset:152
	buffer_load_dword v64, off, s[0:3], 0 offset:156
	;; [unrolled: 1-line block ×16, first 2 shown]
	v_mov_b32_e32 v54, 0
	ds_read2_b64 v[55:58], v54 offset0:45 offset1:46
	ds_read2_b64 v[59:62], v54 offset0:47 offset1:48
	v_cmp_lt_u32_e32 vcc, 17, v0
	s_waitcnt vmcnt(14) lgkmcnt(1)
	v_fma_f64 v[55:56], v[63:64], v[55:56], 0
	s_waitcnt vmcnt(12)
	v_fma_f64 v[55:56], v[65:66], v[57:58], v[55:56]
	s_waitcnt vmcnt(10) lgkmcnt(0)
	v_fma_f64 v[55:56], v[67:68], v[59:60], v[55:56]
	s_waitcnt vmcnt(8)
	v_fma_f64 v[59:60], v[69:70], v[61:62], v[55:56]
	ds_read2_b64 v[55:58], v54 offset0:49 offset1:50
	ds_read_b64 v[61:62], v54 offset:408
	s_waitcnt vmcnt(6) lgkmcnt(1)
	v_fma_f64 v[55:56], v[71:72], v[55:56], v[59:60]
	s_waitcnt vmcnt(4)
	v_fma_f64 v[55:56], v[73:74], v[57:58], v[55:56]
	s_waitcnt vmcnt(2) lgkmcnt(0)
	v_fma_f64 v[55:56], v[75:76], v[61:62], v[55:56]
	s_waitcnt vmcnt(0)
	v_add_f64 v[55:56], v[77:78], -v[55:56]
	buffer_store_dword v55, off, s[0:3], 0 offset:144
	buffer_store_dword v56, off, s[0:3], 0 offset:148
	s_and_saveexec_b64 s[4:5], vcc
	s_cbranch_execz .LBB25_129
; %bb.128:
	buffer_load_dword v55, off, s[0:3], 0 offset:136
	buffer_load_dword v56, off, s[0:3], 0 offset:140
	s_waitcnt vmcnt(0)
	ds_write_b64 v53, v[55:56]
	buffer_store_dword v54, off, s[0:3], 0 offset:136
	buffer_store_dword v54, off, s[0:3], 0 offset:140
.LBB25_129:
	s_or_b64 exec, exec, s[4:5]
	s_waitcnt lgkmcnt(0)
	; wave barrier
	buffer_load_dword v63, off, s[0:3], 0 offset:144
	buffer_load_dword v64, off, s[0:3], 0 offset:148
	;; [unrolled: 1-line block ×18, first 2 shown]
	ds_read_b128 v[55:58], v54 offset:352
	ds_read_b128 v[59:62], v54 offset:368
	v_cmp_lt_u32_e32 vcc, 16, v0
	s_waitcnt vmcnt(16) lgkmcnt(1)
	v_fma_f64 v[55:56], v[63:64], v[55:56], 0
	s_waitcnt vmcnt(14)
	v_fma_f64 v[55:56], v[65:66], v[57:58], v[55:56]
	s_waitcnt vmcnt(12) lgkmcnt(0)
	v_fma_f64 v[55:56], v[67:68], v[59:60], v[55:56]
	s_waitcnt vmcnt(10)
	v_fma_f64 v[63:64], v[69:70], v[61:62], v[55:56]
	ds_read_b128 v[55:58], v54 offset:384
	ds_read_b128 v[59:62], v54 offset:400
	s_waitcnt vmcnt(8) lgkmcnt(1)
	v_fma_f64 v[54:55], v[71:72], v[55:56], v[63:64]
	s_waitcnt vmcnt(6)
	v_fma_f64 v[54:55], v[73:74], v[57:58], v[54:55]
	s_waitcnt vmcnt(4) lgkmcnt(0)
	v_fma_f64 v[54:55], v[75:76], v[59:60], v[54:55]
	s_waitcnt vmcnt(2)
	v_fma_f64 v[54:55], v[77:78], v[61:62], v[54:55]
	s_waitcnt vmcnt(0)
	v_add_f64 v[54:55], v[79:80], -v[54:55]
	buffer_store_dword v54, off, s[0:3], 0 offset:136
	buffer_store_dword v55, off, s[0:3], 0 offset:140
	s_and_saveexec_b64 s[4:5], vcc
	s_cbranch_execz .LBB25_131
; %bb.130:
	buffer_load_dword v54, off, s[0:3], 0 offset:128
	buffer_load_dword v55, off, s[0:3], 0 offset:132
	v_mov_b32_e32 v56, 0
	buffer_store_dword v56, off, s[0:3], 0 offset:128
	buffer_store_dword v56, off, s[0:3], 0 offset:132
	s_waitcnt vmcnt(2)
	ds_write_b64 v53, v[54:55]
.LBB25_131:
	s_or_b64 exec, exec, s[4:5]
	s_waitcnt lgkmcnt(0)
	; wave barrier
	buffer_load_dword v59, off, s[0:3], 0 offset:128
	buffer_load_dword v60, off, s[0:3], 0 offset:132
	;; [unrolled: 1-line block ×16, first 2 shown]
	v_mov_b32_e32 v54, 0
	ds_read2_b64 v[55:58], v54 offset0:43 offset1:44
	v_cmp_lt_u32_e32 vcc, 15, v0
	s_waitcnt vmcnt(12) lgkmcnt(0)
	v_fma_f64 v[55:56], v[61:62], v[55:56], 0
	s_waitcnt vmcnt(10)
	v_fma_f64 v[61:62], v[63:64], v[57:58], v[55:56]
	ds_read2_b64 v[55:58], v54 offset0:45 offset1:46
	s_waitcnt vmcnt(8) lgkmcnt(0)
	v_fma_f64 v[55:56], v[65:66], v[55:56], v[61:62]
	s_waitcnt vmcnt(6)
	v_fma_f64 v[61:62], v[67:68], v[57:58], v[55:56]
	ds_read2_b64 v[55:58], v54 offset0:47 offset1:48
	;; [unrolled: 5-line block ×3, first 2 shown]
	s_waitcnt vmcnt(0) lgkmcnt(0)
	v_fma_f64 v[55:56], v[73:74], v[55:56], v[61:62]
	buffer_load_dword v62, off, s[0:3], 0 offset:196
	buffer_load_dword v61, off, s[0:3], 0 offset:192
	s_waitcnt vmcnt(0)
	v_fma_f64 v[55:56], v[61:62], v[57:58], v[55:56]
	buffer_load_dword v58, off, s[0:3], 0 offset:204
	buffer_load_dword v57, off, s[0:3], 0 offset:200
	ds_read_b64 v[61:62], v54 offset:408
	s_waitcnt vmcnt(0) lgkmcnt(0)
	v_fma_f64 v[55:56], v[57:58], v[61:62], v[55:56]
	v_add_f64 v[55:56], v[59:60], -v[55:56]
	buffer_store_dword v55, off, s[0:3], 0 offset:128
	buffer_store_dword v56, off, s[0:3], 0 offset:132
	s_and_saveexec_b64 s[4:5], vcc
	s_cbranch_execz .LBB25_133
; %bb.132:
	buffer_load_dword v55, off, s[0:3], 0 offset:120
	buffer_load_dword v56, off, s[0:3], 0 offset:124
	s_waitcnt vmcnt(0)
	ds_write_b64 v53, v[55:56]
	buffer_store_dword v54, off, s[0:3], 0 offset:120
	buffer_store_dword v54, off, s[0:3], 0 offset:124
.LBB25_133:
	s_or_b64 exec, exec, s[4:5]
	s_waitcnt lgkmcnt(0)
	; wave barrier
	buffer_load_dword v59, off, s[0:3], 0 offset:128
	buffer_load_dword v60, off, s[0:3], 0 offset:132
	;; [unrolled: 1-line block ×20, first 2 shown]
	ds_read_b128 v[55:58], v54 offset:336
	buffer_load_dword v79, off, s[0:3], 0 offset:120
	buffer_load_dword v80, off, s[0:3], 0 offset:124
	v_cmp_lt_u32_e32 vcc, 14, v0
	s_waitcnt vmcnt(20) lgkmcnt(0)
	v_fma_f64 v[55:56], v[59:60], v[55:56], 0
	s_waitcnt vmcnt(18)
	v_fma_f64 v[59:60], v[61:62], v[57:58], v[55:56]
	ds_read_b128 v[55:58], v54 offset:352
	s_waitcnt vmcnt(16) lgkmcnt(0)
	v_fma_f64 v[55:56], v[63:64], v[55:56], v[59:60]
	s_waitcnt vmcnt(14)
	v_fma_f64 v[59:60], v[65:66], v[57:58], v[55:56]
	ds_read_b128 v[55:58], v54 offset:368
	s_waitcnt vmcnt(12) lgkmcnt(0)
	v_fma_f64 v[55:56], v[67:68], v[55:56], v[59:60]
	s_waitcnt vmcnt(10)
	v_fma_f64 v[59:60], v[69:70], v[57:58], v[55:56]
	ds_read_b128 v[55:58], v54 offset:384
	s_waitcnt vmcnt(8) lgkmcnt(0)
	v_fma_f64 v[55:56], v[71:72], v[55:56], v[59:60]
	s_waitcnt vmcnt(6)
	v_fma_f64 v[58:59], v[73:74], v[57:58], v[55:56]
	ds_read_b128 v[54:57], v54 offset:400
	s_waitcnt vmcnt(4) lgkmcnt(0)
	v_fma_f64 v[54:55], v[75:76], v[54:55], v[58:59]
	s_waitcnt vmcnt(2)
	v_fma_f64 v[54:55], v[77:78], v[56:57], v[54:55]
	s_waitcnt vmcnt(0)
	v_add_f64 v[54:55], v[79:80], -v[54:55]
	buffer_store_dword v54, off, s[0:3], 0 offset:120
	buffer_store_dword v55, off, s[0:3], 0 offset:124
	s_and_saveexec_b64 s[4:5], vcc
	s_cbranch_execz .LBB25_135
; %bb.134:
	buffer_load_dword v54, off, s[0:3], 0 offset:112
	buffer_load_dword v55, off, s[0:3], 0 offset:116
	v_mov_b32_e32 v56, 0
	buffer_store_dword v56, off, s[0:3], 0 offset:112
	buffer_store_dword v56, off, s[0:3], 0 offset:116
	s_waitcnt vmcnt(2)
	ds_write_b64 v53, v[54:55]
.LBB25_135:
	s_or_b64 exec, exec, s[4:5]
	s_waitcnt lgkmcnt(0)
	; wave barrier
	buffer_load_dword v59, off, s[0:3], 0 offset:120
	buffer_load_dword v60, off, s[0:3], 0 offset:124
	;; [unrolled: 1-line block ×20, first 2 shown]
	v_mov_b32_e32 v54, 0
	ds_read2_b64 v[55:58], v54 offset0:41 offset1:42
	buffer_load_dword v79, off, s[0:3], 0 offset:200
	buffer_load_dword v80, off, s[0:3], 0 offset:204
	v_cmp_lt_u32_e32 vcc, 13, v0
	s_waitcnt vmcnt(20) lgkmcnt(0)
	v_fma_f64 v[55:56], v[59:60], v[55:56], 0
	buffer_load_dword v59, off, s[0:3], 0 offset:112
	buffer_load_dword v60, off, s[0:3], 0 offset:116
	s_waitcnt vmcnt(20)
	v_fma_f64 v[61:62], v[61:62], v[57:58], v[55:56]
	ds_read2_b64 v[55:58], v54 offset0:43 offset1:44
	s_waitcnt vmcnt(18) lgkmcnt(0)
	v_fma_f64 v[55:56], v[63:64], v[55:56], v[61:62]
	s_waitcnt vmcnt(16)
	v_fma_f64 v[61:62], v[65:66], v[57:58], v[55:56]
	ds_read2_b64 v[55:58], v54 offset0:45 offset1:46
	s_waitcnt vmcnt(14) lgkmcnt(0)
	v_fma_f64 v[55:56], v[67:68], v[55:56], v[61:62]
	;; [unrolled: 5-line block ×4, first 2 shown]
	s_waitcnt vmcnt(4)
	v_fma_f64 v[55:56], v[77:78], v[57:58], v[55:56]
	ds_read_b64 v[57:58], v54 offset:408
	s_waitcnt vmcnt(2) lgkmcnt(0)
	v_fma_f64 v[55:56], v[79:80], v[57:58], v[55:56]
	s_waitcnt vmcnt(0)
	v_add_f64 v[55:56], v[59:60], -v[55:56]
	buffer_store_dword v56, off, s[0:3], 0 offset:116
	buffer_store_dword v55, off, s[0:3], 0 offset:112
	s_and_saveexec_b64 s[4:5], vcc
	s_cbranch_execz .LBB25_137
; %bb.136:
	buffer_load_dword v55, off, s[0:3], 0 offset:104
	buffer_load_dword v56, off, s[0:3], 0 offset:108
	s_waitcnt vmcnt(0)
	ds_write_b64 v53, v[55:56]
	buffer_store_dword v54, off, s[0:3], 0 offset:104
	buffer_store_dword v54, off, s[0:3], 0 offset:108
.LBB25_137:
	s_or_b64 exec, exec, s[4:5]
	s_waitcnt lgkmcnt(0)
	; wave barrier
	buffer_load_dword v59, off, s[0:3], 0 offset:112
	buffer_load_dword v60, off, s[0:3], 0 offset:116
	;; [unrolled: 1-line block ×20, first 2 shown]
	ds_read_b128 v[55:58], v54 offset:320
	buffer_load_dword v79, off, s[0:3], 0 offset:192
	buffer_load_dword v80, off, s[0:3], 0 offset:196
	v_cmp_lt_u32_e32 vcc, 12, v0
	s_waitcnt vmcnt(20) lgkmcnt(0)
	v_fma_f64 v[55:56], v[59:60], v[55:56], 0
	buffer_load_dword v60, off, s[0:3], 0 offset:204
	buffer_load_dword v59, off, s[0:3], 0 offset:200
	s_waitcnt vmcnt(20)
	v_fma_f64 v[61:62], v[61:62], v[57:58], v[55:56]
	ds_read_b128 v[55:58], v54 offset:336
	buffer_load_dword v81, off, s[0:3], 0 offset:104
	buffer_load_dword v82, off, s[0:3], 0 offset:108
	s_waitcnt vmcnt(20) lgkmcnt(0)
	v_fma_f64 v[55:56], v[63:64], v[55:56], v[61:62]
	s_waitcnt vmcnt(18)
	v_fma_f64 v[61:62], v[65:66], v[57:58], v[55:56]
	ds_read_b128 v[55:58], v54 offset:352
	s_waitcnt vmcnt(16) lgkmcnt(0)
	v_fma_f64 v[55:56], v[67:68], v[55:56], v[61:62]
	s_waitcnt vmcnt(14)
	v_fma_f64 v[61:62], v[69:70], v[57:58], v[55:56]
	ds_read_b128 v[55:58], v54 offset:368
	s_waitcnt vmcnt(12) lgkmcnt(0)
	v_fma_f64 v[55:56], v[71:72], v[55:56], v[61:62]
	s_waitcnt vmcnt(10)
	v_fma_f64 v[61:62], v[73:74], v[57:58], v[55:56]
	ds_read_b128 v[55:58], v54 offset:384
	s_waitcnt vmcnt(8) lgkmcnt(0)
	v_fma_f64 v[55:56], v[75:76], v[55:56], v[61:62]
	s_waitcnt vmcnt(6)
	v_fma_f64 v[61:62], v[77:78], v[57:58], v[55:56]
	ds_read_b128 v[54:57], v54 offset:400
	s_waitcnt vmcnt(4) lgkmcnt(0)
	v_fma_f64 v[54:55], v[79:80], v[54:55], v[61:62]
	s_waitcnt vmcnt(2)
	v_fma_f64 v[54:55], v[59:60], v[56:57], v[54:55]
	s_waitcnt vmcnt(0)
	v_add_f64 v[54:55], v[81:82], -v[54:55]
	buffer_store_dword v55, off, s[0:3], 0 offset:108
	buffer_store_dword v54, off, s[0:3], 0 offset:104
	s_and_saveexec_b64 s[4:5], vcc
	s_cbranch_execz .LBB25_139
; %bb.138:
	buffer_load_dword v54, off, s[0:3], 0 offset:96
	buffer_load_dword v55, off, s[0:3], 0 offset:100
	v_mov_b32_e32 v56, 0
	buffer_store_dword v56, off, s[0:3], 0 offset:96
	buffer_store_dword v56, off, s[0:3], 0 offset:100
	s_waitcnt vmcnt(2)
	ds_write_b64 v53, v[54:55]
.LBB25_139:
	s_or_b64 exec, exec, s[4:5]
	s_waitcnt lgkmcnt(0)
	; wave barrier
	buffer_load_dword v63, off, s[0:3], 0 offset:104
	buffer_load_dword v64, off, s[0:3], 0 offset:108
	;; [unrolled: 1-line block ×21, first 2 shown]
	v_mov_b32_e32 v54, 0
	ds_read2_b64 v[55:58], v54 offset0:39 offset1:40
	ds_read2_b64 v[59:62], v54 offset0:41 offset1:42
	buffer_load_dword v80, off, s[0:3], 0 offset:188
	v_cmp_lt_u32_e32 vcc, 11, v0
	s_waitcnt vmcnt(20) lgkmcnt(1)
	v_fma_f64 v[55:56], v[63:64], v[55:56], 0
	s_waitcnt vmcnt(18)
	v_fma_f64 v[55:56], v[65:66], v[57:58], v[55:56]
	buffer_load_dword v64, off, s[0:3], 0 offset:196
	buffer_load_dword v65, off, s[0:3], 0 offset:200
	;; [unrolled: 1-line block ×4, first 2 shown]
	s_waitcnt vmcnt(20) lgkmcnt(0)
	v_fma_f64 v[55:56], v[67:68], v[59:60], v[55:56]
	buffer_load_dword v67, off, s[0:3], 0 offset:96
	buffer_load_dword v68, off, s[0:3], 0 offset:100
	s_waitcnt vmcnt(20)
	v_fma_f64 v[69:70], v[69:70], v[61:62], v[55:56]
	ds_read2_b64 v[55:58], v54 offset0:43 offset1:44
	ds_read2_b64 v[59:62], v54 offset0:45 offset1:46
	s_waitcnt vmcnt(18) lgkmcnt(1)
	v_fma_f64 v[55:56], v[71:72], v[55:56], v[69:70]
	s_waitcnt vmcnt(16)
	v_fma_f64 v[55:56], v[73:74], v[57:58], v[55:56]
	s_waitcnt vmcnt(14) lgkmcnt(0)
	v_fma_f64 v[55:56], v[75:76], v[59:60], v[55:56]
	s_waitcnt vmcnt(9)
	v_fma_f64 v[69:70], v[77:78], v[61:62], v[55:56]
	ds_read2_b64 v[55:58], v54 offset0:47 offset1:48
	ds_read2_b64 v[59:62], v54 offset0:49 offset1:50
	s_waitcnt vmcnt(8) lgkmcnt(1)
	v_fma_f64 v[55:56], v[83:84], v[55:56], v[69:70]
	s_waitcnt vmcnt(7)
	v_fma_f64 v[55:56], v[81:82], v[57:58], v[55:56]
	ds_read_b64 v[57:58], v54 offset:408
	s_waitcnt vmcnt(6) lgkmcnt(1)
	v_fma_f64 v[55:56], v[79:80], v[59:60], v[55:56]
	s_waitcnt vmcnt(3)
	v_fma_f64 v[55:56], v[63:64], v[61:62], v[55:56]
	s_waitcnt vmcnt(2) lgkmcnt(0)
	v_fma_f64 v[55:56], v[65:66], v[57:58], v[55:56]
	s_waitcnt vmcnt(0)
	v_add_f64 v[55:56], v[67:68], -v[55:56]
	buffer_store_dword v56, off, s[0:3], 0 offset:100
	buffer_store_dword v55, off, s[0:3], 0 offset:96
	s_and_saveexec_b64 s[4:5], vcc
	s_cbranch_execz .LBB25_141
; %bb.140:
	buffer_load_dword v55, off, s[0:3], 0 offset:88
	buffer_load_dword v56, off, s[0:3], 0 offset:92
	s_waitcnt vmcnt(0)
	ds_write_b64 v53, v[55:56]
	buffer_store_dword v54, off, s[0:3], 0 offset:88
	buffer_store_dword v54, off, s[0:3], 0 offset:92
.LBB25_141:
	s_or_b64 exec, exec, s[4:5]
	s_waitcnt lgkmcnt(0)
	; wave barrier
	buffer_load_dword v63, off, s[0:3], 0 offset:96
	buffer_load_dword v64, off, s[0:3], 0 offset:100
	;; [unrolled: 1-line block ×22, first 2 shown]
	ds_read_b128 v[55:58], v54 offset:304
	ds_read_b128 v[59:62], v54 offset:320
	v_cmp_lt_u32_e32 vcc, 10, v0
	s_waitcnt vmcnt(20) lgkmcnt(1)
	v_fma_f64 v[55:56], v[63:64], v[55:56], 0
	s_waitcnt vmcnt(18)
	v_fma_f64 v[55:56], v[65:66], v[57:58], v[55:56]
	buffer_load_dword v64, off, s[0:3], 0 offset:188
	buffer_load_dword v65, off, s[0:3], 0 offset:200
	buffer_load_dword v85, off, s[0:3], 0 offset:192
	buffer_load_dword v63, off, s[0:3], 0 offset:184
	buffer_load_dword v86, off, s[0:3], 0 offset:196
	buffer_load_dword v66, off, s[0:3], 0 offset:204
	s_waitcnt vmcnt(22) lgkmcnt(0)
	v_fma_f64 v[55:56], v[67:68], v[59:60], v[55:56]
	s_waitcnt vmcnt(20)
	v_fma_f64 v[67:68], v[69:70], v[61:62], v[55:56]
	ds_read_b128 v[55:58], v54 offset:336
	buffer_load_dword v69, off, s[0:3], 0 offset:88
	buffer_load_dword v70, off, s[0:3], 0 offset:92
	ds_read_b128 v[59:62], v54 offset:352
	s_waitcnt vmcnt(20) lgkmcnt(1)
	v_fma_f64 v[55:56], v[71:72], v[55:56], v[67:68]
	s_waitcnt vmcnt(18)
	v_fma_f64 v[55:56], v[73:74], v[57:58], v[55:56]
	s_waitcnt vmcnt(16) lgkmcnt(0)
	v_fma_f64 v[55:56], v[75:76], v[59:60], v[55:56]
	s_waitcnt vmcnt(11)
	v_fma_f64 v[67:68], v[77:78], v[61:62], v[55:56]
	ds_read_b128 v[55:58], v54 offset:368
	ds_read_b128 v[59:62], v54 offset:384
	s_waitcnt vmcnt(10) lgkmcnt(1)
	v_fma_f64 v[55:56], v[83:84], v[55:56], v[67:68]
	s_waitcnt vmcnt(9)
	v_fma_f64 v[55:56], v[81:82], v[57:58], v[55:56]
	s_waitcnt vmcnt(8) lgkmcnt(0)
	v_fma_f64 v[55:56], v[79:80], v[59:60], v[55:56]
	s_waitcnt vmcnt(4)
	v_fma_f64 v[58:59], v[63:64], v[61:62], v[55:56]
	ds_read_b128 v[54:57], v54 offset:400
	s_waitcnt vmcnt(3) lgkmcnt(0)
	v_fma_f64 v[54:55], v[85:86], v[54:55], v[58:59]
	s_waitcnt vmcnt(2)
	v_fma_f64 v[54:55], v[65:66], v[56:57], v[54:55]
	s_waitcnt vmcnt(0)
	v_add_f64 v[54:55], v[69:70], -v[54:55]
	buffer_store_dword v55, off, s[0:3], 0 offset:92
	buffer_store_dword v54, off, s[0:3], 0 offset:88
	s_and_saveexec_b64 s[4:5], vcc
	s_cbranch_execz .LBB25_143
; %bb.142:
	buffer_load_dword v54, off, s[0:3], 0 offset:80
	buffer_load_dword v55, off, s[0:3], 0 offset:84
	v_mov_b32_e32 v56, 0
	buffer_store_dword v56, off, s[0:3], 0 offset:80
	buffer_store_dword v56, off, s[0:3], 0 offset:84
	s_waitcnt vmcnt(2)
	ds_write_b64 v53, v[54:55]
.LBB25_143:
	s_or_b64 exec, exec, s[4:5]
	s_waitcnt lgkmcnt(0)
	; wave barrier
	buffer_load_dword v63, off, s[0:3], 0 offset:88
	buffer_load_dword v64, off, s[0:3], 0 offset:92
	;; [unrolled: 1-line block ×22, first 2 shown]
	v_mov_b32_e32 v54, 0
	ds_read2_b64 v[55:58], v54 offset0:37 offset1:38
	ds_read2_b64 v[59:62], v54 offset0:39 offset1:40
	v_cmp_lt_u32_e32 vcc, 9, v0
	s_waitcnt vmcnt(20) lgkmcnt(1)
	v_fma_f64 v[55:56], v[63:64], v[55:56], 0
	s_waitcnt vmcnt(18)
	v_fma_f64 v[55:56], v[65:66], v[57:58], v[55:56]
	buffer_load_dword v64, off, s[0:3], 0 offset:180
	buffer_load_dword v65, off, s[0:3], 0 offset:200
	;; [unrolled: 1-line block ×8, first 2 shown]
	s_waitcnt vmcnt(24) lgkmcnt(0)
	v_fma_f64 v[55:56], v[67:68], v[59:60], v[55:56]
	s_waitcnt vmcnt(22)
	v_fma_f64 v[67:68], v[69:70], v[61:62], v[55:56]
	ds_read2_b64 v[55:58], v54 offset0:41 offset1:42
	ds_read2_b64 v[59:62], v54 offset0:43 offset1:44
	s_waitcnt vmcnt(20) lgkmcnt(1)
	v_fma_f64 v[55:56], v[71:72], v[55:56], v[67:68]
	buffer_load_dword v67, off, s[0:3], 0 offset:80
	buffer_load_dword v68, off, s[0:3], 0 offset:84
	s_waitcnt vmcnt(20)
	v_fma_f64 v[55:56], v[73:74], v[57:58], v[55:56]
	s_waitcnt vmcnt(18) lgkmcnt(0)
	v_fma_f64 v[55:56], v[75:76], v[59:60], v[55:56]
	s_waitcnt vmcnt(13)
	v_fma_f64 v[69:70], v[77:78], v[61:62], v[55:56]
	ds_read2_b64 v[55:58], v54 offset0:45 offset1:46
	ds_read2_b64 v[59:62], v54 offset0:47 offset1:48
	s_waitcnt vmcnt(12) lgkmcnt(1)
	v_fma_f64 v[55:56], v[83:84], v[55:56], v[69:70]
	s_waitcnt vmcnt(11)
	v_fma_f64 v[55:56], v[81:82], v[57:58], v[55:56]
	s_waitcnt vmcnt(10) lgkmcnt(0)
	v_fma_f64 v[55:56], v[79:80], v[59:60], v[55:56]
	s_waitcnt vmcnt(5)
	v_fma_f64 v[59:60], v[63:64], v[61:62], v[55:56]
	ds_read2_b64 v[55:58], v54 offset0:49 offset1:50
	ds_read_b64 v[61:62], v54 offset:408
	s_waitcnt vmcnt(4) lgkmcnt(1)
	v_fma_f64 v[55:56], v[87:88], v[55:56], v[59:60]
	s_waitcnt vmcnt(3)
	v_fma_f64 v[55:56], v[85:86], v[57:58], v[55:56]
	s_waitcnt vmcnt(2) lgkmcnt(0)
	v_fma_f64 v[55:56], v[65:66], v[61:62], v[55:56]
	s_waitcnt vmcnt(0)
	v_add_f64 v[55:56], v[67:68], -v[55:56]
	buffer_store_dword v56, off, s[0:3], 0 offset:84
	buffer_store_dword v55, off, s[0:3], 0 offset:80
	s_and_saveexec_b64 s[4:5], vcc
	s_cbranch_execz .LBB25_145
; %bb.144:
	buffer_load_dword v55, off, s[0:3], 0 offset:72
	buffer_load_dword v56, off, s[0:3], 0 offset:76
	s_waitcnt vmcnt(0)
	ds_write_b64 v53, v[55:56]
	buffer_store_dword v54, off, s[0:3], 0 offset:72
	buffer_store_dword v54, off, s[0:3], 0 offset:76
.LBB25_145:
	s_or_b64 exec, exec, s[4:5]
	s_waitcnt lgkmcnt(0)
	; wave barrier
	buffer_load_dword v63, off, s[0:3], 0 offset:80
	buffer_load_dword v64, off, s[0:3], 0 offset:84
	;; [unrolled: 1-line block ×22, first 2 shown]
	ds_read_b128 v[55:58], v54 offset:288
	ds_read_b128 v[59:62], v54 offset:304
	v_cmp_lt_u32_e32 vcc, 8, v0
	s_waitcnt vmcnt(20) lgkmcnt(1)
	v_fma_f64 v[55:56], v[63:64], v[55:56], 0
	s_waitcnt vmcnt(18)
	v_fma_f64 v[55:56], v[65:66], v[57:58], v[55:56]
	buffer_load_dword v64, off, s[0:3], 0 offset:172
	buffer_load_dword v65, off, s[0:3], 0 offset:192
	;; [unrolled: 1-line block ×8, first 2 shown]
	s_waitcnt vmcnt(24) lgkmcnt(0)
	v_fma_f64 v[55:56], v[67:68], v[59:60], v[55:56]
	s_waitcnt vmcnt(22)
	v_fma_f64 v[67:68], v[69:70], v[61:62], v[55:56]
	ds_read_b128 v[55:58], v54 offset:320
	ds_read_b128 v[59:62], v54 offset:336
	s_waitcnt vmcnt(20) lgkmcnt(1)
	v_fma_f64 v[55:56], v[71:72], v[55:56], v[67:68]
	buffer_load_dword v68, off, s[0:3], 0 offset:204
	buffer_load_dword v67, off, s[0:3], 0 offset:200
	;; [unrolled: 1-line block ×4, first 2 shown]
	s_waitcnt vmcnt(22)
	v_fma_f64 v[55:56], v[73:74], v[57:58], v[55:56]
	s_waitcnt vmcnt(20) lgkmcnt(0)
	v_fma_f64 v[55:56], v[75:76], v[59:60], v[55:56]
	s_waitcnt vmcnt(15)
	v_fma_f64 v[71:72], v[77:78], v[61:62], v[55:56]
	ds_read_b128 v[55:58], v54 offset:352
	ds_read_b128 v[59:62], v54 offset:368
	s_waitcnt vmcnt(14) lgkmcnt(1)
	v_fma_f64 v[55:56], v[83:84], v[55:56], v[71:72]
	s_waitcnt vmcnt(13)
	v_fma_f64 v[55:56], v[81:82], v[57:58], v[55:56]
	s_waitcnt vmcnt(12) lgkmcnt(0)
	v_fma_f64 v[55:56], v[79:80], v[59:60], v[55:56]
	s_waitcnt vmcnt(7)
	v_fma_f64 v[63:64], v[63:64], v[61:62], v[55:56]
	ds_read_b128 v[55:58], v54 offset:384
	ds_read_b128 v[59:62], v54 offset:400
	s_waitcnt vmcnt(6) lgkmcnt(1)
	v_fma_f64 v[54:55], v[87:88], v[55:56], v[63:64]
	s_waitcnt vmcnt(5)
	v_fma_f64 v[54:55], v[85:86], v[57:58], v[54:55]
	s_waitcnt vmcnt(4) lgkmcnt(0)
	v_fma_f64 v[54:55], v[65:66], v[59:60], v[54:55]
	s_waitcnt vmcnt(2)
	v_fma_f64 v[54:55], v[67:68], v[61:62], v[54:55]
	s_waitcnt vmcnt(0)
	v_add_f64 v[54:55], v[69:70], -v[54:55]
	buffer_store_dword v55, off, s[0:3], 0 offset:76
	buffer_store_dword v54, off, s[0:3], 0 offset:72
	s_and_saveexec_b64 s[4:5], vcc
	s_cbranch_execz .LBB25_147
; %bb.146:
	buffer_load_dword v54, off, s[0:3], 0 offset:64
	buffer_load_dword v55, off, s[0:3], 0 offset:68
	v_mov_b32_e32 v56, 0
	buffer_store_dword v56, off, s[0:3], 0 offset:64
	buffer_store_dword v56, off, s[0:3], 0 offset:68
	s_waitcnt vmcnt(2)
	ds_write_b64 v53, v[54:55]
.LBB25_147:
	s_or_b64 exec, exec, s[4:5]
	s_waitcnt lgkmcnt(0)
	; wave barrier
	buffer_load_dword v63, off, s[0:3], 0 offset:72
	buffer_load_dword v64, off, s[0:3], 0 offset:76
	;; [unrolled: 1-line block ×22, first 2 shown]
	v_mov_b32_e32 v54, 0
	ds_read2_b64 v[55:58], v54 offset0:35 offset1:36
	ds_read2_b64 v[59:62], v54 offset0:37 offset1:38
	v_cmp_lt_u32_e32 vcc, 7, v0
	s_waitcnt vmcnt(20) lgkmcnt(1)
	v_fma_f64 v[55:56], v[63:64], v[55:56], 0
	s_waitcnt vmcnt(18)
	v_fma_f64 v[55:56], v[65:66], v[57:58], v[55:56]
	buffer_load_dword v64, off, s[0:3], 0 offset:164
	buffer_load_dword v65, off, s[0:3], 0 offset:184
	;; [unrolled: 1-line block ×7, first 2 shown]
	s_waitcnt vmcnt(23) lgkmcnt(0)
	v_fma_f64 v[55:56], v[67:68], v[59:60], v[55:56]
	s_waitcnt vmcnt(21)
	v_fma_f64 v[66:67], v[69:70], v[61:62], v[55:56]
	ds_read2_b64 v[55:58], v54 offset0:39 offset1:40
	ds_read2_b64 v[59:62], v54 offset0:41 offset1:42
	s_waitcnt vmcnt(19) lgkmcnt(1)
	v_fma_f64 v[55:56], v[71:72], v[55:56], v[66:67]
	buffer_load_dword v66, off, s[0:3], 0 offset:188
	buffer_load_dword v68, off, s[0:3], 0 offset:196
	;; [unrolled: 1-line block ×7, first 2 shown]
	s_waitcnt vmcnt(24)
	v_fma_f64 v[55:56], v[73:74], v[57:58], v[55:56]
	s_waitcnt vmcnt(22) lgkmcnt(0)
	v_fma_f64 v[55:56], v[75:76], v[59:60], v[55:56]
	s_waitcnt vmcnt(17)
	v_fma_f64 v[73:74], v[77:78], v[61:62], v[55:56]
	ds_read2_b64 v[55:58], v54 offset0:43 offset1:44
	ds_read2_b64 v[59:62], v54 offset0:45 offset1:46
	s_waitcnt vmcnt(16) lgkmcnt(1)
	v_fma_f64 v[55:56], v[83:84], v[55:56], v[73:74]
	s_waitcnt vmcnt(15)
	v_fma_f64 v[55:56], v[81:82], v[57:58], v[55:56]
	s_waitcnt vmcnt(14) lgkmcnt(0)
	v_fma_f64 v[55:56], v[79:80], v[59:60], v[55:56]
	s_waitcnt vmcnt(9)
	v_fma_f64 v[63:64], v[63:64], v[61:62], v[55:56]
	ds_read2_b64 v[55:58], v54 offset0:47 offset1:48
	ds_read2_b64 v[59:62], v54 offset0:49 offset1:50
	s_waitcnt vmcnt(8) lgkmcnt(1)
	v_fma_f64 v[55:56], v[87:88], v[55:56], v[63:64]
	s_waitcnt vmcnt(7)
	v_fma_f64 v[55:56], v[85:86], v[57:58], v[55:56]
	ds_read_b64 v[57:58], v54 offset:408
	s_waitcnt vmcnt(6) lgkmcnt(1)
	v_fma_f64 v[55:56], v[65:66], v[59:60], v[55:56]
	s_waitcnt vmcnt(3)
	v_fma_f64 v[55:56], v[67:68], v[61:62], v[55:56]
	s_waitcnt vmcnt(2) lgkmcnt(0)
	v_fma_f64 v[55:56], v[69:70], v[57:58], v[55:56]
	s_waitcnt vmcnt(0)
	v_add_f64 v[55:56], v[71:72], -v[55:56]
	buffer_store_dword v56, off, s[0:3], 0 offset:68
	buffer_store_dword v55, off, s[0:3], 0 offset:64
	s_and_saveexec_b64 s[4:5], vcc
	s_cbranch_execz .LBB25_149
; %bb.148:
	buffer_load_dword v55, off, s[0:3], 0 offset:56
	buffer_load_dword v56, off, s[0:3], 0 offset:60
	s_waitcnt vmcnt(0)
	ds_write_b64 v53, v[55:56]
	buffer_store_dword v54, off, s[0:3], 0 offset:56
	buffer_store_dword v54, off, s[0:3], 0 offset:60
.LBB25_149:
	s_or_b64 exec, exec, s[4:5]
	s_waitcnt lgkmcnt(0)
	; wave barrier
	buffer_load_dword v63, off, s[0:3], 0 offset:64
	buffer_load_dword v64, off, s[0:3], 0 offset:68
	;; [unrolled: 1-line block ×22, first 2 shown]
	ds_read_b128 v[55:58], v54 offset:272
	ds_read_b128 v[59:62], v54 offset:288
	v_cmp_lt_u32_e32 vcc, 6, v0
	s_waitcnt vmcnt(20) lgkmcnt(1)
	v_fma_f64 v[55:56], v[63:64], v[55:56], 0
	s_waitcnt vmcnt(18)
	v_fma_f64 v[55:56], v[65:66], v[57:58], v[55:56]
	buffer_load_dword v64, off, s[0:3], 0 offset:156
	buffer_load_dword v65, off, s[0:3], 0 offset:176
	;; [unrolled: 1-line block ×7, first 2 shown]
	s_waitcnt vmcnt(23) lgkmcnt(0)
	v_fma_f64 v[55:56], v[67:68], v[59:60], v[55:56]
	s_waitcnt vmcnt(21)
	v_fma_f64 v[66:67], v[69:70], v[61:62], v[55:56]
	ds_read_b128 v[55:58], v54 offset:304
	ds_read_b128 v[59:62], v54 offset:320
	s_waitcnt vmcnt(19) lgkmcnt(1)
	v_fma_f64 v[55:56], v[71:72], v[55:56], v[66:67]
	buffer_load_dword v66, off, s[0:3], 0 offset:180
	buffer_load_dword v68, off, s[0:3], 0 offset:188
	;; [unrolled: 1-line block ×7, first 2 shown]
	s_waitcnt vmcnt(24)
	v_fma_f64 v[55:56], v[73:74], v[57:58], v[55:56]
	s_waitcnt vmcnt(22) lgkmcnt(0)
	v_fma_f64 v[55:56], v[75:76], v[59:60], v[55:56]
	s_waitcnt vmcnt(17)
	v_fma_f64 v[73:74], v[77:78], v[61:62], v[55:56]
	ds_read_b128 v[55:58], v54 offset:336
	buffer_load_dword v75, off, s[0:3], 0 offset:56
	buffer_load_dword v76, off, s[0:3], 0 offset:60
	ds_read_b128 v[59:62], v54 offset:352
	s_waitcnt vmcnt(18) lgkmcnt(1)
	v_fma_f64 v[55:56], v[83:84], v[55:56], v[73:74]
	s_waitcnt vmcnt(17)
	v_fma_f64 v[55:56], v[81:82], v[57:58], v[55:56]
	s_waitcnt vmcnt(16) lgkmcnt(0)
	v_fma_f64 v[55:56], v[79:80], v[59:60], v[55:56]
	s_waitcnt vmcnt(11)
	v_fma_f64 v[63:64], v[63:64], v[61:62], v[55:56]
	ds_read_b128 v[55:58], v54 offset:368
	ds_read_b128 v[59:62], v54 offset:384
	s_waitcnt vmcnt(10) lgkmcnt(1)
	v_fma_f64 v[55:56], v[87:88], v[55:56], v[63:64]
	s_waitcnt vmcnt(9)
	v_fma_f64 v[55:56], v[85:86], v[57:58], v[55:56]
	s_waitcnt vmcnt(8) lgkmcnt(0)
	v_fma_f64 v[55:56], v[65:66], v[59:60], v[55:56]
	s_waitcnt vmcnt(4)
	v_fma_f64 v[58:59], v[67:68], v[61:62], v[55:56]
	ds_read_b128 v[54:57], v54 offset:400
	s_waitcnt vmcnt(3) lgkmcnt(0)
	v_fma_f64 v[54:55], v[71:72], v[54:55], v[58:59]
	s_waitcnt vmcnt(2)
	v_fma_f64 v[54:55], v[69:70], v[56:57], v[54:55]
	s_waitcnt vmcnt(0)
	v_add_f64 v[54:55], v[75:76], -v[54:55]
	buffer_store_dword v55, off, s[0:3], 0 offset:60
	buffer_store_dword v54, off, s[0:3], 0 offset:56
	s_and_saveexec_b64 s[4:5], vcc
	s_cbranch_execz .LBB25_151
; %bb.150:
	buffer_load_dword v54, off, s[0:3], 0 offset:48
	buffer_load_dword v55, off, s[0:3], 0 offset:52
	v_mov_b32_e32 v56, 0
	buffer_store_dword v56, off, s[0:3], 0 offset:48
	buffer_store_dword v56, off, s[0:3], 0 offset:52
	s_waitcnt vmcnt(2)
	ds_write_b64 v53, v[54:55]
.LBB25_151:
	s_or_b64 exec, exec, s[4:5]
	s_waitcnt lgkmcnt(0)
	; wave barrier
	buffer_load_dword v63, off, s[0:3], 0 offset:56
	buffer_load_dword v64, off, s[0:3], 0 offset:60
	;; [unrolled: 1-line block ×22, first 2 shown]
	v_mov_b32_e32 v54, 0
	ds_read2_b64 v[55:58], v54 offset0:33 offset1:34
	ds_read2_b64 v[59:62], v54 offset0:35 offset1:36
	v_cmp_lt_u32_e32 vcc, 5, v0
	s_waitcnt vmcnt(20) lgkmcnt(1)
	v_fma_f64 v[55:56], v[63:64], v[55:56], 0
	s_waitcnt vmcnt(18)
	v_fma_f64 v[55:56], v[65:66], v[57:58], v[55:56]
	buffer_load_dword v64, off, s[0:3], 0 offset:148
	buffer_load_dword v65, off, s[0:3], 0 offset:168
	;; [unrolled: 1-line block ×7, first 2 shown]
	s_waitcnt vmcnt(23) lgkmcnt(0)
	v_fma_f64 v[55:56], v[67:68], v[59:60], v[55:56]
	s_waitcnt vmcnt(21)
	v_fma_f64 v[66:67], v[69:70], v[61:62], v[55:56]
	ds_read2_b64 v[55:58], v54 offset0:37 offset1:38
	ds_read2_b64 v[59:62], v54 offset0:39 offset1:40
	s_waitcnt vmcnt(19) lgkmcnt(1)
	v_fma_f64 v[55:56], v[71:72], v[55:56], v[66:67]
	buffer_load_dword v66, off, s[0:3], 0 offset:172
	s_waitcnt vmcnt(18)
	v_fma_f64 v[55:56], v[73:74], v[57:58], v[55:56]
	buffer_load_dword v68, off, s[0:3], 0 offset:180
	buffer_load_dword v69, off, s[0:3], 0 offset:200
	;; [unrolled: 1-line block ×8, first 2 shown]
	s_waitcnt vmcnt(24) lgkmcnt(0)
	v_fma_f64 v[55:56], v[75:76], v[59:60], v[55:56]
	s_waitcnt vmcnt(19)
	v_fma_f64 v[75:76], v[77:78], v[61:62], v[55:56]
	ds_read2_b64 v[55:58], v54 offset0:41 offset1:42
	ds_read2_b64 v[59:62], v54 offset0:43 offset1:44
	s_waitcnt vmcnt(18) lgkmcnt(1)
	v_fma_f64 v[55:56], v[83:84], v[55:56], v[75:76]
	buffer_load_dword v75, off, s[0:3], 0 offset:48
	buffer_load_dword v76, off, s[0:3], 0 offset:52
	s_waitcnt vmcnt(19)
	v_fma_f64 v[55:56], v[81:82], v[57:58], v[55:56]
	s_waitcnt vmcnt(18) lgkmcnt(0)
	v_fma_f64 v[55:56], v[79:80], v[59:60], v[55:56]
	s_waitcnt vmcnt(13)
	v_fma_f64 v[63:64], v[63:64], v[61:62], v[55:56]
	ds_read2_b64 v[55:58], v54 offset0:45 offset1:46
	ds_read2_b64 v[59:62], v54 offset0:47 offset1:48
	s_waitcnt vmcnt(12) lgkmcnt(1)
	v_fma_f64 v[55:56], v[87:88], v[55:56], v[63:64]
	s_waitcnt vmcnt(11)
	v_fma_f64 v[55:56], v[85:86], v[57:58], v[55:56]
	s_waitcnt vmcnt(10) lgkmcnt(0)
	v_fma_f64 v[55:56], v[65:66], v[59:60], v[55:56]
	s_waitcnt vmcnt(5)
	v_fma_f64 v[59:60], v[67:68], v[61:62], v[55:56]
	ds_read2_b64 v[55:58], v54 offset0:49 offset1:50
	ds_read_b64 v[61:62], v54 offset:408
	s_waitcnt vmcnt(4) lgkmcnt(1)
	v_fma_f64 v[55:56], v[73:74], v[55:56], v[59:60]
	s_waitcnt vmcnt(3)
	v_fma_f64 v[55:56], v[71:72], v[57:58], v[55:56]
	s_waitcnt vmcnt(2) lgkmcnt(0)
	v_fma_f64 v[55:56], v[69:70], v[61:62], v[55:56]
	s_waitcnt vmcnt(0)
	v_add_f64 v[55:56], v[75:76], -v[55:56]
	buffer_store_dword v56, off, s[0:3], 0 offset:52
	buffer_store_dword v55, off, s[0:3], 0 offset:48
	s_and_saveexec_b64 s[4:5], vcc
	s_cbranch_execz .LBB25_153
; %bb.152:
	buffer_load_dword v55, off, s[0:3], 0 offset:40
	buffer_load_dword v56, off, s[0:3], 0 offset:44
	s_waitcnt vmcnt(0)
	ds_write_b64 v53, v[55:56]
	buffer_store_dword v54, off, s[0:3], 0 offset:40
	buffer_store_dword v54, off, s[0:3], 0 offset:44
.LBB25_153:
	s_or_b64 exec, exec, s[4:5]
	s_waitcnt lgkmcnt(0)
	; wave barrier
	buffer_load_dword v63, off, s[0:3], 0 offset:48
	buffer_load_dword v64, off, s[0:3], 0 offset:52
	;; [unrolled: 1-line block ×22, first 2 shown]
	ds_read_b128 v[55:58], v54 offset:256
	ds_read_b128 v[59:62], v54 offset:272
	v_cmp_lt_u32_e32 vcc, 4, v0
	s_waitcnt vmcnt(20) lgkmcnt(1)
	v_fma_f64 v[55:56], v[63:64], v[55:56], 0
	s_waitcnt vmcnt(18)
	v_fma_f64 v[55:56], v[65:66], v[57:58], v[55:56]
	buffer_load_dword v64, off, s[0:3], 0 offset:140
	buffer_load_dword v65, off, s[0:3], 0 offset:160
	;; [unrolled: 1-line block ×7, first 2 shown]
	s_waitcnt vmcnt(23) lgkmcnt(0)
	v_fma_f64 v[55:56], v[67:68], v[59:60], v[55:56]
	s_waitcnt vmcnt(21)
	v_fma_f64 v[66:67], v[69:70], v[61:62], v[55:56]
	ds_read_b128 v[55:58], v54 offset:288
	ds_read_b128 v[59:62], v54 offset:304
	s_waitcnt vmcnt(19) lgkmcnt(1)
	v_fma_f64 v[55:56], v[71:72], v[55:56], v[66:67]
	buffer_load_dword v66, off, s[0:3], 0 offset:164
	s_waitcnt vmcnt(18)
	v_fma_f64 v[55:56], v[73:74], v[57:58], v[55:56]
	buffer_load_dword v68, off, s[0:3], 0 offset:172
	buffer_load_dword v69, off, s[0:3], 0 offset:192
	;; [unrolled: 1-line block ×8, first 2 shown]
	s_waitcnt vmcnt(24) lgkmcnt(0)
	v_fma_f64 v[55:56], v[75:76], v[59:60], v[55:56]
	s_waitcnt vmcnt(19)
	v_fma_f64 v[75:76], v[77:78], v[61:62], v[55:56]
	ds_read_b128 v[55:58], v54 offset:320
	ds_read_b128 v[59:62], v54 offset:336
	s_waitcnt vmcnt(18) lgkmcnt(1)
	v_fma_f64 v[55:56], v[83:84], v[55:56], v[75:76]
	buffer_load_dword v76, off, s[0:3], 0 offset:204
	buffer_load_dword v75, off, s[0:3], 0 offset:200
	;; [unrolled: 1-line block ×4, first 2 shown]
	s_waitcnt vmcnt(21)
	v_fma_f64 v[55:56], v[81:82], v[57:58], v[55:56]
	s_waitcnt vmcnt(20) lgkmcnt(0)
	v_fma_f64 v[55:56], v[79:80], v[59:60], v[55:56]
	s_waitcnt vmcnt(15)
	v_fma_f64 v[63:64], v[63:64], v[61:62], v[55:56]
	ds_read_b128 v[55:58], v54 offset:352
	ds_read_b128 v[59:62], v54 offset:368
	s_waitcnt vmcnt(14) lgkmcnt(1)
	v_fma_f64 v[55:56], v[87:88], v[55:56], v[63:64]
	s_waitcnt vmcnt(13)
	v_fma_f64 v[55:56], v[85:86], v[57:58], v[55:56]
	s_waitcnt vmcnt(12) lgkmcnt(0)
	v_fma_f64 v[55:56], v[65:66], v[59:60], v[55:56]
	s_waitcnt vmcnt(7)
	v_fma_f64 v[63:64], v[67:68], v[61:62], v[55:56]
	ds_read_b128 v[55:58], v54 offset:384
	ds_read_b128 v[59:62], v54 offset:400
	s_waitcnt vmcnt(6) lgkmcnt(1)
	v_fma_f64 v[54:55], v[73:74], v[55:56], v[63:64]
	s_waitcnt vmcnt(5)
	v_fma_f64 v[54:55], v[71:72], v[57:58], v[54:55]
	s_waitcnt vmcnt(4) lgkmcnt(0)
	v_fma_f64 v[54:55], v[69:70], v[59:60], v[54:55]
	s_waitcnt vmcnt(2)
	v_fma_f64 v[54:55], v[75:76], v[61:62], v[54:55]
	s_waitcnt vmcnt(0)
	v_add_f64 v[54:55], v[77:78], -v[54:55]
	buffer_store_dword v55, off, s[0:3], 0 offset:44
	buffer_store_dword v54, off, s[0:3], 0 offset:40
	s_and_saveexec_b64 s[4:5], vcc
	s_cbranch_execz .LBB25_155
; %bb.154:
	buffer_load_dword v54, off, s[0:3], 0 offset:32
	buffer_load_dword v55, off, s[0:3], 0 offset:36
	v_mov_b32_e32 v56, 0
	buffer_store_dword v56, off, s[0:3], 0 offset:32
	buffer_store_dword v56, off, s[0:3], 0 offset:36
	s_waitcnt vmcnt(2)
	ds_write_b64 v53, v[54:55]
.LBB25_155:
	s_or_b64 exec, exec, s[4:5]
	s_waitcnt lgkmcnt(0)
	; wave barrier
	buffer_load_dword v63, off, s[0:3], 0 offset:40
	buffer_load_dword v64, off, s[0:3], 0 offset:44
	;; [unrolled: 1-line block ×21, first 2 shown]
	v_mov_b32_e32 v54, 0
	ds_read2_b64 v[55:58], v54 offset0:31 offset1:32
	ds_read2_b64 v[59:62], v54 offset0:33 offset1:34
	buffer_load_dword v80, off, s[0:3], 0 offset:124
	v_cmp_lt_u32_e32 vcc, 3, v0
	s_waitcnt vmcnt(20) lgkmcnt(1)
	v_fma_f64 v[55:56], v[63:64], v[55:56], 0
	s_waitcnt vmcnt(18)
	v_fma_f64 v[55:56], v[65:66], v[57:58], v[55:56]
	buffer_load_dword v64, off, s[0:3], 0 offset:132
	buffer_load_dword v65, off, s[0:3], 0 offset:152
	;; [unrolled: 1-line block ×7, first 2 shown]
	s_waitcnt vmcnt(23) lgkmcnt(0)
	v_fma_f64 v[55:56], v[67:68], v[59:60], v[55:56]
	s_waitcnt vmcnt(21)
	v_fma_f64 v[66:67], v[69:70], v[61:62], v[55:56]
	ds_read2_b64 v[55:58], v54 offset0:35 offset1:36
	ds_read2_b64 v[59:62], v54 offset0:37 offset1:38
	s_waitcnt vmcnt(19) lgkmcnt(1)
	v_fma_f64 v[55:56], v[71:72], v[55:56], v[66:67]
	buffer_load_dword v66, off, s[0:3], 0 offset:156
	s_waitcnt vmcnt(18)
	v_fma_f64 v[55:56], v[73:74], v[57:58], v[55:56]
	buffer_load_dword v68, off, s[0:3], 0 offset:164
	buffer_load_dword v69, off, s[0:3], 0 offset:184
	;; [unrolled: 1-line block ×7, first 2 shown]
	s_waitcnt vmcnt(23) lgkmcnt(0)
	v_fma_f64 v[55:56], v[75:76], v[59:60], v[55:56]
	s_waitcnt vmcnt(18)
	v_fma_f64 v[75:76], v[77:78], v[61:62], v[55:56]
	ds_read2_b64 v[55:58], v54 offset0:39 offset1:40
	ds_read2_b64 v[59:62], v54 offset0:41 offset1:42
	buffer_load_dword v70, off, s[0:3], 0 offset:188
	s_waitcnt vmcnt(18) lgkmcnt(1)
	v_fma_f64 v[55:56], v[83:84], v[55:56], v[75:76]
	buffer_load_dword v76, off, s[0:3], 0 offset:196
	buffer_load_dword v77, off, s[0:3], 0 offset:200
	;; [unrolled: 1-line block ×4, first 2 shown]
	s_waitcnt vmcnt(21)
	v_fma_f64 v[55:56], v[81:82], v[57:58], v[55:56]
	s_waitcnt vmcnt(20) lgkmcnt(0)
	v_fma_f64 v[55:56], v[79:80], v[59:60], v[55:56]
	buffer_load_dword v79, off, s[0:3], 0 offset:32
	buffer_load_dword v80, off, s[0:3], 0 offset:36
	s_waitcnt vmcnt(17)
	v_fma_f64 v[63:64], v[63:64], v[61:62], v[55:56]
	ds_read2_b64 v[55:58], v54 offset0:43 offset1:44
	ds_read2_b64 v[59:62], v54 offset0:45 offset1:46
	s_waitcnt vmcnt(16) lgkmcnt(1)
	v_fma_f64 v[55:56], v[87:88], v[55:56], v[63:64]
	s_waitcnt vmcnt(15)
	v_fma_f64 v[55:56], v[85:86], v[57:58], v[55:56]
	s_waitcnt vmcnt(14) lgkmcnt(0)
	v_fma_f64 v[55:56], v[65:66], v[59:60], v[55:56]
	s_waitcnt vmcnt(9)
	v_fma_f64 v[63:64], v[67:68], v[61:62], v[55:56]
	ds_read2_b64 v[55:58], v54 offset0:47 offset1:48
	ds_read2_b64 v[59:62], v54 offset0:49 offset1:50
	s_waitcnt vmcnt(8) lgkmcnt(1)
	v_fma_f64 v[55:56], v[73:74], v[55:56], v[63:64]
	s_waitcnt vmcnt(7)
	v_fma_f64 v[55:56], v[71:72], v[57:58], v[55:56]
	ds_read_b64 v[57:58], v54 offset:408
	s_waitcnt vmcnt(6) lgkmcnt(1)
	v_fma_f64 v[55:56], v[69:70], v[59:60], v[55:56]
	s_waitcnt vmcnt(3)
	v_fma_f64 v[55:56], v[75:76], v[61:62], v[55:56]
	s_waitcnt vmcnt(2) lgkmcnt(0)
	v_fma_f64 v[55:56], v[77:78], v[57:58], v[55:56]
	s_waitcnt vmcnt(0)
	v_add_f64 v[55:56], v[79:80], -v[55:56]
	buffer_store_dword v56, off, s[0:3], 0 offset:36
	buffer_store_dword v55, off, s[0:3], 0 offset:32
	s_and_saveexec_b64 s[4:5], vcc
	s_cbranch_execz .LBB25_157
; %bb.156:
	buffer_load_dword v55, off, s[0:3], 0 offset:24
	buffer_load_dword v56, off, s[0:3], 0 offset:28
	s_waitcnt vmcnt(0)
	ds_write_b64 v53, v[55:56]
	buffer_store_dword v54, off, s[0:3], 0 offset:24
	buffer_store_dword v54, off, s[0:3], 0 offset:28
.LBB25_157:
	s_or_b64 exec, exec, s[4:5]
	s_waitcnt lgkmcnt(0)
	; wave barrier
	buffer_load_dword v63, off, s[0:3], 0 offset:32
	buffer_load_dword v64, off, s[0:3], 0 offset:36
	;; [unrolled: 1-line block ×21, first 2 shown]
	ds_read_b128 v[55:58], v54 offset:240
	ds_read_b128 v[59:62], v54 offset:256
	buffer_load_dword v80, off, s[0:3], 0 offset:116
	v_cmp_lt_u32_e32 vcc, 2, v0
	s_waitcnt vmcnt(20) lgkmcnt(1)
	v_fma_f64 v[55:56], v[63:64], v[55:56], 0
	s_waitcnt vmcnt(18)
	v_fma_f64 v[55:56], v[65:66], v[57:58], v[55:56]
	buffer_load_dword v64, off, s[0:3], 0 offset:124
	buffer_load_dword v65, off, s[0:3], 0 offset:144
	;; [unrolled: 1-line block ×7, first 2 shown]
	s_waitcnt vmcnt(23) lgkmcnt(0)
	v_fma_f64 v[55:56], v[67:68], v[59:60], v[55:56]
	s_waitcnt vmcnt(21)
	v_fma_f64 v[66:67], v[69:70], v[61:62], v[55:56]
	ds_read_b128 v[55:58], v54 offset:272
	ds_read_b128 v[59:62], v54 offset:288
	s_waitcnt vmcnt(19) lgkmcnt(1)
	v_fma_f64 v[55:56], v[71:72], v[55:56], v[66:67]
	buffer_load_dword v66, off, s[0:3], 0 offset:148
	s_waitcnt vmcnt(18)
	v_fma_f64 v[55:56], v[73:74], v[57:58], v[55:56]
	buffer_load_dword v68, off, s[0:3], 0 offset:156
	buffer_load_dword v69, off, s[0:3], 0 offset:176
	;; [unrolled: 1-line block ×8, first 2 shown]
	s_waitcnt vmcnt(24) lgkmcnt(0)
	v_fma_f64 v[55:56], v[75:76], v[59:60], v[55:56]
	s_waitcnt vmcnt(19)
	v_fma_f64 v[75:76], v[77:78], v[61:62], v[55:56]
	ds_read_b128 v[55:58], v54 offset:304
	ds_read_b128 v[59:62], v54 offset:320
	s_waitcnt vmcnt(18) lgkmcnt(1)
	v_fma_f64 v[55:56], v[83:84], v[55:56], v[75:76]
	s_waitcnt vmcnt(17)
	v_fma_f64 v[55:56], v[81:82], v[57:58], v[55:56]
	buffer_load_dword v76, off, s[0:3], 0 offset:188
	buffer_load_dword v77, off, s[0:3], 0 offset:200
	;; [unrolled: 1-line block ×6, first 2 shown]
	s_waitcnt vmcnt(22) lgkmcnt(0)
	v_fma_f64 v[55:56], v[79:80], v[59:60], v[55:56]
	s_waitcnt vmcnt(17)
	v_fma_f64 v[63:64], v[63:64], v[61:62], v[55:56]
	ds_read_b128 v[55:58], v54 offset:336
	buffer_load_dword v79, off, s[0:3], 0 offset:24
	buffer_load_dword v80, off, s[0:3], 0 offset:28
	ds_read_b128 v[59:62], v54 offset:352
	s_waitcnt vmcnt(18) lgkmcnt(1)
	v_fma_f64 v[55:56], v[87:88], v[55:56], v[63:64]
	s_waitcnt vmcnt(17)
	v_fma_f64 v[55:56], v[85:86], v[57:58], v[55:56]
	s_waitcnt vmcnt(16) lgkmcnt(0)
	v_fma_f64 v[55:56], v[65:66], v[59:60], v[55:56]
	s_waitcnt vmcnt(11)
	v_fma_f64 v[63:64], v[67:68], v[61:62], v[55:56]
	ds_read_b128 v[55:58], v54 offset:368
	ds_read_b128 v[59:62], v54 offset:384
	s_waitcnt vmcnt(10) lgkmcnt(1)
	v_fma_f64 v[55:56], v[73:74], v[55:56], v[63:64]
	s_waitcnt vmcnt(9)
	v_fma_f64 v[55:56], v[71:72], v[57:58], v[55:56]
	s_waitcnt vmcnt(8) lgkmcnt(0)
	v_fma_f64 v[55:56], v[69:70], v[59:60], v[55:56]
	s_waitcnt vmcnt(4)
	v_fma_f64 v[58:59], v[75:76], v[61:62], v[55:56]
	ds_read_b128 v[54:57], v54 offset:400
	s_waitcnt vmcnt(3) lgkmcnt(0)
	v_fma_f64 v[54:55], v[81:82], v[54:55], v[58:59]
	s_waitcnt vmcnt(2)
	v_fma_f64 v[54:55], v[77:78], v[56:57], v[54:55]
	s_waitcnt vmcnt(0)
	v_add_f64 v[54:55], v[79:80], -v[54:55]
	buffer_store_dword v55, off, s[0:3], 0 offset:28
	buffer_store_dword v54, off, s[0:3], 0 offset:24
	s_and_saveexec_b64 s[4:5], vcc
	s_cbranch_execz .LBB25_159
; %bb.158:
	buffer_load_dword v54, off, s[0:3], 0 offset:16
	buffer_load_dword v55, off, s[0:3], 0 offset:20
	v_mov_b32_e32 v56, 0
	buffer_store_dword v56, off, s[0:3], 0 offset:16
	buffer_store_dword v56, off, s[0:3], 0 offset:20
	s_waitcnt vmcnt(2)
	ds_write_b64 v53, v[54:55]
.LBB25_159:
	s_or_b64 exec, exec, s[4:5]
	s_waitcnt lgkmcnt(0)
	; wave barrier
	buffer_load_dword v63, off, s[0:3], 0 offset:24
	buffer_load_dword v64, off, s[0:3], 0 offset:28
	;; [unrolled: 1-line block ×21, first 2 shown]
	v_mov_b32_e32 v54, 0
	ds_read2_b64 v[55:58], v54 offset0:29 offset1:30
	ds_read2_b64 v[59:62], v54 offset0:31 offset1:32
	buffer_load_dword v80, off, s[0:3], 0 offset:108
	v_cmp_lt_u32_e32 vcc, 1, v0
	s_waitcnt vmcnt(20) lgkmcnt(1)
	v_fma_f64 v[55:56], v[63:64], v[55:56], 0
	s_waitcnt vmcnt(18)
	v_fma_f64 v[55:56], v[65:66], v[57:58], v[55:56]
	buffer_load_dword v64, off, s[0:3], 0 offset:116
	buffer_load_dword v65, off, s[0:3], 0 offset:136
	;; [unrolled: 1-line block ×7, first 2 shown]
	s_waitcnt vmcnt(23) lgkmcnt(0)
	v_fma_f64 v[55:56], v[67:68], v[59:60], v[55:56]
	s_waitcnt vmcnt(21)
	v_fma_f64 v[66:67], v[69:70], v[61:62], v[55:56]
	ds_read2_b64 v[55:58], v54 offset0:33 offset1:34
	ds_read2_b64 v[59:62], v54 offset0:35 offset1:36
	s_waitcnt vmcnt(19) lgkmcnt(1)
	v_fma_f64 v[55:56], v[71:72], v[55:56], v[66:67]
	buffer_load_dword v66, off, s[0:3], 0 offset:140
	s_waitcnt vmcnt(18)
	v_fma_f64 v[55:56], v[73:74], v[57:58], v[55:56]
	buffer_load_dword v68, off, s[0:3], 0 offset:148
	buffer_load_dword v69, off, s[0:3], 0 offset:168
	;; [unrolled: 1-line block ×8, first 2 shown]
	s_waitcnt vmcnt(24) lgkmcnt(0)
	v_fma_f64 v[55:56], v[75:76], v[59:60], v[55:56]
	s_waitcnt vmcnt(19)
	v_fma_f64 v[75:76], v[77:78], v[61:62], v[55:56]
	ds_read2_b64 v[55:58], v54 offset0:37 offset1:38
	ds_read2_b64 v[59:62], v54 offset0:39 offset1:40
	s_waitcnt vmcnt(18) lgkmcnt(1)
	v_fma_f64 v[55:56], v[83:84], v[55:56], v[75:76]
	s_waitcnt vmcnt(17)
	v_fma_f64 v[55:56], v[81:82], v[57:58], v[55:56]
	buffer_load_dword v76, off, s[0:3], 0 offset:180
	buffer_load_dword v77, off, s[0:3], 0 offset:200
	buffer_load_dword v81, off, s[0:3], 0 offset:192
	buffer_load_dword v83, off, s[0:3], 0 offset:184
	buffer_load_dword v75, off, s[0:3], 0 offset:176
	buffer_load_dword v84, off, s[0:3], 0 offset:188
	buffer_load_dword v82, off, s[0:3], 0 offset:196
	buffer_load_dword v78, off, s[0:3], 0 offset:204
	s_waitcnt vmcnt(24) lgkmcnt(0)
	v_fma_f64 v[55:56], v[79:80], v[59:60], v[55:56]
	s_waitcnt vmcnt(19)
	v_fma_f64 v[63:64], v[63:64], v[61:62], v[55:56]
	ds_read2_b64 v[55:58], v54 offset0:41 offset1:42
	ds_read2_b64 v[59:62], v54 offset0:43 offset1:44
	s_waitcnt vmcnt(18) lgkmcnt(1)
	v_fma_f64 v[55:56], v[87:88], v[55:56], v[63:64]
	buffer_load_dword v63, off, s[0:3], 0 offset:16
	buffer_load_dword v64, off, s[0:3], 0 offset:20
	s_waitcnt vmcnt(19)
	v_fma_f64 v[55:56], v[85:86], v[57:58], v[55:56]
	s_waitcnt vmcnt(18) lgkmcnt(0)
	v_fma_f64 v[55:56], v[65:66], v[59:60], v[55:56]
	s_waitcnt vmcnt(13)
	v_fma_f64 v[65:66], v[67:68], v[61:62], v[55:56]
	ds_read2_b64 v[55:58], v54 offset0:45 offset1:46
	ds_read2_b64 v[59:62], v54 offset0:47 offset1:48
	s_waitcnt vmcnt(12) lgkmcnt(1)
	v_fma_f64 v[55:56], v[73:74], v[55:56], v[65:66]
	s_waitcnt vmcnt(11)
	v_fma_f64 v[55:56], v[71:72], v[57:58], v[55:56]
	s_waitcnt vmcnt(10) lgkmcnt(0)
	v_fma_f64 v[55:56], v[69:70], v[59:60], v[55:56]
	s_waitcnt vmcnt(5)
	v_fma_f64 v[59:60], v[75:76], v[61:62], v[55:56]
	ds_read2_b64 v[55:58], v54 offset0:49 offset1:50
	ds_read_b64 v[61:62], v54 offset:408
	s_waitcnt vmcnt(4) lgkmcnt(1)
	v_fma_f64 v[55:56], v[83:84], v[55:56], v[59:60]
	s_waitcnt vmcnt(3)
	v_fma_f64 v[55:56], v[81:82], v[57:58], v[55:56]
	s_waitcnt vmcnt(2) lgkmcnt(0)
	v_fma_f64 v[55:56], v[77:78], v[61:62], v[55:56]
	s_waitcnt vmcnt(0)
	v_add_f64 v[55:56], v[63:64], -v[55:56]
	buffer_store_dword v56, off, s[0:3], 0 offset:20
	buffer_store_dword v55, off, s[0:3], 0 offset:16
	s_and_saveexec_b64 s[4:5], vcc
	s_cbranch_execz .LBB25_161
; %bb.160:
	buffer_load_dword v55, off, s[0:3], 0 offset:8
	buffer_load_dword v56, off, s[0:3], 0 offset:12
	s_waitcnt vmcnt(0)
	ds_write_b64 v53, v[55:56]
	buffer_store_dword v54, off, s[0:3], 0 offset:8
	buffer_store_dword v54, off, s[0:3], 0 offset:12
.LBB25_161:
	s_or_b64 exec, exec, s[4:5]
	s_waitcnt lgkmcnt(0)
	; wave barrier
	buffer_load_dword v63, off, s[0:3], 0 offset:16
	buffer_load_dword v64, off, s[0:3], 0 offset:20
	;; [unrolled: 1-line block ×21, first 2 shown]
	ds_read_b128 v[55:58], v54 offset:224
	ds_read_b128 v[59:62], v54 offset:240
	buffer_load_dword v80, off, s[0:3], 0 offset:100
	v_cmp_ne_u32_e32 vcc, 0, v0
	s_waitcnt vmcnt(20) lgkmcnt(1)
	v_fma_f64 v[55:56], v[63:64], v[55:56], 0
	s_waitcnt vmcnt(18)
	v_fma_f64 v[55:56], v[65:66], v[57:58], v[55:56]
	buffer_load_dword v64, off, s[0:3], 0 offset:108
	buffer_load_dword v65, off, s[0:3], 0 offset:128
	;; [unrolled: 1-line block ×7, first 2 shown]
	s_waitcnt vmcnt(23) lgkmcnt(0)
	v_fma_f64 v[55:56], v[67:68], v[59:60], v[55:56]
	s_waitcnt vmcnt(21)
	v_fma_f64 v[66:67], v[69:70], v[61:62], v[55:56]
	ds_read_b128 v[55:58], v54 offset:256
	ds_read_b128 v[59:62], v54 offset:272
	s_waitcnt vmcnt(19) lgkmcnt(1)
	v_fma_f64 v[55:56], v[71:72], v[55:56], v[66:67]
	buffer_load_dword v66, off, s[0:3], 0 offset:132
	s_waitcnt vmcnt(18)
	v_fma_f64 v[55:56], v[73:74], v[57:58], v[55:56]
	buffer_load_dword v68, off, s[0:3], 0 offset:140
	buffer_load_dword v69, off, s[0:3], 0 offset:160
	;; [unrolled: 1-line block ×8, first 2 shown]
	s_waitcnt vmcnt(24) lgkmcnt(0)
	v_fma_f64 v[55:56], v[75:76], v[59:60], v[55:56]
	s_waitcnt vmcnt(19)
	v_fma_f64 v[75:76], v[77:78], v[61:62], v[55:56]
	ds_read_b128 v[55:58], v54 offset:288
	ds_read_b128 v[59:62], v54 offset:304
	s_waitcnt vmcnt(18) lgkmcnt(1)
	v_fma_f64 v[55:56], v[83:84], v[55:56], v[75:76]
	s_waitcnt vmcnt(17)
	v_fma_f64 v[55:56], v[81:82], v[57:58], v[55:56]
	buffer_load_dword v76, off, s[0:3], 0 offset:172
	buffer_load_dword v77, off, s[0:3], 0 offset:192
	;; [unrolled: 1-line block ×8, first 2 shown]
	s_waitcnt vmcnt(24) lgkmcnt(0)
	v_fma_f64 v[55:56], v[79:80], v[59:60], v[55:56]
	s_waitcnt vmcnt(19)
	v_fma_f64 v[63:64], v[63:64], v[61:62], v[55:56]
	ds_read_b128 v[55:58], v54 offset:320
	ds_read_b128 v[59:62], v54 offset:336
	s_waitcnt vmcnt(18) lgkmcnt(1)
	v_fma_f64 v[55:56], v[87:88], v[55:56], v[63:64]
	buffer_load_dword v64, off, s[0:3], 0 offset:204
	buffer_load_dword v63, off, s[0:3], 0 offset:200
	;; [unrolled: 1-line block ×4, first 2 shown]
	s_waitcnt vmcnt(21)
	v_fma_f64 v[55:56], v[85:86], v[57:58], v[55:56]
	s_waitcnt vmcnt(20) lgkmcnt(0)
	v_fma_f64 v[55:56], v[65:66], v[59:60], v[55:56]
	s_waitcnt vmcnt(15)
	v_fma_f64 v[65:66], v[67:68], v[61:62], v[55:56]
	ds_read_b128 v[55:58], v54 offset:352
	ds_read_b128 v[59:62], v54 offset:368
	s_waitcnt vmcnt(14) lgkmcnt(1)
	v_fma_f64 v[55:56], v[73:74], v[55:56], v[65:66]
	s_waitcnt vmcnt(13)
	v_fma_f64 v[55:56], v[71:72], v[57:58], v[55:56]
	s_waitcnt vmcnt(12) lgkmcnt(0)
	v_fma_f64 v[55:56], v[69:70], v[59:60], v[55:56]
	s_waitcnt vmcnt(7)
	v_fma_f64 v[65:66], v[75:76], v[61:62], v[55:56]
	ds_read_b128 v[55:58], v54 offset:384
	ds_read_b128 v[59:62], v54 offset:400
	s_waitcnt vmcnt(6) lgkmcnt(1)
	v_fma_f64 v[54:55], v[83:84], v[55:56], v[65:66]
	s_waitcnt vmcnt(5)
	v_fma_f64 v[54:55], v[81:82], v[57:58], v[54:55]
	s_waitcnt vmcnt(4) lgkmcnt(0)
	v_fma_f64 v[54:55], v[77:78], v[59:60], v[54:55]
	s_waitcnt vmcnt(2)
	v_fma_f64 v[54:55], v[63:64], v[61:62], v[54:55]
	s_waitcnt vmcnt(0)
	v_add_f64 v[54:55], v[79:80], -v[54:55]
	buffer_store_dword v55, off, s[0:3], 0 offset:12
	buffer_store_dword v54, off, s[0:3], 0 offset:8
	s_and_saveexec_b64 s[4:5], vcc
	s_cbranch_execz .LBB25_163
; %bb.162:
	buffer_load_dword v54, off, s[0:3], 0
	buffer_load_dword v55, off, s[0:3], 0 offset:4
	v_mov_b32_e32 v0, 0
	buffer_store_dword v0, off, s[0:3], 0
	buffer_store_dword v0, off, s[0:3], 0 offset:4
	s_waitcnt vmcnt(2)
	ds_write_b64 v53, v[54:55]
.LBB25_163:
	s_or_b64 exec, exec, s[4:5]
	s_waitcnt lgkmcnt(0)
	; wave barrier
	buffer_load_dword v61, off, s[0:3], 0 offset:8
	buffer_load_dword v62, off, s[0:3], 0 offset:12
	;; [unrolled: 1-line block ×21, first 2 shown]
	v_mov_b32_e32 v0, 0
	ds_read2_b64 v[53:56], v0 offset0:27 offset1:28
	ds_read2_b64 v[57:60], v0 offset0:29 offset1:30
	buffer_load_dword v78, off, s[0:3], 0 offset:92
	s_and_b64 vcc, exec, s[22:23]
	s_waitcnt vmcnt(20) lgkmcnt(1)
	v_fma_f64 v[53:54], v[61:62], v[53:54], 0
	s_waitcnt vmcnt(18)
	v_fma_f64 v[53:54], v[63:64], v[55:56], v[53:54]
	buffer_load_dword v62, off, s[0:3], 0 offset:100
	buffer_load_dword v63, off, s[0:3], 0 offset:120
	;; [unrolled: 1-line block ×7, first 2 shown]
	s_waitcnt vmcnt(23) lgkmcnt(0)
	v_fma_f64 v[53:54], v[65:66], v[57:58], v[53:54]
	s_waitcnt vmcnt(21)
	v_fma_f64 v[64:65], v[67:68], v[59:60], v[53:54]
	ds_read2_b64 v[53:56], v0 offset0:31 offset1:32
	ds_read2_b64 v[57:60], v0 offset0:33 offset1:34
	s_waitcnt vmcnt(19) lgkmcnt(1)
	v_fma_f64 v[53:54], v[69:70], v[53:54], v[64:65]
	buffer_load_dword v64, off, s[0:3], 0 offset:124
	s_waitcnt vmcnt(18)
	v_fma_f64 v[53:54], v[71:72], v[55:56], v[53:54]
	buffer_load_dword v66, off, s[0:3], 0 offset:132
	buffer_load_dword v67, off, s[0:3], 0 offset:152
	;; [unrolled: 1-line block ×8, first 2 shown]
	s_waitcnt vmcnt(24) lgkmcnt(0)
	v_fma_f64 v[53:54], v[73:74], v[57:58], v[53:54]
	s_waitcnt vmcnt(19)
	v_fma_f64 v[73:74], v[75:76], v[59:60], v[53:54]
	ds_read2_b64 v[53:56], v0 offset0:35 offset1:36
	ds_read2_b64 v[57:60], v0 offset0:37 offset1:38
	s_waitcnt vmcnt(18) lgkmcnt(1)
	v_fma_f64 v[53:54], v[81:82], v[53:54], v[73:74]
	s_waitcnt vmcnt(17)
	v_fma_f64 v[53:54], v[79:80], v[55:56], v[53:54]
	buffer_load_dword v74, off, s[0:3], 0 offset:164
	buffer_load_dword v75, off, s[0:3], 0 offset:184
	;; [unrolled: 1-line block ×7, first 2 shown]
	s_waitcnt vmcnt(23) lgkmcnt(0)
	v_fma_f64 v[53:54], v[77:78], v[57:58], v[53:54]
	s_waitcnt vmcnt(18)
	v_fma_f64 v[61:62], v[61:62], v[59:60], v[53:54]
	ds_read2_b64 v[53:56], v0 offset0:39 offset1:40
	ds_read2_b64 v[57:60], v0 offset0:41 offset1:42
	buffer_load_dword v76, off, s[0:3], 0 offset:188
	s_waitcnt vmcnt(18) lgkmcnt(1)
	v_fma_f64 v[53:54], v[85:86], v[53:54], v[61:62]
	s_waitcnt vmcnt(17)
	v_fma_f64 v[53:54], v[83:84], v[55:56], v[53:54]
	buffer_load_dword v56, off, s[0:3], 0 offset:196
	buffer_load_dword v77, off, s[0:3], 0 offset:200
	;; [unrolled: 1-line block ×4, first 2 shown]
	buffer_load_dword v83, off, s[0:3], 0
	buffer_load_dword v84, off, s[0:3], 0 offset:4
	s_waitcnt vmcnt(22) lgkmcnt(0)
	v_fma_f64 v[53:54], v[63:64], v[57:58], v[53:54]
	s_waitcnt vmcnt(17)
	v_fma_f64 v[53:54], v[65:66], v[59:60], v[53:54]
	ds_read2_b64 v[57:60], v0 offset0:43 offset1:44
	ds_read2_b64 v[61:64], v0 offset0:45 offset1:46
	s_waitcnt vmcnt(16) lgkmcnt(1)
	v_fma_f64 v[53:54], v[71:72], v[57:58], v[53:54]
	s_waitcnt vmcnt(15)
	v_fma_f64 v[53:54], v[69:70], v[59:60], v[53:54]
	s_waitcnt vmcnt(14) lgkmcnt(0)
	v_fma_f64 v[53:54], v[67:68], v[61:62], v[53:54]
	s_waitcnt vmcnt(9)
	v_fma_f64 v[53:54], v[73:74], v[63:64], v[53:54]
	ds_read2_b64 v[57:60], v0 offset0:47 offset1:48
	ds_read2_b64 v[61:64], v0 offset0:49 offset1:50
	s_waitcnt vmcnt(8) lgkmcnt(1)
	v_fma_f64 v[53:54], v[81:82], v[57:58], v[53:54]
	ds_read_b64 v[57:58], v0 offset:408
	s_waitcnt vmcnt(7)
	v_fma_f64 v[53:54], v[79:80], v[59:60], v[53:54]
	s_waitcnt vmcnt(6) lgkmcnt(1)
	v_fma_f64 v[53:54], v[75:76], v[61:62], v[53:54]
	s_waitcnt vmcnt(3)
	v_fma_f64 v[53:54], v[55:56], v[63:64], v[53:54]
	s_waitcnt vmcnt(2) lgkmcnt(0)
	v_fma_f64 v[53:54], v[77:78], v[57:58], v[53:54]
	s_waitcnt vmcnt(0)
	v_add_f64 v[53:54], v[83:84], -v[53:54]
	buffer_store_dword v54, off, s[0:3], 0 offset:4
	buffer_store_dword v53, off, s[0:3], 0
	s_cbranch_vccz .LBB25_214
; %bb.164:
	global_load_dword v0, v0, s[20:21] offset:96
	s_waitcnt vmcnt(0)
	v_add_u32_e32 v0, -1, v0
	v_cmp_ne_u32_e32 vcc, 24, v0
	s_cbranch_vccz .LBB25_166
; %bb.165:
	v_lshlrev_b32_e32 v0, 3, v0
	buffer_load_dword v53, v0, s[0:3], 0 offen offset:4
	buffer_load_dword v54, v0, s[0:3], 0 offen
	s_waitcnt vmcnt(1)
	buffer_store_dword v53, off, s[0:3], 0 offset:196
	s_waitcnt vmcnt(1)
	buffer_store_dword v54, off, s[0:3], 0 offset:192
	buffer_store_dword v56, v0, s[0:3], 0 offen offset:4
	buffer_store_dword v55, v0, s[0:3], 0 offen
.LBB25_166:
	v_mov_b32_e32 v0, 0
	global_load_dword v53, v0, s[20:21] offset:92
	s_waitcnt vmcnt(0)
	v_add_u32_e32 v53, -1, v53
	v_cmp_eq_u32_e32 vcc, 23, v53
	s_cbranch_vccnz .LBB25_168
; %bb.167:
	v_lshlrev_b32_e32 v53, 3, v53
	buffer_load_dword v54, v53, s[0:3], 0 offen
	buffer_load_dword v55, v53, s[0:3], 0 offen offset:4
	buffer_load_dword v56, off, s[0:3], 0 offset:184
	buffer_load_dword v57, off, s[0:3], 0 offset:188
	s_waitcnt vmcnt(3)
	buffer_store_dword v54, off, s[0:3], 0 offset:184
	s_waitcnt vmcnt(3)
	buffer_store_dword v55, off, s[0:3], 0 offset:188
	s_waitcnt vmcnt(3)
	buffer_store_dword v56, v53, s[0:3], 0 offen
	s_waitcnt vmcnt(3)
	buffer_store_dword v57, v53, s[0:3], 0 offen offset:4
.LBB25_168:
	global_load_dword v0, v0, s[20:21] offset:88
	s_waitcnt vmcnt(0)
	v_add_u32_e32 v0, -1, v0
	v_cmp_eq_u32_e32 vcc, 22, v0
	s_cbranch_vccnz .LBB25_170
; %bb.169:
	v_lshlrev_b32_e32 v0, 3, v0
	buffer_load_dword v53, v0, s[0:3], 0 offen
	buffer_load_dword v54, v0, s[0:3], 0 offen offset:4
	buffer_load_dword v55, off, s[0:3], 0 offset:180
	buffer_load_dword v56, off, s[0:3], 0 offset:176
	s_waitcnt vmcnt(3)
	buffer_store_dword v53, off, s[0:3], 0 offset:176
	s_waitcnt vmcnt(3)
	buffer_store_dword v54, off, s[0:3], 0 offset:180
	s_waitcnt vmcnt(3)
	buffer_store_dword v55, v0, s[0:3], 0 offen offset:4
	s_waitcnt vmcnt(3)
	buffer_store_dword v56, v0, s[0:3], 0 offen
.LBB25_170:
	v_mov_b32_e32 v0, 0
	global_load_dword v53, v0, s[20:21] offset:84
	s_waitcnt vmcnt(0)
	v_add_u32_e32 v53, -1, v53
	v_cmp_eq_u32_e32 vcc, 21, v53
	s_cbranch_vccnz .LBB25_172
; %bb.171:
	v_lshlrev_b32_e32 v53, 3, v53
	buffer_load_dword v54, v53, s[0:3], 0 offen
	buffer_load_dword v55, v53, s[0:3], 0 offen offset:4
	buffer_load_dword v56, off, s[0:3], 0 offset:168
	buffer_load_dword v57, off, s[0:3], 0 offset:172
	s_waitcnt vmcnt(3)
	buffer_store_dword v54, off, s[0:3], 0 offset:168
	s_waitcnt vmcnt(3)
	buffer_store_dword v55, off, s[0:3], 0 offset:172
	s_waitcnt vmcnt(3)
	buffer_store_dword v56, v53, s[0:3], 0 offen
	s_waitcnt vmcnt(3)
	buffer_store_dword v57, v53, s[0:3], 0 offen offset:4
.LBB25_172:
	global_load_dword v0, v0, s[20:21] offset:80
	s_waitcnt vmcnt(0)
	v_add_u32_e32 v0, -1, v0
	v_cmp_eq_u32_e32 vcc, 20, v0
	s_cbranch_vccnz .LBB25_174
; %bb.173:
	v_lshlrev_b32_e32 v0, 3, v0
	buffer_load_dword v53, v0, s[0:3], 0 offen
	buffer_load_dword v54, v0, s[0:3], 0 offen offset:4
	buffer_load_dword v55, off, s[0:3], 0 offset:164
	buffer_load_dword v56, off, s[0:3], 0 offset:160
	s_waitcnt vmcnt(3)
	buffer_store_dword v53, off, s[0:3], 0 offset:160
	s_waitcnt vmcnt(3)
	buffer_store_dword v54, off, s[0:3], 0 offset:164
	s_waitcnt vmcnt(3)
	buffer_store_dword v55, v0, s[0:3], 0 offen offset:4
	s_waitcnt vmcnt(3)
	buffer_store_dword v56, v0, s[0:3], 0 offen
.LBB25_174:
	;; [unrolled: 41-line block ×11, first 2 shown]
	v_mov_b32_e32 v0, 0
	global_load_dword v53, v0, s[20:21] offset:4
	s_waitcnt vmcnt(0)
	v_add_u32_e32 v53, -1, v53
	v_cmp_eq_u32_e32 vcc, 1, v53
	s_cbranch_vccnz .LBB25_212
; %bb.211:
	v_lshlrev_b32_e32 v53, 3, v53
	buffer_load_dword v54, v53, s[0:3], 0 offen
	buffer_load_dword v55, v53, s[0:3], 0 offen offset:4
	buffer_load_dword v56, off, s[0:3], 0 offset:8
	buffer_load_dword v57, off, s[0:3], 0 offset:12
	s_waitcnt vmcnt(3)
	buffer_store_dword v54, off, s[0:3], 0 offset:8
	s_waitcnt vmcnt(3)
	buffer_store_dword v55, off, s[0:3], 0 offset:12
	s_waitcnt vmcnt(3)
	buffer_store_dword v56, v53, s[0:3], 0 offen
	s_waitcnt vmcnt(3)
	buffer_store_dword v57, v53, s[0:3], 0 offen offset:4
.LBB25_212:
	global_load_dword v0, v0, s[20:21]
	s_nop 0
	buffer_load_dword v53, off, s[0:3], 0
	buffer_load_dword v54, off, s[0:3], 0 offset:4
	s_waitcnt vmcnt(2)
	v_add_u32_e32 v0, -1, v0
	v_cmp_eq_u32_e32 vcc, 0, v0
	s_cbranch_vccnz .LBB25_214
; %bb.213:
	v_lshlrev_b32_e32 v0, 3, v0
	buffer_load_dword v55, v0, s[0:3], 0 offen offset:4
	buffer_load_dword v56, v0, s[0:3], 0 offen
	s_waitcnt vmcnt(1)
	buffer_store_dword v55, off, s[0:3], 0 offset:4
	s_waitcnt vmcnt(1)
	buffer_store_dword v56, off, s[0:3], 0
	buffer_store_dword v54, v0, s[0:3], 0 offen offset:4
	buffer_store_dword v53, v0, s[0:3], 0 offen
	buffer_load_dword v53, off, s[0:3], 0
	s_nop 0
	buffer_load_dword v54, off, s[0:3], 0 offset:4
.LBB25_214:
	buffer_load_dword v55, off, s[0:3], 0 offset:8
	buffer_load_dword v56, off, s[0:3], 0 offset:12
	;; [unrolled: 1-line block ×50, first 2 shown]
	s_waitcnt vmcnt(50)
	global_store_dwordx2 v[43:44], v[53:54], off
	s_waitcnt vmcnt(49)
	global_store_dwordx2 v[45:46], v[55:56], off
	;; [unrolled: 2-line block ×26, first 2 shown]
	s_endpgm
	.section	.rodata,"a",@progbits
	.p2align	6, 0x0
	.amdhsa_kernel _ZN9rocsolver6v33100L18getri_kernel_smallILi26EdPdEEvT1_iilPiilS4_bb
		.amdhsa_group_segment_fixed_size 424
		.amdhsa_private_segment_fixed_size 224
		.amdhsa_kernarg_size 60
		.amdhsa_user_sgpr_count 6
		.amdhsa_user_sgpr_private_segment_buffer 1
		.amdhsa_user_sgpr_dispatch_ptr 0
		.amdhsa_user_sgpr_queue_ptr 0
		.amdhsa_user_sgpr_kernarg_segment_ptr 1
		.amdhsa_user_sgpr_dispatch_id 0
		.amdhsa_user_sgpr_flat_scratch_init 0
		.amdhsa_user_sgpr_private_segment_size 0
		.amdhsa_uses_dynamic_stack 0
		.amdhsa_system_sgpr_private_segment_wavefront_offset 1
		.amdhsa_system_sgpr_workgroup_id_x 1
		.amdhsa_system_sgpr_workgroup_id_y 0
		.amdhsa_system_sgpr_workgroup_id_z 0
		.amdhsa_system_sgpr_workgroup_info 0
		.amdhsa_system_vgpr_workitem_id 0
		.amdhsa_next_free_vgpr 106
		.amdhsa_next_free_sgpr 24
		.amdhsa_reserve_vcc 1
		.amdhsa_reserve_flat_scratch 0
		.amdhsa_float_round_mode_32 0
		.amdhsa_float_round_mode_16_64 0
		.amdhsa_float_denorm_mode_32 3
		.amdhsa_float_denorm_mode_16_64 3
		.amdhsa_dx10_clamp 1
		.amdhsa_ieee_mode 1
		.amdhsa_fp16_overflow 0
		.amdhsa_exception_fp_ieee_invalid_op 0
		.amdhsa_exception_fp_denorm_src 0
		.amdhsa_exception_fp_ieee_div_zero 0
		.amdhsa_exception_fp_ieee_overflow 0
		.amdhsa_exception_fp_ieee_underflow 0
		.amdhsa_exception_fp_ieee_inexact 0
		.amdhsa_exception_int_div_zero 0
	.end_amdhsa_kernel
	.section	.text._ZN9rocsolver6v33100L18getri_kernel_smallILi26EdPdEEvT1_iilPiilS4_bb,"axG",@progbits,_ZN9rocsolver6v33100L18getri_kernel_smallILi26EdPdEEvT1_iilPiilS4_bb,comdat
.Lfunc_end25:
	.size	_ZN9rocsolver6v33100L18getri_kernel_smallILi26EdPdEEvT1_iilPiilS4_bb, .Lfunc_end25-_ZN9rocsolver6v33100L18getri_kernel_smallILi26EdPdEEvT1_iilPiilS4_bb
                                        ; -- End function
	.set _ZN9rocsolver6v33100L18getri_kernel_smallILi26EdPdEEvT1_iilPiilS4_bb.num_vgpr, 106
	.set _ZN9rocsolver6v33100L18getri_kernel_smallILi26EdPdEEvT1_iilPiilS4_bb.num_agpr, 0
	.set _ZN9rocsolver6v33100L18getri_kernel_smallILi26EdPdEEvT1_iilPiilS4_bb.numbered_sgpr, 24
	.set _ZN9rocsolver6v33100L18getri_kernel_smallILi26EdPdEEvT1_iilPiilS4_bb.num_named_barrier, 0
	.set _ZN9rocsolver6v33100L18getri_kernel_smallILi26EdPdEEvT1_iilPiilS4_bb.private_seg_size, 224
	.set _ZN9rocsolver6v33100L18getri_kernel_smallILi26EdPdEEvT1_iilPiilS4_bb.uses_vcc, 1
	.set _ZN9rocsolver6v33100L18getri_kernel_smallILi26EdPdEEvT1_iilPiilS4_bb.uses_flat_scratch, 0
	.set _ZN9rocsolver6v33100L18getri_kernel_smallILi26EdPdEEvT1_iilPiilS4_bb.has_dyn_sized_stack, 0
	.set _ZN9rocsolver6v33100L18getri_kernel_smallILi26EdPdEEvT1_iilPiilS4_bb.has_recursion, 0
	.set _ZN9rocsolver6v33100L18getri_kernel_smallILi26EdPdEEvT1_iilPiilS4_bb.has_indirect_call, 0
	.section	.AMDGPU.csdata,"",@progbits
; Kernel info:
; codeLenInByte = 23336
; TotalNumSgprs: 28
; NumVgprs: 106
; ScratchSize: 224
; MemoryBound: 0
; FloatMode: 240
; IeeeMode: 1
; LDSByteSize: 424 bytes/workgroup (compile time only)
; SGPRBlocks: 3
; VGPRBlocks: 26
; NumSGPRsForWavesPerEU: 28
; NumVGPRsForWavesPerEU: 106
; Occupancy: 2
; WaveLimiterHint : 1
; COMPUTE_PGM_RSRC2:SCRATCH_EN: 1
; COMPUTE_PGM_RSRC2:USER_SGPR: 6
; COMPUTE_PGM_RSRC2:TRAP_HANDLER: 0
; COMPUTE_PGM_RSRC2:TGID_X_EN: 1
; COMPUTE_PGM_RSRC2:TGID_Y_EN: 0
; COMPUTE_PGM_RSRC2:TGID_Z_EN: 0
; COMPUTE_PGM_RSRC2:TIDIG_COMP_CNT: 0
	.section	.text._ZN9rocsolver6v33100L18getri_kernel_smallILi27EdPdEEvT1_iilPiilS4_bb,"axG",@progbits,_ZN9rocsolver6v33100L18getri_kernel_smallILi27EdPdEEvT1_iilPiilS4_bb,comdat
	.globl	_ZN9rocsolver6v33100L18getri_kernel_smallILi27EdPdEEvT1_iilPiilS4_bb ; -- Begin function _ZN9rocsolver6v33100L18getri_kernel_smallILi27EdPdEEvT1_iilPiilS4_bb
	.p2align	8
	.type	_ZN9rocsolver6v33100L18getri_kernel_smallILi27EdPdEEvT1_iilPiilS4_bb,@function
_ZN9rocsolver6v33100L18getri_kernel_smallILi27EdPdEEvT1_iilPiilS4_bb: ; @_ZN9rocsolver6v33100L18getri_kernel_smallILi27EdPdEEvT1_iilPiilS4_bb
; %bb.0:
	s_add_u32 s0, s0, s7
	s_addc_u32 s1, s1, 0
	v_cmp_gt_u32_e32 vcc, 27, v0
	s_and_saveexec_b64 s[8:9], vcc
	s_cbranch_execz .LBB26_116
; %bb.1:
	s_load_dword s12, s[4:5], 0x38
	s_load_dwordx4 s[16:19], s[4:5], 0x10
	s_load_dwordx4 s[8:11], s[4:5], 0x28
                                        ; implicit-def: $sgpr20_sgpr21
	s_waitcnt lgkmcnt(0)
	s_bitcmp1_b32 s12, 8
	s_cselect_b64 s[22:23], -1, 0
	s_ashr_i32 s7, s6, 31
	s_bfe_u32 s12, s12, 0x10008
	s_cmp_eq_u32 s12, 0
	s_cbranch_scc1 .LBB26_3
; %bb.2:
	s_load_dword s12, s[4:5], 0x20
	s_mul_i32 s13, s8, s7
	s_mul_hi_u32 s14, s8, s6
	s_mul_i32 s9, s9, s6
	s_add_i32 s14, s14, s13
	s_add_i32 s9, s14, s9
	s_mul_i32 s8, s8, s6
	s_waitcnt lgkmcnt(0)
	s_ashr_i32 s13, s12, 31
	s_lshl_b64 s[8:9], s[8:9], 2
	s_add_u32 s14, s18, s8
	s_addc_u32 s15, s19, s9
	s_lshl_b64 s[8:9], s[12:13], 2
	s_add_u32 s20, s14, s8
	s_addc_u32 s21, s15, s9
.LBB26_3:
	s_load_dwordx4 s[12:15], s[4:5], 0x0
	s_load_dword s8, s[4:5], 0x38
	s_mul_i32 s9, s16, s7
	s_mul_hi_u32 s18, s16, s6
	s_add_i32 s9, s18, s9
	s_waitcnt lgkmcnt(0)
	s_ashr_i32 s5, s14, 31
	s_mov_b32 s4, s14
	s_mul_i32 s14, s17, s6
	s_add_i32 s17, s9, s14
	s_mul_i32 s16, s16, s6
	s_lshl_b64 s[16:17], s[16:17], 3
	s_add_u32 s9, s12, s16
	s_addc_u32 s12, s13, s17
	s_lshl_b64 s[4:5], s[4:5], 3
	s_add_u32 s4, s9, s4
	s_addc_u32 s5, s12, s5
	s_add_i32 s9, s15, s15
	v_add_u32_e32 v3, s9, v0
	v_ashrrev_i32_e32 v4, 31, v3
	v_lshlrev_b64 v[1:2], 3, v[3:4]
	v_add_u32_e32 v5, s15, v3
	v_mov_b32_e32 v4, s5
	v_add_co_u32_e32 v1, vcc, s4, v1
	v_ashrrev_i32_e32 v6, 31, v5
	v_addc_co_u32_e32 v2, vcc, v4, v2, vcc
	v_lshlrev_b64 v[3:4], 3, v[5:6]
	v_add_u32_e32 v7, s15, v5
	v_mov_b32_e32 v6, s5
	v_add_co_u32_e32 v3, vcc, s4, v3
	v_ashrrev_i32_e32 v8, 31, v7
	v_addc_co_u32_e32 v4, vcc, v6, v4, vcc
	v_lshlrev_b64 v[5:6], 3, v[7:8]
	v_add_u32_e32 v9, s15, v7
	v_mov_b32_e32 v8, s5
	v_add_co_u32_e32 v5, vcc, s4, v5
	v_ashrrev_i32_e32 v10, 31, v9
	v_addc_co_u32_e32 v6, vcc, v8, v6, vcc
	v_lshlrev_b64 v[7:8], 3, v[9:10]
	v_add_u32_e32 v11, s15, v9
	v_mov_b32_e32 v10, s5
	v_add_co_u32_e32 v7, vcc, s4, v7
	v_ashrrev_i32_e32 v12, 31, v11
	v_addc_co_u32_e32 v8, vcc, v10, v8, vcc
	v_lshlrev_b64 v[9:10], 3, v[11:12]
	v_add_u32_e32 v13, s15, v11
	v_mov_b32_e32 v12, s5
	v_add_co_u32_e32 v9, vcc, s4, v9
	v_ashrrev_i32_e32 v14, 31, v13
	v_addc_co_u32_e32 v10, vcc, v12, v10, vcc
	v_lshlrev_b64 v[11:12], 3, v[13:14]
	v_add_u32_e32 v15, s15, v13
	v_mov_b32_e32 v14, s5
	v_add_co_u32_e32 v11, vcc, s4, v11
	v_ashrrev_i32_e32 v16, 31, v15
	v_addc_co_u32_e32 v12, vcc, v14, v12, vcc
	v_lshlrev_b64 v[13:14], 3, v[15:16]
	v_add_u32_e32 v17, s15, v15
	v_mov_b32_e32 v16, s5
	v_add_co_u32_e32 v13, vcc, s4, v13
	v_ashrrev_i32_e32 v18, 31, v17
	v_addc_co_u32_e32 v14, vcc, v16, v14, vcc
	v_lshlrev_b64 v[15:16], 3, v[17:18]
	v_add_u32_e32 v19, s15, v17
	v_mov_b32_e32 v18, s5
	v_add_co_u32_e32 v15, vcc, s4, v15
	v_ashrrev_i32_e32 v20, 31, v19
	v_addc_co_u32_e32 v16, vcc, v18, v16, vcc
	v_lshlrev_b64 v[17:18], 3, v[19:20]
	v_mov_b32_e32 v21, s5
	v_add_co_u32_e32 v17, vcc, s4, v17
	v_addc_co_u32_e32 v18, vcc, v21, v18, vcc
	v_add_u32_e32 v21, s15, v19
	v_ashrrev_i32_e32 v22, 31, v21
	v_lshlrev_b64 v[19:20], 3, v[21:22]
	v_mov_b32_e32 v23, s5
	v_add_co_u32_e32 v19, vcc, s4, v19
	v_addc_co_u32_e32 v20, vcc, v23, v20, vcc
	v_add_u32_e32 v23, s15, v21
	v_ashrrev_i32_e32 v24, 31, v23
	;; [unrolled: 6-line block ×12, first 2 shown]
	v_lshlrev_b64 v[41:42], 3, v[43:44]
	v_mov_b32_e32 v45, s5
	v_add_co_u32_e32 v41, vcc, s4, v41
	v_addc_co_u32_e32 v42, vcc, v45, v42, vcc
	v_lshlrev_b32_e32 v57, 3, v0
	v_add_u32_e32 v49, s15, v43
	v_mov_b32_e32 v46, s5
	v_add_co_u32_e32 v45, vcc, s4, v57
	s_ashr_i32 s13, s15, 31
	s_mov_b32 s12, s15
	v_ashrrev_i32_e32 v50, 31, v49
	v_addc_co_u32_e32 v46, vcc, 0, v46, vcc
	s_lshl_b64 s[12:13], s[12:13], 3
	v_lshlrev_b64 v[43:44], 3, v[49:50]
	v_mov_b32_e32 v48, s13
	v_add_co_u32_e32 v47, vcc, s12, v45
	v_addc_co_u32_e32 v48, vcc, v46, v48, vcc
	v_mov_b32_e32 v51, s5
	v_add_co_u32_e32 v43, vcc, s4, v43
	v_addc_co_u32_e32 v44, vcc, v51, v44, vcc
	v_add_u32_e32 v51, s15, v49
	v_ashrrev_i32_e32 v52, 31, v51
	v_lshlrev_b64 v[49:50], 3, v[51:52]
	v_mov_b32_e32 v53, s5
	v_add_co_u32_e32 v49, vcc, s4, v49
	v_addc_co_u32_e32 v50, vcc, v53, v50, vcc
	v_add_u32_e32 v53, s15, v51
	v_ashrrev_i32_e32 v54, 31, v53
	v_lshlrev_b64 v[51:52], 3, v[53:54]
	v_mov_b32_e32 v92, s5
	v_add_co_u32_e32 v51, vcc, s4, v51
	global_load_dwordx2 v[55:56], v57, s[4:5]
	global_load_dwordx2 v[60:61], v[1:2], off
	global_load_dwordx2 v[62:63], v[3:4], off
	global_load_dwordx2 v[64:65], v[5:6], off
	global_load_dwordx2 v[58:59], v[47:48], off
	global_load_dwordx2 v[66:67], v[7:8], off
	global_load_dwordx2 v[68:69], v[9:10], off
	global_load_dwordx2 v[70:71], v[11:12], off
	global_load_dwordx2 v[72:73], v[13:14], off
	global_load_dwordx2 v[74:75], v[15:16], off
	global_load_dwordx2 v[76:77], v[17:18], off
	global_load_dwordx2 v[78:79], v[19:20], off
	global_load_dwordx2 v[80:81], v[21:22], off
	global_load_dwordx2 v[82:83], v[23:24], off
	global_load_dwordx2 v[84:85], v[25:26], off
	global_load_dwordx2 v[86:87], v[27:28], off
	global_load_dwordx2 v[88:89], v[29:30], off
	global_load_dwordx2 v[90:91], v[31:32], off
	v_addc_co_u32_e32 v52, vcc, v92, v52, vcc
	global_load_dwordx2 v[92:93], v[33:34], off
	global_load_dwordx2 v[94:95], v[35:36], off
	global_load_dwordx2 v[96:97], v[37:38], off
	global_load_dwordx2 v[98:99], v[39:40], off
	global_load_dwordx2 v[100:101], v[41:42], off
	global_load_dwordx2 v[102:103], v[43:44], off
	global_load_dwordx2 v[104:105], v[49:50], off
	global_load_dwordx2 v[106:107], v[51:52], off
	v_add_u32_e32 v53, s15, v53
	v_ashrrev_i32_e32 v54, 31, v53
	v_lshlrev_b64 v[53:54], 3, v[53:54]
	v_mov_b32_e32 v108, s5
	v_add_co_u32_e32 v53, vcc, s4, v53
	v_addc_co_u32_e32 v54, vcc, v108, v54, vcc
	global_load_dwordx2 v[108:109], v[53:54], off
	s_bitcmp0_b32 s8, 0
	s_mov_b64 s[8:9], -1
	s_waitcnt vmcnt(26)
	buffer_store_dword v56, off, s[0:3], 0 offset:4
	buffer_store_dword v55, off, s[0:3], 0
	s_waitcnt vmcnt(24)
	buffer_store_dword v59, off, s[0:3], 0 offset:12
	buffer_store_dword v58, off, s[0:3], 0 offset:8
	;; [unrolled: 1-line block ×8, first 2 shown]
	s_waitcnt vmcnt(31)
	buffer_store_dword v67, off, s[0:3], 0 offset:44
	buffer_store_dword v66, off, s[0:3], 0 offset:40
	s_waitcnt vmcnt(32)
	buffer_store_dword v69, off, s[0:3], 0 offset:52
	buffer_store_dword v68, off, s[0:3], 0 offset:48
	;; [unrolled: 3-line block ×22, first 2 shown]
	s_cbranch_scc1 .LBB26_114
; %bb.4:
	v_cmp_eq_u32_e64 s[4:5], 0, v0
	s_and_saveexec_b64 s[8:9], s[4:5]
; %bb.5:
	v_mov_b32_e32 v55, 0
	ds_write_b32 v55, v55 offset:216
; %bb.6:
	s_or_b64 exec, exec, s[8:9]
	v_mov_b32_e32 v55, 0
	v_lshl_add_u32 v55, v0, 3, v55
	s_waitcnt lgkmcnt(0)
	; wave barrier
	buffer_load_dword v58, v55, s[0:3], 0 offen
	buffer_load_dword v59, v55, s[0:3], 0 offen offset:4
	s_waitcnt vmcnt(0)
	v_cmp_eq_f64_e32 vcc, 0, v[58:59]
	s_and_saveexec_b64 s[12:13], vcc
	s_cbranch_execz .LBB26_10
; %bb.7:
	v_mov_b32_e32 v56, 0
	ds_read_b32 v59, v56 offset:216
	v_add_u32_e32 v58, 1, v0
	s_waitcnt lgkmcnt(0)
	v_readfirstlane_b32 s8, v59
	s_cmp_eq_u32 s8, 0
	s_cselect_b64 s[14:15], -1, 0
	v_cmp_gt_i32_e32 vcc, s8, v58
	s_or_b64 s[14:15], s[14:15], vcc
	s_and_b64 exec, exec, s[14:15]
	s_cbranch_execz .LBB26_10
; %bb.8:
	s_mov_b64 s[14:15], 0
	v_mov_b32_e32 v59, s8
.LBB26_9:                               ; =>This Inner Loop Header: Depth=1
	ds_cmpst_rtn_b32 v59, v56, v59, v58 offset:216
	s_waitcnt lgkmcnt(0)
	v_cmp_ne_u32_e32 vcc, 0, v59
	v_cmp_le_i32_e64 s[8:9], v59, v58
	s_and_b64 s[8:9], vcc, s[8:9]
	s_and_b64 s[8:9], exec, s[8:9]
	s_or_b64 s[14:15], s[8:9], s[14:15]
	s_andn2_b64 exec, exec, s[14:15]
	s_cbranch_execnz .LBB26_9
.LBB26_10:
	s_or_b64 exec, exec, s[12:13]
	v_mov_b32_e32 v58, 0
	; wave barrier
	ds_read_b32 v56, v58 offset:216
	s_and_saveexec_b64 s[8:9], s[4:5]
	s_cbranch_execz .LBB26_12
; %bb.11:
	s_lshl_b64 s[12:13], s[6:7], 2
	s_add_u32 s12, s10, s12
	s_addc_u32 s13, s11, s13
	s_waitcnt lgkmcnt(0)
	global_store_dword v58, v56, s[12:13]
.LBB26_12:
	s_or_b64 exec, exec, s[8:9]
	s_waitcnt lgkmcnt(0)
	v_cmp_ne_u32_e32 vcc, 0, v56
	s_mov_b64 s[8:9], 0
	s_cbranch_vccnz .LBB26_114
; %bb.13:
	buffer_load_dword v58, v55, s[0:3], 0 offen
	buffer_load_dword v59, v55, s[0:3], 0 offen offset:4
	s_waitcnt vmcnt(0)
	v_div_scale_f64 v[60:61], s[8:9], v[58:59], v[58:59], 1.0
	v_rcp_f64_e32 v[62:63], v[60:61]
	v_fma_f64 v[64:65], -v[60:61], v[62:63], 1.0
	v_fma_f64 v[62:63], v[62:63], v[64:65], v[62:63]
	v_div_scale_f64 v[64:65], vcc, 1.0, v[58:59], 1.0
	v_fma_f64 v[66:67], -v[60:61], v[62:63], 1.0
	v_fma_f64 v[62:63], v[62:63], v[66:67], v[62:63]
	v_mul_f64 v[66:67], v[64:65], v[62:63]
	v_fma_f64 v[60:61], -v[60:61], v[66:67], v[64:65]
	v_div_fmas_f64 v[60:61], v[60:61], v[62:63], v[66:67]
	v_div_fixup_f64 v[59:60], v[60:61], v[58:59], 1.0
	v_add_u32_e32 v58, 0xe0, v57
	buffer_store_dword v60, v55, s[0:3], 0 offen offset:4
	buffer_store_dword v59, v55, s[0:3], 0 offen
	buffer_load_dword v62, off, s[0:3], 0 offset:12
	buffer_load_dword v61, off, s[0:3], 0 offset:8
	v_xor_b32_e32 v60, 0x80000000, v60
	s_waitcnt vmcnt(0)
	ds_write2_b64 v57, v[59:60], v[61:62] offset1:28
	s_waitcnt lgkmcnt(0)
	; wave barrier
	s_and_saveexec_b64 s[8:9], s[4:5]
	s_cbranch_execz .LBB26_15
; %bb.14:
	buffer_load_dword v59, v55, s[0:3], 0 offen
	buffer_load_dword v60, v55, s[0:3], 0 offen offset:4
	ds_read_b64 v[61:62], v58
	v_mov_b32_e32 v56, 0
	ds_read_b64 v[63:64], v56 offset:8
	s_waitcnt vmcnt(0) lgkmcnt(1)
	v_fma_f64 v[59:60], v[59:60], v[61:62], 0
	s_waitcnt lgkmcnt(0)
	v_mul_f64 v[59:60], v[59:60], v[63:64]
	buffer_store_dword v59, off, s[0:3], 0 offset:8
	buffer_store_dword v60, off, s[0:3], 0 offset:12
.LBB26_15:
	s_or_b64 exec, exec, s[8:9]
	; wave barrier
	buffer_load_dword v59, off, s[0:3], 0 offset:16
	buffer_load_dword v60, off, s[0:3], 0 offset:20
	v_cmp_gt_u32_e32 vcc, 2, v0
	s_waitcnt vmcnt(0)
	ds_write_b64 v58, v[59:60]
	s_waitcnt lgkmcnt(0)
	; wave barrier
	s_and_saveexec_b64 s[8:9], vcc
	s_cbranch_execz .LBB26_17
; %bb.16:
	buffer_load_dword v59, v55, s[0:3], 0 offen
	buffer_load_dword v60, v55, s[0:3], 0 offen offset:4
                                        ; kill: killed $vgpr55
	s_nop 0
	buffer_load_dword v55, off, s[0:3], 0 offset:8
	buffer_load_dword v56, off, s[0:3], 0 offset:12
	ds_read_b64 v[61:62], v58
	s_waitcnt vmcnt(2) lgkmcnt(0)
	v_fma_f64 v[63:64], v[59:60], v[61:62], 0
	v_mov_b32_e32 v59, 0
	ds_read2_b64 v[59:62], v59 offset0:2 offset1:29
	s_waitcnt vmcnt(0) lgkmcnt(0)
	v_fma_f64 v[55:56], v[55:56], v[61:62], v[63:64]
	v_cndmask_b32_e64 v56, v64, v56, s[4:5]
	v_cndmask_b32_e64 v55, v63, v55, s[4:5]
	v_mul_f64 v[55:56], v[55:56], v[59:60]
	buffer_store_dword v56, off, s[0:3], 0 offset:20
	buffer_store_dword v55, off, s[0:3], 0 offset:16
.LBB26_17:
	s_or_b64 exec, exec, s[8:9]
	; wave barrier
	buffer_load_dword v55, off, s[0:3], 0 offset:24
	buffer_load_dword v56, off, s[0:3], 0 offset:28
	v_cmp_gt_u32_e32 vcc, 3, v0
	v_add_u32_e32 v59, -1, v0
	s_waitcnt vmcnt(0)
	ds_write_b64 v58, v[55:56]
	s_waitcnt lgkmcnt(0)
	; wave barrier
	s_and_saveexec_b64 s[4:5], vcc
	s_cbranch_execz .LBB26_21
; %bb.18:
	v_mov_b32_e32 v55, 0
	v_add_u32_e32 v60, -1, v0
	v_add_u32_e32 v61, 0xe0, v57
	v_mov_b32_e32 v62, v57
	v_mov_b32_e32 v56, 0
	s_mov_b64 s[8:9], 0
.LBB26_19:                              ; =>This Inner Loop Header: Depth=1
	buffer_load_dword v63, v62, s[0:3], 0 offen
	buffer_load_dword v64, v62, s[0:3], 0 offen offset:4
	ds_read_b64 v[65:66], v61
	v_add_u32_e32 v60, 1, v60
	v_cmp_lt_u32_e32 vcc, 1, v60
	v_add_u32_e32 v61, 8, v61
	s_or_b64 s[8:9], vcc, s[8:9]
	v_add_u32_e32 v62, 8, v62
	s_waitcnt vmcnt(0) lgkmcnt(0)
	v_fma_f64 v[55:56], v[63:64], v[65:66], v[55:56]
	s_andn2_b64 exec, exec, s[8:9]
	s_cbranch_execnz .LBB26_19
; %bb.20:
	s_or_b64 exec, exec, s[8:9]
	v_mov_b32_e32 v60, 0
	ds_read_b64 v[60:61], v60 offset:24
	s_waitcnt lgkmcnt(0)
	v_mul_f64 v[55:56], v[55:56], v[60:61]
	buffer_store_dword v56, off, s[0:3], 0 offset:28
	buffer_store_dword v55, off, s[0:3], 0 offset:24
.LBB26_21:
	s_or_b64 exec, exec, s[4:5]
	; wave barrier
	buffer_load_dword v55, off, s[0:3], 0 offset:32
	buffer_load_dword v56, off, s[0:3], 0 offset:36
	v_cmp_gt_u32_e32 vcc, 4, v0
	s_waitcnt vmcnt(0)
	ds_write_b64 v58, v[55:56]
	s_waitcnt lgkmcnt(0)
	; wave barrier
	s_and_saveexec_b64 s[4:5], vcc
	s_cbranch_execz .LBB26_25
; %bb.22:
	v_mov_b32_e32 v55, 0
	v_add_u32_e32 v60, -1, v0
	v_add_u32_e32 v61, 0xe0, v57
	v_mov_b32_e32 v62, v57
	v_mov_b32_e32 v56, 0
	s_mov_b64 s[8:9], 0
.LBB26_23:                              ; =>This Inner Loop Header: Depth=1
	buffer_load_dword v63, v62, s[0:3], 0 offen
	buffer_load_dword v64, v62, s[0:3], 0 offen offset:4
	ds_read_b64 v[65:66], v61
	v_add_u32_e32 v60, 1, v60
	v_cmp_lt_u32_e32 vcc, 2, v60
	v_add_u32_e32 v61, 8, v61
	s_or_b64 s[8:9], vcc, s[8:9]
	v_add_u32_e32 v62, 8, v62
	s_waitcnt vmcnt(0) lgkmcnt(0)
	v_fma_f64 v[55:56], v[63:64], v[65:66], v[55:56]
	s_andn2_b64 exec, exec, s[8:9]
	s_cbranch_execnz .LBB26_23
; %bb.24:
	s_or_b64 exec, exec, s[8:9]
	v_mov_b32_e32 v60, 0
	ds_read_b64 v[60:61], v60 offset:32
	s_waitcnt lgkmcnt(0)
	v_mul_f64 v[55:56], v[55:56], v[60:61]
	buffer_store_dword v56, off, s[0:3], 0 offset:36
	buffer_store_dword v55, off, s[0:3], 0 offset:32
.LBB26_25:
	s_or_b64 exec, exec, s[4:5]
	; wave barrier
	buffer_load_dword v55, off, s[0:3], 0 offset:40
	buffer_load_dword v56, off, s[0:3], 0 offset:44
	v_cmp_gt_u32_e32 vcc, 5, v0
	;; [unrolled: 40-line block ×21, first 2 shown]
	s_waitcnt vmcnt(0)
	ds_write_b64 v58, v[55:56]
	s_waitcnt lgkmcnt(0)
	; wave barrier
	s_and_saveexec_b64 s[4:5], vcc
	s_cbranch_execz .LBB26_105
; %bb.102:
	v_mov_b32_e32 v55, 0
	v_add_u32_e32 v60, -1, v0
	v_add_u32_e32 v61, 0xe0, v57
	v_mov_b32_e32 v62, v57
	v_mov_b32_e32 v56, 0
	s_mov_b64 s[8:9], 0
.LBB26_103:                             ; =>This Inner Loop Header: Depth=1
	buffer_load_dword v63, v62, s[0:3], 0 offen
	buffer_load_dword v64, v62, s[0:3], 0 offen offset:4
	ds_read_b64 v[65:66], v61
	v_add_u32_e32 v60, 1, v60
	v_cmp_lt_u32_e32 vcc, 22, v60
	v_add_u32_e32 v61, 8, v61
	s_or_b64 s[8:9], vcc, s[8:9]
	v_add_u32_e32 v62, 8, v62
	s_waitcnt vmcnt(0) lgkmcnt(0)
	v_fma_f64 v[55:56], v[63:64], v[65:66], v[55:56]
	s_andn2_b64 exec, exec, s[8:9]
	s_cbranch_execnz .LBB26_103
; %bb.104:
	s_or_b64 exec, exec, s[8:9]
	v_mov_b32_e32 v60, 0
	ds_read_b64 v[60:61], v60 offset:192
	s_waitcnt lgkmcnt(0)
	v_mul_f64 v[55:56], v[55:56], v[60:61]
	buffer_store_dword v56, off, s[0:3], 0 offset:196
	buffer_store_dword v55, off, s[0:3], 0 offset:192
.LBB26_105:
	s_or_b64 exec, exec, s[4:5]
	; wave barrier
	buffer_load_dword v55, off, s[0:3], 0 offset:200
	buffer_load_dword v56, off, s[0:3], 0 offset:204
	v_cmp_gt_u32_e32 vcc, 25, v0
	s_waitcnt vmcnt(0)
	ds_write_b64 v58, v[55:56]
	s_waitcnt lgkmcnt(0)
	; wave barrier
	s_and_saveexec_b64 s[4:5], vcc
	s_cbranch_execz .LBB26_109
; %bb.106:
	v_mov_b32_e32 v55, 0
	v_add_u32_e32 v60, -1, v0
	v_add_u32_e32 v61, 0xe0, v57
	v_mov_b32_e32 v62, v57
	v_mov_b32_e32 v56, 0
	s_mov_b64 s[8:9], 0
.LBB26_107:                             ; =>This Inner Loop Header: Depth=1
	buffer_load_dword v63, v62, s[0:3], 0 offen
	buffer_load_dword v64, v62, s[0:3], 0 offen offset:4
	ds_read_b64 v[65:66], v61
	v_add_u32_e32 v60, 1, v60
	v_cmp_lt_u32_e32 vcc, 23, v60
	v_add_u32_e32 v61, 8, v61
	s_or_b64 s[8:9], vcc, s[8:9]
	v_add_u32_e32 v62, 8, v62
	s_waitcnt vmcnt(0) lgkmcnt(0)
	v_fma_f64 v[55:56], v[63:64], v[65:66], v[55:56]
	s_andn2_b64 exec, exec, s[8:9]
	s_cbranch_execnz .LBB26_107
; %bb.108:
	s_or_b64 exec, exec, s[8:9]
	v_mov_b32_e32 v60, 0
	ds_read_b64 v[60:61], v60 offset:200
	s_waitcnt lgkmcnt(0)
	v_mul_f64 v[55:56], v[55:56], v[60:61]
	buffer_store_dword v56, off, s[0:3], 0 offset:204
	buffer_store_dword v55, off, s[0:3], 0 offset:200
.LBB26_109:
	s_or_b64 exec, exec, s[4:5]
	; wave barrier
	buffer_load_dword v55, off, s[0:3], 0 offset:208
	buffer_load_dword v56, off, s[0:3], 0 offset:212
	v_cmp_ne_u32_e32 vcc, 26, v0
	s_waitcnt vmcnt(0)
	ds_write_b64 v58, v[55:56]
	s_waitcnt lgkmcnt(0)
	; wave barrier
	s_and_saveexec_b64 s[4:5], vcc
	s_cbranch_execz .LBB26_113
; %bb.110:
	v_mov_b32_e32 v55, 0
	v_add_u32_e32 v58, 0xe0, v57
	v_mov_b32_e32 v56, 0
	s_mov_b64 s[8:9], 0
.LBB26_111:                             ; =>This Inner Loop Header: Depth=1
	buffer_load_dword v60, v57, s[0:3], 0 offen
	buffer_load_dword v61, v57, s[0:3], 0 offen offset:4
	ds_read_b64 v[62:63], v58
	v_add_u32_e32 v59, 1, v59
	v_cmp_lt_u32_e32 vcc, 24, v59
	v_add_u32_e32 v58, 8, v58
	s_or_b64 s[8:9], vcc, s[8:9]
	v_add_u32_e32 v57, 8, v57
	s_waitcnt vmcnt(0) lgkmcnt(0)
	v_fma_f64 v[55:56], v[60:61], v[62:63], v[55:56]
	s_andn2_b64 exec, exec, s[8:9]
	s_cbranch_execnz .LBB26_111
; %bb.112:
	s_or_b64 exec, exec, s[8:9]
	v_mov_b32_e32 v57, 0
	ds_read_b64 v[57:58], v57 offset:208
	s_waitcnt lgkmcnt(0)
	v_mul_f64 v[55:56], v[55:56], v[57:58]
	buffer_store_dword v56, off, s[0:3], 0 offset:212
	buffer_store_dword v55, off, s[0:3], 0 offset:208
.LBB26_113:
	s_or_b64 exec, exec, s[4:5]
	s_mov_b64 s[8:9], -1
	; wave barrier
.LBB26_114:
	s_and_b64 vcc, exec, s[8:9]
	s_cbranch_vccz .LBB26_116
; %bb.115:
	s_lshl_b64 s[4:5], s[6:7], 2
	s_add_u32 s4, s10, s4
	s_addc_u32 s5, s11, s5
	v_mov_b32_e32 v55, 0
	global_load_dword v55, v55, s[4:5]
	s_waitcnt vmcnt(0)
	v_cmp_ne_u32_e32 vcc, 0, v55
	s_cbranch_vccz .LBB26_117
.LBB26_116:
	s_endpgm
.LBB26_117:
	v_mov_b32_e32 v55, 0xe0
	v_lshl_add_u32 v55, v0, 3, v55
	v_cmp_eq_u32_e32 vcc, 26, v0
	s_and_saveexec_b64 s[4:5], vcc
	s_cbranch_execz .LBB26_119
; %bb.118:
	buffer_load_dword v56, off, s[0:3], 0 offset:200
	buffer_load_dword v57, off, s[0:3], 0 offset:204
	v_mov_b32_e32 v58, 0
	buffer_store_dword v58, off, s[0:3], 0 offset:200
	buffer_store_dword v58, off, s[0:3], 0 offset:204
	s_waitcnt vmcnt(2)
	ds_write_b64 v55, v[56:57]
.LBB26_119:
	s_or_b64 exec, exec, s[4:5]
	s_waitcnt lgkmcnt(0)
	; wave barrier
	buffer_load_dword v57, off, s[0:3], 0 offset:208
	buffer_load_dword v58, off, s[0:3], 0 offset:212
	;; [unrolled: 1-line block ×4, first 2 shown]
	v_mov_b32_e32 v56, 0
	ds_read_b64 v[61:62], v56 offset:432
	v_cmp_lt_u32_e32 vcc, 24, v0
	s_waitcnt vmcnt(2) lgkmcnt(0)
	v_fma_f64 v[57:58], v[57:58], v[61:62], 0
	s_waitcnt vmcnt(0)
	v_add_f64 v[57:58], v[59:60], -v[57:58]
	buffer_store_dword v57, off, s[0:3], 0 offset:200
	buffer_store_dword v58, off, s[0:3], 0 offset:204
	s_and_saveexec_b64 s[4:5], vcc
	s_cbranch_execz .LBB26_121
; %bb.120:
	buffer_load_dword v57, off, s[0:3], 0 offset:192
	buffer_load_dword v58, off, s[0:3], 0 offset:196
	s_waitcnt vmcnt(0)
	ds_write_b64 v55, v[57:58]
	buffer_store_dword v56, off, s[0:3], 0 offset:192
	buffer_store_dword v56, off, s[0:3], 0 offset:196
.LBB26_121:
	s_or_b64 exec, exec, s[4:5]
	s_waitcnt lgkmcnt(0)
	; wave barrier
	buffer_load_dword v60, off, s[0:3], 0 offset:200
	buffer_load_dword v61, off, s[0:3], 0 offset:204
	;; [unrolled: 1-line block ×6, first 2 shown]
	ds_read2_b64 v[56:59], v56 offset0:53 offset1:54
	v_cmp_lt_u32_e32 vcc, 23, v0
	s_waitcnt vmcnt(4) lgkmcnt(0)
	v_fma_f64 v[56:57], v[60:61], v[56:57], 0
	s_waitcnt vmcnt(2)
	v_fma_f64 v[56:57], v[62:63], v[58:59], v[56:57]
	s_waitcnt vmcnt(0)
	v_add_f64 v[56:57], v[64:65], -v[56:57]
	buffer_store_dword v56, off, s[0:3], 0 offset:192
	buffer_store_dword v57, off, s[0:3], 0 offset:196
	s_and_saveexec_b64 s[4:5], vcc
	s_cbranch_execz .LBB26_123
; %bb.122:
	buffer_load_dword v56, off, s[0:3], 0 offset:184
	buffer_load_dword v57, off, s[0:3], 0 offset:188
	v_mov_b32_e32 v58, 0
	buffer_store_dword v58, off, s[0:3], 0 offset:184
	buffer_store_dword v58, off, s[0:3], 0 offset:188
	s_waitcnt vmcnt(2)
	ds_write_b64 v55, v[56:57]
.LBB26_123:
	s_or_b64 exec, exec, s[4:5]
	s_waitcnt lgkmcnt(0)
	; wave barrier
	buffer_load_dword v61, off, s[0:3], 0 offset:192
	buffer_load_dword v62, off, s[0:3], 0 offset:196
	;; [unrolled: 1-line block ×8, first 2 shown]
	v_mov_b32_e32 v56, 0
	ds_read_b128 v[57:60], v56 offset:416
	ds_read_b64 v[69:70], v56 offset:432
	v_cmp_lt_u32_e32 vcc, 22, v0
	s_waitcnt vmcnt(6) lgkmcnt(1)
	v_fma_f64 v[57:58], v[61:62], v[57:58], 0
	s_waitcnt vmcnt(4)
	v_fma_f64 v[57:58], v[63:64], v[59:60], v[57:58]
	s_waitcnt vmcnt(2) lgkmcnt(0)
	v_fma_f64 v[57:58], v[65:66], v[69:70], v[57:58]
	s_waitcnt vmcnt(0)
	v_add_f64 v[57:58], v[67:68], -v[57:58]
	buffer_store_dword v57, off, s[0:3], 0 offset:184
	buffer_store_dword v58, off, s[0:3], 0 offset:188
	s_and_saveexec_b64 s[4:5], vcc
	s_cbranch_execz .LBB26_125
; %bb.124:
	buffer_load_dword v57, off, s[0:3], 0 offset:176
	buffer_load_dword v58, off, s[0:3], 0 offset:180
	s_waitcnt vmcnt(0)
	ds_write_b64 v55, v[57:58]
	buffer_store_dword v56, off, s[0:3], 0 offset:176
	buffer_store_dword v56, off, s[0:3], 0 offset:180
.LBB26_125:
	s_or_b64 exec, exec, s[4:5]
	s_waitcnt lgkmcnt(0)
	; wave barrier
	buffer_load_dword v65, off, s[0:3], 0 offset:184
	buffer_load_dword v66, off, s[0:3], 0 offset:188
	;; [unrolled: 1-line block ×10, first 2 shown]
	ds_read2_b64 v[57:60], v56 offset0:51 offset1:52
	ds_read2_b64 v[61:64], v56 offset0:53 offset1:54
	v_cmp_lt_u32_e32 vcc, 21, v0
	s_waitcnt vmcnt(8) lgkmcnt(1)
	v_fma_f64 v[56:57], v[65:66], v[57:58], 0
	s_waitcnt vmcnt(6)
	v_fma_f64 v[56:57], v[67:68], v[59:60], v[56:57]
	s_waitcnt vmcnt(4) lgkmcnt(0)
	v_fma_f64 v[56:57], v[69:70], v[61:62], v[56:57]
	s_waitcnt vmcnt(2)
	v_fma_f64 v[56:57], v[71:72], v[63:64], v[56:57]
	s_waitcnt vmcnt(0)
	v_add_f64 v[56:57], v[73:74], -v[56:57]
	buffer_store_dword v56, off, s[0:3], 0 offset:176
	buffer_store_dword v57, off, s[0:3], 0 offset:180
	s_and_saveexec_b64 s[4:5], vcc
	s_cbranch_execz .LBB26_127
; %bb.126:
	buffer_load_dword v56, off, s[0:3], 0 offset:168
	buffer_load_dword v57, off, s[0:3], 0 offset:172
	v_mov_b32_e32 v58, 0
	buffer_store_dword v58, off, s[0:3], 0 offset:168
	buffer_store_dword v58, off, s[0:3], 0 offset:172
	s_waitcnt vmcnt(2)
	ds_write_b64 v55, v[56:57]
.LBB26_127:
	s_or_b64 exec, exec, s[4:5]
	s_waitcnt lgkmcnt(0)
	; wave barrier
	buffer_load_dword v65, off, s[0:3], 0 offset:176
	buffer_load_dword v66, off, s[0:3], 0 offset:180
	;; [unrolled: 1-line block ×12, first 2 shown]
	v_mov_b32_e32 v56, 0
	ds_read_b128 v[57:60], v56 offset:400
	ds_read_b128 v[61:64], v56 offset:416
	v_cmp_lt_u32_e32 vcc, 20, v0
	s_waitcnt vmcnt(10) lgkmcnt(1)
	v_fma_f64 v[57:58], v[65:66], v[57:58], 0
	s_waitcnt vmcnt(8)
	v_fma_f64 v[57:58], v[67:68], v[59:60], v[57:58]
	ds_read_b64 v[59:60], v56 offset:432
	s_waitcnt vmcnt(6) lgkmcnt(1)
	v_fma_f64 v[57:58], v[69:70], v[61:62], v[57:58]
	s_waitcnt vmcnt(4)
	v_fma_f64 v[57:58], v[71:72], v[63:64], v[57:58]
	s_waitcnt vmcnt(2) lgkmcnt(0)
	v_fma_f64 v[57:58], v[73:74], v[59:60], v[57:58]
	s_waitcnt vmcnt(0)
	v_add_f64 v[57:58], v[75:76], -v[57:58]
	buffer_store_dword v57, off, s[0:3], 0 offset:168
	buffer_store_dword v58, off, s[0:3], 0 offset:172
	s_and_saveexec_b64 s[4:5], vcc
	s_cbranch_execz .LBB26_129
; %bb.128:
	buffer_load_dword v57, off, s[0:3], 0 offset:160
	buffer_load_dword v58, off, s[0:3], 0 offset:164
	s_waitcnt vmcnt(0)
	ds_write_b64 v55, v[57:58]
	buffer_store_dword v56, off, s[0:3], 0 offset:160
	buffer_store_dword v56, off, s[0:3], 0 offset:164
.LBB26_129:
	s_or_b64 exec, exec, s[4:5]
	s_waitcnt lgkmcnt(0)
	; wave barrier
	buffer_load_dword v65, off, s[0:3], 0 offset:168
	buffer_load_dword v66, off, s[0:3], 0 offset:172
	;; [unrolled: 1-line block ×14, first 2 shown]
	ds_read2_b64 v[57:60], v56 offset0:49 offset1:50
	ds_read2_b64 v[61:64], v56 offset0:51 offset1:52
	v_cmp_lt_u32_e32 vcc, 19, v0
	s_waitcnt vmcnt(12) lgkmcnt(1)
	v_fma_f64 v[57:58], v[65:66], v[57:58], 0
	s_waitcnt vmcnt(10)
	v_fma_f64 v[57:58], v[67:68], v[59:60], v[57:58]
	s_waitcnt vmcnt(8) lgkmcnt(0)
	v_fma_f64 v[57:58], v[69:70], v[61:62], v[57:58]
	s_waitcnt vmcnt(6)
	v_fma_f64 v[60:61], v[71:72], v[63:64], v[57:58]
	ds_read2_b64 v[56:59], v56 offset0:53 offset1:54
	s_waitcnt vmcnt(4) lgkmcnt(0)
	v_fma_f64 v[56:57], v[73:74], v[56:57], v[60:61]
	s_waitcnt vmcnt(2)
	v_fma_f64 v[56:57], v[75:76], v[58:59], v[56:57]
	s_waitcnt vmcnt(0)
	v_add_f64 v[56:57], v[77:78], -v[56:57]
	buffer_store_dword v56, off, s[0:3], 0 offset:160
	buffer_store_dword v57, off, s[0:3], 0 offset:164
	s_and_saveexec_b64 s[4:5], vcc
	s_cbranch_execz .LBB26_131
; %bb.130:
	buffer_load_dword v56, off, s[0:3], 0 offset:152
	buffer_load_dword v57, off, s[0:3], 0 offset:156
	v_mov_b32_e32 v58, 0
	buffer_store_dword v58, off, s[0:3], 0 offset:152
	buffer_store_dword v58, off, s[0:3], 0 offset:156
	s_waitcnt vmcnt(2)
	ds_write_b64 v55, v[56:57]
.LBB26_131:
	s_or_b64 exec, exec, s[4:5]
	s_waitcnt lgkmcnt(0)
	; wave barrier
	buffer_load_dword v65, off, s[0:3], 0 offset:160
	buffer_load_dword v66, off, s[0:3], 0 offset:164
	;; [unrolled: 1-line block ×16, first 2 shown]
	v_mov_b32_e32 v56, 0
	ds_read_b128 v[57:60], v56 offset:384
	ds_read_b128 v[61:64], v56 offset:400
	v_cmp_lt_u32_e32 vcc, 18, v0
	s_waitcnt vmcnt(14) lgkmcnt(1)
	v_fma_f64 v[57:58], v[65:66], v[57:58], 0
	s_waitcnt vmcnt(12)
	v_fma_f64 v[57:58], v[67:68], v[59:60], v[57:58]
	s_waitcnt vmcnt(10) lgkmcnt(0)
	v_fma_f64 v[57:58], v[69:70], v[61:62], v[57:58]
	s_waitcnt vmcnt(8)
	v_fma_f64 v[61:62], v[71:72], v[63:64], v[57:58]
	ds_read_b128 v[57:60], v56 offset:416
	ds_read_b64 v[63:64], v56 offset:432
	s_waitcnt vmcnt(6) lgkmcnt(1)
	v_fma_f64 v[57:58], v[73:74], v[57:58], v[61:62]
	s_waitcnt vmcnt(4)
	v_fma_f64 v[57:58], v[75:76], v[59:60], v[57:58]
	s_waitcnt vmcnt(2) lgkmcnt(0)
	v_fma_f64 v[57:58], v[77:78], v[63:64], v[57:58]
	s_waitcnt vmcnt(0)
	v_add_f64 v[57:58], v[79:80], -v[57:58]
	buffer_store_dword v57, off, s[0:3], 0 offset:152
	buffer_store_dword v58, off, s[0:3], 0 offset:156
	s_and_saveexec_b64 s[4:5], vcc
	s_cbranch_execz .LBB26_133
; %bb.132:
	buffer_load_dword v57, off, s[0:3], 0 offset:144
	buffer_load_dword v58, off, s[0:3], 0 offset:148
	s_waitcnt vmcnt(0)
	ds_write_b64 v55, v[57:58]
	buffer_store_dword v56, off, s[0:3], 0 offset:144
	buffer_store_dword v56, off, s[0:3], 0 offset:148
.LBB26_133:
	s_or_b64 exec, exec, s[4:5]
	s_waitcnt lgkmcnt(0)
	; wave barrier
	buffer_load_dword v61, off, s[0:3], 0 offset:144
	buffer_load_dword v62, off, s[0:3], 0 offset:148
	;; [unrolled: 1-line block ×16, first 2 shown]
	ds_read2_b64 v[57:60], v56 offset0:47 offset1:48
	v_cmp_lt_u32_e32 vcc, 17, v0
	s_waitcnt vmcnt(12) lgkmcnt(0)
	v_fma_f64 v[57:58], v[63:64], v[57:58], 0
	s_waitcnt vmcnt(10)
	v_fma_f64 v[63:64], v[65:66], v[59:60], v[57:58]
	ds_read2_b64 v[57:60], v56 offset0:49 offset1:50
	s_waitcnt vmcnt(8) lgkmcnt(0)
	v_fma_f64 v[57:58], v[67:68], v[57:58], v[63:64]
	s_waitcnt vmcnt(6)
	v_fma_f64 v[63:64], v[69:70], v[59:60], v[57:58]
	ds_read2_b64 v[57:60], v56 offset0:51 offset1:52
	;; [unrolled: 5-line block ×3, first 2 shown]
	s_waitcnt vmcnt(0) lgkmcnt(0)
	v_fma_f64 v[56:57], v[75:76], v[56:57], v[63:64]
	buffer_load_dword v64, off, s[0:3], 0 offset:212
	buffer_load_dword v63, off, s[0:3], 0 offset:208
	s_waitcnt vmcnt(0)
	v_fma_f64 v[56:57], v[63:64], v[58:59], v[56:57]
	v_add_f64 v[56:57], v[61:62], -v[56:57]
	buffer_store_dword v56, off, s[0:3], 0 offset:144
	buffer_store_dword v57, off, s[0:3], 0 offset:148
	s_and_saveexec_b64 s[4:5], vcc
	s_cbranch_execz .LBB26_135
; %bb.134:
	buffer_load_dword v56, off, s[0:3], 0 offset:136
	buffer_load_dword v57, off, s[0:3], 0 offset:140
	v_mov_b32_e32 v58, 0
	buffer_store_dword v58, off, s[0:3], 0 offset:136
	buffer_store_dword v58, off, s[0:3], 0 offset:140
	s_waitcnt vmcnt(2)
	ds_write_b64 v55, v[56:57]
.LBB26_135:
	s_or_b64 exec, exec, s[4:5]
	s_waitcnt lgkmcnt(0)
	; wave barrier
	buffer_load_dword v61, off, s[0:3], 0 offset:144
	buffer_load_dword v62, off, s[0:3], 0 offset:148
	;; [unrolled: 1-line block ×20, first 2 shown]
	v_mov_b32_e32 v56, 0
	ds_read_b128 v[57:60], v56 offset:368
	v_cmp_lt_u32_e32 vcc, 16, v0
	s_waitcnt vmcnt(18) lgkmcnt(0)
	v_fma_f64 v[57:58], v[61:62], v[57:58], 0
	s_waitcnt vmcnt(16)
	v_fma_f64 v[61:62], v[63:64], v[59:60], v[57:58]
	ds_read_b128 v[57:60], v56 offset:384
	s_waitcnt vmcnt(14) lgkmcnt(0)
	v_fma_f64 v[57:58], v[65:66], v[57:58], v[61:62]
	s_waitcnt vmcnt(12)
	v_fma_f64 v[61:62], v[67:68], v[59:60], v[57:58]
	ds_read_b128 v[57:60], v56 offset:400
	;; [unrolled: 5-line block ×3, first 2 shown]
	s_waitcnt vmcnt(6) lgkmcnt(0)
	v_fma_f64 v[57:58], v[73:74], v[57:58], v[61:62]
	s_waitcnt vmcnt(4)
	v_fma_f64 v[57:58], v[75:76], v[59:60], v[57:58]
	ds_read_b64 v[59:60], v56 offset:432
	s_waitcnt vmcnt(2) lgkmcnt(0)
	v_fma_f64 v[57:58], v[77:78], v[59:60], v[57:58]
	s_waitcnt vmcnt(0)
	v_add_f64 v[57:58], v[79:80], -v[57:58]
	buffer_store_dword v57, off, s[0:3], 0 offset:136
	buffer_store_dword v58, off, s[0:3], 0 offset:140
	s_and_saveexec_b64 s[4:5], vcc
	s_cbranch_execz .LBB26_137
; %bb.136:
	buffer_load_dword v57, off, s[0:3], 0 offset:128
	buffer_load_dword v58, off, s[0:3], 0 offset:132
	s_waitcnt vmcnt(0)
	ds_write_b64 v55, v[57:58]
	buffer_store_dword v56, off, s[0:3], 0 offset:128
	buffer_store_dword v56, off, s[0:3], 0 offset:132
.LBB26_137:
	s_or_b64 exec, exec, s[4:5]
	s_waitcnt lgkmcnt(0)
	; wave barrier
	buffer_load_dword v61, off, s[0:3], 0 offset:136
	buffer_load_dword v62, off, s[0:3], 0 offset:140
	;; [unrolled: 1-line block ×20, first 2 shown]
	ds_read2_b64 v[57:60], v56 offset0:45 offset1:46
	buffer_load_dword v81, off, s[0:3], 0 offset:128
	buffer_load_dword v82, off, s[0:3], 0 offset:132
	v_cmp_lt_u32_e32 vcc, 15, v0
	s_waitcnt vmcnt(20) lgkmcnt(0)
	v_fma_f64 v[57:58], v[61:62], v[57:58], 0
	s_waitcnt vmcnt(18)
	v_fma_f64 v[61:62], v[63:64], v[59:60], v[57:58]
	ds_read2_b64 v[57:60], v56 offset0:47 offset1:48
	s_waitcnt vmcnt(16) lgkmcnt(0)
	v_fma_f64 v[57:58], v[65:66], v[57:58], v[61:62]
	s_waitcnt vmcnt(14)
	v_fma_f64 v[61:62], v[67:68], v[59:60], v[57:58]
	ds_read2_b64 v[57:60], v56 offset0:49 offset1:50
	;; [unrolled: 5-line block ×4, first 2 shown]
	s_waitcnt vmcnt(4) lgkmcnt(0)
	v_fma_f64 v[56:57], v[77:78], v[56:57], v[60:61]
	s_waitcnt vmcnt(2)
	v_fma_f64 v[56:57], v[79:80], v[58:59], v[56:57]
	s_waitcnt vmcnt(0)
	v_add_f64 v[56:57], v[81:82], -v[56:57]
	buffer_store_dword v56, off, s[0:3], 0 offset:128
	buffer_store_dword v57, off, s[0:3], 0 offset:132
	s_and_saveexec_b64 s[4:5], vcc
	s_cbranch_execz .LBB26_139
; %bb.138:
	buffer_load_dword v56, off, s[0:3], 0 offset:120
	buffer_load_dword v57, off, s[0:3], 0 offset:124
	v_mov_b32_e32 v58, 0
	buffer_store_dword v58, off, s[0:3], 0 offset:120
	buffer_store_dword v58, off, s[0:3], 0 offset:124
	s_waitcnt vmcnt(2)
	ds_write_b64 v55, v[56:57]
.LBB26_139:
	s_or_b64 exec, exec, s[4:5]
	s_waitcnt lgkmcnt(0)
	; wave barrier
	buffer_load_dword v65, off, s[0:3], 0 offset:128
	buffer_load_dword v66, off, s[0:3], 0 offset:132
	;; [unrolled: 1-line block ×21, first 2 shown]
	v_mov_b32_e32 v56, 0
	ds_read_b128 v[57:60], v56 offset:352
	ds_read_b128 v[61:64], v56 offset:368
	buffer_load_dword v82, off, s[0:3], 0 offset:212
	v_cmp_lt_u32_e32 vcc, 14, v0
	s_waitcnt vmcnt(20) lgkmcnt(1)
	v_fma_f64 v[57:58], v[65:66], v[57:58], 0
	buffer_load_dword v65, off, s[0:3], 0 offset:120
	buffer_load_dword v66, off, s[0:3], 0 offset:124
	s_waitcnt vmcnt(20)
	v_fma_f64 v[57:58], v[67:68], v[59:60], v[57:58]
	s_waitcnt vmcnt(18) lgkmcnt(0)
	v_fma_f64 v[57:58], v[69:70], v[61:62], v[57:58]
	s_waitcnt vmcnt(16)
	v_fma_f64 v[67:68], v[71:72], v[63:64], v[57:58]
	ds_read_b128 v[57:60], v56 offset:384
	ds_read_b128 v[61:64], v56 offset:400
	s_waitcnt vmcnt(14) lgkmcnt(1)
	v_fma_f64 v[57:58], v[73:74], v[57:58], v[67:68]
	s_waitcnt vmcnt(12)
	v_fma_f64 v[57:58], v[75:76], v[59:60], v[57:58]
	s_waitcnt vmcnt(10) lgkmcnt(0)
	v_fma_f64 v[57:58], v[77:78], v[61:62], v[57:58]
	s_waitcnt vmcnt(5)
	v_fma_f64 v[61:62], v[79:80], v[63:64], v[57:58]
	ds_read_b128 v[57:60], v56 offset:416
	ds_read_b64 v[63:64], v56 offset:432
	s_waitcnt vmcnt(4) lgkmcnt(1)
	v_fma_f64 v[57:58], v[85:86], v[57:58], v[61:62]
	s_waitcnt vmcnt(3)
	v_fma_f64 v[57:58], v[83:84], v[59:60], v[57:58]
	s_waitcnt vmcnt(2) lgkmcnt(0)
	v_fma_f64 v[57:58], v[81:82], v[63:64], v[57:58]
	s_waitcnt vmcnt(0)
	v_add_f64 v[57:58], v[65:66], -v[57:58]
	buffer_store_dword v58, off, s[0:3], 0 offset:124
	buffer_store_dword v57, off, s[0:3], 0 offset:120
	s_and_saveexec_b64 s[4:5], vcc
	s_cbranch_execz .LBB26_141
; %bb.140:
	buffer_load_dword v57, off, s[0:3], 0 offset:112
	buffer_load_dword v58, off, s[0:3], 0 offset:116
	s_waitcnt vmcnt(0)
	ds_write_b64 v55, v[57:58]
	buffer_store_dword v56, off, s[0:3], 0 offset:112
	buffer_store_dword v56, off, s[0:3], 0 offset:116
.LBB26_141:
	s_or_b64 exec, exec, s[4:5]
	s_waitcnt lgkmcnt(0)
	; wave barrier
	buffer_load_dword v65, off, s[0:3], 0 offset:120
	buffer_load_dword v66, off, s[0:3], 0 offset:124
	;; [unrolled: 1-line block ×21, first 2 shown]
	ds_read2_b64 v[57:60], v56 offset0:43 offset1:44
	ds_read2_b64 v[61:64], v56 offset0:45 offset1:46
	buffer_load_dword v82, off, s[0:3], 0 offset:204
	v_cmp_lt_u32_e32 vcc, 13, v0
	s_waitcnt vmcnt(20) lgkmcnt(1)
	v_fma_f64 v[57:58], v[65:66], v[57:58], 0
	buffer_load_dword v66, off, s[0:3], 0 offset:212
	buffer_load_dword v65, off, s[0:3], 0 offset:208
	s_waitcnt vmcnt(20)
	v_fma_f64 v[57:58], v[67:68], v[59:60], v[57:58]
	buffer_load_dword v67, off, s[0:3], 0 offset:112
	buffer_load_dword v68, off, s[0:3], 0 offset:116
	s_waitcnt vmcnt(20) lgkmcnt(0)
	v_fma_f64 v[57:58], v[69:70], v[61:62], v[57:58]
	s_waitcnt vmcnt(18)
	v_fma_f64 v[69:70], v[71:72], v[63:64], v[57:58]
	ds_read2_b64 v[57:60], v56 offset0:47 offset1:48
	ds_read2_b64 v[61:64], v56 offset0:49 offset1:50
	s_waitcnt vmcnt(16) lgkmcnt(1)
	v_fma_f64 v[57:58], v[73:74], v[57:58], v[69:70]
	s_waitcnt vmcnt(14)
	v_fma_f64 v[57:58], v[75:76], v[59:60], v[57:58]
	s_waitcnt vmcnt(12) lgkmcnt(0)
	v_fma_f64 v[57:58], v[77:78], v[61:62], v[57:58]
	s_waitcnt vmcnt(7)
	v_fma_f64 v[69:70], v[79:80], v[63:64], v[57:58]
	ds_read2_b64 v[57:60], v56 offset0:51 offset1:52
	ds_read2_b64 v[61:64], v56 offset0:53 offset1:54
	s_waitcnt vmcnt(6) lgkmcnt(1)
	v_fma_f64 v[56:57], v[85:86], v[57:58], v[69:70]
	s_waitcnt vmcnt(5)
	v_fma_f64 v[56:57], v[83:84], v[59:60], v[56:57]
	s_waitcnt vmcnt(4) lgkmcnt(0)
	v_fma_f64 v[56:57], v[81:82], v[61:62], v[56:57]
	s_waitcnt vmcnt(2)
	v_fma_f64 v[56:57], v[65:66], v[63:64], v[56:57]
	s_waitcnt vmcnt(0)
	v_add_f64 v[56:57], v[67:68], -v[56:57]
	buffer_store_dword v57, off, s[0:3], 0 offset:116
	buffer_store_dword v56, off, s[0:3], 0 offset:112
	s_and_saveexec_b64 s[4:5], vcc
	s_cbranch_execz .LBB26_143
; %bb.142:
	buffer_load_dword v56, off, s[0:3], 0 offset:104
	buffer_load_dword v57, off, s[0:3], 0 offset:108
	v_mov_b32_e32 v58, 0
	buffer_store_dword v58, off, s[0:3], 0 offset:104
	buffer_store_dword v58, off, s[0:3], 0 offset:108
	s_waitcnt vmcnt(2)
	ds_write_b64 v55, v[56:57]
.LBB26_143:
	s_or_b64 exec, exec, s[4:5]
	s_waitcnt lgkmcnt(0)
	; wave barrier
	buffer_load_dword v65, off, s[0:3], 0 offset:112
	buffer_load_dword v66, off, s[0:3], 0 offset:116
	;; [unrolled: 1-line block ×21, first 2 shown]
	v_mov_b32_e32 v56, 0
	ds_read_b128 v[57:60], v56 offset:336
	ds_read_b128 v[61:64], v56 offset:352
	buffer_load_dword v82, off, s[0:3], 0 offset:196
	v_cmp_lt_u32_e32 vcc, 12, v0
	s_waitcnt vmcnt(20) lgkmcnt(1)
	v_fma_f64 v[57:58], v[65:66], v[57:58], 0
	s_waitcnt vmcnt(18)
	v_fma_f64 v[57:58], v[67:68], v[59:60], v[57:58]
	buffer_load_dword v66, off, s[0:3], 0 offset:204
	buffer_load_dword v67, off, s[0:3], 0 offset:208
	;; [unrolled: 1-line block ×4, first 2 shown]
	s_waitcnt vmcnt(20) lgkmcnt(0)
	v_fma_f64 v[57:58], v[69:70], v[61:62], v[57:58]
	buffer_load_dword v69, off, s[0:3], 0 offset:104
	buffer_load_dword v70, off, s[0:3], 0 offset:108
	s_waitcnt vmcnt(20)
	v_fma_f64 v[71:72], v[71:72], v[63:64], v[57:58]
	ds_read_b128 v[57:60], v56 offset:368
	ds_read_b128 v[61:64], v56 offset:384
	s_waitcnt vmcnt(18) lgkmcnt(1)
	v_fma_f64 v[57:58], v[73:74], v[57:58], v[71:72]
	s_waitcnt vmcnt(16)
	v_fma_f64 v[57:58], v[75:76], v[59:60], v[57:58]
	s_waitcnt vmcnt(14) lgkmcnt(0)
	v_fma_f64 v[57:58], v[77:78], v[61:62], v[57:58]
	s_waitcnt vmcnt(9)
	v_fma_f64 v[71:72], v[79:80], v[63:64], v[57:58]
	ds_read_b128 v[57:60], v56 offset:400
	ds_read_b128 v[61:64], v56 offset:416
	s_waitcnt vmcnt(8) lgkmcnt(1)
	v_fma_f64 v[57:58], v[85:86], v[57:58], v[71:72]
	s_waitcnt vmcnt(7)
	v_fma_f64 v[57:58], v[83:84], v[59:60], v[57:58]
	ds_read_b64 v[59:60], v56 offset:432
	s_waitcnt vmcnt(6) lgkmcnt(1)
	v_fma_f64 v[57:58], v[81:82], v[61:62], v[57:58]
	s_waitcnt vmcnt(3)
	v_fma_f64 v[57:58], v[65:66], v[63:64], v[57:58]
	s_waitcnt vmcnt(2) lgkmcnt(0)
	v_fma_f64 v[57:58], v[67:68], v[59:60], v[57:58]
	s_waitcnt vmcnt(0)
	v_add_f64 v[57:58], v[69:70], -v[57:58]
	buffer_store_dword v58, off, s[0:3], 0 offset:108
	buffer_store_dword v57, off, s[0:3], 0 offset:104
	s_and_saveexec_b64 s[4:5], vcc
	s_cbranch_execz .LBB26_145
; %bb.144:
	buffer_load_dword v57, off, s[0:3], 0 offset:96
	buffer_load_dword v58, off, s[0:3], 0 offset:100
	s_waitcnt vmcnt(0)
	ds_write_b64 v55, v[57:58]
	buffer_store_dword v56, off, s[0:3], 0 offset:96
	buffer_store_dword v56, off, s[0:3], 0 offset:100
.LBB26_145:
	s_or_b64 exec, exec, s[4:5]
	s_waitcnt lgkmcnt(0)
	; wave barrier
	buffer_load_dword v65, off, s[0:3], 0 offset:104
	buffer_load_dword v66, off, s[0:3], 0 offset:108
	buffer_load_dword v67, off, s[0:3], 0 offset:112
	buffer_load_dword v68, off, s[0:3], 0 offset:116
	buffer_load_dword v69, off, s[0:3], 0 offset:120
	buffer_load_dword v70, off, s[0:3], 0 offset:124
	buffer_load_dword v71, off, s[0:3], 0 offset:128
	buffer_load_dword v72, off, s[0:3], 0 offset:132
	buffer_load_dword v73, off, s[0:3], 0 offset:136
	buffer_load_dword v74, off, s[0:3], 0 offset:140
	buffer_load_dword v75, off, s[0:3], 0 offset:144
	buffer_load_dword v76, off, s[0:3], 0 offset:148
	buffer_load_dword v77, off, s[0:3], 0 offset:152
	buffer_load_dword v78, off, s[0:3], 0 offset:156
	buffer_load_dword v80, off, s[0:3], 0 offset:164
	buffer_load_dword v81, off, s[0:3], 0 offset:184
	buffer_load_dword v83, off, s[0:3], 0 offset:176
	buffer_load_dword v85, off, s[0:3], 0 offset:168
	buffer_load_dword v79, off, s[0:3], 0 offset:160
	buffer_load_dword v86, off, s[0:3], 0 offset:172
	buffer_load_dword v84, off, s[0:3], 0 offset:180
	buffer_load_dword v82, off, s[0:3], 0 offset:188
	ds_read2_b64 v[57:60], v56 offset0:41 offset1:42
	ds_read2_b64 v[61:64], v56 offset0:43 offset1:44
	v_cmp_lt_u32_e32 vcc, 11, v0
	s_waitcnt vmcnt(20) lgkmcnt(1)
	v_fma_f64 v[57:58], v[65:66], v[57:58], 0
	s_waitcnt vmcnt(18)
	v_fma_f64 v[57:58], v[67:68], v[59:60], v[57:58]
	buffer_load_dword v66, off, s[0:3], 0 offset:196
	buffer_load_dword v67, off, s[0:3], 0 offset:208
	;; [unrolled: 1-line block ×6, first 2 shown]
	s_waitcnt vmcnt(22) lgkmcnt(0)
	v_fma_f64 v[57:58], v[69:70], v[61:62], v[57:58]
	s_waitcnt vmcnt(20)
	v_fma_f64 v[69:70], v[71:72], v[63:64], v[57:58]
	ds_read2_b64 v[57:60], v56 offset0:45 offset1:46
	buffer_load_dword v71, off, s[0:3], 0 offset:96
	buffer_load_dword v72, off, s[0:3], 0 offset:100
	ds_read2_b64 v[61:64], v56 offset0:47 offset1:48
	s_waitcnt vmcnt(20) lgkmcnt(1)
	v_fma_f64 v[57:58], v[73:74], v[57:58], v[69:70]
	s_waitcnt vmcnt(18)
	v_fma_f64 v[57:58], v[75:76], v[59:60], v[57:58]
	s_waitcnt vmcnt(16) lgkmcnt(0)
	v_fma_f64 v[57:58], v[77:78], v[61:62], v[57:58]
	s_waitcnt vmcnt(11)
	v_fma_f64 v[69:70], v[79:80], v[63:64], v[57:58]
	ds_read2_b64 v[57:60], v56 offset0:49 offset1:50
	ds_read2_b64 v[61:64], v56 offset0:51 offset1:52
	s_waitcnt vmcnt(10) lgkmcnt(1)
	v_fma_f64 v[57:58], v[85:86], v[57:58], v[69:70]
	s_waitcnt vmcnt(9)
	v_fma_f64 v[57:58], v[83:84], v[59:60], v[57:58]
	s_waitcnt vmcnt(8) lgkmcnt(0)
	v_fma_f64 v[57:58], v[81:82], v[61:62], v[57:58]
	s_waitcnt vmcnt(4)
	v_fma_f64 v[60:61], v[65:66], v[63:64], v[57:58]
	ds_read2_b64 v[56:59], v56 offset0:53 offset1:54
	s_waitcnt vmcnt(3) lgkmcnt(0)
	v_fma_f64 v[56:57], v[87:88], v[56:57], v[60:61]
	s_waitcnt vmcnt(2)
	v_fma_f64 v[56:57], v[67:68], v[58:59], v[56:57]
	s_waitcnt vmcnt(0)
	v_add_f64 v[56:57], v[71:72], -v[56:57]
	buffer_store_dword v57, off, s[0:3], 0 offset:100
	buffer_store_dword v56, off, s[0:3], 0 offset:96
	s_and_saveexec_b64 s[4:5], vcc
	s_cbranch_execz .LBB26_147
; %bb.146:
	buffer_load_dword v56, off, s[0:3], 0 offset:88
	buffer_load_dword v57, off, s[0:3], 0 offset:92
	v_mov_b32_e32 v58, 0
	buffer_store_dword v58, off, s[0:3], 0 offset:88
	buffer_store_dword v58, off, s[0:3], 0 offset:92
	s_waitcnt vmcnt(2)
	ds_write_b64 v55, v[56:57]
.LBB26_147:
	s_or_b64 exec, exec, s[4:5]
	s_waitcnt lgkmcnt(0)
	; wave barrier
	buffer_load_dword v65, off, s[0:3], 0 offset:96
	buffer_load_dword v66, off, s[0:3], 0 offset:100
	;; [unrolled: 1-line block ×22, first 2 shown]
	v_mov_b32_e32 v56, 0
	ds_read_b128 v[57:60], v56 offset:320
	ds_read_b128 v[61:64], v56 offset:336
	v_cmp_lt_u32_e32 vcc, 10, v0
	s_waitcnt vmcnt(20) lgkmcnt(1)
	v_fma_f64 v[57:58], v[65:66], v[57:58], 0
	s_waitcnt vmcnt(18)
	v_fma_f64 v[57:58], v[67:68], v[59:60], v[57:58]
	buffer_load_dword v66, off, s[0:3], 0 offset:188
	buffer_load_dword v67, off, s[0:3], 0 offset:208
	;; [unrolled: 1-line block ×8, first 2 shown]
	s_waitcnt vmcnt(24) lgkmcnt(0)
	v_fma_f64 v[57:58], v[69:70], v[61:62], v[57:58]
	s_waitcnt vmcnt(22)
	v_fma_f64 v[69:70], v[71:72], v[63:64], v[57:58]
	ds_read_b128 v[57:60], v56 offset:352
	ds_read_b128 v[61:64], v56 offset:368
	s_waitcnt vmcnt(20) lgkmcnt(1)
	v_fma_f64 v[57:58], v[73:74], v[57:58], v[69:70]
	buffer_load_dword v69, off, s[0:3], 0 offset:88
	buffer_load_dword v70, off, s[0:3], 0 offset:92
	s_waitcnt vmcnt(20)
	v_fma_f64 v[57:58], v[75:76], v[59:60], v[57:58]
	s_waitcnt vmcnt(18) lgkmcnt(0)
	v_fma_f64 v[57:58], v[77:78], v[61:62], v[57:58]
	s_waitcnt vmcnt(13)
	v_fma_f64 v[71:72], v[79:80], v[63:64], v[57:58]
	ds_read_b128 v[57:60], v56 offset:384
	ds_read_b128 v[61:64], v56 offset:400
	s_waitcnt vmcnt(12) lgkmcnt(1)
	v_fma_f64 v[57:58], v[85:86], v[57:58], v[71:72]
	s_waitcnt vmcnt(11)
	v_fma_f64 v[57:58], v[83:84], v[59:60], v[57:58]
	s_waitcnt vmcnt(10) lgkmcnt(0)
	v_fma_f64 v[57:58], v[81:82], v[61:62], v[57:58]
	s_waitcnt vmcnt(5)
	v_fma_f64 v[61:62], v[65:66], v[63:64], v[57:58]
	ds_read_b128 v[57:60], v56 offset:416
	ds_read_b64 v[63:64], v56 offset:432
	s_waitcnt vmcnt(4) lgkmcnt(1)
	v_fma_f64 v[57:58], v[89:90], v[57:58], v[61:62]
	s_waitcnt vmcnt(3)
	v_fma_f64 v[57:58], v[87:88], v[59:60], v[57:58]
	s_waitcnt vmcnt(2) lgkmcnt(0)
	v_fma_f64 v[57:58], v[67:68], v[63:64], v[57:58]
	s_waitcnt vmcnt(0)
	v_add_f64 v[57:58], v[69:70], -v[57:58]
	buffer_store_dword v58, off, s[0:3], 0 offset:92
	buffer_store_dword v57, off, s[0:3], 0 offset:88
	s_and_saveexec_b64 s[4:5], vcc
	s_cbranch_execz .LBB26_149
; %bb.148:
	buffer_load_dword v57, off, s[0:3], 0 offset:80
	buffer_load_dword v58, off, s[0:3], 0 offset:84
	s_waitcnt vmcnt(0)
	ds_write_b64 v55, v[57:58]
	buffer_store_dword v56, off, s[0:3], 0 offset:80
	buffer_store_dword v56, off, s[0:3], 0 offset:84
.LBB26_149:
	s_or_b64 exec, exec, s[4:5]
	s_waitcnt lgkmcnt(0)
	; wave barrier
	buffer_load_dword v65, off, s[0:3], 0 offset:88
	buffer_load_dword v66, off, s[0:3], 0 offset:92
	buffer_load_dword v67, off, s[0:3], 0 offset:96
	buffer_load_dword v68, off, s[0:3], 0 offset:100
	buffer_load_dword v69, off, s[0:3], 0 offset:104
	buffer_load_dword v70, off, s[0:3], 0 offset:108
	buffer_load_dword v71, off, s[0:3], 0 offset:112
	buffer_load_dword v72, off, s[0:3], 0 offset:116
	buffer_load_dword v73, off, s[0:3], 0 offset:120
	buffer_load_dword v74, off, s[0:3], 0 offset:124
	buffer_load_dword v75, off, s[0:3], 0 offset:128
	buffer_load_dword v76, off, s[0:3], 0 offset:132
	buffer_load_dword v77, off, s[0:3], 0 offset:136
	buffer_load_dword v78, off, s[0:3], 0 offset:140
	buffer_load_dword v80, off, s[0:3], 0 offset:148
	buffer_load_dword v81, off, s[0:3], 0 offset:168
	buffer_load_dword v83, off, s[0:3], 0 offset:160
	buffer_load_dword v85, off, s[0:3], 0 offset:152
	buffer_load_dword v79, off, s[0:3], 0 offset:144
	buffer_load_dword v86, off, s[0:3], 0 offset:156
	buffer_load_dword v84, off, s[0:3], 0 offset:164
	buffer_load_dword v82, off, s[0:3], 0 offset:172
	ds_read2_b64 v[57:60], v56 offset0:39 offset1:40
	ds_read2_b64 v[61:64], v56 offset0:41 offset1:42
	v_cmp_lt_u32_e32 vcc, 9, v0
	s_waitcnt vmcnt(20) lgkmcnt(1)
	v_fma_f64 v[57:58], v[65:66], v[57:58], 0
	s_waitcnt vmcnt(18)
	v_fma_f64 v[57:58], v[67:68], v[59:60], v[57:58]
	buffer_load_dword v66, off, s[0:3], 0 offset:180
	buffer_load_dword v67, off, s[0:3], 0 offset:200
	;; [unrolled: 1-line block ×8, first 2 shown]
	s_waitcnt vmcnt(24) lgkmcnt(0)
	v_fma_f64 v[57:58], v[69:70], v[61:62], v[57:58]
	s_waitcnt vmcnt(22)
	v_fma_f64 v[69:70], v[71:72], v[63:64], v[57:58]
	ds_read2_b64 v[57:60], v56 offset0:43 offset1:44
	ds_read2_b64 v[61:64], v56 offset0:45 offset1:46
	s_waitcnt vmcnt(20) lgkmcnt(1)
	v_fma_f64 v[57:58], v[73:74], v[57:58], v[69:70]
	buffer_load_dword v70, off, s[0:3], 0 offset:212
	buffer_load_dword v69, off, s[0:3], 0 offset:208
	;; [unrolled: 1-line block ×4, first 2 shown]
	s_waitcnt vmcnt(22)
	v_fma_f64 v[57:58], v[75:76], v[59:60], v[57:58]
	s_waitcnt vmcnt(20) lgkmcnt(0)
	v_fma_f64 v[57:58], v[77:78], v[61:62], v[57:58]
	s_waitcnt vmcnt(15)
	v_fma_f64 v[73:74], v[79:80], v[63:64], v[57:58]
	ds_read2_b64 v[57:60], v56 offset0:47 offset1:48
	ds_read2_b64 v[61:64], v56 offset0:49 offset1:50
	s_waitcnt vmcnt(14) lgkmcnt(1)
	v_fma_f64 v[57:58], v[85:86], v[57:58], v[73:74]
	s_waitcnt vmcnt(13)
	v_fma_f64 v[57:58], v[83:84], v[59:60], v[57:58]
	s_waitcnt vmcnt(12) lgkmcnt(0)
	v_fma_f64 v[57:58], v[81:82], v[61:62], v[57:58]
	s_waitcnt vmcnt(7)
	v_fma_f64 v[65:66], v[65:66], v[63:64], v[57:58]
	ds_read2_b64 v[57:60], v56 offset0:51 offset1:52
	ds_read2_b64 v[61:64], v56 offset0:53 offset1:54
	s_waitcnt vmcnt(6) lgkmcnt(1)
	v_fma_f64 v[56:57], v[89:90], v[57:58], v[65:66]
	s_waitcnt vmcnt(5)
	v_fma_f64 v[56:57], v[87:88], v[59:60], v[56:57]
	s_waitcnt vmcnt(4) lgkmcnt(0)
	v_fma_f64 v[56:57], v[67:68], v[61:62], v[56:57]
	s_waitcnt vmcnt(2)
	v_fma_f64 v[56:57], v[69:70], v[63:64], v[56:57]
	s_waitcnt vmcnt(0)
	v_add_f64 v[56:57], v[71:72], -v[56:57]
	buffer_store_dword v57, off, s[0:3], 0 offset:84
	buffer_store_dword v56, off, s[0:3], 0 offset:80
	s_and_saveexec_b64 s[4:5], vcc
	s_cbranch_execz .LBB26_151
; %bb.150:
	buffer_load_dword v56, off, s[0:3], 0 offset:72
	buffer_load_dword v57, off, s[0:3], 0 offset:76
	v_mov_b32_e32 v58, 0
	buffer_store_dword v58, off, s[0:3], 0 offset:72
	buffer_store_dword v58, off, s[0:3], 0 offset:76
	s_waitcnt vmcnt(2)
	ds_write_b64 v55, v[56:57]
.LBB26_151:
	s_or_b64 exec, exec, s[4:5]
	s_waitcnt lgkmcnt(0)
	; wave barrier
	buffer_load_dword v65, off, s[0:3], 0 offset:80
	buffer_load_dword v66, off, s[0:3], 0 offset:84
	;; [unrolled: 1-line block ×22, first 2 shown]
	v_mov_b32_e32 v56, 0
	ds_read_b128 v[57:60], v56 offset:304
	ds_read_b128 v[61:64], v56 offset:320
	v_cmp_lt_u32_e32 vcc, 8, v0
	s_waitcnt vmcnt(20) lgkmcnt(1)
	v_fma_f64 v[57:58], v[65:66], v[57:58], 0
	s_waitcnt vmcnt(18)
	v_fma_f64 v[57:58], v[67:68], v[59:60], v[57:58]
	buffer_load_dword v66, off, s[0:3], 0 offset:172
	buffer_load_dword v67, off, s[0:3], 0 offset:192
	;; [unrolled: 1-line block ×7, first 2 shown]
	s_waitcnt vmcnt(23) lgkmcnt(0)
	v_fma_f64 v[57:58], v[69:70], v[61:62], v[57:58]
	s_waitcnt vmcnt(21)
	v_fma_f64 v[68:69], v[71:72], v[63:64], v[57:58]
	ds_read_b128 v[57:60], v56 offset:336
	ds_read_b128 v[61:64], v56 offset:352
	s_waitcnt vmcnt(19) lgkmcnt(1)
	v_fma_f64 v[57:58], v[73:74], v[57:58], v[68:69]
	buffer_load_dword v68, off, s[0:3], 0 offset:196
	buffer_load_dword v70, off, s[0:3], 0 offset:204
	;; [unrolled: 1-line block ×7, first 2 shown]
	s_waitcnt vmcnt(24)
	v_fma_f64 v[57:58], v[75:76], v[59:60], v[57:58]
	s_waitcnt vmcnt(22) lgkmcnt(0)
	v_fma_f64 v[57:58], v[77:78], v[61:62], v[57:58]
	s_waitcnt vmcnt(17)
	v_fma_f64 v[75:76], v[79:80], v[63:64], v[57:58]
	ds_read_b128 v[57:60], v56 offset:368
	ds_read_b128 v[61:64], v56 offset:384
	s_waitcnt vmcnt(16) lgkmcnt(1)
	v_fma_f64 v[57:58], v[85:86], v[57:58], v[75:76]
	s_waitcnt vmcnt(15)
	v_fma_f64 v[57:58], v[83:84], v[59:60], v[57:58]
	s_waitcnt vmcnt(14) lgkmcnt(0)
	v_fma_f64 v[57:58], v[81:82], v[61:62], v[57:58]
	s_waitcnt vmcnt(9)
	v_fma_f64 v[65:66], v[65:66], v[63:64], v[57:58]
	ds_read_b128 v[57:60], v56 offset:400
	ds_read_b128 v[61:64], v56 offset:416
	s_waitcnt vmcnt(8) lgkmcnt(1)
	v_fma_f64 v[57:58], v[89:90], v[57:58], v[65:66]
	s_waitcnt vmcnt(7)
	v_fma_f64 v[57:58], v[87:88], v[59:60], v[57:58]
	ds_read_b64 v[59:60], v56 offset:432
	s_waitcnt vmcnt(6) lgkmcnt(1)
	v_fma_f64 v[57:58], v[67:68], v[61:62], v[57:58]
	s_waitcnt vmcnt(3)
	v_fma_f64 v[57:58], v[69:70], v[63:64], v[57:58]
	s_waitcnt vmcnt(2) lgkmcnt(0)
	v_fma_f64 v[57:58], v[71:72], v[59:60], v[57:58]
	s_waitcnt vmcnt(0)
	v_add_f64 v[57:58], v[73:74], -v[57:58]
	buffer_store_dword v58, off, s[0:3], 0 offset:76
	buffer_store_dword v57, off, s[0:3], 0 offset:72
	s_and_saveexec_b64 s[4:5], vcc
	s_cbranch_execz .LBB26_153
; %bb.152:
	buffer_load_dword v57, off, s[0:3], 0 offset:64
	buffer_load_dword v58, off, s[0:3], 0 offset:68
	s_waitcnt vmcnt(0)
	ds_write_b64 v55, v[57:58]
	buffer_store_dword v56, off, s[0:3], 0 offset:64
	buffer_store_dword v56, off, s[0:3], 0 offset:68
.LBB26_153:
	s_or_b64 exec, exec, s[4:5]
	s_waitcnt lgkmcnt(0)
	; wave barrier
	buffer_load_dword v65, off, s[0:3], 0 offset:72
	buffer_load_dword v66, off, s[0:3], 0 offset:76
	;; [unrolled: 1-line block ×22, first 2 shown]
	ds_read2_b64 v[57:60], v56 offset0:37 offset1:38
	ds_read2_b64 v[61:64], v56 offset0:39 offset1:40
	v_cmp_lt_u32_e32 vcc, 7, v0
	s_waitcnt vmcnt(20) lgkmcnt(1)
	v_fma_f64 v[57:58], v[65:66], v[57:58], 0
	s_waitcnt vmcnt(18)
	v_fma_f64 v[57:58], v[67:68], v[59:60], v[57:58]
	buffer_load_dword v66, off, s[0:3], 0 offset:164
	buffer_load_dword v67, off, s[0:3], 0 offset:184
	;; [unrolled: 1-line block ×7, first 2 shown]
	s_waitcnt vmcnt(23) lgkmcnt(0)
	v_fma_f64 v[57:58], v[69:70], v[61:62], v[57:58]
	s_waitcnt vmcnt(21)
	v_fma_f64 v[68:69], v[71:72], v[63:64], v[57:58]
	ds_read2_b64 v[57:60], v56 offset0:41 offset1:42
	ds_read2_b64 v[61:64], v56 offset0:43 offset1:44
	s_waitcnt vmcnt(19) lgkmcnt(1)
	v_fma_f64 v[57:58], v[73:74], v[57:58], v[68:69]
	buffer_load_dword v68, off, s[0:3], 0 offset:188
	buffer_load_dword v70, off, s[0:3], 0 offset:196
	buffer_load_dword v71, off, s[0:3], 0 offset:208
	buffer_load_dword v73, off, s[0:3], 0 offset:200
	buffer_load_dword v69, off, s[0:3], 0 offset:192
	buffer_load_dword v74, off, s[0:3], 0 offset:204
	buffer_load_dword v72, off, s[0:3], 0 offset:212
	s_waitcnt vmcnt(24)
	v_fma_f64 v[57:58], v[75:76], v[59:60], v[57:58]
	s_waitcnt vmcnt(22) lgkmcnt(0)
	v_fma_f64 v[57:58], v[77:78], v[61:62], v[57:58]
	s_waitcnt vmcnt(17)
	v_fma_f64 v[75:76], v[79:80], v[63:64], v[57:58]
	ds_read2_b64 v[57:60], v56 offset0:45 offset1:46
	buffer_load_dword v77, off, s[0:3], 0 offset:64
	buffer_load_dword v78, off, s[0:3], 0 offset:68
	ds_read2_b64 v[61:64], v56 offset0:47 offset1:48
	s_waitcnt vmcnt(18) lgkmcnt(1)
	v_fma_f64 v[57:58], v[85:86], v[57:58], v[75:76]
	s_waitcnt vmcnt(17)
	v_fma_f64 v[57:58], v[83:84], v[59:60], v[57:58]
	s_waitcnt vmcnt(16) lgkmcnt(0)
	v_fma_f64 v[57:58], v[81:82], v[61:62], v[57:58]
	s_waitcnt vmcnt(11)
	v_fma_f64 v[65:66], v[65:66], v[63:64], v[57:58]
	ds_read2_b64 v[57:60], v56 offset0:49 offset1:50
	ds_read2_b64 v[61:64], v56 offset0:51 offset1:52
	s_waitcnt vmcnt(10) lgkmcnt(1)
	v_fma_f64 v[57:58], v[89:90], v[57:58], v[65:66]
	s_waitcnt vmcnt(9)
	v_fma_f64 v[57:58], v[87:88], v[59:60], v[57:58]
	s_waitcnt vmcnt(8) lgkmcnt(0)
	v_fma_f64 v[57:58], v[67:68], v[61:62], v[57:58]
	s_waitcnt vmcnt(4)
	v_fma_f64 v[60:61], v[69:70], v[63:64], v[57:58]
	ds_read2_b64 v[56:59], v56 offset0:53 offset1:54
	s_waitcnt vmcnt(3) lgkmcnt(0)
	v_fma_f64 v[56:57], v[73:74], v[56:57], v[60:61]
	s_waitcnt vmcnt(2)
	v_fma_f64 v[56:57], v[71:72], v[58:59], v[56:57]
	s_waitcnt vmcnt(0)
	v_add_f64 v[56:57], v[77:78], -v[56:57]
	buffer_store_dword v57, off, s[0:3], 0 offset:68
	buffer_store_dword v56, off, s[0:3], 0 offset:64
	s_and_saveexec_b64 s[4:5], vcc
	s_cbranch_execz .LBB26_155
; %bb.154:
	buffer_load_dword v56, off, s[0:3], 0 offset:56
	buffer_load_dword v57, off, s[0:3], 0 offset:60
	v_mov_b32_e32 v58, 0
	buffer_store_dword v58, off, s[0:3], 0 offset:56
	buffer_store_dword v58, off, s[0:3], 0 offset:60
	s_waitcnt vmcnt(2)
	ds_write_b64 v55, v[56:57]
.LBB26_155:
	s_or_b64 exec, exec, s[4:5]
	s_waitcnt lgkmcnt(0)
	; wave barrier
	buffer_load_dword v65, off, s[0:3], 0 offset:64
	buffer_load_dword v66, off, s[0:3], 0 offset:68
	;; [unrolled: 1-line block ×22, first 2 shown]
	v_mov_b32_e32 v56, 0
	ds_read_b128 v[57:60], v56 offset:288
	ds_read_b128 v[61:64], v56 offset:304
	v_cmp_lt_u32_e32 vcc, 6, v0
	s_waitcnt vmcnt(20) lgkmcnt(1)
	v_fma_f64 v[57:58], v[65:66], v[57:58], 0
	s_waitcnt vmcnt(18)
	v_fma_f64 v[57:58], v[67:68], v[59:60], v[57:58]
	buffer_load_dword v66, off, s[0:3], 0 offset:156
	buffer_load_dword v67, off, s[0:3], 0 offset:176
	buffer_load_dword v87, off, s[0:3], 0 offset:168
	buffer_load_dword v89, off, s[0:3], 0 offset:160
	buffer_load_dword v65, off, s[0:3], 0 offset:152
	buffer_load_dword v90, off, s[0:3], 0 offset:164
	buffer_load_dword v88, off, s[0:3], 0 offset:172
	s_waitcnt vmcnt(23) lgkmcnt(0)
	v_fma_f64 v[57:58], v[69:70], v[61:62], v[57:58]
	s_waitcnt vmcnt(21)
	v_fma_f64 v[68:69], v[71:72], v[63:64], v[57:58]
	ds_read_b128 v[57:60], v56 offset:320
	ds_read_b128 v[61:64], v56 offset:336
	s_waitcnt vmcnt(19) lgkmcnt(1)
	v_fma_f64 v[57:58], v[73:74], v[57:58], v[68:69]
	buffer_load_dword v68, off, s[0:3], 0 offset:180
	s_waitcnt vmcnt(18)
	v_fma_f64 v[57:58], v[75:76], v[59:60], v[57:58]
	buffer_load_dword v70, off, s[0:3], 0 offset:188
	buffer_load_dword v71, off, s[0:3], 0 offset:208
	;; [unrolled: 1-line block ×8, first 2 shown]
	s_waitcnt vmcnt(24) lgkmcnt(0)
	v_fma_f64 v[57:58], v[77:78], v[61:62], v[57:58]
	s_waitcnt vmcnt(19)
	v_fma_f64 v[77:78], v[79:80], v[63:64], v[57:58]
	ds_read_b128 v[57:60], v56 offset:352
	ds_read_b128 v[61:64], v56 offset:368
	s_waitcnt vmcnt(18) lgkmcnt(1)
	v_fma_f64 v[57:58], v[85:86], v[57:58], v[77:78]
	buffer_load_dword v77, off, s[0:3], 0 offset:56
	buffer_load_dword v78, off, s[0:3], 0 offset:60
	s_waitcnt vmcnt(19)
	v_fma_f64 v[57:58], v[83:84], v[59:60], v[57:58]
	s_waitcnt vmcnt(18) lgkmcnt(0)
	v_fma_f64 v[57:58], v[81:82], v[61:62], v[57:58]
	s_waitcnt vmcnt(13)
	v_fma_f64 v[65:66], v[65:66], v[63:64], v[57:58]
	ds_read_b128 v[57:60], v56 offset:384
	ds_read_b128 v[61:64], v56 offset:400
	s_waitcnt vmcnt(12) lgkmcnt(1)
	v_fma_f64 v[57:58], v[89:90], v[57:58], v[65:66]
	s_waitcnt vmcnt(11)
	v_fma_f64 v[57:58], v[87:88], v[59:60], v[57:58]
	s_waitcnt vmcnt(10) lgkmcnt(0)
	v_fma_f64 v[57:58], v[67:68], v[61:62], v[57:58]
	s_waitcnt vmcnt(5)
	v_fma_f64 v[61:62], v[69:70], v[63:64], v[57:58]
	ds_read_b128 v[57:60], v56 offset:416
	ds_read_b64 v[63:64], v56 offset:432
	s_waitcnt vmcnt(4) lgkmcnt(1)
	v_fma_f64 v[57:58], v[75:76], v[57:58], v[61:62]
	s_waitcnt vmcnt(3)
	v_fma_f64 v[57:58], v[73:74], v[59:60], v[57:58]
	s_waitcnt vmcnt(2) lgkmcnt(0)
	v_fma_f64 v[57:58], v[71:72], v[63:64], v[57:58]
	s_waitcnt vmcnt(0)
	v_add_f64 v[57:58], v[77:78], -v[57:58]
	buffer_store_dword v58, off, s[0:3], 0 offset:60
	buffer_store_dword v57, off, s[0:3], 0 offset:56
	s_and_saveexec_b64 s[4:5], vcc
	s_cbranch_execz .LBB26_157
; %bb.156:
	buffer_load_dword v57, off, s[0:3], 0 offset:48
	buffer_load_dword v58, off, s[0:3], 0 offset:52
	s_waitcnt vmcnt(0)
	ds_write_b64 v55, v[57:58]
	buffer_store_dword v56, off, s[0:3], 0 offset:48
	buffer_store_dword v56, off, s[0:3], 0 offset:52
.LBB26_157:
	s_or_b64 exec, exec, s[4:5]
	s_waitcnt lgkmcnt(0)
	; wave barrier
	buffer_load_dword v65, off, s[0:3], 0 offset:56
	buffer_load_dword v66, off, s[0:3], 0 offset:60
	;; [unrolled: 1-line block ×22, first 2 shown]
	ds_read2_b64 v[57:60], v56 offset0:35 offset1:36
	ds_read2_b64 v[61:64], v56 offset0:37 offset1:38
	v_cmp_lt_u32_e32 vcc, 5, v0
	s_waitcnt vmcnt(20) lgkmcnt(1)
	v_fma_f64 v[57:58], v[65:66], v[57:58], 0
	s_waitcnt vmcnt(18)
	v_fma_f64 v[57:58], v[67:68], v[59:60], v[57:58]
	buffer_load_dword v66, off, s[0:3], 0 offset:148
	buffer_load_dword v67, off, s[0:3], 0 offset:168
	;; [unrolled: 1-line block ×7, first 2 shown]
	s_waitcnt vmcnt(23) lgkmcnt(0)
	v_fma_f64 v[57:58], v[69:70], v[61:62], v[57:58]
	s_waitcnt vmcnt(21)
	v_fma_f64 v[68:69], v[71:72], v[63:64], v[57:58]
	ds_read2_b64 v[57:60], v56 offset0:39 offset1:40
	ds_read2_b64 v[61:64], v56 offset0:41 offset1:42
	s_waitcnt vmcnt(19) lgkmcnt(1)
	v_fma_f64 v[57:58], v[73:74], v[57:58], v[68:69]
	buffer_load_dword v68, off, s[0:3], 0 offset:172
	s_waitcnt vmcnt(18)
	v_fma_f64 v[57:58], v[75:76], v[59:60], v[57:58]
	buffer_load_dword v70, off, s[0:3], 0 offset:180
	buffer_load_dword v71, off, s[0:3], 0 offset:200
	;; [unrolled: 1-line block ×8, first 2 shown]
	s_waitcnt vmcnt(24) lgkmcnt(0)
	v_fma_f64 v[57:58], v[77:78], v[61:62], v[57:58]
	s_waitcnt vmcnt(19)
	v_fma_f64 v[77:78], v[79:80], v[63:64], v[57:58]
	ds_read2_b64 v[57:60], v56 offset0:43 offset1:44
	ds_read2_b64 v[61:64], v56 offset0:45 offset1:46
	s_waitcnt vmcnt(18) lgkmcnt(1)
	v_fma_f64 v[57:58], v[85:86], v[57:58], v[77:78]
	buffer_load_dword v78, off, s[0:3], 0 offset:212
	buffer_load_dword v77, off, s[0:3], 0 offset:208
	;; [unrolled: 1-line block ×4, first 2 shown]
	s_waitcnt vmcnt(21)
	v_fma_f64 v[57:58], v[83:84], v[59:60], v[57:58]
	s_waitcnt vmcnt(20) lgkmcnt(0)
	v_fma_f64 v[57:58], v[81:82], v[61:62], v[57:58]
	s_waitcnt vmcnt(15)
	v_fma_f64 v[65:66], v[65:66], v[63:64], v[57:58]
	ds_read2_b64 v[57:60], v56 offset0:47 offset1:48
	ds_read2_b64 v[61:64], v56 offset0:49 offset1:50
	s_waitcnt vmcnt(14) lgkmcnt(1)
	v_fma_f64 v[57:58], v[89:90], v[57:58], v[65:66]
	s_waitcnt vmcnt(13)
	v_fma_f64 v[57:58], v[87:88], v[59:60], v[57:58]
	s_waitcnt vmcnt(12) lgkmcnt(0)
	v_fma_f64 v[57:58], v[67:68], v[61:62], v[57:58]
	s_waitcnt vmcnt(7)
	v_fma_f64 v[65:66], v[69:70], v[63:64], v[57:58]
	ds_read2_b64 v[57:60], v56 offset0:51 offset1:52
	ds_read2_b64 v[61:64], v56 offset0:53 offset1:54
	s_waitcnt vmcnt(6) lgkmcnt(1)
	v_fma_f64 v[56:57], v[75:76], v[57:58], v[65:66]
	s_waitcnt vmcnt(5)
	v_fma_f64 v[56:57], v[73:74], v[59:60], v[56:57]
	s_waitcnt vmcnt(4) lgkmcnt(0)
	v_fma_f64 v[56:57], v[71:72], v[61:62], v[56:57]
	s_waitcnt vmcnt(2)
	v_fma_f64 v[56:57], v[77:78], v[63:64], v[56:57]
	s_waitcnt vmcnt(0)
	v_add_f64 v[56:57], v[79:80], -v[56:57]
	buffer_store_dword v57, off, s[0:3], 0 offset:52
	buffer_store_dword v56, off, s[0:3], 0 offset:48
	s_and_saveexec_b64 s[4:5], vcc
	s_cbranch_execz .LBB26_159
; %bb.158:
	buffer_load_dword v56, off, s[0:3], 0 offset:40
	buffer_load_dword v57, off, s[0:3], 0 offset:44
	v_mov_b32_e32 v58, 0
	buffer_store_dword v58, off, s[0:3], 0 offset:40
	buffer_store_dword v58, off, s[0:3], 0 offset:44
	s_waitcnt vmcnt(2)
	ds_write_b64 v55, v[56:57]
.LBB26_159:
	s_or_b64 exec, exec, s[4:5]
	s_waitcnt lgkmcnt(0)
	; wave barrier
	buffer_load_dword v65, off, s[0:3], 0 offset:48
	buffer_load_dword v66, off, s[0:3], 0 offset:52
	;; [unrolled: 1-line block ×21, first 2 shown]
	v_mov_b32_e32 v56, 0
	ds_read_b128 v[57:60], v56 offset:272
	ds_read_b128 v[61:64], v56 offset:288
	buffer_load_dword v82, off, s[0:3], 0 offset:132
	v_cmp_lt_u32_e32 vcc, 4, v0
	s_waitcnt vmcnt(20) lgkmcnt(1)
	v_fma_f64 v[57:58], v[65:66], v[57:58], 0
	s_waitcnt vmcnt(18)
	v_fma_f64 v[57:58], v[67:68], v[59:60], v[57:58]
	buffer_load_dword v66, off, s[0:3], 0 offset:140
	buffer_load_dword v67, off, s[0:3], 0 offset:160
	buffer_load_dword v87, off, s[0:3], 0 offset:152
	buffer_load_dword v89, off, s[0:3], 0 offset:144
	buffer_load_dword v65, off, s[0:3], 0 offset:136
	buffer_load_dword v90, off, s[0:3], 0 offset:148
	buffer_load_dword v88, off, s[0:3], 0 offset:156
	s_waitcnt vmcnt(23) lgkmcnt(0)
	v_fma_f64 v[57:58], v[69:70], v[61:62], v[57:58]
	s_waitcnt vmcnt(21)
	v_fma_f64 v[68:69], v[71:72], v[63:64], v[57:58]
	ds_read_b128 v[57:60], v56 offset:304
	ds_read_b128 v[61:64], v56 offset:320
	s_waitcnt vmcnt(19) lgkmcnt(1)
	v_fma_f64 v[57:58], v[73:74], v[57:58], v[68:69]
	buffer_load_dword v68, off, s[0:3], 0 offset:164
	s_waitcnt vmcnt(18)
	v_fma_f64 v[57:58], v[75:76], v[59:60], v[57:58]
	buffer_load_dword v70, off, s[0:3], 0 offset:172
	buffer_load_dword v71, off, s[0:3], 0 offset:192
	;; [unrolled: 1-line block ×7, first 2 shown]
	s_waitcnt vmcnt(23) lgkmcnt(0)
	v_fma_f64 v[57:58], v[77:78], v[61:62], v[57:58]
	s_waitcnt vmcnt(18)
	v_fma_f64 v[77:78], v[79:80], v[63:64], v[57:58]
	ds_read_b128 v[57:60], v56 offset:336
	ds_read_b128 v[61:64], v56 offset:352
	buffer_load_dword v72, off, s[0:3], 0 offset:196
	s_waitcnt vmcnt(18) lgkmcnt(1)
	v_fma_f64 v[57:58], v[85:86], v[57:58], v[77:78]
	buffer_load_dword v78, off, s[0:3], 0 offset:204
	buffer_load_dword v79, off, s[0:3], 0 offset:208
	;; [unrolled: 1-line block ×4, first 2 shown]
	s_waitcnt vmcnt(21)
	v_fma_f64 v[57:58], v[83:84], v[59:60], v[57:58]
	s_waitcnt vmcnt(20) lgkmcnt(0)
	v_fma_f64 v[57:58], v[81:82], v[61:62], v[57:58]
	buffer_load_dword v81, off, s[0:3], 0 offset:40
	buffer_load_dword v82, off, s[0:3], 0 offset:44
	s_waitcnt vmcnt(17)
	v_fma_f64 v[65:66], v[65:66], v[63:64], v[57:58]
	ds_read_b128 v[57:60], v56 offset:368
	ds_read_b128 v[61:64], v56 offset:384
	s_waitcnt vmcnt(16) lgkmcnt(1)
	v_fma_f64 v[57:58], v[89:90], v[57:58], v[65:66]
	s_waitcnt vmcnt(15)
	v_fma_f64 v[57:58], v[87:88], v[59:60], v[57:58]
	s_waitcnt vmcnt(14) lgkmcnt(0)
	v_fma_f64 v[57:58], v[67:68], v[61:62], v[57:58]
	s_waitcnt vmcnt(9)
	v_fma_f64 v[65:66], v[69:70], v[63:64], v[57:58]
	ds_read_b128 v[57:60], v56 offset:400
	ds_read_b128 v[61:64], v56 offset:416
	s_waitcnt vmcnt(8) lgkmcnt(1)
	v_fma_f64 v[57:58], v[75:76], v[57:58], v[65:66]
	s_waitcnt vmcnt(7)
	v_fma_f64 v[57:58], v[73:74], v[59:60], v[57:58]
	ds_read_b64 v[59:60], v56 offset:432
	s_waitcnt vmcnt(6) lgkmcnt(1)
	v_fma_f64 v[57:58], v[71:72], v[61:62], v[57:58]
	s_waitcnt vmcnt(3)
	v_fma_f64 v[57:58], v[77:78], v[63:64], v[57:58]
	s_waitcnt vmcnt(2) lgkmcnt(0)
	v_fma_f64 v[57:58], v[79:80], v[59:60], v[57:58]
	s_waitcnt vmcnt(0)
	v_add_f64 v[57:58], v[81:82], -v[57:58]
	buffer_store_dword v58, off, s[0:3], 0 offset:44
	buffer_store_dword v57, off, s[0:3], 0 offset:40
	s_and_saveexec_b64 s[4:5], vcc
	s_cbranch_execz .LBB26_161
; %bb.160:
	buffer_load_dword v57, off, s[0:3], 0 offset:32
	buffer_load_dword v58, off, s[0:3], 0 offset:36
	s_waitcnt vmcnt(0)
	ds_write_b64 v55, v[57:58]
	buffer_store_dword v56, off, s[0:3], 0 offset:32
	buffer_store_dword v56, off, s[0:3], 0 offset:36
.LBB26_161:
	s_or_b64 exec, exec, s[4:5]
	s_waitcnt lgkmcnt(0)
	; wave barrier
	buffer_load_dword v65, off, s[0:3], 0 offset:40
	buffer_load_dword v66, off, s[0:3], 0 offset:44
	;; [unrolled: 1-line block ×21, first 2 shown]
	ds_read2_b64 v[57:60], v56 offset0:33 offset1:34
	ds_read2_b64 v[61:64], v56 offset0:35 offset1:36
	buffer_load_dword v82, off, s[0:3], 0 offset:124
	v_cmp_lt_u32_e32 vcc, 3, v0
	s_waitcnt vmcnt(20) lgkmcnt(1)
	v_fma_f64 v[57:58], v[65:66], v[57:58], 0
	s_waitcnt vmcnt(18)
	v_fma_f64 v[57:58], v[67:68], v[59:60], v[57:58]
	buffer_load_dword v66, off, s[0:3], 0 offset:132
	buffer_load_dword v67, off, s[0:3], 0 offset:152
	;; [unrolled: 1-line block ×7, first 2 shown]
	s_waitcnt vmcnt(23) lgkmcnt(0)
	v_fma_f64 v[57:58], v[69:70], v[61:62], v[57:58]
	s_waitcnt vmcnt(21)
	v_fma_f64 v[68:69], v[71:72], v[63:64], v[57:58]
	ds_read2_b64 v[57:60], v56 offset0:37 offset1:38
	ds_read2_b64 v[61:64], v56 offset0:39 offset1:40
	s_waitcnt vmcnt(19) lgkmcnt(1)
	v_fma_f64 v[57:58], v[73:74], v[57:58], v[68:69]
	buffer_load_dword v68, off, s[0:3], 0 offset:156
	s_waitcnt vmcnt(18)
	v_fma_f64 v[57:58], v[75:76], v[59:60], v[57:58]
	buffer_load_dword v70, off, s[0:3], 0 offset:164
	buffer_load_dword v71, off, s[0:3], 0 offset:184
	;; [unrolled: 1-line block ×8, first 2 shown]
	s_waitcnt vmcnt(24) lgkmcnt(0)
	v_fma_f64 v[57:58], v[77:78], v[61:62], v[57:58]
	s_waitcnt vmcnt(19)
	v_fma_f64 v[77:78], v[79:80], v[63:64], v[57:58]
	ds_read2_b64 v[57:60], v56 offset0:41 offset1:42
	ds_read2_b64 v[61:64], v56 offset0:43 offset1:44
	s_waitcnt vmcnt(18) lgkmcnt(1)
	v_fma_f64 v[57:58], v[85:86], v[57:58], v[77:78]
	s_waitcnt vmcnt(17)
	v_fma_f64 v[57:58], v[83:84], v[59:60], v[57:58]
	buffer_load_dword v78, off, s[0:3], 0 offset:196
	buffer_load_dword v79, off, s[0:3], 0 offset:208
	;; [unrolled: 1-line block ×6, first 2 shown]
	s_waitcnt vmcnt(22) lgkmcnt(0)
	v_fma_f64 v[57:58], v[81:82], v[61:62], v[57:58]
	s_waitcnt vmcnt(17)
	v_fma_f64 v[65:66], v[65:66], v[63:64], v[57:58]
	ds_read2_b64 v[57:60], v56 offset0:45 offset1:46
	buffer_load_dword v81, off, s[0:3], 0 offset:32
	buffer_load_dword v82, off, s[0:3], 0 offset:36
	ds_read2_b64 v[61:64], v56 offset0:47 offset1:48
	s_waitcnt vmcnt(18) lgkmcnt(1)
	v_fma_f64 v[57:58], v[89:90], v[57:58], v[65:66]
	s_waitcnt vmcnt(17)
	v_fma_f64 v[57:58], v[87:88], v[59:60], v[57:58]
	s_waitcnt vmcnt(16) lgkmcnt(0)
	v_fma_f64 v[57:58], v[67:68], v[61:62], v[57:58]
	s_waitcnt vmcnt(11)
	v_fma_f64 v[65:66], v[69:70], v[63:64], v[57:58]
	ds_read2_b64 v[57:60], v56 offset0:49 offset1:50
	ds_read2_b64 v[61:64], v56 offset0:51 offset1:52
	s_waitcnt vmcnt(10) lgkmcnt(1)
	v_fma_f64 v[57:58], v[75:76], v[57:58], v[65:66]
	s_waitcnt vmcnt(9)
	v_fma_f64 v[57:58], v[73:74], v[59:60], v[57:58]
	s_waitcnt vmcnt(8) lgkmcnt(0)
	v_fma_f64 v[57:58], v[71:72], v[61:62], v[57:58]
	s_waitcnt vmcnt(4)
	v_fma_f64 v[60:61], v[77:78], v[63:64], v[57:58]
	ds_read2_b64 v[56:59], v56 offset0:53 offset1:54
	s_waitcnt vmcnt(3) lgkmcnt(0)
	v_fma_f64 v[56:57], v[83:84], v[56:57], v[60:61]
	s_waitcnt vmcnt(2)
	v_fma_f64 v[56:57], v[79:80], v[58:59], v[56:57]
	s_waitcnt vmcnt(0)
	v_add_f64 v[56:57], v[81:82], -v[56:57]
	buffer_store_dword v57, off, s[0:3], 0 offset:36
	buffer_store_dword v56, off, s[0:3], 0 offset:32
	s_and_saveexec_b64 s[4:5], vcc
	s_cbranch_execz .LBB26_163
; %bb.162:
	buffer_load_dword v56, off, s[0:3], 0 offset:24
	buffer_load_dword v57, off, s[0:3], 0 offset:28
	v_mov_b32_e32 v58, 0
	buffer_store_dword v58, off, s[0:3], 0 offset:24
	buffer_store_dword v58, off, s[0:3], 0 offset:28
	s_waitcnt vmcnt(2)
	ds_write_b64 v55, v[56:57]
.LBB26_163:
	s_or_b64 exec, exec, s[4:5]
	s_waitcnt lgkmcnt(0)
	; wave barrier
	buffer_load_dword v65, off, s[0:3], 0 offset:32
	buffer_load_dword v66, off, s[0:3], 0 offset:36
	;; [unrolled: 1-line block ×21, first 2 shown]
	v_mov_b32_e32 v56, 0
	ds_read_b128 v[57:60], v56 offset:256
	ds_read_b128 v[61:64], v56 offset:272
	buffer_load_dword v82, off, s[0:3], 0 offset:116
	v_cmp_lt_u32_e32 vcc, 2, v0
	s_waitcnt vmcnt(20) lgkmcnt(1)
	v_fma_f64 v[57:58], v[65:66], v[57:58], 0
	s_waitcnt vmcnt(18)
	v_fma_f64 v[57:58], v[67:68], v[59:60], v[57:58]
	buffer_load_dword v66, off, s[0:3], 0 offset:124
	buffer_load_dword v67, off, s[0:3], 0 offset:144
	;; [unrolled: 1-line block ×7, first 2 shown]
	s_waitcnt vmcnt(23) lgkmcnt(0)
	v_fma_f64 v[57:58], v[69:70], v[61:62], v[57:58]
	s_waitcnt vmcnt(21)
	v_fma_f64 v[68:69], v[71:72], v[63:64], v[57:58]
	ds_read_b128 v[57:60], v56 offset:288
	ds_read_b128 v[61:64], v56 offset:304
	s_waitcnt vmcnt(19) lgkmcnt(1)
	v_fma_f64 v[57:58], v[73:74], v[57:58], v[68:69]
	buffer_load_dword v68, off, s[0:3], 0 offset:148
	s_waitcnt vmcnt(18)
	v_fma_f64 v[57:58], v[75:76], v[59:60], v[57:58]
	buffer_load_dword v70, off, s[0:3], 0 offset:156
	buffer_load_dword v71, off, s[0:3], 0 offset:176
	;; [unrolled: 1-line block ×8, first 2 shown]
	s_waitcnt vmcnt(24) lgkmcnt(0)
	v_fma_f64 v[57:58], v[77:78], v[61:62], v[57:58]
	s_waitcnt vmcnt(19)
	v_fma_f64 v[77:78], v[79:80], v[63:64], v[57:58]
	ds_read_b128 v[57:60], v56 offset:320
	ds_read_b128 v[61:64], v56 offset:336
	s_waitcnt vmcnt(18) lgkmcnt(1)
	v_fma_f64 v[57:58], v[85:86], v[57:58], v[77:78]
	s_waitcnt vmcnt(17)
	v_fma_f64 v[57:58], v[83:84], v[59:60], v[57:58]
	buffer_load_dword v78, off, s[0:3], 0 offset:188
	buffer_load_dword v79, off, s[0:3], 0 offset:208
	;; [unrolled: 1-line block ×8, first 2 shown]
	s_waitcnt vmcnt(24) lgkmcnt(0)
	v_fma_f64 v[57:58], v[81:82], v[61:62], v[57:58]
	s_waitcnt vmcnt(19)
	v_fma_f64 v[65:66], v[65:66], v[63:64], v[57:58]
	ds_read_b128 v[57:60], v56 offset:352
	ds_read_b128 v[61:64], v56 offset:368
	s_waitcnt vmcnt(18) lgkmcnt(1)
	v_fma_f64 v[57:58], v[89:90], v[57:58], v[65:66]
	buffer_load_dword v65, off, s[0:3], 0 offset:24
	buffer_load_dword v66, off, s[0:3], 0 offset:28
	s_waitcnt vmcnt(19)
	v_fma_f64 v[57:58], v[87:88], v[59:60], v[57:58]
	s_waitcnt vmcnt(18) lgkmcnt(0)
	v_fma_f64 v[57:58], v[67:68], v[61:62], v[57:58]
	s_waitcnt vmcnt(13)
	v_fma_f64 v[67:68], v[69:70], v[63:64], v[57:58]
	ds_read_b128 v[57:60], v56 offset:384
	ds_read_b128 v[61:64], v56 offset:400
	s_waitcnt vmcnt(12) lgkmcnt(1)
	v_fma_f64 v[57:58], v[75:76], v[57:58], v[67:68]
	s_waitcnt vmcnt(11)
	v_fma_f64 v[57:58], v[73:74], v[59:60], v[57:58]
	s_waitcnt vmcnt(10) lgkmcnt(0)
	v_fma_f64 v[57:58], v[71:72], v[61:62], v[57:58]
	s_waitcnt vmcnt(5)
	v_fma_f64 v[61:62], v[77:78], v[63:64], v[57:58]
	ds_read_b128 v[57:60], v56 offset:416
	ds_read_b64 v[63:64], v56 offset:432
	s_waitcnt vmcnt(4) lgkmcnt(1)
	v_fma_f64 v[57:58], v[85:86], v[57:58], v[61:62]
	s_waitcnt vmcnt(3)
	v_fma_f64 v[57:58], v[83:84], v[59:60], v[57:58]
	s_waitcnt vmcnt(2) lgkmcnt(0)
	v_fma_f64 v[57:58], v[79:80], v[63:64], v[57:58]
	s_waitcnt vmcnt(0)
	v_add_f64 v[57:58], v[65:66], -v[57:58]
	buffer_store_dword v58, off, s[0:3], 0 offset:28
	buffer_store_dword v57, off, s[0:3], 0 offset:24
	s_and_saveexec_b64 s[4:5], vcc
	s_cbranch_execz .LBB26_165
; %bb.164:
	buffer_load_dword v57, off, s[0:3], 0 offset:16
	buffer_load_dword v58, off, s[0:3], 0 offset:20
	s_waitcnt vmcnt(0)
	ds_write_b64 v55, v[57:58]
	buffer_store_dword v56, off, s[0:3], 0 offset:16
	buffer_store_dword v56, off, s[0:3], 0 offset:20
.LBB26_165:
	s_or_b64 exec, exec, s[4:5]
	s_waitcnt lgkmcnt(0)
	; wave barrier
	buffer_load_dword v65, off, s[0:3], 0 offset:24
	buffer_load_dword v66, off, s[0:3], 0 offset:28
	;; [unrolled: 1-line block ×21, first 2 shown]
	ds_read2_b64 v[57:60], v56 offset0:31 offset1:32
	ds_read2_b64 v[61:64], v56 offset0:33 offset1:34
	buffer_load_dword v82, off, s[0:3], 0 offset:108
	v_cmp_lt_u32_e32 vcc, 1, v0
	s_waitcnt vmcnt(20) lgkmcnt(1)
	v_fma_f64 v[57:58], v[65:66], v[57:58], 0
	s_waitcnt vmcnt(18)
	v_fma_f64 v[57:58], v[67:68], v[59:60], v[57:58]
	buffer_load_dword v66, off, s[0:3], 0 offset:116
	buffer_load_dword v67, off, s[0:3], 0 offset:136
	;; [unrolled: 1-line block ×7, first 2 shown]
	s_waitcnt vmcnt(23) lgkmcnt(0)
	v_fma_f64 v[57:58], v[69:70], v[61:62], v[57:58]
	s_waitcnt vmcnt(21)
	v_fma_f64 v[68:69], v[71:72], v[63:64], v[57:58]
	ds_read2_b64 v[57:60], v56 offset0:35 offset1:36
	ds_read2_b64 v[61:64], v56 offset0:37 offset1:38
	s_waitcnt vmcnt(19) lgkmcnt(1)
	v_fma_f64 v[57:58], v[73:74], v[57:58], v[68:69]
	buffer_load_dword v68, off, s[0:3], 0 offset:140
	s_waitcnt vmcnt(18)
	v_fma_f64 v[57:58], v[75:76], v[59:60], v[57:58]
	buffer_load_dword v70, off, s[0:3], 0 offset:148
	buffer_load_dword v71, off, s[0:3], 0 offset:168
	;; [unrolled: 1-line block ×8, first 2 shown]
	s_waitcnt vmcnt(24) lgkmcnt(0)
	v_fma_f64 v[57:58], v[77:78], v[61:62], v[57:58]
	s_waitcnt vmcnt(19)
	v_fma_f64 v[77:78], v[79:80], v[63:64], v[57:58]
	ds_read2_b64 v[57:60], v56 offset0:39 offset1:40
	ds_read2_b64 v[61:64], v56 offset0:41 offset1:42
	s_waitcnt vmcnt(18) lgkmcnt(1)
	v_fma_f64 v[57:58], v[85:86], v[57:58], v[77:78]
	s_waitcnt vmcnt(17)
	v_fma_f64 v[57:58], v[83:84], v[59:60], v[57:58]
	buffer_load_dword v78, off, s[0:3], 0 offset:180
	buffer_load_dword v79, off, s[0:3], 0 offset:200
	;; [unrolled: 1-line block ×8, first 2 shown]
	s_waitcnt vmcnt(24) lgkmcnt(0)
	v_fma_f64 v[57:58], v[81:82], v[61:62], v[57:58]
	s_waitcnt vmcnt(19)
	v_fma_f64 v[65:66], v[65:66], v[63:64], v[57:58]
	ds_read2_b64 v[57:60], v56 offset0:43 offset1:44
	ds_read2_b64 v[61:64], v56 offset0:45 offset1:46
	s_waitcnt vmcnt(18) lgkmcnt(1)
	v_fma_f64 v[57:58], v[89:90], v[57:58], v[65:66]
	buffer_load_dword v66, off, s[0:3], 0 offset:212
	buffer_load_dword v65, off, s[0:3], 0 offset:208
	;; [unrolled: 1-line block ×4, first 2 shown]
	s_waitcnt vmcnt(21)
	v_fma_f64 v[57:58], v[87:88], v[59:60], v[57:58]
	s_waitcnt vmcnt(20) lgkmcnt(0)
	v_fma_f64 v[57:58], v[67:68], v[61:62], v[57:58]
	s_waitcnt vmcnt(15)
	v_fma_f64 v[67:68], v[69:70], v[63:64], v[57:58]
	ds_read2_b64 v[57:60], v56 offset0:47 offset1:48
	ds_read2_b64 v[61:64], v56 offset0:49 offset1:50
	s_waitcnt vmcnt(14) lgkmcnt(1)
	v_fma_f64 v[57:58], v[75:76], v[57:58], v[67:68]
	s_waitcnt vmcnt(13)
	v_fma_f64 v[57:58], v[73:74], v[59:60], v[57:58]
	s_waitcnt vmcnt(12) lgkmcnt(0)
	v_fma_f64 v[57:58], v[71:72], v[61:62], v[57:58]
	s_waitcnt vmcnt(7)
	v_fma_f64 v[67:68], v[77:78], v[63:64], v[57:58]
	ds_read2_b64 v[57:60], v56 offset0:51 offset1:52
	ds_read2_b64 v[61:64], v56 offset0:53 offset1:54
	s_waitcnt vmcnt(6) lgkmcnt(1)
	v_fma_f64 v[56:57], v[85:86], v[57:58], v[67:68]
	s_waitcnt vmcnt(5)
	v_fma_f64 v[56:57], v[83:84], v[59:60], v[56:57]
	s_waitcnt vmcnt(4) lgkmcnt(0)
	v_fma_f64 v[56:57], v[79:80], v[61:62], v[56:57]
	s_waitcnt vmcnt(2)
	v_fma_f64 v[56:57], v[65:66], v[63:64], v[56:57]
	s_waitcnt vmcnt(0)
	v_add_f64 v[56:57], v[81:82], -v[56:57]
	buffer_store_dword v57, off, s[0:3], 0 offset:20
	buffer_store_dword v56, off, s[0:3], 0 offset:16
	s_and_saveexec_b64 s[4:5], vcc
	s_cbranch_execz .LBB26_167
; %bb.166:
	buffer_load_dword v56, off, s[0:3], 0 offset:8
	buffer_load_dword v57, off, s[0:3], 0 offset:12
	v_mov_b32_e32 v58, 0
	buffer_store_dword v58, off, s[0:3], 0 offset:8
	buffer_store_dword v58, off, s[0:3], 0 offset:12
	s_waitcnt vmcnt(2)
	ds_write_b64 v55, v[56:57]
.LBB26_167:
	s_or_b64 exec, exec, s[4:5]
	s_waitcnt lgkmcnt(0)
	; wave barrier
	buffer_load_dword v65, off, s[0:3], 0 offset:16
	buffer_load_dword v66, off, s[0:3], 0 offset:20
	;; [unrolled: 1-line block ×21, first 2 shown]
	v_mov_b32_e32 v56, 0
	ds_read_b128 v[57:60], v56 offset:240
	ds_read_b128 v[61:64], v56 offset:256
	buffer_load_dword v82, off, s[0:3], 0 offset:100
	v_cmp_ne_u32_e32 vcc, 0, v0
	s_waitcnt vmcnt(20) lgkmcnt(1)
	v_fma_f64 v[57:58], v[65:66], v[57:58], 0
	s_waitcnt vmcnt(18)
	v_fma_f64 v[57:58], v[67:68], v[59:60], v[57:58]
	buffer_load_dword v66, off, s[0:3], 0 offset:108
	buffer_load_dword v67, off, s[0:3], 0 offset:128
	buffer_load_dword v87, off, s[0:3], 0 offset:120
	buffer_load_dword v89, off, s[0:3], 0 offset:112
	buffer_load_dword v65, off, s[0:3], 0 offset:104
	buffer_load_dword v90, off, s[0:3], 0 offset:116
	buffer_load_dword v88, off, s[0:3], 0 offset:124
	s_waitcnt vmcnt(23) lgkmcnt(0)
	v_fma_f64 v[57:58], v[69:70], v[61:62], v[57:58]
	s_waitcnt vmcnt(21)
	v_fma_f64 v[68:69], v[71:72], v[63:64], v[57:58]
	ds_read_b128 v[57:60], v56 offset:272
	ds_read_b128 v[61:64], v56 offset:288
	s_waitcnt vmcnt(19) lgkmcnt(1)
	v_fma_f64 v[57:58], v[73:74], v[57:58], v[68:69]
	buffer_load_dword v68, off, s[0:3], 0 offset:132
	s_waitcnt vmcnt(18)
	v_fma_f64 v[57:58], v[75:76], v[59:60], v[57:58]
	buffer_load_dword v70, off, s[0:3], 0 offset:140
	buffer_load_dword v71, off, s[0:3], 0 offset:160
	;; [unrolled: 1-line block ×8, first 2 shown]
	s_waitcnt vmcnt(24) lgkmcnt(0)
	v_fma_f64 v[57:58], v[77:78], v[61:62], v[57:58]
	s_waitcnt vmcnt(19)
	v_fma_f64 v[77:78], v[79:80], v[63:64], v[57:58]
	ds_read_b128 v[57:60], v56 offset:304
	ds_read_b128 v[61:64], v56 offset:320
	s_waitcnt vmcnt(18) lgkmcnt(1)
	v_fma_f64 v[57:58], v[85:86], v[57:58], v[77:78]
	s_waitcnt vmcnt(17)
	v_fma_f64 v[57:58], v[83:84], v[59:60], v[57:58]
	buffer_load_dword v78, off, s[0:3], 0 offset:172
	buffer_load_dword v79, off, s[0:3], 0 offset:192
	buffer_load_dword v83, off, s[0:3], 0 offset:184
	buffer_load_dword v85, off, s[0:3], 0 offset:176
	buffer_load_dword v77, off, s[0:3], 0 offset:168
	buffer_load_dword v86, off, s[0:3], 0 offset:180
	buffer_load_dword v84, off, s[0:3], 0 offset:188
	s_waitcnt vmcnt(23) lgkmcnt(0)
	v_fma_f64 v[57:58], v[81:82], v[61:62], v[57:58]
	s_waitcnt vmcnt(18)
	v_fma_f64 v[65:66], v[65:66], v[63:64], v[57:58]
	ds_read_b128 v[57:60], v56 offset:336
	ds_read_b128 v[61:64], v56 offset:352
	buffer_load_dword v80, off, s[0:3], 0 offset:196
	s_waitcnt vmcnt(18) lgkmcnt(1)
	v_fma_f64 v[57:58], v[89:90], v[57:58], v[65:66]
	buffer_load_dword v66, off, s[0:3], 0 offset:204
	buffer_load_dword v81, off, s[0:3], 0 offset:208
	;; [unrolled: 1-line block ×4, first 2 shown]
	s_waitcnt vmcnt(21)
	v_fma_f64 v[57:58], v[87:88], v[59:60], v[57:58]
	s_waitcnt vmcnt(20) lgkmcnt(0)
	v_fma_f64 v[57:58], v[67:68], v[61:62], v[57:58]
	buffer_load_dword v67, off, s[0:3], 0 offset:8
	buffer_load_dword v68, off, s[0:3], 0 offset:12
	s_waitcnt vmcnt(17)
	v_fma_f64 v[69:70], v[69:70], v[63:64], v[57:58]
	ds_read_b128 v[57:60], v56 offset:368
	ds_read_b128 v[61:64], v56 offset:384
	s_waitcnt vmcnt(16) lgkmcnt(1)
	v_fma_f64 v[57:58], v[75:76], v[57:58], v[69:70]
	s_waitcnt vmcnt(15)
	v_fma_f64 v[57:58], v[73:74], v[59:60], v[57:58]
	s_waitcnt vmcnt(14) lgkmcnt(0)
	v_fma_f64 v[57:58], v[71:72], v[61:62], v[57:58]
	s_waitcnt vmcnt(9)
	v_fma_f64 v[69:70], v[77:78], v[63:64], v[57:58]
	ds_read_b128 v[57:60], v56 offset:400
	ds_read_b128 v[61:64], v56 offset:416
	s_waitcnt vmcnt(8) lgkmcnt(1)
	v_fma_f64 v[57:58], v[85:86], v[57:58], v[69:70]
	s_waitcnt vmcnt(7)
	v_fma_f64 v[57:58], v[83:84], v[59:60], v[57:58]
	ds_read_b64 v[59:60], v56 offset:432
	s_waitcnt vmcnt(6) lgkmcnt(1)
	v_fma_f64 v[57:58], v[79:80], v[61:62], v[57:58]
	s_waitcnt vmcnt(3)
	v_fma_f64 v[57:58], v[65:66], v[63:64], v[57:58]
	s_waitcnt vmcnt(2) lgkmcnt(0)
	v_fma_f64 v[57:58], v[81:82], v[59:60], v[57:58]
	s_waitcnt vmcnt(0)
	v_add_f64 v[57:58], v[67:68], -v[57:58]
	buffer_store_dword v58, off, s[0:3], 0 offset:12
	buffer_store_dword v57, off, s[0:3], 0 offset:8
	s_and_saveexec_b64 s[4:5], vcc
	s_cbranch_execz .LBB26_169
; %bb.168:
	buffer_load_dword v57, off, s[0:3], 0
	buffer_load_dword v58, off, s[0:3], 0 offset:4
	s_waitcnt vmcnt(0)
	ds_write_b64 v55, v[57:58]
	buffer_store_dword v56, off, s[0:3], 0
	buffer_store_dword v56, off, s[0:3], 0 offset:4
.LBB26_169:
	s_or_b64 exec, exec, s[4:5]
	s_waitcnt lgkmcnt(0)
	; wave barrier
	buffer_load_dword v65, off, s[0:3], 0 offset:8
	buffer_load_dword v66, off, s[0:3], 0 offset:12
	;; [unrolled: 1-line block ×22, first 2 shown]
	ds_read2_b64 v[57:60], v56 offset0:29 offset1:30
	ds_read2_b64 v[61:64], v56 offset0:31 offset1:32
	s_and_b64 vcc, exec, s[22:23]
	s_waitcnt vmcnt(20) lgkmcnt(1)
	v_fma_f64 v[57:58], v[65:66], v[57:58], 0
	s_waitcnt vmcnt(18)
	v_fma_f64 v[57:58], v[67:68], v[59:60], v[57:58]
	buffer_load_dword v66, off, s[0:3], 0 offset:100
	buffer_load_dword v67, off, s[0:3], 0 offset:120
	;; [unrolled: 1-line block ×7, first 2 shown]
	s_waitcnt vmcnt(23) lgkmcnt(0)
	v_fma_f64 v[57:58], v[69:70], v[61:62], v[57:58]
	s_waitcnt vmcnt(21)
	v_fma_f64 v[68:69], v[71:72], v[63:64], v[57:58]
	ds_read2_b64 v[57:60], v56 offset0:33 offset1:34
	ds_read2_b64 v[61:64], v56 offset0:35 offset1:36
	s_waitcnt vmcnt(19) lgkmcnt(1)
	v_fma_f64 v[57:58], v[73:74], v[57:58], v[68:69]
	buffer_load_dword v68, off, s[0:3], 0 offset:124
	s_waitcnt vmcnt(18)
	v_fma_f64 v[57:58], v[75:76], v[59:60], v[57:58]
	buffer_load_dword v70, off, s[0:3], 0 offset:132
	buffer_load_dword v71, off, s[0:3], 0 offset:152
	;; [unrolled: 1-line block ×8, first 2 shown]
	s_waitcnt vmcnt(24) lgkmcnt(0)
	v_fma_f64 v[57:58], v[77:78], v[61:62], v[57:58]
	s_waitcnt vmcnt(19)
	v_fma_f64 v[77:78], v[79:80], v[63:64], v[57:58]
	ds_read2_b64 v[57:60], v56 offset0:37 offset1:38
	ds_read2_b64 v[61:64], v56 offset0:39 offset1:40
	s_waitcnt vmcnt(18) lgkmcnt(1)
	v_fma_f64 v[57:58], v[85:86], v[57:58], v[77:78]
	s_waitcnt vmcnt(17)
	v_fma_f64 v[57:58], v[83:84], v[59:60], v[57:58]
	buffer_load_dword v78, off, s[0:3], 0 offset:164
	buffer_load_dword v79, off, s[0:3], 0 offset:184
	;; [unrolled: 1-line block ×8, first 2 shown]
	s_waitcnt vmcnt(24) lgkmcnt(0)
	v_fma_f64 v[57:58], v[81:82], v[61:62], v[57:58]
	s_waitcnt vmcnt(19)
	v_fma_f64 v[65:66], v[65:66], v[63:64], v[57:58]
	ds_read2_b64 v[57:60], v56 offset0:41 offset1:42
	ds_read2_b64 v[61:64], v56 offset0:43 offset1:44
	s_waitcnt vmcnt(18) lgkmcnt(1)
	v_fma_f64 v[57:58], v[89:90], v[57:58], v[65:66]
	s_waitcnt vmcnt(17)
	v_fma_f64 v[58:59], v[87:88], v[59:60], v[57:58]
	buffer_load_dword v82, off, s[0:3], 0 offset:196
	buffer_load_dword v87, off, s[0:3], 0 offset:208
	;; [unrolled: 1-line block ×4, first 2 shown]
	s_waitcnt vmcnt(20) lgkmcnt(0)
	v_fma_f64 v[59:60], v[67:68], v[61:62], v[58:59]
	buffer_load_dword v58, off, s[0:3], 0 offset:204
	buffer_load_dword v88, off, s[0:3], 0 offset:212
	s_waitcnt vmcnt(17)
	v_fma_f64 v[67:68], v[69:70], v[63:64], v[59:60]
	ds_read2_b64 v[59:62], v56 offset0:45 offset1:46
	buffer_load_dword v69, off, s[0:3], 0
	buffer_load_dword v70, off, s[0:3], 0 offset:4
	ds_read2_b64 v[63:66], v56 offset0:47 offset1:48
	s_waitcnt vmcnt(18) lgkmcnt(1)
	v_fma_f64 v[59:60], v[75:76], v[59:60], v[67:68]
	s_waitcnt vmcnt(17)
	v_fma_f64 v[59:60], v[73:74], v[61:62], v[59:60]
	s_waitcnt vmcnt(16) lgkmcnt(0)
	v_fma_f64 v[59:60], v[71:72], v[63:64], v[59:60]
	s_waitcnt vmcnt(11)
	v_fma_f64 v[67:68], v[77:78], v[65:66], v[59:60]
	ds_read2_b64 v[59:62], v56 offset0:49 offset1:50
	ds_read2_b64 v[63:66], v56 offset0:51 offset1:52
	s_waitcnt vmcnt(10) lgkmcnt(1)
	v_fma_f64 v[59:60], v[85:86], v[59:60], v[67:68]
	s_waitcnt vmcnt(9)
	v_fma_f64 v[59:60], v[83:84], v[61:62], v[59:60]
	s_waitcnt vmcnt(8) lgkmcnt(0)
	v_fma_f64 v[59:60], v[79:80], v[63:64], v[59:60]
	s_waitcnt vmcnt(4)
	v_fma_f64 v[63:64], v[81:82], v[65:66], v[59:60]
	ds_read2_b64 v[59:62], v56 offset0:53 offset1:54
	s_waitcnt vmcnt(3) lgkmcnt(0)
	v_fma_f64 v[55:56], v[57:58], v[59:60], v[63:64]
	s_waitcnt vmcnt(2)
	v_fma_f64 v[55:56], v[87:88], v[61:62], v[55:56]
	s_waitcnt vmcnt(0)
	v_add_f64 v[55:56], v[69:70], -v[55:56]
	buffer_store_dword v56, off, s[0:3], 0 offset:4
	buffer_store_dword v55, off, s[0:3], 0
	s_cbranch_vccz .LBB26_222
; %bb.170:
	v_mov_b32_e32 v0, 0
	global_load_dword v55, v0, s[20:21] offset:100
	s_waitcnt vmcnt(0)
	v_add_u32_e32 v55, -1, v55
	v_cmp_ne_u32_e32 vcc, 25, v55
	s_cbranch_vccz .LBB26_172
; %bb.171:
	v_lshlrev_b32_e32 v55, 3, v55
	buffer_load_dword v56, v55, s[0:3], 0 offen
	buffer_load_dword v59, v55, s[0:3], 0 offen offset:4
	s_waitcnt vmcnt(1)
	buffer_store_dword v56, off, s[0:3], 0 offset:200
	s_waitcnt vmcnt(1)
	buffer_store_dword v59, off, s[0:3], 0 offset:204
	buffer_store_dword v57, v55, s[0:3], 0 offen
	buffer_store_dword v58, v55, s[0:3], 0 offen offset:4
.LBB26_172:
	global_load_dword v0, v0, s[20:21] offset:96
	s_waitcnt vmcnt(0)
	v_add_u32_e32 v0, -1, v0
	v_cmp_eq_u32_e32 vcc, 24, v0
	s_cbranch_vccnz .LBB26_174
; %bb.173:
	v_lshlrev_b32_e32 v0, 3, v0
	buffer_load_dword v55, v0, s[0:3], 0 offen
	buffer_load_dword v56, v0, s[0:3], 0 offen offset:4
	buffer_load_dword v57, off, s[0:3], 0 offset:196
	buffer_load_dword v58, off, s[0:3], 0 offset:192
	s_waitcnt vmcnt(3)
	buffer_store_dword v55, off, s[0:3], 0 offset:192
	s_waitcnt vmcnt(3)
	buffer_store_dword v56, off, s[0:3], 0 offset:196
	s_waitcnt vmcnt(3)
	buffer_store_dword v57, v0, s[0:3], 0 offen offset:4
	s_waitcnt vmcnt(3)
	buffer_store_dword v58, v0, s[0:3], 0 offen
.LBB26_174:
	v_mov_b32_e32 v0, 0
	global_load_dword v55, v0, s[20:21] offset:92
	s_waitcnt vmcnt(0)
	v_add_u32_e32 v55, -1, v55
	v_cmp_eq_u32_e32 vcc, 23, v55
	s_cbranch_vccnz .LBB26_176
; %bb.175:
	v_lshlrev_b32_e32 v55, 3, v55
	buffer_load_dword v56, v55, s[0:3], 0 offen
	buffer_load_dword v57, v55, s[0:3], 0 offen offset:4
	buffer_load_dword v58, off, s[0:3], 0 offset:184
	buffer_load_dword v59, off, s[0:3], 0 offset:188
	s_waitcnt vmcnt(3)
	buffer_store_dword v56, off, s[0:3], 0 offset:184
	s_waitcnt vmcnt(3)
	buffer_store_dword v57, off, s[0:3], 0 offset:188
	s_waitcnt vmcnt(3)
	buffer_store_dword v58, v55, s[0:3], 0 offen
	s_waitcnt vmcnt(3)
	buffer_store_dword v59, v55, s[0:3], 0 offen offset:4
.LBB26_176:
	global_load_dword v0, v0, s[20:21] offset:88
	s_waitcnt vmcnt(0)
	v_add_u32_e32 v0, -1, v0
	v_cmp_eq_u32_e32 vcc, 22, v0
	s_cbranch_vccnz .LBB26_178
; %bb.177:
	v_lshlrev_b32_e32 v0, 3, v0
	buffer_load_dword v55, v0, s[0:3], 0 offen
	buffer_load_dword v56, v0, s[0:3], 0 offen offset:4
	buffer_load_dword v57, off, s[0:3], 0 offset:180
	buffer_load_dword v58, off, s[0:3], 0 offset:176
	s_waitcnt vmcnt(3)
	buffer_store_dword v55, off, s[0:3], 0 offset:176
	s_waitcnt vmcnt(3)
	buffer_store_dword v56, off, s[0:3], 0 offset:180
	s_waitcnt vmcnt(3)
	buffer_store_dword v57, v0, s[0:3], 0 offen offset:4
	s_waitcnt vmcnt(3)
	buffer_store_dword v58, v0, s[0:3], 0 offen
.LBB26_178:
	v_mov_b32_e32 v0, 0
	global_load_dword v55, v0, s[20:21] offset:84
	s_waitcnt vmcnt(0)
	v_add_u32_e32 v55, -1, v55
	v_cmp_eq_u32_e32 vcc, 21, v55
	s_cbranch_vccnz .LBB26_180
; %bb.179:
	v_lshlrev_b32_e32 v55, 3, v55
	buffer_load_dword v56, v55, s[0:3], 0 offen
	buffer_load_dword v57, v55, s[0:3], 0 offen offset:4
	buffer_load_dword v58, off, s[0:3], 0 offset:168
	buffer_load_dword v59, off, s[0:3], 0 offset:172
	s_waitcnt vmcnt(3)
	buffer_store_dword v56, off, s[0:3], 0 offset:168
	s_waitcnt vmcnt(3)
	buffer_store_dword v57, off, s[0:3], 0 offset:172
	s_waitcnt vmcnt(3)
	buffer_store_dword v58, v55, s[0:3], 0 offen
	s_waitcnt vmcnt(3)
	buffer_store_dword v59, v55, s[0:3], 0 offen offset:4
.LBB26_180:
	;; [unrolled: 41-line block ×12, first 2 shown]
	global_load_dword v0, v0, s[20:21]
	s_nop 0
	buffer_load_dword v55, off, s[0:3], 0
	buffer_load_dword v56, off, s[0:3], 0 offset:4
	s_waitcnt vmcnt(2)
	v_add_u32_e32 v0, -1, v0
	v_cmp_eq_u32_e32 vcc, 0, v0
	s_cbranch_vccnz .LBB26_222
; %bb.221:
	v_lshlrev_b32_e32 v0, 3, v0
	buffer_load_dword v57, v0, s[0:3], 0 offen offset:4
	buffer_load_dword v58, v0, s[0:3], 0 offen
	s_waitcnt vmcnt(1)
	buffer_store_dword v57, off, s[0:3], 0 offset:4
	s_waitcnt vmcnt(1)
	buffer_store_dword v58, off, s[0:3], 0
	buffer_store_dword v56, v0, s[0:3], 0 offen offset:4
	buffer_store_dword v55, v0, s[0:3], 0 offen
	buffer_load_dword v55, off, s[0:3], 0
	s_nop 0
	buffer_load_dword v56, off, s[0:3], 0 offset:4
.LBB26_222:
	buffer_load_dword v57, off, s[0:3], 0 offset:8
	buffer_load_dword v58, off, s[0:3], 0 offset:12
	;; [unrolled: 1-line block ×52, first 2 shown]
	s_waitcnt vmcnt(52)
	global_store_dwordx2 v[45:46], v[55:56], off
	s_waitcnt vmcnt(51)
	global_store_dwordx2 v[47:48], v[57:58], off
	;; [unrolled: 2-line block ×27, first 2 shown]
	s_endpgm
	.section	.rodata,"a",@progbits
	.p2align	6, 0x0
	.amdhsa_kernel _ZN9rocsolver6v33100L18getri_kernel_smallILi27EdPdEEvT1_iilPiilS4_bb
		.amdhsa_group_segment_fixed_size 440
		.amdhsa_private_segment_fixed_size 224
		.amdhsa_kernarg_size 60
		.amdhsa_user_sgpr_count 6
		.amdhsa_user_sgpr_private_segment_buffer 1
		.amdhsa_user_sgpr_dispatch_ptr 0
		.amdhsa_user_sgpr_queue_ptr 0
		.amdhsa_user_sgpr_kernarg_segment_ptr 1
		.amdhsa_user_sgpr_dispatch_id 0
		.amdhsa_user_sgpr_flat_scratch_init 0
		.amdhsa_user_sgpr_private_segment_size 0
		.amdhsa_uses_dynamic_stack 0
		.amdhsa_system_sgpr_private_segment_wavefront_offset 1
		.amdhsa_system_sgpr_workgroup_id_x 1
		.amdhsa_system_sgpr_workgroup_id_y 0
		.amdhsa_system_sgpr_workgroup_id_z 0
		.amdhsa_system_sgpr_workgroup_info 0
		.amdhsa_system_vgpr_workitem_id 0
		.amdhsa_next_free_vgpr 110
		.amdhsa_next_free_sgpr 24
		.amdhsa_reserve_vcc 1
		.amdhsa_reserve_flat_scratch 0
		.amdhsa_float_round_mode_32 0
		.amdhsa_float_round_mode_16_64 0
		.amdhsa_float_denorm_mode_32 3
		.amdhsa_float_denorm_mode_16_64 3
		.amdhsa_dx10_clamp 1
		.amdhsa_ieee_mode 1
		.amdhsa_fp16_overflow 0
		.amdhsa_exception_fp_ieee_invalid_op 0
		.amdhsa_exception_fp_denorm_src 0
		.amdhsa_exception_fp_ieee_div_zero 0
		.amdhsa_exception_fp_ieee_overflow 0
		.amdhsa_exception_fp_ieee_underflow 0
		.amdhsa_exception_fp_ieee_inexact 0
		.amdhsa_exception_int_div_zero 0
	.end_amdhsa_kernel
	.section	.text._ZN9rocsolver6v33100L18getri_kernel_smallILi27EdPdEEvT1_iilPiilS4_bb,"axG",@progbits,_ZN9rocsolver6v33100L18getri_kernel_smallILi27EdPdEEvT1_iilPiilS4_bb,comdat
.Lfunc_end26:
	.size	_ZN9rocsolver6v33100L18getri_kernel_smallILi27EdPdEEvT1_iilPiilS4_bb, .Lfunc_end26-_ZN9rocsolver6v33100L18getri_kernel_smallILi27EdPdEEvT1_iilPiilS4_bb
                                        ; -- End function
	.set _ZN9rocsolver6v33100L18getri_kernel_smallILi27EdPdEEvT1_iilPiilS4_bb.num_vgpr, 110
	.set _ZN9rocsolver6v33100L18getri_kernel_smallILi27EdPdEEvT1_iilPiilS4_bb.num_agpr, 0
	.set _ZN9rocsolver6v33100L18getri_kernel_smallILi27EdPdEEvT1_iilPiilS4_bb.numbered_sgpr, 24
	.set _ZN9rocsolver6v33100L18getri_kernel_smallILi27EdPdEEvT1_iilPiilS4_bb.num_named_barrier, 0
	.set _ZN9rocsolver6v33100L18getri_kernel_smallILi27EdPdEEvT1_iilPiilS4_bb.private_seg_size, 224
	.set _ZN9rocsolver6v33100L18getri_kernel_smallILi27EdPdEEvT1_iilPiilS4_bb.uses_vcc, 1
	.set _ZN9rocsolver6v33100L18getri_kernel_smallILi27EdPdEEvT1_iilPiilS4_bb.uses_flat_scratch, 0
	.set _ZN9rocsolver6v33100L18getri_kernel_smallILi27EdPdEEvT1_iilPiilS4_bb.has_dyn_sized_stack, 0
	.set _ZN9rocsolver6v33100L18getri_kernel_smallILi27EdPdEEvT1_iilPiilS4_bb.has_recursion, 0
	.set _ZN9rocsolver6v33100L18getri_kernel_smallILi27EdPdEEvT1_iilPiilS4_bb.has_indirect_call, 0
	.section	.AMDGPU.csdata,"",@progbits
; Kernel info:
; codeLenInByte = 24660
; TotalNumSgprs: 28
; NumVgprs: 110
; ScratchSize: 224
; MemoryBound: 0
; FloatMode: 240
; IeeeMode: 1
; LDSByteSize: 440 bytes/workgroup (compile time only)
; SGPRBlocks: 3
; VGPRBlocks: 27
; NumSGPRsForWavesPerEU: 28
; NumVGPRsForWavesPerEU: 110
; Occupancy: 2
; WaveLimiterHint : 1
; COMPUTE_PGM_RSRC2:SCRATCH_EN: 1
; COMPUTE_PGM_RSRC2:USER_SGPR: 6
; COMPUTE_PGM_RSRC2:TRAP_HANDLER: 0
; COMPUTE_PGM_RSRC2:TGID_X_EN: 1
; COMPUTE_PGM_RSRC2:TGID_Y_EN: 0
; COMPUTE_PGM_RSRC2:TGID_Z_EN: 0
; COMPUTE_PGM_RSRC2:TIDIG_COMP_CNT: 0
	.section	.text._ZN9rocsolver6v33100L18getri_kernel_smallILi28EdPdEEvT1_iilPiilS4_bb,"axG",@progbits,_ZN9rocsolver6v33100L18getri_kernel_smallILi28EdPdEEvT1_iilPiilS4_bb,comdat
	.globl	_ZN9rocsolver6v33100L18getri_kernel_smallILi28EdPdEEvT1_iilPiilS4_bb ; -- Begin function _ZN9rocsolver6v33100L18getri_kernel_smallILi28EdPdEEvT1_iilPiilS4_bb
	.p2align	8
	.type	_ZN9rocsolver6v33100L18getri_kernel_smallILi28EdPdEEvT1_iilPiilS4_bb,@function
_ZN9rocsolver6v33100L18getri_kernel_smallILi28EdPdEEvT1_iilPiilS4_bb: ; @_ZN9rocsolver6v33100L18getri_kernel_smallILi28EdPdEEvT1_iilPiilS4_bb
; %bb.0:
	s_add_u32 s0, s0, s7
	s_addc_u32 s1, s1, 0
	v_cmp_gt_u32_e32 vcc, 28, v0
	s_and_saveexec_b64 s[8:9], vcc
	s_cbranch_execz .LBB27_120
; %bb.1:
	s_load_dword s12, s[4:5], 0x38
	s_load_dwordx4 s[16:19], s[4:5], 0x10
	s_load_dwordx4 s[8:11], s[4:5], 0x28
                                        ; implicit-def: $sgpr20_sgpr21
	s_waitcnt lgkmcnt(0)
	s_bitcmp1_b32 s12, 8
	s_cselect_b64 s[22:23], -1, 0
	s_ashr_i32 s7, s6, 31
	s_bfe_u32 s12, s12, 0x10008
	s_cmp_eq_u32 s12, 0
	s_cbranch_scc1 .LBB27_3
; %bb.2:
	s_load_dword s12, s[4:5], 0x20
	s_mul_i32 s13, s8, s7
	s_mul_hi_u32 s14, s8, s6
	s_mul_i32 s9, s9, s6
	s_add_i32 s14, s14, s13
	s_add_i32 s9, s14, s9
	s_mul_i32 s8, s8, s6
	s_waitcnt lgkmcnt(0)
	s_ashr_i32 s13, s12, 31
	s_lshl_b64 s[8:9], s[8:9], 2
	s_add_u32 s14, s18, s8
	s_addc_u32 s15, s19, s9
	s_lshl_b64 s[8:9], s[12:13], 2
	s_add_u32 s20, s14, s8
	s_addc_u32 s21, s15, s9
.LBB27_3:
	s_load_dwordx4 s[12:15], s[4:5], 0x0
	s_load_dword s8, s[4:5], 0x38
	s_mul_i32 s9, s16, s7
	s_mul_hi_u32 s18, s16, s6
	s_add_i32 s9, s18, s9
	s_waitcnt lgkmcnt(0)
	s_ashr_i32 s5, s14, 31
	s_mov_b32 s4, s14
	s_mul_i32 s14, s17, s6
	s_add_i32 s17, s9, s14
	s_mul_i32 s16, s16, s6
	s_lshl_b64 s[16:17], s[16:17], 3
	s_add_u32 s9, s12, s16
	s_addc_u32 s12, s13, s17
	s_lshl_b64 s[4:5], s[4:5], 3
	s_add_u32 s4, s9, s4
	s_addc_u32 s5, s12, s5
	v_lshlrev_b32_e32 v75, 3, v0
	s_add_i32 s9, s15, s15
	v_mov_b32_e32 v2, s5
	v_add_co_u32_e32 v1, vcc, s4, v75
	s_ashr_i32 s13, s15, 31
	s_mov_b32 s12, s15
	v_add_u32_e32 v7, s9, v0
	v_addc_co_u32_e32 v2, vcc, 0, v2, vcc
	s_lshl_b64 s[12:13], s[12:13], 3
	v_ashrrev_i32_e32 v8, 31, v7
	v_mov_b32_e32 v4, s13
	v_add_co_u32_e32 v3, vcc, s12, v1
	v_lshlrev_b64 v[5:6], 3, v[7:8]
	v_addc_co_u32_e32 v4, vcc, v2, v4, vcc
	v_add_u32_e32 v9, s15, v7
	v_mov_b32_e32 v8, s5
	v_add_co_u32_e32 v5, vcc, s4, v5
	v_ashrrev_i32_e32 v10, 31, v9
	v_addc_co_u32_e32 v6, vcc, v8, v6, vcc
	v_lshlrev_b64 v[7:8], 3, v[9:10]
	v_add_u32_e32 v11, s15, v9
	v_mov_b32_e32 v10, s5
	v_add_co_u32_e32 v7, vcc, s4, v7
	v_ashrrev_i32_e32 v12, 31, v11
	v_addc_co_u32_e32 v8, vcc, v10, v8, vcc
	v_lshlrev_b64 v[9:10], 3, v[11:12]
	;; [unrolled: 6-line block ×24, first 2 shown]
	v_mov_b32_e32 v56, s5
	v_add_co_u32_e32 v53, vcc, s4, v53
	global_load_dwordx2 v[57:58], v75, s[4:5]
	global_load_dwordx2 v[65:66], v[3:4], off
	global_load_dwordx2 v[63:64], v[5:6], off
	;; [unrolled: 1-line block ×24, first 2 shown]
	v_addc_co_u32_e32 v54, vcc, v56, v54, vcc
	global_load_dwordx2 v[108:109], v[51:52], off
	global_load_dwordx2 v[110:111], v[53:54], off
	v_add_u32_e32 v55, s15, v55
	v_ashrrev_i32_e32 v56, 31, v55
	v_lshlrev_b64 v[55:56], 3, v[55:56]
	v_mov_b32_e32 v112, s5
	v_add_co_u32_e32 v55, vcc, s4, v55
	v_addc_co_u32_e32 v56, vcc, v112, v56, vcc
	global_load_dwordx2 v[112:113], v[55:56], off
	s_bitcmp0_b32 s8, 0
	s_mov_b64 s[8:9], -1
	s_waitcnt vmcnt(27)
	buffer_store_dword v58, off, s[0:3], 0 offset:4
	buffer_store_dword v57, off, s[0:3], 0
	s_waitcnt vmcnt(28)
	buffer_store_dword v66, off, s[0:3], 0 offset:12
	buffer_store_dword v65, off, s[0:3], 0 offset:8
	s_waitcnt vmcnt(29)
	buffer_store_dword v64, off, s[0:3], 0 offset:20
	buffer_store_dword v63, off, s[0:3], 0 offset:16
	;; [unrolled: 3-line block ×27, first 2 shown]
	s_cbranch_scc1 .LBB27_118
; %bb.4:
	v_cmp_eq_u32_e64 s[4:5], 0, v0
	s_and_saveexec_b64 s[8:9], s[4:5]
; %bb.5:
	v_mov_b32_e32 v57, 0
	ds_write_b32 v57, v57 offset:448
; %bb.6:
	s_or_b64 exec, exec, s[8:9]
	v_mov_b32_e32 v57, 0
	v_lshl_add_u32 v57, v0, 3, v57
	s_waitcnt lgkmcnt(0)
	; wave barrier
	buffer_load_dword v58, v57, s[0:3], 0 offen
	buffer_load_dword v59, v57, s[0:3], 0 offen offset:4
	s_waitcnt vmcnt(0)
	v_cmp_eq_f64_e32 vcc, 0, v[58:59]
	s_and_saveexec_b64 s[12:13], vcc
	s_cbranch_execz .LBB27_10
; %bb.7:
	v_mov_b32_e32 v58, 0
	ds_read_b32 v60, v58 offset:448
	v_add_u32_e32 v59, 1, v0
	s_waitcnt lgkmcnt(0)
	v_readfirstlane_b32 s8, v60
	s_cmp_eq_u32 s8, 0
	s_cselect_b64 s[14:15], -1, 0
	v_cmp_gt_i32_e32 vcc, s8, v59
	s_or_b64 s[14:15], s[14:15], vcc
	s_and_b64 exec, exec, s[14:15]
	s_cbranch_execz .LBB27_10
; %bb.8:
	s_mov_b64 s[14:15], 0
	v_mov_b32_e32 v60, s8
.LBB27_9:                               ; =>This Inner Loop Header: Depth=1
	ds_cmpst_rtn_b32 v60, v58, v60, v59 offset:448
	s_waitcnt lgkmcnt(0)
	v_cmp_ne_u32_e32 vcc, 0, v60
	v_cmp_le_i32_e64 s[8:9], v60, v59
	s_and_b64 s[8:9], vcc, s[8:9]
	s_and_b64 s[8:9], exec, s[8:9]
	s_or_b64 s[14:15], s[8:9], s[14:15]
	s_andn2_b64 exec, exec, s[14:15]
	s_cbranch_execnz .LBB27_9
.LBB27_10:
	s_or_b64 exec, exec, s[12:13]
	v_mov_b32_e32 v59, 0
	; wave barrier
	ds_read_b32 v58, v59 offset:448
	s_and_saveexec_b64 s[8:9], s[4:5]
	s_cbranch_execz .LBB27_12
; %bb.11:
	s_lshl_b64 s[12:13], s[6:7], 2
	s_add_u32 s12, s10, s12
	s_addc_u32 s13, s11, s13
	s_waitcnt lgkmcnt(0)
	global_store_dword v59, v58, s[12:13]
.LBB27_12:
	s_or_b64 exec, exec, s[8:9]
	s_waitcnt lgkmcnt(0)
	v_cmp_ne_u32_e32 vcc, 0, v58
	s_mov_b64 s[8:9], 0
	s_cbranch_vccnz .LBB27_118
; %bb.13:
	buffer_load_dword v58, v57, s[0:3], 0 offen
	buffer_load_dword v59, v57, s[0:3], 0 offen offset:4
	s_waitcnt vmcnt(0)
	v_div_scale_f64 v[60:61], s[8:9], v[58:59], v[58:59], 1.0
	v_rcp_f64_e32 v[62:63], v[60:61]
	v_fma_f64 v[64:65], -v[60:61], v[62:63], 1.0
	v_fma_f64 v[62:63], v[62:63], v[64:65], v[62:63]
	v_div_scale_f64 v[64:65], vcc, 1.0, v[58:59], 1.0
	v_fma_f64 v[66:67], -v[60:61], v[62:63], 1.0
	v_fma_f64 v[62:63], v[62:63], v[66:67], v[62:63]
	v_mul_f64 v[66:67], v[64:65], v[62:63]
	v_fma_f64 v[60:61], -v[60:61], v[66:67], v[64:65]
	v_div_fmas_f64 v[60:61], v[60:61], v[62:63], v[66:67]
	v_div_fixup_f64 v[60:61], v[60:61], v[58:59], 1.0
	v_add_u32_e32 v59, 0xe0, v75
	buffer_store_dword v61, v57, s[0:3], 0 offen offset:4
	buffer_store_dword v60, v57, s[0:3], 0 offen
	buffer_load_dword v63, off, s[0:3], 0 offset:12
	buffer_load_dword v62, off, s[0:3], 0 offset:8
	v_xor_b32_e32 v61, 0x80000000, v61
	s_waitcnt vmcnt(0)
	ds_write2_b64 v75, v[60:61], v[62:63] offset1:28
	s_waitcnt lgkmcnt(0)
	; wave barrier
	s_and_saveexec_b64 s[8:9], s[4:5]
	s_cbranch_execz .LBB27_15
; %bb.14:
	buffer_load_dword v60, v57, s[0:3], 0 offen
	buffer_load_dword v61, v57, s[0:3], 0 offen offset:4
	ds_read_b64 v[62:63], v59
	v_mov_b32_e32 v58, 0
	ds_read_b64 v[64:65], v58 offset:8
	s_waitcnt vmcnt(0) lgkmcnt(1)
	v_fma_f64 v[60:61], v[60:61], v[62:63], 0
	s_waitcnt lgkmcnt(0)
	v_mul_f64 v[60:61], v[60:61], v[64:65]
	buffer_store_dword v60, off, s[0:3], 0 offset:8
	buffer_store_dword v61, off, s[0:3], 0 offset:12
.LBB27_15:
	s_or_b64 exec, exec, s[8:9]
	; wave barrier
	buffer_load_dword v60, off, s[0:3], 0 offset:16
	buffer_load_dword v61, off, s[0:3], 0 offset:20
	v_cmp_gt_u32_e32 vcc, 2, v0
	s_waitcnt vmcnt(0)
	ds_write_b64 v59, v[60:61]
	s_waitcnt lgkmcnt(0)
	; wave barrier
	s_and_saveexec_b64 s[8:9], vcc
	s_cbranch_execz .LBB27_17
; %bb.16:
	buffer_load_dword v60, v57, s[0:3], 0 offen
	buffer_load_dword v61, v57, s[0:3], 0 offen offset:4
                                        ; kill: killed $vgpr57
	s_nop 0
	buffer_load_dword v57, off, s[0:3], 0 offset:8
	buffer_load_dword v58, off, s[0:3], 0 offset:12
	ds_read_b64 v[62:63], v59
	s_waitcnt vmcnt(2) lgkmcnt(0)
	v_fma_f64 v[64:65], v[60:61], v[62:63], 0
	v_mov_b32_e32 v60, 0
	ds_read2_b64 v[60:63], v60 offset0:2 offset1:29
	s_waitcnt vmcnt(0) lgkmcnt(0)
	v_fma_f64 v[57:58], v[57:58], v[62:63], v[64:65]
	v_cndmask_b32_e64 v58, v65, v58, s[4:5]
	v_cndmask_b32_e64 v57, v64, v57, s[4:5]
	v_mul_f64 v[57:58], v[57:58], v[60:61]
	buffer_store_dword v58, off, s[0:3], 0 offset:20
	buffer_store_dword v57, off, s[0:3], 0 offset:16
.LBB27_17:
	s_or_b64 exec, exec, s[8:9]
	; wave barrier
	buffer_load_dword v57, off, s[0:3], 0 offset:24
	buffer_load_dword v58, off, s[0:3], 0 offset:28
	v_cmp_gt_u32_e32 vcc, 3, v0
	v_add_u32_e32 v60, -1, v0
	s_waitcnt vmcnt(0)
	ds_write_b64 v59, v[57:58]
	s_waitcnt lgkmcnt(0)
	; wave barrier
	s_and_saveexec_b64 s[4:5], vcc
	s_cbranch_execz .LBB27_21
; %bb.18:
	v_mov_b32_e32 v57, 0
	v_add_u32_e32 v61, -1, v0
	v_add_u32_e32 v62, 0xe0, v75
	v_mov_b32_e32 v63, v75
	v_mov_b32_e32 v58, 0
	s_mov_b64 s[8:9], 0
.LBB27_19:                              ; =>This Inner Loop Header: Depth=1
	buffer_load_dword v64, v63, s[0:3], 0 offen
	buffer_load_dword v65, v63, s[0:3], 0 offen offset:4
	ds_read_b64 v[66:67], v62
	v_add_u32_e32 v61, 1, v61
	v_cmp_lt_u32_e32 vcc, 1, v61
	v_add_u32_e32 v62, 8, v62
	s_or_b64 s[8:9], vcc, s[8:9]
	v_add_u32_e32 v63, 8, v63
	s_waitcnt vmcnt(0) lgkmcnt(0)
	v_fma_f64 v[57:58], v[64:65], v[66:67], v[57:58]
	s_andn2_b64 exec, exec, s[8:9]
	s_cbranch_execnz .LBB27_19
; %bb.20:
	s_or_b64 exec, exec, s[8:9]
	v_mov_b32_e32 v61, 0
	ds_read_b64 v[61:62], v61 offset:24
	s_waitcnt lgkmcnt(0)
	v_mul_f64 v[57:58], v[57:58], v[61:62]
	buffer_store_dword v58, off, s[0:3], 0 offset:28
	buffer_store_dword v57, off, s[0:3], 0 offset:24
.LBB27_21:
	s_or_b64 exec, exec, s[4:5]
	; wave barrier
	buffer_load_dword v57, off, s[0:3], 0 offset:32
	buffer_load_dword v58, off, s[0:3], 0 offset:36
	v_cmp_gt_u32_e32 vcc, 4, v0
	s_waitcnt vmcnt(0)
	ds_write_b64 v59, v[57:58]
	s_waitcnt lgkmcnt(0)
	; wave barrier
	s_and_saveexec_b64 s[4:5], vcc
	s_cbranch_execz .LBB27_25
; %bb.22:
	v_mov_b32_e32 v57, 0
	v_add_u32_e32 v61, -1, v0
	v_add_u32_e32 v62, 0xe0, v75
	v_mov_b32_e32 v63, v75
	v_mov_b32_e32 v58, 0
	s_mov_b64 s[8:9], 0
.LBB27_23:                              ; =>This Inner Loop Header: Depth=1
	buffer_load_dword v64, v63, s[0:3], 0 offen
	buffer_load_dword v65, v63, s[0:3], 0 offen offset:4
	ds_read_b64 v[66:67], v62
	v_add_u32_e32 v61, 1, v61
	v_cmp_lt_u32_e32 vcc, 2, v61
	v_add_u32_e32 v62, 8, v62
	s_or_b64 s[8:9], vcc, s[8:9]
	v_add_u32_e32 v63, 8, v63
	s_waitcnt vmcnt(0) lgkmcnt(0)
	v_fma_f64 v[57:58], v[64:65], v[66:67], v[57:58]
	s_andn2_b64 exec, exec, s[8:9]
	s_cbranch_execnz .LBB27_23
; %bb.24:
	s_or_b64 exec, exec, s[8:9]
	v_mov_b32_e32 v61, 0
	ds_read_b64 v[61:62], v61 offset:32
	s_waitcnt lgkmcnt(0)
	v_mul_f64 v[57:58], v[57:58], v[61:62]
	buffer_store_dword v58, off, s[0:3], 0 offset:36
	buffer_store_dword v57, off, s[0:3], 0 offset:32
.LBB27_25:
	s_or_b64 exec, exec, s[4:5]
	; wave barrier
	buffer_load_dword v57, off, s[0:3], 0 offset:40
	buffer_load_dword v58, off, s[0:3], 0 offset:44
	v_cmp_gt_u32_e32 vcc, 5, v0
	;; [unrolled: 40-line block ×21, first 2 shown]
	s_waitcnt vmcnt(0)
	ds_write_b64 v59, v[57:58]
	s_waitcnt lgkmcnt(0)
	; wave barrier
	s_and_saveexec_b64 s[4:5], vcc
	s_cbranch_execz .LBB27_105
; %bb.102:
	v_mov_b32_e32 v57, 0
	v_add_u32_e32 v61, -1, v0
	v_add_u32_e32 v62, 0xe0, v75
	v_mov_b32_e32 v63, v75
	v_mov_b32_e32 v58, 0
	s_mov_b64 s[8:9], 0
.LBB27_103:                             ; =>This Inner Loop Header: Depth=1
	buffer_load_dword v64, v63, s[0:3], 0 offen
	buffer_load_dword v65, v63, s[0:3], 0 offen offset:4
	ds_read_b64 v[66:67], v62
	v_add_u32_e32 v61, 1, v61
	v_cmp_lt_u32_e32 vcc, 22, v61
	v_add_u32_e32 v62, 8, v62
	s_or_b64 s[8:9], vcc, s[8:9]
	v_add_u32_e32 v63, 8, v63
	s_waitcnt vmcnt(0) lgkmcnt(0)
	v_fma_f64 v[57:58], v[64:65], v[66:67], v[57:58]
	s_andn2_b64 exec, exec, s[8:9]
	s_cbranch_execnz .LBB27_103
; %bb.104:
	s_or_b64 exec, exec, s[8:9]
	v_mov_b32_e32 v61, 0
	ds_read_b64 v[61:62], v61 offset:192
	s_waitcnt lgkmcnt(0)
	v_mul_f64 v[57:58], v[57:58], v[61:62]
	buffer_store_dword v58, off, s[0:3], 0 offset:196
	buffer_store_dword v57, off, s[0:3], 0 offset:192
.LBB27_105:
	s_or_b64 exec, exec, s[4:5]
	; wave barrier
	buffer_load_dword v57, off, s[0:3], 0 offset:200
	buffer_load_dword v58, off, s[0:3], 0 offset:204
	v_cmp_gt_u32_e32 vcc, 25, v0
	s_waitcnt vmcnt(0)
	ds_write_b64 v59, v[57:58]
	s_waitcnt lgkmcnt(0)
	; wave barrier
	s_and_saveexec_b64 s[4:5], vcc
	s_cbranch_execz .LBB27_109
; %bb.106:
	v_mov_b32_e32 v57, 0
	v_add_u32_e32 v61, -1, v0
	v_add_u32_e32 v62, 0xe0, v75
	v_mov_b32_e32 v63, v75
	v_mov_b32_e32 v58, 0
	s_mov_b64 s[8:9], 0
.LBB27_107:                             ; =>This Inner Loop Header: Depth=1
	buffer_load_dword v64, v63, s[0:3], 0 offen
	buffer_load_dword v65, v63, s[0:3], 0 offen offset:4
	ds_read_b64 v[66:67], v62
	v_add_u32_e32 v61, 1, v61
	v_cmp_lt_u32_e32 vcc, 23, v61
	v_add_u32_e32 v62, 8, v62
	s_or_b64 s[8:9], vcc, s[8:9]
	v_add_u32_e32 v63, 8, v63
	s_waitcnt vmcnt(0) lgkmcnt(0)
	v_fma_f64 v[57:58], v[64:65], v[66:67], v[57:58]
	s_andn2_b64 exec, exec, s[8:9]
	s_cbranch_execnz .LBB27_107
; %bb.108:
	s_or_b64 exec, exec, s[8:9]
	v_mov_b32_e32 v61, 0
	ds_read_b64 v[61:62], v61 offset:200
	s_waitcnt lgkmcnt(0)
	v_mul_f64 v[57:58], v[57:58], v[61:62]
	buffer_store_dword v58, off, s[0:3], 0 offset:204
	buffer_store_dword v57, off, s[0:3], 0 offset:200
.LBB27_109:
	s_or_b64 exec, exec, s[4:5]
	; wave barrier
	buffer_load_dword v57, off, s[0:3], 0 offset:208
	buffer_load_dword v58, off, s[0:3], 0 offset:212
	v_cmp_gt_u32_e32 vcc, 26, v0
	s_waitcnt vmcnt(0)
	ds_write_b64 v59, v[57:58]
	s_waitcnt lgkmcnt(0)
	; wave barrier
	s_and_saveexec_b64 s[4:5], vcc
	s_cbranch_execz .LBB27_113
; %bb.110:
	v_mov_b32_e32 v57, 0
	v_add_u32_e32 v61, -1, v0
	v_add_u32_e32 v62, 0xe0, v75
	v_mov_b32_e32 v63, v75
	v_mov_b32_e32 v58, 0
	s_mov_b64 s[8:9], 0
.LBB27_111:                             ; =>This Inner Loop Header: Depth=1
	buffer_load_dword v64, v63, s[0:3], 0 offen
	buffer_load_dword v65, v63, s[0:3], 0 offen offset:4
	ds_read_b64 v[66:67], v62
	v_add_u32_e32 v61, 1, v61
	v_cmp_lt_u32_e32 vcc, 24, v61
	v_add_u32_e32 v62, 8, v62
	s_or_b64 s[8:9], vcc, s[8:9]
	v_add_u32_e32 v63, 8, v63
	s_waitcnt vmcnt(0) lgkmcnt(0)
	v_fma_f64 v[57:58], v[64:65], v[66:67], v[57:58]
	s_andn2_b64 exec, exec, s[8:9]
	s_cbranch_execnz .LBB27_111
; %bb.112:
	s_or_b64 exec, exec, s[8:9]
	v_mov_b32_e32 v61, 0
	ds_read_b64 v[61:62], v61 offset:208
	s_waitcnt lgkmcnt(0)
	v_mul_f64 v[57:58], v[57:58], v[61:62]
	buffer_store_dword v58, off, s[0:3], 0 offset:212
	buffer_store_dword v57, off, s[0:3], 0 offset:208
.LBB27_113:
	s_or_b64 exec, exec, s[4:5]
	; wave barrier
	buffer_load_dword v57, off, s[0:3], 0 offset:216
	buffer_load_dword v58, off, s[0:3], 0 offset:220
	v_cmp_ne_u32_e32 vcc, 27, v0
	s_waitcnt vmcnt(0)
	ds_write_b64 v59, v[57:58]
	s_waitcnt lgkmcnt(0)
	; wave barrier
	s_and_saveexec_b64 s[4:5], vcc
	s_cbranch_execz .LBB27_117
; %bb.114:
	v_mov_b32_e32 v57, 0
	v_add_u32_e32 v59, 0xe0, v75
	v_mov_b32_e32 v61, v75
	v_mov_b32_e32 v58, 0
	s_mov_b64 s[8:9], 0
.LBB27_115:                             ; =>This Inner Loop Header: Depth=1
	buffer_load_dword v62, v61, s[0:3], 0 offen
	buffer_load_dword v63, v61, s[0:3], 0 offen offset:4
	ds_read_b64 v[64:65], v59
	v_add_u32_e32 v60, 1, v60
	v_cmp_lt_u32_e32 vcc, 25, v60
	v_add_u32_e32 v59, 8, v59
	s_or_b64 s[8:9], vcc, s[8:9]
	v_add_u32_e32 v61, 8, v61
	s_waitcnt vmcnt(0) lgkmcnt(0)
	v_fma_f64 v[57:58], v[62:63], v[64:65], v[57:58]
	s_andn2_b64 exec, exec, s[8:9]
	s_cbranch_execnz .LBB27_115
; %bb.116:
	s_or_b64 exec, exec, s[8:9]
	v_mov_b32_e32 v59, 0
	ds_read_b64 v[59:60], v59 offset:216
	s_waitcnt lgkmcnt(0)
	v_mul_f64 v[57:58], v[57:58], v[59:60]
	buffer_store_dword v58, off, s[0:3], 0 offset:220
	buffer_store_dword v57, off, s[0:3], 0 offset:216
.LBB27_117:
	s_or_b64 exec, exec, s[4:5]
	s_mov_b64 s[8:9], -1
	; wave barrier
.LBB27_118:
	s_and_b64 vcc, exec, s[8:9]
	s_cbranch_vccz .LBB27_120
; %bb.119:
	s_lshl_b64 s[4:5], s[6:7], 2
	s_add_u32 s4, s10, s4
	s_addc_u32 s5, s11, s5
	v_mov_b32_e32 v57, 0
	global_load_dword v57, v57, s[4:5]
	s_waitcnt vmcnt(0)
	v_cmp_ne_u32_e32 vcc, 0, v57
	s_cbranch_vccz .LBB27_121
.LBB27_120:
	s_endpgm
.LBB27_121:
	v_mov_b32_e32 v57, 0xe0
	v_lshl_add_u32 v57, v0, 3, v57
	v_cmp_eq_u32_e32 vcc, 27, v0
	s_and_saveexec_b64 s[4:5], vcc
	s_cbranch_execz .LBB27_123
; %bb.122:
	buffer_load_dword v58, off, s[0:3], 0 offset:208
	buffer_load_dword v59, off, s[0:3], 0 offset:212
	v_mov_b32_e32 v60, 0
	buffer_store_dword v60, off, s[0:3], 0 offset:208
	buffer_store_dword v60, off, s[0:3], 0 offset:212
	s_waitcnt vmcnt(2)
	ds_write_b64 v57, v[58:59]
.LBB27_123:
	s_or_b64 exec, exec, s[4:5]
	s_waitcnt lgkmcnt(0)
	; wave barrier
	buffer_load_dword v59, off, s[0:3], 0 offset:216
	buffer_load_dword v60, off, s[0:3], 0 offset:220
	;; [unrolled: 1-line block ×4, first 2 shown]
	v_mov_b32_e32 v58, 0
	ds_read_b64 v[63:64], v58 offset:440
	v_cmp_lt_u32_e32 vcc, 25, v0
	s_waitcnt vmcnt(2) lgkmcnt(0)
	v_fma_f64 v[59:60], v[59:60], v[63:64], 0
	s_waitcnt vmcnt(0)
	v_add_f64 v[59:60], v[61:62], -v[59:60]
	buffer_store_dword v59, off, s[0:3], 0 offset:208
	buffer_store_dword v60, off, s[0:3], 0 offset:212
	s_and_saveexec_b64 s[4:5], vcc
	s_cbranch_execz .LBB27_125
; %bb.124:
	buffer_load_dword v59, off, s[0:3], 0 offset:200
	buffer_load_dword v60, off, s[0:3], 0 offset:204
	s_waitcnt vmcnt(0)
	ds_write_b64 v57, v[59:60]
	buffer_store_dword v58, off, s[0:3], 0 offset:200
	buffer_store_dword v58, off, s[0:3], 0 offset:204
.LBB27_125:
	s_or_b64 exec, exec, s[4:5]
	s_waitcnt lgkmcnt(0)
	; wave barrier
	buffer_load_dword v62, off, s[0:3], 0 offset:208
	buffer_load_dword v63, off, s[0:3], 0 offset:212
	buffer_load_dword v64, off, s[0:3], 0 offset:216
	buffer_load_dword v65, off, s[0:3], 0 offset:220
	buffer_load_dword v66, off, s[0:3], 0 offset:200
	buffer_load_dword v67, off, s[0:3], 0 offset:204
	ds_read_b128 v[58:61], v58 offset:432
	v_cmp_lt_u32_e32 vcc, 24, v0
	s_waitcnt vmcnt(4) lgkmcnt(0)
	v_fma_f64 v[58:59], v[62:63], v[58:59], 0
	s_waitcnt vmcnt(2)
	v_fma_f64 v[58:59], v[64:65], v[60:61], v[58:59]
	s_waitcnt vmcnt(0)
	v_add_f64 v[58:59], v[66:67], -v[58:59]
	buffer_store_dword v58, off, s[0:3], 0 offset:200
	buffer_store_dword v59, off, s[0:3], 0 offset:204
	s_and_saveexec_b64 s[4:5], vcc
	s_cbranch_execz .LBB27_127
; %bb.126:
	buffer_load_dword v58, off, s[0:3], 0 offset:192
	buffer_load_dword v59, off, s[0:3], 0 offset:196
	v_mov_b32_e32 v60, 0
	buffer_store_dword v60, off, s[0:3], 0 offset:192
	buffer_store_dword v60, off, s[0:3], 0 offset:196
	s_waitcnt vmcnt(2)
	ds_write_b64 v57, v[58:59]
.LBB27_127:
	s_or_b64 exec, exec, s[4:5]
	s_waitcnt lgkmcnt(0)
	; wave barrier
	buffer_load_dword v63, off, s[0:3], 0 offset:200
	buffer_load_dword v64, off, s[0:3], 0 offset:204
	;; [unrolled: 1-line block ×8, first 2 shown]
	v_mov_b32_e32 v58, 0
	ds_read2_b64 v[59:62], v58 offset0:53 offset1:54
	ds_read_b64 v[71:72], v58 offset:440
	v_cmp_lt_u32_e32 vcc, 23, v0
	s_waitcnt vmcnt(6) lgkmcnt(1)
	v_fma_f64 v[59:60], v[63:64], v[59:60], 0
	s_waitcnt vmcnt(4)
	v_fma_f64 v[59:60], v[65:66], v[61:62], v[59:60]
	s_waitcnt vmcnt(2) lgkmcnt(0)
	v_fma_f64 v[59:60], v[67:68], v[71:72], v[59:60]
	s_waitcnt vmcnt(0)
	v_add_f64 v[59:60], v[69:70], -v[59:60]
	buffer_store_dword v59, off, s[0:3], 0 offset:192
	buffer_store_dword v60, off, s[0:3], 0 offset:196
	s_and_saveexec_b64 s[4:5], vcc
	s_cbranch_execz .LBB27_129
; %bb.128:
	buffer_load_dword v59, off, s[0:3], 0 offset:184
	buffer_load_dword v60, off, s[0:3], 0 offset:188
	s_waitcnt vmcnt(0)
	ds_write_b64 v57, v[59:60]
	buffer_store_dword v58, off, s[0:3], 0 offset:184
	buffer_store_dword v58, off, s[0:3], 0 offset:188
.LBB27_129:
	s_or_b64 exec, exec, s[4:5]
	s_waitcnt lgkmcnt(0)
	; wave barrier
	buffer_load_dword v67, off, s[0:3], 0 offset:192
	buffer_load_dword v68, off, s[0:3], 0 offset:196
	;; [unrolled: 1-line block ×10, first 2 shown]
	ds_read_b128 v[59:62], v58 offset:416
	ds_read_b128 v[63:66], v58 offset:432
	v_cmp_lt_u32_e32 vcc, 22, v0
	s_waitcnt vmcnt(8) lgkmcnt(1)
	v_fma_f64 v[58:59], v[67:68], v[59:60], 0
	s_waitcnt vmcnt(6)
	v_fma_f64 v[58:59], v[69:70], v[61:62], v[58:59]
	s_waitcnt vmcnt(4) lgkmcnt(0)
	v_fma_f64 v[58:59], v[71:72], v[63:64], v[58:59]
	s_waitcnt vmcnt(2)
	v_fma_f64 v[58:59], v[73:74], v[65:66], v[58:59]
	s_waitcnt vmcnt(0)
	v_add_f64 v[58:59], v[75:76], -v[58:59]
	buffer_store_dword v58, off, s[0:3], 0 offset:184
	buffer_store_dword v59, off, s[0:3], 0 offset:188
	s_and_saveexec_b64 s[4:5], vcc
	s_cbranch_execz .LBB27_131
; %bb.130:
	buffer_load_dword v58, off, s[0:3], 0 offset:176
	buffer_load_dword v59, off, s[0:3], 0 offset:180
	v_mov_b32_e32 v60, 0
	buffer_store_dword v60, off, s[0:3], 0 offset:176
	buffer_store_dword v60, off, s[0:3], 0 offset:180
	s_waitcnt vmcnt(2)
	ds_write_b64 v57, v[58:59]
.LBB27_131:
	s_or_b64 exec, exec, s[4:5]
	s_waitcnt lgkmcnt(0)
	; wave barrier
	buffer_load_dword v67, off, s[0:3], 0 offset:184
	buffer_load_dword v68, off, s[0:3], 0 offset:188
	;; [unrolled: 1-line block ×12, first 2 shown]
	v_mov_b32_e32 v58, 0
	ds_read2_b64 v[59:62], v58 offset0:51 offset1:52
	ds_read2_b64 v[63:66], v58 offset0:53 offset1:54
	v_cmp_lt_u32_e32 vcc, 21, v0
	s_waitcnt vmcnt(10) lgkmcnt(1)
	v_fma_f64 v[59:60], v[67:68], v[59:60], 0
	s_waitcnt vmcnt(8)
	v_fma_f64 v[59:60], v[69:70], v[61:62], v[59:60]
	ds_read_b64 v[61:62], v58 offset:440
	s_waitcnt vmcnt(6) lgkmcnt(1)
	v_fma_f64 v[59:60], v[71:72], v[63:64], v[59:60]
	s_waitcnt vmcnt(4)
	v_fma_f64 v[59:60], v[73:74], v[65:66], v[59:60]
	s_waitcnt vmcnt(2) lgkmcnt(0)
	v_fma_f64 v[59:60], v[75:76], v[61:62], v[59:60]
	s_waitcnt vmcnt(0)
	v_add_f64 v[59:60], v[77:78], -v[59:60]
	buffer_store_dword v59, off, s[0:3], 0 offset:176
	buffer_store_dword v60, off, s[0:3], 0 offset:180
	s_and_saveexec_b64 s[4:5], vcc
	s_cbranch_execz .LBB27_133
; %bb.132:
	buffer_load_dword v59, off, s[0:3], 0 offset:168
	buffer_load_dword v60, off, s[0:3], 0 offset:172
	s_waitcnt vmcnt(0)
	ds_write_b64 v57, v[59:60]
	buffer_store_dword v58, off, s[0:3], 0 offset:168
	buffer_store_dword v58, off, s[0:3], 0 offset:172
.LBB27_133:
	s_or_b64 exec, exec, s[4:5]
	s_waitcnt lgkmcnt(0)
	; wave barrier
	buffer_load_dword v67, off, s[0:3], 0 offset:176
	buffer_load_dword v68, off, s[0:3], 0 offset:180
	;; [unrolled: 1-line block ×14, first 2 shown]
	ds_read_b128 v[59:62], v58 offset:400
	ds_read_b128 v[63:66], v58 offset:416
	v_cmp_lt_u32_e32 vcc, 20, v0
	s_waitcnt vmcnt(12) lgkmcnt(1)
	v_fma_f64 v[59:60], v[67:68], v[59:60], 0
	s_waitcnt vmcnt(10)
	v_fma_f64 v[59:60], v[69:70], v[61:62], v[59:60]
	s_waitcnt vmcnt(8) lgkmcnt(0)
	v_fma_f64 v[59:60], v[71:72], v[63:64], v[59:60]
	s_waitcnt vmcnt(6)
	v_fma_f64 v[62:63], v[73:74], v[65:66], v[59:60]
	ds_read_b128 v[58:61], v58 offset:432
	s_waitcnt vmcnt(4) lgkmcnt(0)
	v_fma_f64 v[58:59], v[75:76], v[58:59], v[62:63]
	s_waitcnt vmcnt(2)
	v_fma_f64 v[58:59], v[77:78], v[60:61], v[58:59]
	s_waitcnt vmcnt(0)
	v_add_f64 v[58:59], v[79:80], -v[58:59]
	buffer_store_dword v58, off, s[0:3], 0 offset:168
	buffer_store_dword v59, off, s[0:3], 0 offset:172
	s_and_saveexec_b64 s[4:5], vcc
	s_cbranch_execz .LBB27_135
; %bb.134:
	buffer_load_dword v58, off, s[0:3], 0 offset:160
	buffer_load_dword v59, off, s[0:3], 0 offset:164
	v_mov_b32_e32 v60, 0
	buffer_store_dword v60, off, s[0:3], 0 offset:160
	buffer_store_dword v60, off, s[0:3], 0 offset:164
	s_waitcnt vmcnt(2)
	ds_write_b64 v57, v[58:59]
.LBB27_135:
	s_or_b64 exec, exec, s[4:5]
	s_waitcnt lgkmcnt(0)
	; wave barrier
	buffer_load_dword v63, off, s[0:3], 0 offset:160
	buffer_load_dword v64, off, s[0:3], 0 offset:164
	;; [unrolled: 1-line block ×16, first 2 shown]
	v_mov_b32_e32 v58, 0
	ds_read2_b64 v[59:62], v58 offset0:49 offset1:50
	v_cmp_lt_u32_e32 vcc, 19, v0
	s_waitcnt vmcnt(12) lgkmcnt(0)
	v_fma_f64 v[59:60], v[65:66], v[59:60], 0
	s_waitcnt vmcnt(10)
	v_fma_f64 v[65:66], v[67:68], v[61:62], v[59:60]
	ds_read2_b64 v[59:62], v58 offset0:51 offset1:52
	s_waitcnt vmcnt(8) lgkmcnt(0)
	v_fma_f64 v[59:60], v[69:70], v[59:60], v[65:66]
	s_waitcnt vmcnt(6)
	v_fma_f64 v[65:66], v[71:72], v[61:62], v[59:60]
	ds_read2_b64 v[59:62], v58 offset0:53 offset1:54
	s_waitcnt vmcnt(4) lgkmcnt(0)
	v_fma_f64 v[59:60], v[73:74], v[59:60], v[65:66]
	s_waitcnt vmcnt(2)
	v_fma_f64 v[59:60], v[75:76], v[61:62], v[59:60]
	ds_read_b64 v[61:62], v58 offset:440
	s_waitcnt vmcnt(0) lgkmcnt(0)
	v_fma_f64 v[59:60], v[77:78], v[61:62], v[59:60]
	v_add_f64 v[59:60], v[63:64], -v[59:60]
	buffer_store_dword v59, off, s[0:3], 0 offset:160
	buffer_store_dword v60, off, s[0:3], 0 offset:164
	s_and_saveexec_b64 s[4:5], vcc
	s_cbranch_execz .LBB27_137
; %bb.136:
	buffer_load_dword v59, off, s[0:3], 0 offset:152
	buffer_load_dword v60, off, s[0:3], 0 offset:156
	s_waitcnt vmcnt(0)
	ds_write_b64 v57, v[59:60]
	buffer_store_dword v58, off, s[0:3], 0 offset:152
	buffer_store_dword v58, off, s[0:3], 0 offset:156
.LBB27_137:
	s_or_b64 exec, exec, s[4:5]
	s_waitcnt lgkmcnt(0)
	; wave barrier
	buffer_load_dword v63, off, s[0:3], 0 offset:160
	buffer_load_dword v64, off, s[0:3], 0 offset:164
	;; [unrolled: 1-line block ×18, first 2 shown]
	ds_read_b128 v[59:62], v58 offset:384
	v_cmp_lt_u32_e32 vcc, 18, v0
	s_waitcnt vmcnt(16) lgkmcnt(0)
	v_fma_f64 v[59:60], v[63:64], v[59:60], 0
	s_waitcnt vmcnt(14)
	v_fma_f64 v[63:64], v[65:66], v[61:62], v[59:60]
	ds_read_b128 v[59:62], v58 offset:400
	s_waitcnt vmcnt(12) lgkmcnt(0)
	v_fma_f64 v[59:60], v[67:68], v[59:60], v[63:64]
	s_waitcnt vmcnt(10)
	v_fma_f64 v[63:64], v[69:70], v[61:62], v[59:60]
	ds_read_b128 v[59:62], v58 offset:416
	;; [unrolled: 5-line block ×3, first 2 shown]
	s_waitcnt vmcnt(4) lgkmcnt(0)
	v_fma_f64 v[58:59], v[75:76], v[58:59], v[62:63]
	s_waitcnt vmcnt(2)
	v_fma_f64 v[58:59], v[77:78], v[60:61], v[58:59]
	s_waitcnt vmcnt(0)
	v_add_f64 v[58:59], v[79:80], -v[58:59]
	buffer_store_dword v58, off, s[0:3], 0 offset:152
	buffer_store_dword v59, off, s[0:3], 0 offset:156
	s_and_saveexec_b64 s[4:5], vcc
	s_cbranch_execz .LBB27_139
; %bb.138:
	buffer_load_dword v58, off, s[0:3], 0 offset:144
	buffer_load_dword v59, off, s[0:3], 0 offset:148
	v_mov_b32_e32 v60, 0
	buffer_store_dword v60, off, s[0:3], 0 offset:144
	buffer_store_dword v60, off, s[0:3], 0 offset:148
	s_waitcnt vmcnt(2)
	ds_write_b64 v57, v[58:59]
.LBB27_139:
	s_or_b64 exec, exec, s[4:5]
	s_waitcnt lgkmcnt(0)
	; wave barrier
	buffer_load_dword v63, off, s[0:3], 0 offset:152
	buffer_load_dword v64, off, s[0:3], 0 offset:156
	;; [unrolled: 1-line block ×20, first 2 shown]
	v_mov_b32_e32 v58, 0
	ds_read2_b64 v[59:62], v58 offset0:47 offset1:48
	v_cmp_lt_u32_e32 vcc, 17, v0
	s_waitcnt vmcnt(18) lgkmcnt(0)
	v_fma_f64 v[59:60], v[63:64], v[59:60], 0
	s_waitcnt vmcnt(16)
	v_fma_f64 v[63:64], v[65:66], v[61:62], v[59:60]
	ds_read2_b64 v[59:62], v58 offset0:49 offset1:50
	s_waitcnt vmcnt(14) lgkmcnt(0)
	v_fma_f64 v[59:60], v[67:68], v[59:60], v[63:64]
	s_waitcnt vmcnt(12)
	v_fma_f64 v[63:64], v[69:70], v[61:62], v[59:60]
	ds_read2_b64 v[59:62], v58 offset0:51 offset1:52
	;; [unrolled: 5-line block ×3, first 2 shown]
	s_waitcnt vmcnt(6) lgkmcnt(0)
	v_fma_f64 v[59:60], v[75:76], v[59:60], v[63:64]
	s_waitcnt vmcnt(4)
	v_fma_f64 v[59:60], v[77:78], v[61:62], v[59:60]
	ds_read_b64 v[61:62], v58 offset:440
	s_waitcnt vmcnt(2) lgkmcnt(0)
	v_fma_f64 v[59:60], v[79:80], v[61:62], v[59:60]
	s_waitcnt vmcnt(0)
	v_add_f64 v[59:60], v[81:82], -v[59:60]
	buffer_store_dword v59, off, s[0:3], 0 offset:144
	buffer_store_dword v60, off, s[0:3], 0 offset:148
	s_and_saveexec_b64 s[4:5], vcc
	s_cbranch_execz .LBB27_141
; %bb.140:
	buffer_load_dword v59, off, s[0:3], 0 offset:136
	buffer_load_dword v60, off, s[0:3], 0 offset:140
	s_waitcnt vmcnt(0)
	ds_write_b64 v57, v[59:60]
	buffer_store_dword v58, off, s[0:3], 0 offset:136
	buffer_store_dword v58, off, s[0:3], 0 offset:140
.LBB27_141:
	s_or_b64 exec, exec, s[4:5]
	s_waitcnt lgkmcnt(0)
	; wave barrier
	buffer_load_dword v67, off, s[0:3], 0 offset:144
	buffer_load_dword v68, off, s[0:3], 0 offset:148
	;; [unrolled: 1-line block ×20, first 2 shown]
	ds_read_b128 v[59:62], v58 offset:368
	buffer_load_dword v87, off, s[0:3], 0 offset:136
	buffer_load_dword v88, off, s[0:3], 0 offset:140
	ds_read_b128 v[63:66], v58 offset:384
	v_cmp_lt_u32_e32 vcc, 16, v0
	s_waitcnt vmcnt(20) lgkmcnt(1)
	v_fma_f64 v[59:60], v[67:68], v[59:60], 0
	s_waitcnt vmcnt(18)
	v_fma_f64 v[59:60], v[69:70], v[61:62], v[59:60]
	s_waitcnt vmcnt(16) lgkmcnt(0)
	v_fma_f64 v[59:60], v[71:72], v[63:64], v[59:60]
	s_waitcnt vmcnt(14)
	v_fma_f64 v[67:68], v[73:74], v[65:66], v[59:60]
	ds_read_b128 v[59:62], v58 offset:400
	ds_read_b128 v[63:66], v58 offset:416
	s_waitcnt vmcnt(12) lgkmcnt(1)
	v_fma_f64 v[59:60], v[75:76], v[59:60], v[67:68]
	s_waitcnt vmcnt(10)
	v_fma_f64 v[59:60], v[77:78], v[61:62], v[59:60]
	s_waitcnt vmcnt(8) lgkmcnt(0)
	v_fma_f64 v[59:60], v[79:80], v[63:64], v[59:60]
	s_waitcnt vmcnt(4)
	v_fma_f64 v[62:63], v[81:82], v[65:66], v[59:60]
	ds_read_b128 v[58:61], v58 offset:432
	s_waitcnt vmcnt(3) lgkmcnt(0)
	v_fma_f64 v[58:59], v[85:86], v[58:59], v[62:63]
	s_waitcnt vmcnt(2)
	v_fma_f64 v[58:59], v[83:84], v[60:61], v[58:59]
	s_waitcnt vmcnt(0)
	v_add_f64 v[58:59], v[87:88], -v[58:59]
	buffer_store_dword v58, off, s[0:3], 0 offset:136
	buffer_store_dword v59, off, s[0:3], 0 offset:140
	s_and_saveexec_b64 s[4:5], vcc
	s_cbranch_execz .LBB27_143
; %bb.142:
	buffer_load_dword v58, off, s[0:3], 0 offset:128
	buffer_load_dword v59, off, s[0:3], 0 offset:132
	v_mov_b32_e32 v60, 0
	buffer_store_dword v60, off, s[0:3], 0 offset:128
	buffer_store_dword v60, off, s[0:3], 0 offset:132
	s_waitcnt vmcnt(2)
	ds_write_b64 v57, v[58:59]
.LBB27_143:
	s_or_b64 exec, exec, s[4:5]
	s_waitcnt lgkmcnt(0)
	; wave barrier
	buffer_load_dword v67, off, s[0:3], 0 offset:136
	buffer_load_dword v68, off, s[0:3], 0 offset:140
	;; [unrolled: 1-line block ×21, first 2 shown]
	v_mov_b32_e32 v58, 0
	ds_read2_b64 v[59:62], v58 offset0:45 offset1:46
	ds_read2_b64 v[63:66], v58 offset0:47 offset1:48
	buffer_load_dword v84, off, s[0:3], 0 offset:220
	v_cmp_lt_u32_e32 vcc, 15, v0
	s_waitcnt vmcnt(20) lgkmcnt(1)
	v_fma_f64 v[59:60], v[67:68], v[59:60], 0
	buffer_load_dword v67, off, s[0:3], 0 offset:128
	buffer_load_dword v68, off, s[0:3], 0 offset:132
	s_waitcnt vmcnt(20)
	v_fma_f64 v[59:60], v[69:70], v[61:62], v[59:60]
	s_waitcnt vmcnt(18) lgkmcnt(0)
	v_fma_f64 v[59:60], v[71:72], v[63:64], v[59:60]
	s_waitcnt vmcnt(16)
	v_fma_f64 v[69:70], v[73:74], v[65:66], v[59:60]
	ds_read2_b64 v[59:62], v58 offset0:49 offset1:50
	ds_read2_b64 v[63:66], v58 offset0:51 offset1:52
	s_waitcnt vmcnt(14) lgkmcnt(1)
	v_fma_f64 v[59:60], v[75:76], v[59:60], v[69:70]
	s_waitcnt vmcnt(12)
	v_fma_f64 v[59:60], v[77:78], v[61:62], v[59:60]
	s_waitcnt vmcnt(10) lgkmcnt(0)
	v_fma_f64 v[59:60], v[79:80], v[63:64], v[59:60]
	s_waitcnt vmcnt(5)
	v_fma_f64 v[63:64], v[81:82], v[65:66], v[59:60]
	ds_read2_b64 v[59:62], v58 offset0:53 offset1:54
	ds_read_b64 v[65:66], v58 offset:440
	s_waitcnt vmcnt(4) lgkmcnt(1)
	v_fma_f64 v[59:60], v[87:88], v[59:60], v[63:64]
	s_waitcnt vmcnt(3)
	v_fma_f64 v[59:60], v[85:86], v[61:62], v[59:60]
	s_waitcnt vmcnt(2) lgkmcnt(0)
	v_fma_f64 v[59:60], v[83:84], v[65:66], v[59:60]
	s_waitcnt vmcnt(0)
	v_add_f64 v[59:60], v[67:68], -v[59:60]
	buffer_store_dword v60, off, s[0:3], 0 offset:132
	buffer_store_dword v59, off, s[0:3], 0 offset:128
	s_and_saveexec_b64 s[4:5], vcc
	s_cbranch_execz .LBB27_145
; %bb.144:
	buffer_load_dword v59, off, s[0:3], 0 offset:120
	buffer_load_dword v60, off, s[0:3], 0 offset:124
	s_waitcnt vmcnt(0)
	ds_write_b64 v57, v[59:60]
	buffer_store_dword v58, off, s[0:3], 0 offset:120
	buffer_store_dword v58, off, s[0:3], 0 offset:124
.LBB27_145:
	s_or_b64 exec, exec, s[4:5]
	s_waitcnt lgkmcnt(0)
	; wave barrier
	buffer_load_dword v67, off, s[0:3], 0 offset:128
	buffer_load_dword v68, off, s[0:3], 0 offset:132
	;; [unrolled: 1-line block ×21, first 2 shown]
	ds_read_b128 v[59:62], v58 offset:352
	ds_read_b128 v[63:66], v58 offset:368
	buffer_load_dword v84, off, s[0:3], 0 offset:212
	v_cmp_lt_u32_e32 vcc, 14, v0
	s_waitcnt vmcnt(20) lgkmcnt(1)
	v_fma_f64 v[59:60], v[67:68], v[59:60], 0
	buffer_load_dword v68, off, s[0:3], 0 offset:220
	buffer_load_dword v67, off, s[0:3], 0 offset:216
	s_waitcnt vmcnt(20)
	v_fma_f64 v[59:60], v[69:70], v[61:62], v[59:60]
	buffer_load_dword v69, off, s[0:3], 0 offset:120
	buffer_load_dword v70, off, s[0:3], 0 offset:124
	s_waitcnt vmcnt(20) lgkmcnt(0)
	v_fma_f64 v[59:60], v[71:72], v[63:64], v[59:60]
	s_waitcnt vmcnt(18)
	v_fma_f64 v[71:72], v[73:74], v[65:66], v[59:60]
	ds_read_b128 v[59:62], v58 offset:384
	ds_read_b128 v[63:66], v58 offset:400
	s_waitcnt vmcnt(16) lgkmcnt(1)
	v_fma_f64 v[59:60], v[75:76], v[59:60], v[71:72]
	s_waitcnt vmcnt(14)
	v_fma_f64 v[59:60], v[77:78], v[61:62], v[59:60]
	s_waitcnt vmcnt(12) lgkmcnt(0)
	v_fma_f64 v[59:60], v[79:80], v[63:64], v[59:60]
	s_waitcnt vmcnt(7)
	v_fma_f64 v[71:72], v[81:82], v[65:66], v[59:60]
	ds_read_b128 v[59:62], v58 offset:416
	ds_read_b128 v[63:66], v58 offset:432
	s_waitcnt vmcnt(6) lgkmcnt(1)
	v_fma_f64 v[58:59], v[87:88], v[59:60], v[71:72]
	s_waitcnt vmcnt(5)
	v_fma_f64 v[58:59], v[85:86], v[61:62], v[58:59]
	s_waitcnt vmcnt(4) lgkmcnt(0)
	v_fma_f64 v[58:59], v[83:84], v[63:64], v[58:59]
	s_waitcnt vmcnt(2)
	v_fma_f64 v[58:59], v[67:68], v[65:66], v[58:59]
	s_waitcnt vmcnt(0)
	v_add_f64 v[58:59], v[69:70], -v[58:59]
	buffer_store_dword v59, off, s[0:3], 0 offset:124
	buffer_store_dword v58, off, s[0:3], 0 offset:120
	s_and_saveexec_b64 s[4:5], vcc
	s_cbranch_execz .LBB27_147
; %bb.146:
	buffer_load_dword v58, off, s[0:3], 0 offset:112
	buffer_load_dword v59, off, s[0:3], 0 offset:116
	v_mov_b32_e32 v60, 0
	buffer_store_dword v60, off, s[0:3], 0 offset:112
	buffer_store_dword v60, off, s[0:3], 0 offset:116
	s_waitcnt vmcnt(2)
	ds_write_b64 v57, v[58:59]
.LBB27_147:
	s_or_b64 exec, exec, s[4:5]
	s_waitcnt lgkmcnt(0)
	; wave barrier
	buffer_load_dword v67, off, s[0:3], 0 offset:120
	buffer_load_dword v68, off, s[0:3], 0 offset:124
	;; [unrolled: 1-line block ×21, first 2 shown]
	v_mov_b32_e32 v58, 0
	ds_read2_b64 v[59:62], v58 offset0:43 offset1:44
	ds_read2_b64 v[63:66], v58 offset0:45 offset1:46
	buffer_load_dword v84, off, s[0:3], 0 offset:204
	v_cmp_lt_u32_e32 vcc, 13, v0
	s_waitcnt vmcnt(20) lgkmcnt(1)
	v_fma_f64 v[59:60], v[67:68], v[59:60], 0
	s_waitcnt vmcnt(18)
	v_fma_f64 v[59:60], v[69:70], v[61:62], v[59:60]
	buffer_load_dword v68, off, s[0:3], 0 offset:212
	buffer_load_dword v69, off, s[0:3], 0 offset:216
	;; [unrolled: 1-line block ×4, first 2 shown]
	s_waitcnt vmcnt(20) lgkmcnt(0)
	v_fma_f64 v[59:60], v[71:72], v[63:64], v[59:60]
	buffer_load_dword v71, off, s[0:3], 0 offset:112
	buffer_load_dword v72, off, s[0:3], 0 offset:116
	s_waitcnt vmcnt(20)
	v_fma_f64 v[73:74], v[73:74], v[65:66], v[59:60]
	ds_read2_b64 v[59:62], v58 offset0:47 offset1:48
	ds_read2_b64 v[63:66], v58 offset0:49 offset1:50
	s_waitcnt vmcnt(18) lgkmcnt(1)
	v_fma_f64 v[59:60], v[75:76], v[59:60], v[73:74]
	s_waitcnt vmcnt(16)
	v_fma_f64 v[59:60], v[77:78], v[61:62], v[59:60]
	s_waitcnt vmcnt(14) lgkmcnt(0)
	v_fma_f64 v[59:60], v[79:80], v[63:64], v[59:60]
	s_waitcnt vmcnt(9)
	v_fma_f64 v[73:74], v[81:82], v[65:66], v[59:60]
	ds_read2_b64 v[59:62], v58 offset0:51 offset1:52
	ds_read2_b64 v[63:66], v58 offset0:53 offset1:54
	s_waitcnt vmcnt(8) lgkmcnt(1)
	v_fma_f64 v[59:60], v[87:88], v[59:60], v[73:74]
	s_waitcnt vmcnt(7)
	v_fma_f64 v[59:60], v[85:86], v[61:62], v[59:60]
	ds_read_b64 v[61:62], v58 offset:440
	s_waitcnt vmcnt(6) lgkmcnt(1)
	v_fma_f64 v[59:60], v[83:84], v[63:64], v[59:60]
	s_waitcnt vmcnt(3)
	v_fma_f64 v[59:60], v[67:68], v[65:66], v[59:60]
	s_waitcnt vmcnt(2) lgkmcnt(0)
	v_fma_f64 v[59:60], v[69:70], v[61:62], v[59:60]
	s_waitcnt vmcnt(0)
	v_add_f64 v[59:60], v[71:72], -v[59:60]
	buffer_store_dword v60, off, s[0:3], 0 offset:116
	buffer_store_dword v59, off, s[0:3], 0 offset:112
	s_and_saveexec_b64 s[4:5], vcc
	s_cbranch_execz .LBB27_149
; %bb.148:
	buffer_load_dword v59, off, s[0:3], 0 offset:104
	buffer_load_dword v60, off, s[0:3], 0 offset:108
	s_waitcnt vmcnt(0)
	ds_write_b64 v57, v[59:60]
	buffer_store_dword v58, off, s[0:3], 0 offset:104
	buffer_store_dword v58, off, s[0:3], 0 offset:108
.LBB27_149:
	s_or_b64 exec, exec, s[4:5]
	s_waitcnt lgkmcnt(0)
	; wave barrier
	buffer_load_dword v67, off, s[0:3], 0 offset:112
	buffer_load_dword v68, off, s[0:3], 0 offset:116
	;; [unrolled: 1-line block ×22, first 2 shown]
	ds_read_b128 v[59:62], v58 offset:336
	ds_read_b128 v[63:66], v58 offset:352
	v_cmp_lt_u32_e32 vcc, 12, v0
	s_waitcnt vmcnt(20) lgkmcnt(1)
	v_fma_f64 v[59:60], v[67:68], v[59:60], 0
	s_waitcnt vmcnt(18)
	v_fma_f64 v[59:60], v[69:70], v[61:62], v[59:60]
	buffer_load_dword v68, off, s[0:3], 0 offset:204
	buffer_load_dword v69, off, s[0:3], 0 offset:216
	;; [unrolled: 1-line block ×6, first 2 shown]
	s_waitcnt vmcnt(22) lgkmcnt(0)
	v_fma_f64 v[59:60], v[71:72], v[63:64], v[59:60]
	s_waitcnt vmcnt(20)
	v_fma_f64 v[71:72], v[73:74], v[65:66], v[59:60]
	ds_read_b128 v[59:62], v58 offset:368
	buffer_load_dword v73, off, s[0:3], 0 offset:104
	buffer_load_dword v74, off, s[0:3], 0 offset:108
	ds_read_b128 v[63:66], v58 offset:384
	s_waitcnt vmcnt(20) lgkmcnt(1)
	v_fma_f64 v[59:60], v[75:76], v[59:60], v[71:72]
	s_waitcnt vmcnt(18)
	v_fma_f64 v[59:60], v[77:78], v[61:62], v[59:60]
	s_waitcnt vmcnt(16) lgkmcnt(0)
	v_fma_f64 v[59:60], v[79:80], v[63:64], v[59:60]
	s_waitcnt vmcnt(11)
	v_fma_f64 v[71:72], v[81:82], v[65:66], v[59:60]
	ds_read_b128 v[59:62], v58 offset:400
	ds_read_b128 v[63:66], v58 offset:416
	s_waitcnt vmcnt(10) lgkmcnt(1)
	v_fma_f64 v[59:60], v[87:88], v[59:60], v[71:72]
	s_waitcnt vmcnt(9)
	v_fma_f64 v[59:60], v[85:86], v[61:62], v[59:60]
	s_waitcnt vmcnt(8) lgkmcnt(0)
	v_fma_f64 v[59:60], v[83:84], v[63:64], v[59:60]
	s_waitcnt vmcnt(4)
	v_fma_f64 v[62:63], v[67:68], v[65:66], v[59:60]
	ds_read_b128 v[58:61], v58 offset:432
	s_waitcnt vmcnt(3) lgkmcnt(0)
	v_fma_f64 v[58:59], v[89:90], v[58:59], v[62:63]
	s_waitcnt vmcnt(2)
	v_fma_f64 v[58:59], v[69:70], v[60:61], v[58:59]
	s_waitcnt vmcnt(0)
	v_add_f64 v[58:59], v[73:74], -v[58:59]
	buffer_store_dword v59, off, s[0:3], 0 offset:108
	buffer_store_dword v58, off, s[0:3], 0 offset:104
	s_and_saveexec_b64 s[4:5], vcc
	s_cbranch_execz .LBB27_151
; %bb.150:
	buffer_load_dword v58, off, s[0:3], 0 offset:96
	buffer_load_dword v59, off, s[0:3], 0 offset:100
	v_mov_b32_e32 v60, 0
	buffer_store_dword v60, off, s[0:3], 0 offset:96
	buffer_store_dword v60, off, s[0:3], 0 offset:100
	s_waitcnt vmcnt(2)
	ds_write_b64 v57, v[58:59]
.LBB27_151:
	s_or_b64 exec, exec, s[4:5]
	s_waitcnt lgkmcnt(0)
	; wave barrier
	buffer_load_dword v67, off, s[0:3], 0 offset:104
	buffer_load_dword v68, off, s[0:3], 0 offset:108
	;; [unrolled: 1-line block ×22, first 2 shown]
	v_mov_b32_e32 v58, 0
	ds_read2_b64 v[59:62], v58 offset0:41 offset1:42
	ds_read2_b64 v[63:66], v58 offset0:43 offset1:44
	v_cmp_lt_u32_e32 vcc, 11, v0
	s_waitcnt vmcnt(20) lgkmcnt(1)
	v_fma_f64 v[59:60], v[67:68], v[59:60], 0
	s_waitcnt vmcnt(18)
	v_fma_f64 v[59:60], v[69:70], v[61:62], v[59:60]
	buffer_load_dword v68, off, s[0:3], 0 offset:196
	buffer_load_dword v69, off, s[0:3], 0 offset:216
	;; [unrolled: 1-line block ×8, first 2 shown]
	s_waitcnt vmcnt(24) lgkmcnt(0)
	v_fma_f64 v[59:60], v[71:72], v[63:64], v[59:60]
	s_waitcnt vmcnt(22)
	v_fma_f64 v[71:72], v[73:74], v[65:66], v[59:60]
	ds_read2_b64 v[59:62], v58 offset0:45 offset1:46
	ds_read2_b64 v[63:66], v58 offset0:47 offset1:48
	s_waitcnt vmcnt(20) lgkmcnt(1)
	v_fma_f64 v[59:60], v[75:76], v[59:60], v[71:72]
	buffer_load_dword v71, off, s[0:3], 0 offset:96
	buffer_load_dword v72, off, s[0:3], 0 offset:100
	s_waitcnt vmcnt(20)
	v_fma_f64 v[59:60], v[77:78], v[61:62], v[59:60]
	s_waitcnt vmcnt(18) lgkmcnt(0)
	v_fma_f64 v[59:60], v[79:80], v[63:64], v[59:60]
	s_waitcnt vmcnt(13)
	v_fma_f64 v[73:74], v[81:82], v[65:66], v[59:60]
	ds_read2_b64 v[59:62], v58 offset0:49 offset1:50
	ds_read2_b64 v[63:66], v58 offset0:51 offset1:52
	s_waitcnt vmcnt(12) lgkmcnt(1)
	v_fma_f64 v[59:60], v[87:88], v[59:60], v[73:74]
	s_waitcnt vmcnt(11)
	v_fma_f64 v[59:60], v[85:86], v[61:62], v[59:60]
	s_waitcnt vmcnt(10) lgkmcnt(0)
	v_fma_f64 v[59:60], v[83:84], v[63:64], v[59:60]
	s_waitcnt vmcnt(5)
	v_fma_f64 v[63:64], v[67:68], v[65:66], v[59:60]
	ds_read2_b64 v[59:62], v58 offset0:53 offset1:54
	ds_read_b64 v[65:66], v58 offset:440
	s_waitcnt vmcnt(4) lgkmcnt(1)
	v_fma_f64 v[59:60], v[91:92], v[59:60], v[63:64]
	s_waitcnt vmcnt(3)
	v_fma_f64 v[59:60], v[89:90], v[61:62], v[59:60]
	s_waitcnt vmcnt(2) lgkmcnt(0)
	v_fma_f64 v[59:60], v[69:70], v[65:66], v[59:60]
	s_waitcnt vmcnt(0)
	v_add_f64 v[59:60], v[71:72], -v[59:60]
	buffer_store_dword v60, off, s[0:3], 0 offset:100
	buffer_store_dword v59, off, s[0:3], 0 offset:96
	s_and_saveexec_b64 s[4:5], vcc
	s_cbranch_execz .LBB27_153
; %bb.152:
	buffer_load_dword v59, off, s[0:3], 0 offset:88
	buffer_load_dword v60, off, s[0:3], 0 offset:92
	s_waitcnt vmcnt(0)
	ds_write_b64 v57, v[59:60]
	buffer_store_dword v58, off, s[0:3], 0 offset:88
	buffer_store_dword v58, off, s[0:3], 0 offset:92
.LBB27_153:
	s_or_b64 exec, exec, s[4:5]
	s_waitcnt lgkmcnt(0)
	; wave barrier
	buffer_load_dword v67, off, s[0:3], 0 offset:96
	buffer_load_dword v68, off, s[0:3], 0 offset:100
	;; [unrolled: 1-line block ×22, first 2 shown]
	ds_read_b128 v[59:62], v58 offset:320
	ds_read_b128 v[63:66], v58 offset:336
	v_cmp_lt_u32_e32 vcc, 10, v0
	s_waitcnt vmcnt(20) lgkmcnt(1)
	v_fma_f64 v[59:60], v[67:68], v[59:60], 0
	s_waitcnt vmcnt(18)
	v_fma_f64 v[59:60], v[69:70], v[61:62], v[59:60]
	buffer_load_dword v68, off, s[0:3], 0 offset:188
	buffer_load_dword v69, off, s[0:3], 0 offset:208
	;; [unrolled: 1-line block ×8, first 2 shown]
	s_waitcnt vmcnt(24) lgkmcnt(0)
	v_fma_f64 v[59:60], v[71:72], v[63:64], v[59:60]
	s_waitcnt vmcnt(22)
	v_fma_f64 v[71:72], v[73:74], v[65:66], v[59:60]
	ds_read_b128 v[59:62], v58 offset:352
	ds_read_b128 v[63:66], v58 offset:368
	s_waitcnt vmcnt(20) lgkmcnt(1)
	v_fma_f64 v[59:60], v[75:76], v[59:60], v[71:72]
	buffer_load_dword v72, off, s[0:3], 0 offset:220
	buffer_load_dword v71, off, s[0:3], 0 offset:216
	;; [unrolled: 1-line block ×4, first 2 shown]
	s_waitcnt vmcnt(22)
	v_fma_f64 v[59:60], v[77:78], v[61:62], v[59:60]
	s_waitcnt vmcnt(20) lgkmcnt(0)
	v_fma_f64 v[59:60], v[79:80], v[63:64], v[59:60]
	s_waitcnt vmcnt(15)
	v_fma_f64 v[75:76], v[81:82], v[65:66], v[59:60]
	ds_read_b128 v[59:62], v58 offset:384
	ds_read_b128 v[63:66], v58 offset:400
	s_waitcnt vmcnt(14) lgkmcnt(1)
	v_fma_f64 v[59:60], v[87:88], v[59:60], v[75:76]
	s_waitcnt vmcnt(13)
	v_fma_f64 v[59:60], v[85:86], v[61:62], v[59:60]
	s_waitcnt vmcnt(12) lgkmcnt(0)
	v_fma_f64 v[59:60], v[83:84], v[63:64], v[59:60]
	s_waitcnt vmcnt(7)
	v_fma_f64 v[67:68], v[67:68], v[65:66], v[59:60]
	ds_read_b128 v[59:62], v58 offset:416
	ds_read_b128 v[63:66], v58 offset:432
	s_waitcnt vmcnt(6) lgkmcnt(1)
	v_fma_f64 v[58:59], v[91:92], v[59:60], v[67:68]
	s_waitcnt vmcnt(5)
	v_fma_f64 v[58:59], v[89:90], v[61:62], v[58:59]
	s_waitcnt vmcnt(4) lgkmcnt(0)
	v_fma_f64 v[58:59], v[69:70], v[63:64], v[58:59]
	s_waitcnt vmcnt(2)
	v_fma_f64 v[58:59], v[71:72], v[65:66], v[58:59]
	s_waitcnt vmcnt(0)
	v_add_f64 v[58:59], v[73:74], -v[58:59]
	buffer_store_dword v59, off, s[0:3], 0 offset:92
	buffer_store_dword v58, off, s[0:3], 0 offset:88
	s_and_saveexec_b64 s[4:5], vcc
	s_cbranch_execz .LBB27_155
; %bb.154:
	buffer_load_dword v58, off, s[0:3], 0 offset:80
	buffer_load_dword v59, off, s[0:3], 0 offset:84
	v_mov_b32_e32 v60, 0
	buffer_store_dword v60, off, s[0:3], 0 offset:80
	buffer_store_dword v60, off, s[0:3], 0 offset:84
	s_waitcnt vmcnt(2)
	ds_write_b64 v57, v[58:59]
.LBB27_155:
	s_or_b64 exec, exec, s[4:5]
	s_waitcnt lgkmcnt(0)
	; wave barrier
	buffer_load_dword v67, off, s[0:3], 0 offset:88
	buffer_load_dword v68, off, s[0:3], 0 offset:92
	;; [unrolled: 1-line block ×22, first 2 shown]
	v_mov_b32_e32 v58, 0
	ds_read2_b64 v[59:62], v58 offset0:39 offset1:40
	ds_read2_b64 v[63:66], v58 offset0:41 offset1:42
	v_cmp_lt_u32_e32 vcc, 9, v0
	s_waitcnt vmcnt(20) lgkmcnt(1)
	v_fma_f64 v[59:60], v[67:68], v[59:60], 0
	s_waitcnt vmcnt(18)
	v_fma_f64 v[59:60], v[69:70], v[61:62], v[59:60]
	buffer_load_dword v68, off, s[0:3], 0 offset:180
	buffer_load_dword v69, off, s[0:3], 0 offset:200
	;; [unrolled: 1-line block ×7, first 2 shown]
	s_waitcnt vmcnt(23) lgkmcnt(0)
	v_fma_f64 v[59:60], v[71:72], v[63:64], v[59:60]
	s_waitcnt vmcnt(21)
	v_fma_f64 v[70:71], v[73:74], v[65:66], v[59:60]
	ds_read2_b64 v[59:62], v58 offset0:43 offset1:44
	ds_read2_b64 v[63:66], v58 offset0:45 offset1:46
	s_waitcnt vmcnt(19) lgkmcnt(1)
	v_fma_f64 v[59:60], v[75:76], v[59:60], v[70:71]
	buffer_load_dword v70, off, s[0:3], 0 offset:204
	buffer_load_dword v72, off, s[0:3], 0 offset:212
	;; [unrolled: 1-line block ×7, first 2 shown]
	s_waitcnt vmcnt(24)
	v_fma_f64 v[59:60], v[77:78], v[61:62], v[59:60]
	s_waitcnt vmcnt(22) lgkmcnt(0)
	v_fma_f64 v[59:60], v[79:80], v[63:64], v[59:60]
	s_waitcnt vmcnt(17)
	v_fma_f64 v[77:78], v[81:82], v[65:66], v[59:60]
	ds_read2_b64 v[59:62], v58 offset0:47 offset1:48
	ds_read2_b64 v[63:66], v58 offset0:49 offset1:50
	s_waitcnt vmcnt(16) lgkmcnt(1)
	v_fma_f64 v[59:60], v[87:88], v[59:60], v[77:78]
	s_waitcnt vmcnt(15)
	v_fma_f64 v[59:60], v[85:86], v[61:62], v[59:60]
	s_waitcnt vmcnt(14) lgkmcnt(0)
	v_fma_f64 v[59:60], v[83:84], v[63:64], v[59:60]
	s_waitcnt vmcnt(9)
	v_fma_f64 v[67:68], v[67:68], v[65:66], v[59:60]
	ds_read2_b64 v[59:62], v58 offset0:51 offset1:52
	ds_read2_b64 v[63:66], v58 offset0:53 offset1:54
	s_waitcnt vmcnt(8) lgkmcnt(1)
	v_fma_f64 v[59:60], v[91:92], v[59:60], v[67:68]
	s_waitcnt vmcnt(7)
	v_fma_f64 v[59:60], v[89:90], v[61:62], v[59:60]
	ds_read_b64 v[61:62], v58 offset:440
	s_waitcnt vmcnt(6) lgkmcnt(1)
	v_fma_f64 v[59:60], v[69:70], v[63:64], v[59:60]
	s_waitcnt vmcnt(3)
	v_fma_f64 v[59:60], v[71:72], v[65:66], v[59:60]
	s_waitcnt vmcnt(2) lgkmcnt(0)
	v_fma_f64 v[59:60], v[73:74], v[61:62], v[59:60]
	s_waitcnt vmcnt(0)
	v_add_f64 v[59:60], v[75:76], -v[59:60]
	buffer_store_dword v60, off, s[0:3], 0 offset:84
	buffer_store_dword v59, off, s[0:3], 0 offset:80
	s_and_saveexec_b64 s[4:5], vcc
	s_cbranch_execz .LBB27_157
; %bb.156:
	buffer_load_dword v59, off, s[0:3], 0 offset:72
	buffer_load_dword v60, off, s[0:3], 0 offset:76
	s_waitcnt vmcnt(0)
	ds_write_b64 v57, v[59:60]
	buffer_store_dword v58, off, s[0:3], 0 offset:72
	buffer_store_dword v58, off, s[0:3], 0 offset:76
.LBB27_157:
	s_or_b64 exec, exec, s[4:5]
	s_waitcnt lgkmcnt(0)
	; wave barrier
	buffer_load_dword v67, off, s[0:3], 0 offset:80
	buffer_load_dword v68, off, s[0:3], 0 offset:84
	;; [unrolled: 1-line block ×22, first 2 shown]
	ds_read_b128 v[59:62], v58 offset:304
	ds_read_b128 v[63:66], v58 offset:320
	v_cmp_lt_u32_e32 vcc, 8, v0
	s_waitcnt vmcnt(20) lgkmcnt(1)
	v_fma_f64 v[59:60], v[67:68], v[59:60], 0
	s_waitcnt vmcnt(18)
	v_fma_f64 v[59:60], v[69:70], v[61:62], v[59:60]
	buffer_load_dword v68, off, s[0:3], 0 offset:172
	buffer_load_dword v69, off, s[0:3], 0 offset:192
	;; [unrolled: 1-line block ×7, first 2 shown]
	s_waitcnt vmcnt(23) lgkmcnt(0)
	v_fma_f64 v[59:60], v[71:72], v[63:64], v[59:60]
	s_waitcnt vmcnt(21)
	v_fma_f64 v[70:71], v[73:74], v[65:66], v[59:60]
	ds_read_b128 v[59:62], v58 offset:336
	ds_read_b128 v[63:66], v58 offset:352
	s_waitcnt vmcnt(19) lgkmcnt(1)
	v_fma_f64 v[59:60], v[75:76], v[59:60], v[70:71]
	buffer_load_dword v70, off, s[0:3], 0 offset:196
	buffer_load_dword v72, off, s[0:3], 0 offset:204
	;; [unrolled: 1-line block ×7, first 2 shown]
	s_waitcnt vmcnt(24)
	v_fma_f64 v[59:60], v[77:78], v[61:62], v[59:60]
	s_waitcnt vmcnt(22) lgkmcnt(0)
	v_fma_f64 v[59:60], v[79:80], v[63:64], v[59:60]
	s_waitcnt vmcnt(17)
	v_fma_f64 v[77:78], v[81:82], v[65:66], v[59:60]
	ds_read_b128 v[59:62], v58 offset:368
	buffer_load_dword v79, off, s[0:3], 0 offset:72
	buffer_load_dword v80, off, s[0:3], 0 offset:76
	ds_read_b128 v[63:66], v58 offset:384
	s_waitcnt vmcnt(18) lgkmcnt(1)
	v_fma_f64 v[59:60], v[87:88], v[59:60], v[77:78]
	s_waitcnt vmcnt(17)
	v_fma_f64 v[59:60], v[85:86], v[61:62], v[59:60]
	s_waitcnt vmcnt(16) lgkmcnt(0)
	v_fma_f64 v[59:60], v[83:84], v[63:64], v[59:60]
	s_waitcnt vmcnt(11)
	v_fma_f64 v[67:68], v[67:68], v[65:66], v[59:60]
	ds_read_b128 v[59:62], v58 offset:400
	ds_read_b128 v[63:66], v58 offset:416
	s_waitcnt vmcnt(10) lgkmcnt(1)
	v_fma_f64 v[59:60], v[91:92], v[59:60], v[67:68]
	s_waitcnt vmcnt(9)
	v_fma_f64 v[59:60], v[89:90], v[61:62], v[59:60]
	s_waitcnt vmcnt(8) lgkmcnt(0)
	v_fma_f64 v[59:60], v[69:70], v[63:64], v[59:60]
	s_waitcnt vmcnt(4)
	v_fma_f64 v[62:63], v[71:72], v[65:66], v[59:60]
	ds_read_b128 v[58:61], v58 offset:432
	s_waitcnt vmcnt(3) lgkmcnt(0)
	v_fma_f64 v[58:59], v[75:76], v[58:59], v[62:63]
	s_waitcnt vmcnt(2)
	v_fma_f64 v[58:59], v[73:74], v[60:61], v[58:59]
	s_waitcnt vmcnt(0)
	v_add_f64 v[58:59], v[79:80], -v[58:59]
	buffer_store_dword v59, off, s[0:3], 0 offset:76
	buffer_store_dword v58, off, s[0:3], 0 offset:72
	s_and_saveexec_b64 s[4:5], vcc
	s_cbranch_execz .LBB27_159
; %bb.158:
	buffer_load_dword v58, off, s[0:3], 0 offset:64
	buffer_load_dword v59, off, s[0:3], 0 offset:68
	v_mov_b32_e32 v60, 0
	buffer_store_dword v60, off, s[0:3], 0 offset:64
	buffer_store_dword v60, off, s[0:3], 0 offset:68
	s_waitcnt vmcnt(2)
	ds_write_b64 v57, v[58:59]
.LBB27_159:
	s_or_b64 exec, exec, s[4:5]
	s_waitcnt lgkmcnt(0)
	; wave barrier
	buffer_load_dword v67, off, s[0:3], 0 offset:72
	buffer_load_dword v68, off, s[0:3], 0 offset:76
	;; [unrolled: 1-line block ×22, first 2 shown]
	v_mov_b32_e32 v58, 0
	ds_read2_b64 v[59:62], v58 offset0:37 offset1:38
	ds_read2_b64 v[63:66], v58 offset0:39 offset1:40
	v_cmp_lt_u32_e32 vcc, 7, v0
	s_waitcnt vmcnt(20) lgkmcnt(1)
	v_fma_f64 v[59:60], v[67:68], v[59:60], 0
	s_waitcnt vmcnt(18)
	v_fma_f64 v[59:60], v[69:70], v[61:62], v[59:60]
	buffer_load_dword v68, off, s[0:3], 0 offset:164
	buffer_load_dword v69, off, s[0:3], 0 offset:184
	;; [unrolled: 1-line block ×7, first 2 shown]
	s_waitcnt vmcnt(23) lgkmcnt(0)
	v_fma_f64 v[59:60], v[71:72], v[63:64], v[59:60]
	s_waitcnt vmcnt(21)
	v_fma_f64 v[70:71], v[73:74], v[65:66], v[59:60]
	ds_read2_b64 v[59:62], v58 offset0:41 offset1:42
	ds_read2_b64 v[63:66], v58 offset0:43 offset1:44
	s_waitcnt vmcnt(19) lgkmcnt(1)
	v_fma_f64 v[59:60], v[75:76], v[59:60], v[70:71]
	buffer_load_dword v70, off, s[0:3], 0 offset:188
	s_waitcnt vmcnt(18)
	v_fma_f64 v[59:60], v[77:78], v[61:62], v[59:60]
	buffer_load_dword v72, off, s[0:3], 0 offset:196
	buffer_load_dword v73, off, s[0:3], 0 offset:216
	;; [unrolled: 1-line block ×8, first 2 shown]
	s_waitcnt vmcnt(24) lgkmcnt(0)
	v_fma_f64 v[59:60], v[79:80], v[63:64], v[59:60]
	s_waitcnt vmcnt(19)
	v_fma_f64 v[79:80], v[81:82], v[65:66], v[59:60]
	ds_read2_b64 v[59:62], v58 offset0:45 offset1:46
	ds_read2_b64 v[63:66], v58 offset0:47 offset1:48
	s_waitcnt vmcnt(18) lgkmcnt(1)
	v_fma_f64 v[59:60], v[87:88], v[59:60], v[79:80]
	buffer_load_dword v79, off, s[0:3], 0 offset:64
	buffer_load_dword v80, off, s[0:3], 0 offset:68
	s_waitcnt vmcnt(19)
	v_fma_f64 v[59:60], v[85:86], v[61:62], v[59:60]
	s_waitcnt vmcnt(18) lgkmcnt(0)
	v_fma_f64 v[59:60], v[83:84], v[63:64], v[59:60]
	s_waitcnt vmcnt(13)
	v_fma_f64 v[67:68], v[67:68], v[65:66], v[59:60]
	ds_read2_b64 v[59:62], v58 offset0:49 offset1:50
	ds_read2_b64 v[63:66], v58 offset0:51 offset1:52
	s_waitcnt vmcnt(12) lgkmcnt(1)
	v_fma_f64 v[59:60], v[91:92], v[59:60], v[67:68]
	s_waitcnt vmcnt(11)
	v_fma_f64 v[59:60], v[89:90], v[61:62], v[59:60]
	s_waitcnt vmcnt(10) lgkmcnt(0)
	v_fma_f64 v[59:60], v[69:70], v[63:64], v[59:60]
	s_waitcnt vmcnt(5)
	v_fma_f64 v[63:64], v[71:72], v[65:66], v[59:60]
	ds_read2_b64 v[59:62], v58 offset0:53 offset1:54
	ds_read_b64 v[65:66], v58 offset:440
	s_waitcnt vmcnt(4) lgkmcnt(1)
	v_fma_f64 v[59:60], v[77:78], v[59:60], v[63:64]
	s_waitcnt vmcnt(3)
	v_fma_f64 v[59:60], v[75:76], v[61:62], v[59:60]
	s_waitcnt vmcnt(2) lgkmcnt(0)
	v_fma_f64 v[59:60], v[73:74], v[65:66], v[59:60]
	s_waitcnt vmcnt(0)
	v_add_f64 v[59:60], v[79:80], -v[59:60]
	buffer_store_dword v60, off, s[0:3], 0 offset:68
	buffer_store_dword v59, off, s[0:3], 0 offset:64
	s_and_saveexec_b64 s[4:5], vcc
	s_cbranch_execz .LBB27_161
; %bb.160:
	buffer_load_dword v59, off, s[0:3], 0 offset:56
	buffer_load_dword v60, off, s[0:3], 0 offset:60
	s_waitcnt vmcnt(0)
	ds_write_b64 v57, v[59:60]
	buffer_store_dword v58, off, s[0:3], 0 offset:56
	buffer_store_dword v58, off, s[0:3], 0 offset:60
.LBB27_161:
	s_or_b64 exec, exec, s[4:5]
	s_waitcnt lgkmcnt(0)
	; wave barrier
	buffer_load_dword v67, off, s[0:3], 0 offset:64
	buffer_load_dword v68, off, s[0:3], 0 offset:68
	;; [unrolled: 1-line block ×22, first 2 shown]
	ds_read_b128 v[59:62], v58 offset:288
	ds_read_b128 v[63:66], v58 offset:304
	v_cmp_lt_u32_e32 vcc, 6, v0
	s_waitcnt vmcnt(20) lgkmcnt(1)
	v_fma_f64 v[59:60], v[67:68], v[59:60], 0
	s_waitcnt vmcnt(18)
	v_fma_f64 v[59:60], v[69:70], v[61:62], v[59:60]
	buffer_load_dword v68, off, s[0:3], 0 offset:156
	buffer_load_dword v69, off, s[0:3], 0 offset:176
	;; [unrolled: 1-line block ×7, first 2 shown]
	s_waitcnt vmcnt(23) lgkmcnt(0)
	v_fma_f64 v[59:60], v[71:72], v[63:64], v[59:60]
	s_waitcnt vmcnt(21)
	v_fma_f64 v[70:71], v[73:74], v[65:66], v[59:60]
	ds_read_b128 v[59:62], v58 offset:320
	ds_read_b128 v[63:66], v58 offset:336
	s_waitcnt vmcnt(19) lgkmcnt(1)
	v_fma_f64 v[59:60], v[75:76], v[59:60], v[70:71]
	buffer_load_dword v70, off, s[0:3], 0 offset:180
	s_waitcnt vmcnt(18)
	v_fma_f64 v[59:60], v[77:78], v[61:62], v[59:60]
	buffer_load_dword v72, off, s[0:3], 0 offset:188
	buffer_load_dword v73, off, s[0:3], 0 offset:208
	;; [unrolled: 1-line block ×8, first 2 shown]
	s_waitcnt vmcnt(24) lgkmcnt(0)
	v_fma_f64 v[59:60], v[79:80], v[63:64], v[59:60]
	s_waitcnt vmcnt(19)
	v_fma_f64 v[79:80], v[81:82], v[65:66], v[59:60]
	ds_read_b128 v[59:62], v58 offset:352
	ds_read_b128 v[63:66], v58 offset:368
	s_waitcnt vmcnt(18) lgkmcnt(1)
	v_fma_f64 v[59:60], v[87:88], v[59:60], v[79:80]
	buffer_load_dword v80, off, s[0:3], 0 offset:220
	buffer_load_dword v79, off, s[0:3], 0 offset:216
	;; [unrolled: 1-line block ×4, first 2 shown]
	s_waitcnt vmcnt(21)
	v_fma_f64 v[59:60], v[85:86], v[61:62], v[59:60]
	s_waitcnt vmcnt(20) lgkmcnt(0)
	v_fma_f64 v[59:60], v[83:84], v[63:64], v[59:60]
	s_waitcnt vmcnt(15)
	v_fma_f64 v[67:68], v[67:68], v[65:66], v[59:60]
	ds_read_b128 v[59:62], v58 offset:384
	ds_read_b128 v[63:66], v58 offset:400
	s_waitcnt vmcnt(14) lgkmcnt(1)
	v_fma_f64 v[59:60], v[91:92], v[59:60], v[67:68]
	s_waitcnt vmcnt(13)
	v_fma_f64 v[59:60], v[89:90], v[61:62], v[59:60]
	s_waitcnt vmcnt(12) lgkmcnt(0)
	v_fma_f64 v[59:60], v[69:70], v[63:64], v[59:60]
	s_waitcnt vmcnt(7)
	v_fma_f64 v[67:68], v[71:72], v[65:66], v[59:60]
	ds_read_b128 v[59:62], v58 offset:416
	ds_read_b128 v[63:66], v58 offset:432
	s_waitcnt vmcnt(6) lgkmcnt(1)
	v_fma_f64 v[58:59], v[77:78], v[59:60], v[67:68]
	s_waitcnt vmcnt(5)
	v_fma_f64 v[58:59], v[75:76], v[61:62], v[58:59]
	s_waitcnt vmcnt(4) lgkmcnt(0)
	v_fma_f64 v[58:59], v[73:74], v[63:64], v[58:59]
	s_waitcnt vmcnt(2)
	v_fma_f64 v[58:59], v[79:80], v[65:66], v[58:59]
	s_waitcnt vmcnt(0)
	v_add_f64 v[58:59], v[81:82], -v[58:59]
	buffer_store_dword v59, off, s[0:3], 0 offset:60
	buffer_store_dword v58, off, s[0:3], 0 offset:56
	s_and_saveexec_b64 s[4:5], vcc
	s_cbranch_execz .LBB27_163
; %bb.162:
	buffer_load_dword v58, off, s[0:3], 0 offset:48
	buffer_load_dword v59, off, s[0:3], 0 offset:52
	v_mov_b32_e32 v60, 0
	buffer_store_dword v60, off, s[0:3], 0 offset:48
	buffer_store_dword v60, off, s[0:3], 0 offset:52
	s_waitcnt vmcnt(2)
	ds_write_b64 v57, v[58:59]
.LBB27_163:
	s_or_b64 exec, exec, s[4:5]
	s_waitcnt lgkmcnt(0)
	; wave barrier
	buffer_load_dword v67, off, s[0:3], 0 offset:56
	buffer_load_dword v68, off, s[0:3], 0 offset:60
	;; [unrolled: 1-line block ×21, first 2 shown]
	v_mov_b32_e32 v58, 0
	ds_read2_b64 v[59:62], v58 offset0:35 offset1:36
	ds_read2_b64 v[63:66], v58 offset0:37 offset1:38
	buffer_load_dword v84, off, s[0:3], 0 offset:140
	v_cmp_lt_u32_e32 vcc, 5, v0
	s_waitcnt vmcnt(20) lgkmcnt(1)
	v_fma_f64 v[59:60], v[67:68], v[59:60], 0
	s_waitcnt vmcnt(18)
	v_fma_f64 v[59:60], v[69:70], v[61:62], v[59:60]
	buffer_load_dword v68, off, s[0:3], 0 offset:148
	buffer_load_dword v69, off, s[0:3], 0 offset:168
	;; [unrolled: 1-line block ×7, first 2 shown]
	s_waitcnt vmcnt(23) lgkmcnt(0)
	v_fma_f64 v[59:60], v[71:72], v[63:64], v[59:60]
	s_waitcnt vmcnt(21)
	v_fma_f64 v[70:71], v[73:74], v[65:66], v[59:60]
	ds_read2_b64 v[59:62], v58 offset0:39 offset1:40
	ds_read2_b64 v[63:66], v58 offset0:41 offset1:42
	s_waitcnt vmcnt(19) lgkmcnt(1)
	v_fma_f64 v[59:60], v[75:76], v[59:60], v[70:71]
	buffer_load_dword v70, off, s[0:3], 0 offset:172
	s_waitcnt vmcnt(18)
	v_fma_f64 v[59:60], v[77:78], v[61:62], v[59:60]
	buffer_load_dword v72, off, s[0:3], 0 offset:180
	buffer_load_dword v73, off, s[0:3], 0 offset:200
	;; [unrolled: 1-line block ×7, first 2 shown]
	s_waitcnt vmcnt(23) lgkmcnt(0)
	v_fma_f64 v[59:60], v[79:80], v[63:64], v[59:60]
	s_waitcnt vmcnt(18)
	v_fma_f64 v[79:80], v[81:82], v[65:66], v[59:60]
	ds_read2_b64 v[59:62], v58 offset0:43 offset1:44
	ds_read2_b64 v[63:66], v58 offset0:45 offset1:46
	buffer_load_dword v74, off, s[0:3], 0 offset:204
	s_waitcnt vmcnt(18) lgkmcnt(1)
	v_fma_f64 v[59:60], v[87:88], v[59:60], v[79:80]
	buffer_load_dword v80, off, s[0:3], 0 offset:212
	buffer_load_dword v81, off, s[0:3], 0 offset:216
	;; [unrolled: 1-line block ×4, first 2 shown]
	s_waitcnt vmcnt(21)
	v_fma_f64 v[59:60], v[85:86], v[61:62], v[59:60]
	s_waitcnt vmcnt(20) lgkmcnt(0)
	v_fma_f64 v[59:60], v[83:84], v[63:64], v[59:60]
	buffer_load_dword v83, off, s[0:3], 0 offset:48
	buffer_load_dword v84, off, s[0:3], 0 offset:52
	s_waitcnt vmcnt(17)
	v_fma_f64 v[67:68], v[67:68], v[65:66], v[59:60]
	ds_read2_b64 v[59:62], v58 offset0:47 offset1:48
	ds_read2_b64 v[63:66], v58 offset0:49 offset1:50
	s_waitcnt vmcnt(16) lgkmcnt(1)
	v_fma_f64 v[59:60], v[91:92], v[59:60], v[67:68]
	s_waitcnt vmcnt(15)
	v_fma_f64 v[59:60], v[89:90], v[61:62], v[59:60]
	s_waitcnt vmcnt(14) lgkmcnt(0)
	v_fma_f64 v[59:60], v[69:70], v[63:64], v[59:60]
	s_waitcnt vmcnt(9)
	v_fma_f64 v[67:68], v[71:72], v[65:66], v[59:60]
	ds_read2_b64 v[59:62], v58 offset0:51 offset1:52
	ds_read2_b64 v[63:66], v58 offset0:53 offset1:54
	s_waitcnt vmcnt(8) lgkmcnt(1)
	v_fma_f64 v[59:60], v[77:78], v[59:60], v[67:68]
	s_waitcnt vmcnt(7)
	v_fma_f64 v[59:60], v[75:76], v[61:62], v[59:60]
	ds_read_b64 v[61:62], v58 offset:440
	s_waitcnt vmcnt(6) lgkmcnt(1)
	v_fma_f64 v[59:60], v[73:74], v[63:64], v[59:60]
	s_waitcnt vmcnt(3)
	v_fma_f64 v[59:60], v[79:80], v[65:66], v[59:60]
	s_waitcnt vmcnt(2) lgkmcnt(0)
	v_fma_f64 v[59:60], v[81:82], v[61:62], v[59:60]
	s_waitcnt vmcnt(0)
	v_add_f64 v[59:60], v[83:84], -v[59:60]
	buffer_store_dword v60, off, s[0:3], 0 offset:52
	buffer_store_dword v59, off, s[0:3], 0 offset:48
	s_and_saveexec_b64 s[4:5], vcc
	s_cbranch_execz .LBB27_165
; %bb.164:
	buffer_load_dword v59, off, s[0:3], 0 offset:40
	buffer_load_dword v60, off, s[0:3], 0 offset:44
	s_waitcnt vmcnt(0)
	ds_write_b64 v57, v[59:60]
	buffer_store_dword v58, off, s[0:3], 0 offset:40
	buffer_store_dword v58, off, s[0:3], 0 offset:44
.LBB27_165:
	s_or_b64 exec, exec, s[4:5]
	s_waitcnt lgkmcnt(0)
	; wave barrier
	buffer_load_dword v67, off, s[0:3], 0 offset:48
	buffer_load_dword v68, off, s[0:3], 0 offset:52
	;; [unrolled: 1-line block ×21, first 2 shown]
	ds_read_b128 v[59:62], v58 offset:272
	ds_read_b128 v[63:66], v58 offset:288
	buffer_load_dword v84, off, s[0:3], 0 offset:132
	v_cmp_lt_u32_e32 vcc, 4, v0
	s_waitcnt vmcnt(20) lgkmcnt(1)
	v_fma_f64 v[59:60], v[67:68], v[59:60], 0
	s_waitcnt vmcnt(18)
	v_fma_f64 v[59:60], v[69:70], v[61:62], v[59:60]
	buffer_load_dword v68, off, s[0:3], 0 offset:140
	buffer_load_dword v69, off, s[0:3], 0 offset:160
	;; [unrolled: 1-line block ×7, first 2 shown]
	s_waitcnt vmcnt(23) lgkmcnt(0)
	v_fma_f64 v[59:60], v[71:72], v[63:64], v[59:60]
	s_waitcnt vmcnt(21)
	v_fma_f64 v[70:71], v[73:74], v[65:66], v[59:60]
	ds_read_b128 v[59:62], v58 offset:304
	ds_read_b128 v[63:66], v58 offset:320
	s_waitcnt vmcnt(19) lgkmcnt(1)
	v_fma_f64 v[59:60], v[75:76], v[59:60], v[70:71]
	buffer_load_dword v70, off, s[0:3], 0 offset:164
	s_waitcnt vmcnt(18)
	v_fma_f64 v[59:60], v[77:78], v[61:62], v[59:60]
	buffer_load_dword v72, off, s[0:3], 0 offset:172
	buffer_load_dword v73, off, s[0:3], 0 offset:192
	;; [unrolled: 1-line block ×8, first 2 shown]
	s_waitcnt vmcnt(24) lgkmcnt(0)
	v_fma_f64 v[59:60], v[79:80], v[63:64], v[59:60]
	s_waitcnt vmcnt(19)
	v_fma_f64 v[79:80], v[81:82], v[65:66], v[59:60]
	ds_read_b128 v[59:62], v58 offset:336
	ds_read_b128 v[63:66], v58 offset:352
	s_waitcnt vmcnt(18) lgkmcnt(1)
	v_fma_f64 v[59:60], v[87:88], v[59:60], v[79:80]
	s_waitcnt vmcnt(17)
	v_fma_f64 v[59:60], v[85:86], v[61:62], v[59:60]
	buffer_load_dword v80, off, s[0:3], 0 offset:204
	buffer_load_dword v81, off, s[0:3], 0 offset:216
	;; [unrolled: 1-line block ×6, first 2 shown]
	s_waitcnt vmcnt(22) lgkmcnt(0)
	v_fma_f64 v[59:60], v[83:84], v[63:64], v[59:60]
	s_waitcnt vmcnt(17)
	v_fma_f64 v[67:68], v[67:68], v[65:66], v[59:60]
	ds_read_b128 v[59:62], v58 offset:368
	buffer_load_dword v83, off, s[0:3], 0 offset:40
	buffer_load_dword v84, off, s[0:3], 0 offset:44
	ds_read_b128 v[63:66], v58 offset:384
	s_waitcnt vmcnt(18) lgkmcnt(1)
	v_fma_f64 v[59:60], v[91:92], v[59:60], v[67:68]
	s_waitcnt vmcnt(17)
	v_fma_f64 v[59:60], v[89:90], v[61:62], v[59:60]
	s_waitcnt vmcnt(16) lgkmcnt(0)
	v_fma_f64 v[59:60], v[69:70], v[63:64], v[59:60]
	s_waitcnt vmcnt(11)
	v_fma_f64 v[67:68], v[71:72], v[65:66], v[59:60]
	ds_read_b128 v[59:62], v58 offset:400
	ds_read_b128 v[63:66], v58 offset:416
	s_waitcnt vmcnt(10) lgkmcnt(1)
	v_fma_f64 v[59:60], v[77:78], v[59:60], v[67:68]
	s_waitcnt vmcnt(9)
	v_fma_f64 v[59:60], v[75:76], v[61:62], v[59:60]
	s_waitcnt vmcnt(8) lgkmcnt(0)
	v_fma_f64 v[59:60], v[73:74], v[63:64], v[59:60]
	s_waitcnt vmcnt(4)
	v_fma_f64 v[62:63], v[79:80], v[65:66], v[59:60]
	ds_read_b128 v[58:61], v58 offset:432
	s_waitcnt vmcnt(3) lgkmcnt(0)
	v_fma_f64 v[58:59], v[85:86], v[58:59], v[62:63]
	s_waitcnt vmcnt(2)
	v_fma_f64 v[58:59], v[81:82], v[60:61], v[58:59]
	s_waitcnt vmcnt(0)
	v_add_f64 v[58:59], v[83:84], -v[58:59]
	buffer_store_dword v59, off, s[0:3], 0 offset:44
	buffer_store_dword v58, off, s[0:3], 0 offset:40
	s_and_saveexec_b64 s[4:5], vcc
	s_cbranch_execz .LBB27_167
; %bb.166:
	buffer_load_dword v58, off, s[0:3], 0 offset:32
	buffer_load_dword v59, off, s[0:3], 0 offset:36
	v_mov_b32_e32 v60, 0
	buffer_store_dword v60, off, s[0:3], 0 offset:32
	buffer_store_dword v60, off, s[0:3], 0 offset:36
	s_waitcnt vmcnt(2)
	ds_write_b64 v57, v[58:59]
.LBB27_167:
	s_or_b64 exec, exec, s[4:5]
	s_waitcnt lgkmcnt(0)
	; wave barrier
	buffer_load_dword v67, off, s[0:3], 0 offset:40
	buffer_load_dword v68, off, s[0:3], 0 offset:44
	;; [unrolled: 1-line block ×21, first 2 shown]
	v_mov_b32_e32 v58, 0
	ds_read2_b64 v[59:62], v58 offset0:33 offset1:34
	ds_read2_b64 v[63:66], v58 offset0:35 offset1:36
	buffer_load_dword v84, off, s[0:3], 0 offset:124
	v_cmp_lt_u32_e32 vcc, 3, v0
	s_waitcnt vmcnt(20) lgkmcnt(1)
	v_fma_f64 v[59:60], v[67:68], v[59:60], 0
	s_waitcnt vmcnt(18)
	v_fma_f64 v[59:60], v[69:70], v[61:62], v[59:60]
	buffer_load_dword v68, off, s[0:3], 0 offset:132
	buffer_load_dword v69, off, s[0:3], 0 offset:152
	;; [unrolled: 1-line block ×7, first 2 shown]
	s_waitcnt vmcnt(23) lgkmcnt(0)
	v_fma_f64 v[59:60], v[71:72], v[63:64], v[59:60]
	s_waitcnt vmcnt(21)
	v_fma_f64 v[70:71], v[73:74], v[65:66], v[59:60]
	ds_read2_b64 v[59:62], v58 offset0:37 offset1:38
	ds_read2_b64 v[63:66], v58 offset0:39 offset1:40
	s_waitcnt vmcnt(19) lgkmcnt(1)
	v_fma_f64 v[59:60], v[75:76], v[59:60], v[70:71]
	buffer_load_dword v70, off, s[0:3], 0 offset:156
	s_waitcnt vmcnt(18)
	v_fma_f64 v[59:60], v[77:78], v[61:62], v[59:60]
	buffer_load_dword v72, off, s[0:3], 0 offset:164
	buffer_load_dword v73, off, s[0:3], 0 offset:184
	;; [unrolled: 1-line block ×8, first 2 shown]
	s_waitcnt vmcnt(24) lgkmcnt(0)
	v_fma_f64 v[59:60], v[79:80], v[63:64], v[59:60]
	s_waitcnt vmcnt(19)
	v_fma_f64 v[79:80], v[81:82], v[65:66], v[59:60]
	ds_read2_b64 v[59:62], v58 offset0:41 offset1:42
	ds_read2_b64 v[63:66], v58 offset0:43 offset1:44
	s_waitcnt vmcnt(18) lgkmcnt(1)
	v_fma_f64 v[59:60], v[87:88], v[59:60], v[79:80]
	s_waitcnt vmcnt(17)
	v_fma_f64 v[59:60], v[85:86], v[61:62], v[59:60]
	buffer_load_dword v80, off, s[0:3], 0 offset:196
	buffer_load_dword v81, off, s[0:3], 0 offset:216
	;; [unrolled: 1-line block ×8, first 2 shown]
	s_waitcnt vmcnt(24) lgkmcnt(0)
	v_fma_f64 v[59:60], v[83:84], v[63:64], v[59:60]
	s_waitcnt vmcnt(19)
	v_fma_f64 v[67:68], v[67:68], v[65:66], v[59:60]
	ds_read2_b64 v[59:62], v58 offset0:45 offset1:46
	ds_read2_b64 v[63:66], v58 offset0:47 offset1:48
	s_waitcnt vmcnt(18) lgkmcnt(1)
	v_fma_f64 v[59:60], v[91:92], v[59:60], v[67:68]
	buffer_load_dword v67, off, s[0:3], 0 offset:32
	buffer_load_dword v68, off, s[0:3], 0 offset:36
	s_waitcnt vmcnt(19)
	v_fma_f64 v[59:60], v[89:90], v[61:62], v[59:60]
	s_waitcnt vmcnt(18) lgkmcnt(0)
	v_fma_f64 v[59:60], v[69:70], v[63:64], v[59:60]
	s_waitcnt vmcnt(13)
	v_fma_f64 v[69:70], v[71:72], v[65:66], v[59:60]
	ds_read2_b64 v[59:62], v58 offset0:49 offset1:50
	ds_read2_b64 v[63:66], v58 offset0:51 offset1:52
	s_waitcnt vmcnt(12) lgkmcnt(1)
	v_fma_f64 v[59:60], v[77:78], v[59:60], v[69:70]
	s_waitcnt vmcnt(11)
	v_fma_f64 v[59:60], v[75:76], v[61:62], v[59:60]
	s_waitcnt vmcnt(10) lgkmcnt(0)
	v_fma_f64 v[59:60], v[73:74], v[63:64], v[59:60]
	s_waitcnt vmcnt(5)
	v_fma_f64 v[63:64], v[79:80], v[65:66], v[59:60]
	ds_read2_b64 v[59:62], v58 offset0:53 offset1:54
	ds_read_b64 v[65:66], v58 offset:440
	s_waitcnt vmcnt(4) lgkmcnt(1)
	v_fma_f64 v[59:60], v[87:88], v[59:60], v[63:64]
	s_waitcnt vmcnt(3)
	v_fma_f64 v[59:60], v[85:86], v[61:62], v[59:60]
	s_waitcnt vmcnt(2) lgkmcnt(0)
	v_fma_f64 v[59:60], v[81:82], v[65:66], v[59:60]
	s_waitcnt vmcnt(0)
	v_add_f64 v[59:60], v[67:68], -v[59:60]
	buffer_store_dword v60, off, s[0:3], 0 offset:36
	buffer_store_dword v59, off, s[0:3], 0 offset:32
	s_and_saveexec_b64 s[4:5], vcc
	s_cbranch_execz .LBB27_169
; %bb.168:
	buffer_load_dword v59, off, s[0:3], 0 offset:24
	buffer_load_dword v60, off, s[0:3], 0 offset:28
	s_waitcnt vmcnt(0)
	ds_write_b64 v57, v[59:60]
	buffer_store_dword v58, off, s[0:3], 0 offset:24
	buffer_store_dword v58, off, s[0:3], 0 offset:28
.LBB27_169:
	s_or_b64 exec, exec, s[4:5]
	s_waitcnt lgkmcnt(0)
	; wave barrier
	buffer_load_dword v67, off, s[0:3], 0 offset:32
	buffer_load_dword v68, off, s[0:3], 0 offset:36
	;; [unrolled: 1-line block ×21, first 2 shown]
	ds_read_b128 v[59:62], v58 offset:256
	ds_read_b128 v[63:66], v58 offset:272
	buffer_load_dword v84, off, s[0:3], 0 offset:116
	v_cmp_lt_u32_e32 vcc, 2, v0
	s_waitcnt vmcnt(20) lgkmcnt(1)
	v_fma_f64 v[59:60], v[67:68], v[59:60], 0
	s_waitcnt vmcnt(18)
	v_fma_f64 v[59:60], v[69:70], v[61:62], v[59:60]
	buffer_load_dword v68, off, s[0:3], 0 offset:124
	buffer_load_dword v69, off, s[0:3], 0 offset:144
	;; [unrolled: 1-line block ×7, first 2 shown]
	s_waitcnt vmcnt(23) lgkmcnt(0)
	v_fma_f64 v[59:60], v[71:72], v[63:64], v[59:60]
	s_waitcnt vmcnt(21)
	v_fma_f64 v[70:71], v[73:74], v[65:66], v[59:60]
	ds_read_b128 v[59:62], v58 offset:288
	ds_read_b128 v[63:66], v58 offset:304
	s_waitcnt vmcnt(19) lgkmcnt(1)
	v_fma_f64 v[59:60], v[75:76], v[59:60], v[70:71]
	buffer_load_dword v70, off, s[0:3], 0 offset:148
	s_waitcnt vmcnt(18)
	v_fma_f64 v[59:60], v[77:78], v[61:62], v[59:60]
	buffer_load_dword v72, off, s[0:3], 0 offset:156
	buffer_load_dword v73, off, s[0:3], 0 offset:176
	;; [unrolled: 1-line block ×8, first 2 shown]
	s_waitcnt vmcnt(24) lgkmcnt(0)
	v_fma_f64 v[59:60], v[79:80], v[63:64], v[59:60]
	s_waitcnt vmcnt(19)
	v_fma_f64 v[79:80], v[81:82], v[65:66], v[59:60]
	ds_read_b128 v[59:62], v58 offset:320
	ds_read_b128 v[63:66], v58 offset:336
	s_waitcnt vmcnt(18) lgkmcnt(1)
	v_fma_f64 v[59:60], v[87:88], v[59:60], v[79:80]
	s_waitcnt vmcnt(17)
	v_fma_f64 v[59:60], v[85:86], v[61:62], v[59:60]
	buffer_load_dword v80, off, s[0:3], 0 offset:188
	buffer_load_dword v81, off, s[0:3], 0 offset:208
	;; [unrolled: 1-line block ×8, first 2 shown]
	s_waitcnt vmcnt(24) lgkmcnt(0)
	v_fma_f64 v[59:60], v[83:84], v[63:64], v[59:60]
	s_waitcnt vmcnt(19)
	v_fma_f64 v[67:68], v[67:68], v[65:66], v[59:60]
	ds_read_b128 v[59:62], v58 offset:352
	ds_read_b128 v[63:66], v58 offset:368
	s_waitcnt vmcnt(18) lgkmcnt(1)
	v_fma_f64 v[59:60], v[91:92], v[59:60], v[67:68]
	buffer_load_dword v68, off, s[0:3], 0 offset:220
	buffer_load_dword v67, off, s[0:3], 0 offset:216
	;; [unrolled: 1-line block ×4, first 2 shown]
	s_waitcnt vmcnt(21)
	v_fma_f64 v[59:60], v[89:90], v[61:62], v[59:60]
	s_waitcnt vmcnt(20) lgkmcnt(0)
	v_fma_f64 v[59:60], v[69:70], v[63:64], v[59:60]
	s_waitcnt vmcnt(15)
	v_fma_f64 v[69:70], v[71:72], v[65:66], v[59:60]
	ds_read_b128 v[59:62], v58 offset:384
	ds_read_b128 v[63:66], v58 offset:400
	s_waitcnt vmcnt(14) lgkmcnt(1)
	v_fma_f64 v[59:60], v[77:78], v[59:60], v[69:70]
	s_waitcnt vmcnt(13)
	v_fma_f64 v[59:60], v[75:76], v[61:62], v[59:60]
	s_waitcnt vmcnt(12) lgkmcnt(0)
	v_fma_f64 v[59:60], v[73:74], v[63:64], v[59:60]
	s_waitcnt vmcnt(7)
	v_fma_f64 v[69:70], v[79:80], v[65:66], v[59:60]
	ds_read_b128 v[59:62], v58 offset:416
	ds_read_b128 v[63:66], v58 offset:432
	s_waitcnt vmcnt(6) lgkmcnt(1)
	v_fma_f64 v[58:59], v[87:88], v[59:60], v[69:70]
	s_waitcnt vmcnt(5)
	v_fma_f64 v[58:59], v[85:86], v[61:62], v[58:59]
	s_waitcnt vmcnt(4) lgkmcnt(0)
	v_fma_f64 v[58:59], v[81:82], v[63:64], v[58:59]
	s_waitcnt vmcnt(2)
	v_fma_f64 v[58:59], v[67:68], v[65:66], v[58:59]
	s_waitcnt vmcnt(0)
	v_add_f64 v[58:59], v[83:84], -v[58:59]
	buffer_store_dword v59, off, s[0:3], 0 offset:28
	buffer_store_dword v58, off, s[0:3], 0 offset:24
	s_and_saveexec_b64 s[4:5], vcc
	s_cbranch_execz .LBB27_171
; %bb.170:
	buffer_load_dword v58, off, s[0:3], 0 offset:16
	buffer_load_dword v59, off, s[0:3], 0 offset:20
	v_mov_b32_e32 v60, 0
	buffer_store_dword v60, off, s[0:3], 0 offset:16
	buffer_store_dword v60, off, s[0:3], 0 offset:20
	s_waitcnt vmcnt(2)
	ds_write_b64 v57, v[58:59]
.LBB27_171:
	s_or_b64 exec, exec, s[4:5]
	s_waitcnt lgkmcnt(0)
	; wave barrier
	buffer_load_dword v67, off, s[0:3], 0 offset:24
	buffer_load_dword v68, off, s[0:3], 0 offset:28
	;; [unrolled: 1-line block ×21, first 2 shown]
	v_mov_b32_e32 v58, 0
	ds_read2_b64 v[59:62], v58 offset0:31 offset1:32
	ds_read2_b64 v[63:66], v58 offset0:33 offset1:34
	buffer_load_dword v84, off, s[0:3], 0 offset:108
	v_cmp_lt_u32_e32 vcc, 1, v0
	s_waitcnt vmcnt(20) lgkmcnt(1)
	v_fma_f64 v[59:60], v[67:68], v[59:60], 0
	s_waitcnt vmcnt(18)
	v_fma_f64 v[59:60], v[69:70], v[61:62], v[59:60]
	buffer_load_dword v68, off, s[0:3], 0 offset:116
	buffer_load_dword v69, off, s[0:3], 0 offset:136
	;; [unrolled: 1-line block ×7, first 2 shown]
	s_waitcnt vmcnt(23) lgkmcnt(0)
	v_fma_f64 v[59:60], v[71:72], v[63:64], v[59:60]
	s_waitcnt vmcnt(21)
	v_fma_f64 v[70:71], v[73:74], v[65:66], v[59:60]
	ds_read2_b64 v[59:62], v58 offset0:35 offset1:36
	ds_read2_b64 v[63:66], v58 offset0:37 offset1:38
	s_waitcnt vmcnt(19) lgkmcnt(1)
	v_fma_f64 v[59:60], v[75:76], v[59:60], v[70:71]
	buffer_load_dword v70, off, s[0:3], 0 offset:140
	s_waitcnt vmcnt(18)
	v_fma_f64 v[59:60], v[77:78], v[61:62], v[59:60]
	buffer_load_dword v72, off, s[0:3], 0 offset:148
	buffer_load_dword v73, off, s[0:3], 0 offset:168
	;; [unrolled: 1-line block ×8, first 2 shown]
	s_waitcnt vmcnt(24) lgkmcnt(0)
	v_fma_f64 v[59:60], v[79:80], v[63:64], v[59:60]
	s_waitcnt vmcnt(19)
	v_fma_f64 v[79:80], v[81:82], v[65:66], v[59:60]
	ds_read2_b64 v[59:62], v58 offset0:39 offset1:40
	ds_read2_b64 v[63:66], v58 offset0:41 offset1:42
	s_waitcnt vmcnt(18) lgkmcnt(1)
	v_fma_f64 v[59:60], v[87:88], v[59:60], v[79:80]
	s_waitcnt vmcnt(17)
	v_fma_f64 v[59:60], v[85:86], v[61:62], v[59:60]
	buffer_load_dword v80, off, s[0:3], 0 offset:180
	buffer_load_dword v81, off, s[0:3], 0 offset:200
	;; [unrolled: 1-line block ×7, first 2 shown]
	s_waitcnt vmcnt(23) lgkmcnt(0)
	v_fma_f64 v[59:60], v[83:84], v[63:64], v[59:60]
	s_waitcnt vmcnt(18)
	v_fma_f64 v[67:68], v[67:68], v[65:66], v[59:60]
	ds_read2_b64 v[59:62], v58 offset0:43 offset1:44
	ds_read2_b64 v[63:66], v58 offset0:45 offset1:46
	buffer_load_dword v82, off, s[0:3], 0 offset:204
	s_waitcnt vmcnt(18) lgkmcnt(1)
	v_fma_f64 v[59:60], v[91:92], v[59:60], v[67:68]
	buffer_load_dword v68, off, s[0:3], 0 offset:212
	buffer_load_dword v83, off, s[0:3], 0 offset:216
	;; [unrolled: 1-line block ×4, first 2 shown]
	s_waitcnt vmcnt(21)
	v_fma_f64 v[59:60], v[89:90], v[61:62], v[59:60]
	s_waitcnt vmcnt(20) lgkmcnt(0)
	v_fma_f64 v[59:60], v[69:70], v[63:64], v[59:60]
	buffer_load_dword v69, off, s[0:3], 0 offset:16
	buffer_load_dword v70, off, s[0:3], 0 offset:20
	s_waitcnt vmcnt(17)
	v_fma_f64 v[71:72], v[71:72], v[65:66], v[59:60]
	ds_read2_b64 v[59:62], v58 offset0:47 offset1:48
	ds_read2_b64 v[63:66], v58 offset0:49 offset1:50
	s_waitcnt vmcnt(16) lgkmcnt(1)
	v_fma_f64 v[59:60], v[77:78], v[59:60], v[71:72]
	s_waitcnt vmcnt(15)
	v_fma_f64 v[59:60], v[75:76], v[61:62], v[59:60]
	s_waitcnt vmcnt(14) lgkmcnt(0)
	v_fma_f64 v[59:60], v[73:74], v[63:64], v[59:60]
	s_waitcnt vmcnt(9)
	v_fma_f64 v[71:72], v[79:80], v[65:66], v[59:60]
	ds_read2_b64 v[59:62], v58 offset0:51 offset1:52
	ds_read2_b64 v[63:66], v58 offset0:53 offset1:54
	s_waitcnt vmcnt(8) lgkmcnt(1)
	v_fma_f64 v[59:60], v[87:88], v[59:60], v[71:72]
	s_waitcnt vmcnt(7)
	v_fma_f64 v[59:60], v[85:86], v[61:62], v[59:60]
	ds_read_b64 v[61:62], v58 offset:440
	s_waitcnt vmcnt(6) lgkmcnt(1)
	v_fma_f64 v[59:60], v[81:82], v[63:64], v[59:60]
	s_waitcnt vmcnt(3)
	v_fma_f64 v[59:60], v[67:68], v[65:66], v[59:60]
	s_waitcnt vmcnt(2) lgkmcnt(0)
	v_fma_f64 v[59:60], v[83:84], v[61:62], v[59:60]
	s_waitcnt vmcnt(0)
	v_add_f64 v[59:60], v[69:70], -v[59:60]
	buffer_store_dword v60, off, s[0:3], 0 offset:20
	buffer_store_dword v59, off, s[0:3], 0 offset:16
	s_and_saveexec_b64 s[4:5], vcc
	s_cbranch_execz .LBB27_173
; %bb.172:
	buffer_load_dword v59, off, s[0:3], 0 offset:8
	buffer_load_dword v60, off, s[0:3], 0 offset:12
	s_waitcnt vmcnt(0)
	ds_write_b64 v57, v[59:60]
	buffer_store_dword v58, off, s[0:3], 0 offset:8
	buffer_store_dword v58, off, s[0:3], 0 offset:12
.LBB27_173:
	s_or_b64 exec, exec, s[4:5]
	s_waitcnt lgkmcnt(0)
	; wave barrier
	buffer_load_dword v67, off, s[0:3], 0 offset:16
	buffer_load_dword v68, off, s[0:3], 0 offset:20
	;; [unrolled: 1-line block ×22, first 2 shown]
	ds_read_b128 v[59:62], v58 offset:240
	ds_read_b128 v[63:66], v58 offset:256
	v_cmp_ne_u32_e32 vcc, 0, v0
	s_waitcnt vmcnt(20) lgkmcnt(1)
	v_fma_f64 v[59:60], v[67:68], v[59:60], 0
	s_waitcnt vmcnt(18)
	v_fma_f64 v[59:60], v[69:70], v[61:62], v[59:60]
	buffer_load_dword v68, off, s[0:3], 0 offset:108
	buffer_load_dword v69, off, s[0:3], 0 offset:128
	buffer_load_dword v89, off, s[0:3], 0 offset:120
	buffer_load_dword v91, off, s[0:3], 0 offset:112
	buffer_load_dword v67, off, s[0:3], 0 offset:104
	buffer_load_dword v92, off, s[0:3], 0 offset:116
	buffer_load_dword v90, off, s[0:3], 0 offset:124
	s_waitcnt vmcnt(23) lgkmcnt(0)
	v_fma_f64 v[59:60], v[71:72], v[63:64], v[59:60]
	s_waitcnt vmcnt(21)
	v_fma_f64 v[70:71], v[73:74], v[65:66], v[59:60]
	ds_read_b128 v[59:62], v58 offset:272
	ds_read_b128 v[63:66], v58 offset:288
	s_waitcnt vmcnt(19) lgkmcnt(1)
	v_fma_f64 v[59:60], v[75:76], v[59:60], v[70:71]
	buffer_load_dword v70, off, s[0:3], 0 offset:132
	s_waitcnt vmcnt(18)
	v_fma_f64 v[59:60], v[77:78], v[61:62], v[59:60]
	buffer_load_dword v72, off, s[0:3], 0 offset:140
	buffer_load_dword v73, off, s[0:3], 0 offset:160
	buffer_load_dword v75, off, s[0:3], 0 offset:152
	buffer_load_dword v77, off, s[0:3], 0 offset:144
	buffer_load_dword v71, off, s[0:3], 0 offset:136
	buffer_load_dword v78, off, s[0:3], 0 offset:148
	buffer_load_dword v76, off, s[0:3], 0 offset:156
	buffer_load_dword v74, off, s[0:3], 0 offset:164
	s_waitcnt vmcnt(24) lgkmcnt(0)
	v_fma_f64 v[59:60], v[79:80], v[63:64], v[59:60]
	s_waitcnt vmcnt(19)
	v_fma_f64 v[79:80], v[81:82], v[65:66], v[59:60]
	ds_read_b128 v[59:62], v58 offset:304
	ds_read_b128 v[63:66], v58 offset:320
	s_waitcnt vmcnt(18) lgkmcnt(1)
	v_fma_f64 v[59:60], v[87:88], v[59:60], v[79:80]
	s_waitcnt vmcnt(17)
	v_fma_f64 v[59:60], v[85:86], v[61:62], v[59:60]
	buffer_load_dword v80, off, s[0:3], 0 offset:172
	buffer_load_dword v81, off, s[0:3], 0 offset:192
	;; [unrolled: 1-line block ×8, first 2 shown]
	s_waitcnt vmcnt(24) lgkmcnt(0)
	v_fma_f64 v[59:60], v[83:84], v[63:64], v[59:60]
	s_waitcnt vmcnt(19)
	v_fma_f64 v[67:68], v[67:68], v[65:66], v[59:60]
	ds_read_b128 v[59:62], v58 offset:336
	ds_read_b128 v[63:66], v58 offset:352
	s_waitcnt vmcnt(18) lgkmcnt(1)
	v_fma_f64 v[59:60], v[91:92], v[59:60], v[67:68]
	s_waitcnt vmcnt(17)
	v_fma_f64 v[59:60], v[89:90], v[61:62], v[59:60]
	buffer_load_dword v68, off, s[0:3], 0 offset:204
	buffer_load_dword v83, off, s[0:3], 0 offset:216
	buffer_load_dword v89, off, s[0:3], 0 offset:208
	buffer_load_dword v67, off, s[0:3], 0 offset:200
	buffer_load_dword v90, off, s[0:3], 0 offset:212
	buffer_load_dword v84, off, s[0:3], 0 offset:220
	s_waitcnt vmcnt(22) lgkmcnt(0)
	v_fma_f64 v[59:60], v[69:70], v[63:64], v[59:60]
	s_waitcnt vmcnt(17)
	v_fma_f64 v[69:70], v[71:72], v[65:66], v[59:60]
	ds_read_b128 v[59:62], v58 offset:368
	buffer_load_dword v71, off, s[0:3], 0 offset:8
	buffer_load_dword v72, off, s[0:3], 0 offset:12
	ds_read_b128 v[63:66], v58 offset:384
	s_waitcnt vmcnt(18) lgkmcnt(1)
	v_fma_f64 v[59:60], v[77:78], v[59:60], v[69:70]
	s_waitcnt vmcnt(17)
	v_fma_f64 v[59:60], v[75:76], v[61:62], v[59:60]
	s_waitcnt vmcnt(16) lgkmcnt(0)
	v_fma_f64 v[59:60], v[73:74], v[63:64], v[59:60]
	s_waitcnt vmcnt(11)
	v_fma_f64 v[69:70], v[79:80], v[65:66], v[59:60]
	ds_read_b128 v[59:62], v58 offset:400
	ds_read_b128 v[63:66], v58 offset:416
	s_waitcnt vmcnt(10) lgkmcnt(1)
	v_fma_f64 v[59:60], v[87:88], v[59:60], v[69:70]
	s_waitcnt vmcnt(9)
	v_fma_f64 v[59:60], v[85:86], v[61:62], v[59:60]
	s_waitcnt vmcnt(8) lgkmcnt(0)
	v_fma_f64 v[59:60], v[81:82], v[63:64], v[59:60]
	s_waitcnt vmcnt(4)
	v_fma_f64 v[62:63], v[67:68], v[65:66], v[59:60]
	ds_read_b128 v[58:61], v58 offset:432
	s_waitcnt vmcnt(3) lgkmcnt(0)
	v_fma_f64 v[58:59], v[89:90], v[58:59], v[62:63]
	s_waitcnt vmcnt(2)
	v_fma_f64 v[58:59], v[83:84], v[60:61], v[58:59]
	s_waitcnt vmcnt(0)
	v_add_f64 v[58:59], v[71:72], -v[58:59]
	buffer_store_dword v59, off, s[0:3], 0 offset:12
	buffer_store_dword v58, off, s[0:3], 0 offset:8
	s_and_saveexec_b64 s[4:5], vcc
	s_cbranch_execz .LBB27_175
; %bb.174:
	buffer_load_dword v58, off, s[0:3], 0
	buffer_load_dword v59, off, s[0:3], 0 offset:4
	v_mov_b32_e32 v0, 0
	buffer_store_dword v0, off, s[0:3], 0
	buffer_store_dword v0, off, s[0:3], 0 offset:4
	s_waitcnt vmcnt(2)
	ds_write_b64 v57, v[58:59]
.LBB27_175:
	s_or_b64 exec, exec, s[4:5]
	s_waitcnt lgkmcnt(0)
	; wave barrier
	buffer_load_dword v65, off, s[0:3], 0 offset:8
	buffer_load_dword v66, off, s[0:3], 0 offset:12
	;; [unrolled: 1-line block ×22, first 2 shown]
	v_mov_b32_e32 v0, 0
	ds_read2_b64 v[57:60], v0 offset0:29 offset1:30
	ds_read2_b64 v[61:64], v0 offset0:31 offset1:32
	s_and_b64 vcc, exec, s[22:23]
	s_waitcnt vmcnt(20) lgkmcnt(1)
	v_fma_f64 v[57:58], v[65:66], v[57:58], 0
	s_waitcnt vmcnt(18)
	v_fma_f64 v[57:58], v[67:68], v[59:60], v[57:58]
	buffer_load_dword v66, off, s[0:3], 0 offset:100
	buffer_load_dword v67, off, s[0:3], 0 offset:120
	buffer_load_dword v87, off, s[0:3], 0 offset:112
	buffer_load_dword v89, off, s[0:3], 0 offset:104
	buffer_load_dword v65, off, s[0:3], 0 offset:96
	buffer_load_dword v90, off, s[0:3], 0 offset:108
	buffer_load_dword v88, off, s[0:3], 0 offset:116
	s_waitcnt vmcnt(23) lgkmcnt(0)
	v_fma_f64 v[57:58], v[69:70], v[61:62], v[57:58]
	s_waitcnt vmcnt(21)
	v_fma_f64 v[68:69], v[71:72], v[63:64], v[57:58]
	ds_read2_b64 v[57:60], v0 offset0:33 offset1:34
	ds_read2_b64 v[61:64], v0 offset0:35 offset1:36
	s_waitcnt vmcnt(19) lgkmcnt(1)
	v_fma_f64 v[57:58], v[73:74], v[57:58], v[68:69]
	buffer_load_dword v68, off, s[0:3], 0 offset:124
	s_waitcnt vmcnt(18)
	v_fma_f64 v[57:58], v[75:76], v[59:60], v[57:58]
	buffer_load_dword v70, off, s[0:3], 0 offset:132
	buffer_load_dword v71, off, s[0:3], 0 offset:152
	;; [unrolled: 1-line block ×8, first 2 shown]
	s_waitcnt vmcnt(24) lgkmcnt(0)
	v_fma_f64 v[57:58], v[77:78], v[61:62], v[57:58]
	s_waitcnt vmcnt(19)
	v_fma_f64 v[77:78], v[79:80], v[63:64], v[57:58]
	ds_read2_b64 v[57:60], v0 offset0:37 offset1:38
	ds_read2_b64 v[61:64], v0 offset0:39 offset1:40
	s_waitcnt vmcnt(18) lgkmcnt(1)
	v_fma_f64 v[57:58], v[85:86], v[57:58], v[77:78]
	s_waitcnt vmcnt(17)
	v_fma_f64 v[57:58], v[83:84], v[59:60], v[57:58]
	buffer_load_dword v78, off, s[0:3], 0 offset:164
	buffer_load_dword v79, off, s[0:3], 0 offset:184
	;; [unrolled: 1-line block ×8, first 2 shown]
	s_waitcnt vmcnt(24) lgkmcnt(0)
	v_fma_f64 v[57:58], v[81:82], v[61:62], v[57:58]
	s_waitcnt vmcnt(19)
	v_fma_f64 v[65:66], v[65:66], v[63:64], v[57:58]
	ds_read2_b64 v[57:60], v0 offset0:41 offset1:42
	ds_read2_b64 v[61:64], v0 offset0:43 offset1:44
	s_waitcnt vmcnt(18) lgkmcnt(1)
	v_fma_f64 v[57:58], v[89:90], v[57:58], v[65:66]
	s_waitcnt vmcnt(17)
	v_fma_f64 v[57:58], v[87:88], v[59:60], v[57:58]
	buffer_load_dword v82, off, s[0:3], 0 offset:196
	buffer_load_dword v87, off, s[0:3], 0 offset:216
	;; [unrolled: 1-line block ×8, first 2 shown]
	s_waitcnt vmcnt(24) lgkmcnt(0)
	v_fma_f64 v[57:58], v[67:68], v[61:62], v[57:58]
	ds_read2_b64 v[65:68], v0 offset0:47 offset1:48
	s_waitcnt vmcnt(19)
	v_fma_f64 v[57:58], v[69:70], v[63:64], v[57:58]
	ds_read2_b64 v[61:64], v0 offset0:45 offset1:46
	buffer_load_dword v69, off, s[0:3], 0
	buffer_load_dword v70, off, s[0:3], 0 offset:4
	s_waitcnt vmcnt(20) lgkmcnt(0)
	v_fma_f64 v[57:58], v[75:76], v[61:62], v[57:58]
	s_waitcnt vmcnt(19)
	v_fma_f64 v[57:58], v[73:74], v[63:64], v[57:58]
	s_waitcnt vmcnt(18)
	;; [unrolled: 2-line block ×3, first 2 shown]
	v_fma_f64 v[57:58], v[77:78], v[67:68], v[57:58]
	ds_read2_b64 v[61:64], v0 offset0:49 offset1:50
	ds_read2_b64 v[65:68], v0 offset0:51 offset1:52
	s_waitcnt vmcnt(12) lgkmcnt(1)
	v_fma_f64 v[57:58], v[85:86], v[61:62], v[57:58]
	s_waitcnt vmcnt(11)
	v_fma_f64 v[57:58], v[83:84], v[63:64], v[57:58]
	s_waitcnt vmcnt(10) lgkmcnt(0)
	v_fma_f64 v[57:58], v[79:80], v[65:66], v[57:58]
	ds_read2_b64 v[61:64], v0 offset0:53 offset1:54
	ds_read_b64 v[65:66], v0 offset:440
	s_waitcnt vmcnt(5)
	v_fma_f64 v[57:58], v[81:82], v[67:68], v[57:58]
	s_waitcnt vmcnt(4) lgkmcnt(1)
	v_fma_f64 v[57:58], v[89:90], v[61:62], v[57:58]
	s_waitcnt vmcnt(3)
	v_fma_f64 v[57:58], v[59:60], v[63:64], v[57:58]
	s_waitcnt vmcnt(2) lgkmcnt(0)
	v_fma_f64 v[57:58], v[87:88], v[65:66], v[57:58]
	s_waitcnt vmcnt(0)
	v_add_f64 v[57:58], v[69:70], -v[57:58]
	buffer_store_dword v58, off, s[0:3], 0 offset:4
	buffer_store_dword v57, off, s[0:3], 0
	s_cbranch_vccz .LBB27_230
; %bb.176:
	global_load_dword v0, v0, s[20:21] offset:104
	s_waitcnt vmcnt(0)
	v_add_u32_e32 v0, -1, v0
	v_cmp_ne_u32_e32 vcc, 26, v0
	s_cbranch_vccz .LBB27_178
; %bb.177:
	v_lshlrev_b32_e32 v0, 3, v0
	buffer_load_dword v57, v0, s[0:3], 0 offen offset:4
	buffer_load_dword v58, v0, s[0:3], 0 offen
	s_waitcnt vmcnt(1)
	buffer_store_dword v57, off, s[0:3], 0 offset:212
	s_waitcnt vmcnt(1)
	buffer_store_dword v58, off, s[0:3], 0 offset:208
	buffer_store_dword v60, v0, s[0:3], 0 offen offset:4
	buffer_store_dword v59, v0, s[0:3], 0 offen
.LBB27_178:
	v_mov_b32_e32 v0, 0
	global_load_dword v57, v0, s[20:21] offset:100
	s_waitcnt vmcnt(0)
	v_add_u32_e32 v57, -1, v57
	v_cmp_eq_u32_e32 vcc, 25, v57
	s_cbranch_vccnz .LBB27_180
; %bb.179:
	v_lshlrev_b32_e32 v57, 3, v57
	buffer_load_dword v58, v57, s[0:3], 0 offen
	buffer_load_dword v59, v57, s[0:3], 0 offen offset:4
	buffer_load_dword v60, off, s[0:3], 0 offset:200
	buffer_load_dword v61, off, s[0:3], 0 offset:204
	s_waitcnt vmcnt(3)
	buffer_store_dword v58, off, s[0:3], 0 offset:200
	s_waitcnt vmcnt(3)
	buffer_store_dword v59, off, s[0:3], 0 offset:204
	s_waitcnt vmcnt(3)
	buffer_store_dword v60, v57, s[0:3], 0 offen
	s_waitcnt vmcnt(3)
	buffer_store_dword v61, v57, s[0:3], 0 offen offset:4
.LBB27_180:
	global_load_dword v0, v0, s[20:21] offset:96
	s_waitcnt vmcnt(0)
	v_add_u32_e32 v0, -1, v0
	v_cmp_eq_u32_e32 vcc, 24, v0
	s_cbranch_vccnz .LBB27_182
; %bb.181:
	v_lshlrev_b32_e32 v0, 3, v0
	buffer_load_dword v57, v0, s[0:3], 0 offen
	buffer_load_dword v58, v0, s[0:3], 0 offen offset:4
	buffer_load_dword v59, off, s[0:3], 0 offset:196
	buffer_load_dword v60, off, s[0:3], 0 offset:192
	s_waitcnt vmcnt(3)
	buffer_store_dword v57, off, s[0:3], 0 offset:192
	s_waitcnt vmcnt(3)
	buffer_store_dword v58, off, s[0:3], 0 offset:196
	s_waitcnt vmcnt(3)
	buffer_store_dword v59, v0, s[0:3], 0 offen offset:4
	s_waitcnt vmcnt(3)
	buffer_store_dword v60, v0, s[0:3], 0 offen
.LBB27_182:
	v_mov_b32_e32 v0, 0
	global_load_dword v57, v0, s[20:21] offset:92
	s_waitcnt vmcnt(0)
	v_add_u32_e32 v57, -1, v57
	v_cmp_eq_u32_e32 vcc, 23, v57
	s_cbranch_vccnz .LBB27_184
; %bb.183:
	v_lshlrev_b32_e32 v57, 3, v57
	buffer_load_dword v58, v57, s[0:3], 0 offen
	buffer_load_dword v59, v57, s[0:3], 0 offen offset:4
	buffer_load_dword v60, off, s[0:3], 0 offset:184
	buffer_load_dword v61, off, s[0:3], 0 offset:188
	s_waitcnt vmcnt(3)
	buffer_store_dword v58, off, s[0:3], 0 offset:184
	s_waitcnt vmcnt(3)
	buffer_store_dword v59, off, s[0:3], 0 offset:188
	s_waitcnt vmcnt(3)
	buffer_store_dword v60, v57, s[0:3], 0 offen
	s_waitcnt vmcnt(3)
	buffer_store_dword v61, v57, s[0:3], 0 offen offset:4
.LBB27_184:
	global_load_dword v0, v0, s[20:21] offset:88
	s_waitcnt vmcnt(0)
	v_add_u32_e32 v0, -1, v0
	v_cmp_eq_u32_e32 vcc, 22, v0
	s_cbranch_vccnz .LBB27_186
; %bb.185:
	v_lshlrev_b32_e32 v0, 3, v0
	buffer_load_dword v57, v0, s[0:3], 0 offen
	buffer_load_dword v58, v0, s[0:3], 0 offen offset:4
	buffer_load_dword v59, off, s[0:3], 0 offset:180
	buffer_load_dword v60, off, s[0:3], 0 offset:176
	s_waitcnt vmcnt(3)
	buffer_store_dword v57, off, s[0:3], 0 offset:176
	s_waitcnt vmcnt(3)
	buffer_store_dword v58, off, s[0:3], 0 offset:180
	s_waitcnt vmcnt(3)
	buffer_store_dword v59, v0, s[0:3], 0 offen offset:4
	s_waitcnt vmcnt(3)
	buffer_store_dword v60, v0, s[0:3], 0 offen
.LBB27_186:
	;; [unrolled: 41-line block ×12, first 2 shown]
	v_mov_b32_e32 v0, 0
	global_load_dword v57, v0, s[20:21] offset:4
	s_waitcnt vmcnt(0)
	v_add_u32_e32 v57, -1, v57
	v_cmp_eq_u32_e32 vcc, 1, v57
	s_cbranch_vccnz .LBB27_228
; %bb.227:
	v_lshlrev_b32_e32 v57, 3, v57
	buffer_load_dword v58, v57, s[0:3], 0 offen
	buffer_load_dword v59, v57, s[0:3], 0 offen offset:4
	buffer_load_dword v60, off, s[0:3], 0 offset:8
	buffer_load_dword v61, off, s[0:3], 0 offset:12
	s_waitcnt vmcnt(3)
	buffer_store_dword v58, off, s[0:3], 0 offset:8
	s_waitcnt vmcnt(3)
	buffer_store_dword v59, off, s[0:3], 0 offset:12
	s_waitcnt vmcnt(3)
	buffer_store_dword v60, v57, s[0:3], 0 offen
	s_waitcnt vmcnt(3)
	buffer_store_dword v61, v57, s[0:3], 0 offen offset:4
.LBB27_228:
	global_load_dword v0, v0, s[20:21]
	s_nop 0
	buffer_load_dword v57, off, s[0:3], 0
	buffer_load_dword v58, off, s[0:3], 0 offset:4
	s_waitcnt vmcnt(2)
	v_add_u32_e32 v0, -1, v0
	v_cmp_eq_u32_e32 vcc, 0, v0
	s_cbranch_vccnz .LBB27_230
; %bb.229:
	v_lshlrev_b32_e32 v0, 3, v0
	buffer_load_dword v59, v0, s[0:3], 0 offen offset:4
	buffer_load_dword v60, v0, s[0:3], 0 offen
	s_waitcnt vmcnt(1)
	buffer_store_dword v59, off, s[0:3], 0 offset:4
	s_waitcnt vmcnt(1)
	buffer_store_dword v60, off, s[0:3], 0
	buffer_store_dword v58, v0, s[0:3], 0 offen offset:4
	buffer_store_dword v57, v0, s[0:3], 0 offen
	buffer_load_dword v57, off, s[0:3], 0
	s_nop 0
	buffer_load_dword v58, off, s[0:3], 0 offset:4
.LBB27_230:
	buffer_load_dword v59, off, s[0:3], 0 offset:8
	buffer_load_dword v60, off, s[0:3], 0 offset:12
	;; [unrolled: 1-line block ×54, first 2 shown]
	s_waitcnt vmcnt(54)
	global_store_dwordx2 v[1:2], v[57:58], off
	s_waitcnt vmcnt(53)
	global_store_dwordx2 v[3:4], v[59:60], off
	;; [unrolled: 2-line block ×28, first 2 shown]
	s_endpgm
	.section	.rodata,"a",@progbits
	.p2align	6, 0x0
	.amdhsa_kernel _ZN9rocsolver6v33100L18getri_kernel_smallILi28EdPdEEvT1_iilPiilS4_bb
		.amdhsa_group_segment_fixed_size 456
		.amdhsa_private_segment_fixed_size 240
		.amdhsa_kernarg_size 60
		.amdhsa_user_sgpr_count 6
		.amdhsa_user_sgpr_private_segment_buffer 1
		.amdhsa_user_sgpr_dispatch_ptr 0
		.amdhsa_user_sgpr_queue_ptr 0
		.amdhsa_user_sgpr_kernarg_segment_ptr 1
		.amdhsa_user_sgpr_dispatch_id 0
		.amdhsa_user_sgpr_flat_scratch_init 0
		.amdhsa_user_sgpr_private_segment_size 0
		.amdhsa_uses_dynamic_stack 0
		.amdhsa_system_sgpr_private_segment_wavefront_offset 1
		.amdhsa_system_sgpr_workgroup_id_x 1
		.amdhsa_system_sgpr_workgroup_id_y 0
		.amdhsa_system_sgpr_workgroup_id_z 0
		.amdhsa_system_sgpr_workgroup_info 0
		.amdhsa_system_vgpr_workitem_id 0
		.amdhsa_next_free_vgpr 114
		.amdhsa_next_free_sgpr 24
		.amdhsa_reserve_vcc 1
		.amdhsa_reserve_flat_scratch 0
		.amdhsa_float_round_mode_32 0
		.amdhsa_float_round_mode_16_64 0
		.amdhsa_float_denorm_mode_32 3
		.amdhsa_float_denorm_mode_16_64 3
		.amdhsa_dx10_clamp 1
		.amdhsa_ieee_mode 1
		.amdhsa_fp16_overflow 0
		.amdhsa_exception_fp_ieee_invalid_op 0
		.amdhsa_exception_fp_denorm_src 0
		.amdhsa_exception_fp_ieee_div_zero 0
		.amdhsa_exception_fp_ieee_overflow 0
		.amdhsa_exception_fp_ieee_underflow 0
		.amdhsa_exception_fp_ieee_inexact 0
		.amdhsa_exception_int_div_zero 0
	.end_amdhsa_kernel
	.section	.text._ZN9rocsolver6v33100L18getri_kernel_smallILi28EdPdEEvT1_iilPiilS4_bb,"axG",@progbits,_ZN9rocsolver6v33100L18getri_kernel_smallILi28EdPdEEvT1_iilPiilS4_bb,comdat
.Lfunc_end27:
	.size	_ZN9rocsolver6v33100L18getri_kernel_smallILi28EdPdEEvT1_iilPiilS4_bb, .Lfunc_end27-_ZN9rocsolver6v33100L18getri_kernel_smallILi28EdPdEEvT1_iilPiilS4_bb
                                        ; -- End function
	.set _ZN9rocsolver6v33100L18getri_kernel_smallILi28EdPdEEvT1_iilPiilS4_bb.num_vgpr, 114
	.set _ZN9rocsolver6v33100L18getri_kernel_smallILi28EdPdEEvT1_iilPiilS4_bb.num_agpr, 0
	.set _ZN9rocsolver6v33100L18getri_kernel_smallILi28EdPdEEvT1_iilPiilS4_bb.numbered_sgpr, 24
	.set _ZN9rocsolver6v33100L18getri_kernel_smallILi28EdPdEEvT1_iilPiilS4_bb.num_named_barrier, 0
	.set _ZN9rocsolver6v33100L18getri_kernel_smallILi28EdPdEEvT1_iilPiilS4_bb.private_seg_size, 240
	.set _ZN9rocsolver6v33100L18getri_kernel_smallILi28EdPdEEvT1_iilPiilS4_bb.uses_vcc, 1
	.set _ZN9rocsolver6v33100L18getri_kernel_smallILi28EdPdEEvT1_iilPiilS4_bb.uses_flat_scratch, 0
	.set _ZN9rocsolver6v33100L18getri_kernel_smallILi28EdPdEEvT1_iilPiilS4_bb.has_dyn_sized_stack, 0
	.set _ZN9rocsolver6v33100L18getri_kernel_smallILi28EdPdEEvT1_iilPiilS4_bb.has_recursion, 0
	.set _ZN9rocsolver6v33100L18getri_kernel_smallILi28EdPdEEvT1_iilPiilS4_bb.has_indirect_call, 0
	.section	.AMDGPU.csdata,"",@progbits
; Kernel info:
; codeLenInByte = 26036
; TotalNumSgprs: 28
; NumVgprs: 114
; ScratchSize: 240
; MemoryBound: 0
; FloatMode: 240
; IeeeMode: 1
; LDSByteSize: 456 bytes/workgroup (compile time only)
; SGPRBlocks: 3
; VGPRBlocks: 28
; NumSGPRsForWavesPerEU: 28
; NumVGPRsForWavesPerEU: 114
; Occupancy: 2
; WaveLimiterHint : 1
; COMPUTE_PGM_RSRC2:SCRATCH_EN: 1
; COMPUTE_PGM_RSRC2:USER_SGPR: 6
; COMPUTE_PGM_RSRC2:TRAP_HANDLER: 0
; COMPUTE_PGM_RSRC2:TGID_X_EN: 1
; COMPUTE_PGM_RSRC2:TGID_Y_EN: 0
; COMPUTE_PGM_RSRC2:TGID_Z_EN: 0
; COMPUTE_PGM_RSRC2:TIDIG_COMP_CNT: 0
	.section	.text._ZN9rocsolver6v33100L18getri_kernel_smallILi29EdPdEEvT1_iilPiilS4_bb,"axG",@progbits,_ZN9rocsolver6v33100L18getri_kernel_smallILi29EdPdEEvT1_iilPiilS4_bb,comdat
	.globl	_ZN9rocsolver6v33100L18getri_kernel_smallILi29EdPdEEvT1_iilPiilS4_bb ; -- Begin function _ZN9rocsolver6v33100L18getri_kernel_smallILi29EdPdEEvT1_iilPiilS4_bb
	.p2align	8
	.type	_ZN9rocsolver6v33100L18getri_kernel_smallILi29EdPdEEvT1_iilPiilS4_bb,@function
_ZN9rocsolver6v33100L18getri_kernel_smallILi29EdPdEEvT1_iilPiilS4_bb: ; @_ZN9rocsolver6v33100L18getri_kernel_smallILi29EdPdEEvT1_iilPiilS4_bb
; %bb.0:
	s_add_u32 s0, s0, s7
	s_addc_u32 s1, s1, 0
	v_cmp_gt_u32_e32 vcc, 29, v0
	s_and_saveexec_b64 s[8:9], vcc
	s_cbranch_execz .LBB28_124
; %bb.1:
	s_load_dword s12, s[4:5], 0x38
	s_load_dwordx4 s[16:19], s[4:5], 0x10
	s_load_dwordx4 s[8:11], s[4:5], 0x28
                                        ; implicit-def: $sgpr20_sgpr21
	s_waitcnt lgkmcnt(0)
	s_bitcmp1_b32 s12, 8
	s_cselect_b64 s[22:23], -1, 0
	s_ashr_i32 s7, s6, 31
	s_bfe_u32 s12, s12, 0x10008
	s_cmp_eq_u32 s12, 0
	s_cbranch_scc1 .LBB28_3
; %bb.2:
	s_load_dword s12, s[4:5], 0x20
	s_mul_i32 s13, s8, s7
	s_mul_hi_u32 s14, s8, s6
	s_mul_i32 s9, s9, s6
	s_add_i32 s14, s14, s13
	s_add_i32 s9, s14, s9
	s_mul_i32 s8, s8, s6
	s_waitcnt lgkmcnt(0)
	s_ashr_i32 s13, s12, 31
	s_lshl_b64 s[8:9], s[8:9], 2
	s_add_u32 s14, s18, s8
	s_addc_u32 s15, s19, s9
	s_lshl_b64 s[8:9], s[12:13], 2
	s_add_u32 s20, s14, s8
	s_addc_u32 s21, s15, s9
.LBB28_3:
	s_load_dwordx4 s[12:15], s[4:5], 0x0
	s_load_dword s8, s[4:5], 0x38
	s_mul_i32 s9, s16, s7
	s_mul_hi_u32 s18, s16, s6
	s_add_i32 s9, s18, s9
	s_waitcnt lgkmcnt(0)
	s_ashr_i32 s5, s14, 31
	s_mov_b32 s4, s14
	s_mul_i32 s14, s17, s6
	s_add_i32 s17, s9, s14
	s_mul_i32 s16, s16, s6
	s_lshl_b64 s[16:17], s[16:17], 3
	s_add_u32 s9, s12, s16
	s_addc_u32 s12, s13, s17
	s_lshl_b64 s[4:5], s[4:5], 3
	s_add_u32 s4, s9, s4
	s_addc_u32 s5, s12, s5
	v_lshlrev_b32_e32 v77, 3, v0
	s_add_i32 s9, s15, s15
	v_mov_b32_e32 v2, s5
	v_add_co_u32_e32 v1, vcc, s4, v77
	s_ashr_i32 s13, s15, 31
	s_mov_b32 s12, s15
	v_add_u32_e32 v7, s9, v0
	v_addc_co_u32_e32 v2, vcc, 0, v2, vcc
	s_lshl_b64 s[12:13], s[12:13], 3
	v_ashrrev_i32_e32 v8, 31, v7
	v_mov_b32_e32 v4, s13
	v_add_co_u32_e32 v3, vcc, s12, v1
	v_lshlrev_b64 v[5:6], 3, v[7:8]
	v_addc_co_u32_e32 v4, vcc, v2, v4, vcc
	v_add_u32_e32 v9, s15, v7
	v_mov_b32_e32 v8, s5
	v_add_co_u32_e32 v5, vcc, s4, v5
	v_ashrrev_i32_e32 v10, 31, v9
	v_addc_co_u32_e32 v6, vcc, v8, v6, vcc
	v_lshlrev_b64 v[7:8], 3, v[9:10]
	v_add_u32_e32 v11, s15, v9
	v_mov_b32_e32 v10, s5
	v_add_co_u32_e32 v7, vcc, s4, v7
	v_ashrrev_i32_e32 v12, 31, v11
	v_addc_co_u32_e32 v8, vcc, v10, v8, vcc
	v_lshlrev_b64 v[9:10], 3, v[11:12]
	;; [unrolled: 6-line block ×25, first 2 shown]
	v_mov_b32_e32 v58, s5
	v_add_co_u32_e32 v55, vcc, s4, v55
	global_load_dwordx2 v[59:60], v77, s[4:5]
	global_load_dwordx2 v[67:68], v[3:4], off
	global_load_dwordx2 v[65:66], v[5:6], off
	;; [unrolled: 1-line block ×24, first 2 shown]
	v_addc_co_u32_e32 v56, vcc, v58, v56, vcc
	global_load_dwordx2 v[110:111], v[51:52], off
	global_load_dwordx2 v[112:113], v[53:54], off
	;; [unrolled: 1-line block ×3, first 2 shown]
	v_add_u32_e32 v57, s15, v57
	v_ashrrev_i32_e32 v58, 31, v57
	v_lshlrev_b64 v[57:58], 3, v[57:58]
	v_mov_b32_e32 v116, s5
	v_add_co_u32_e32 v57, vcc, s4, v57
	v_addc_co_u32_e32 v58, vcc, v116, v58, vcc
	global_load_dwordx2 v[116:117], v[57:58], off
	s_bitcmp0_b32 s8, 0
	s_mov_b64 s[8:9], -1
	s_waitcnt vmcnt(28)
	buffer_store_dword v60, off, s[0:3], 0 offset:4
	buffer_store_dword v59, off, s[0:3], 0
	s_waitcnt vmcnt(29)
	buffer_store_dword v68, off, s[0:3], 0 offset:12
	buffer_store_dword v67, off, s[0:3], 0 offset:8
	s_waitcnt vmcnt(30)
	buffer_store_dword v66, off, s[0:3], 0 offset:20
	buffer_store_dword v65, off, s[0:3], 0 offset:16
	;; [unrolled: 3-line block ×28, first 2 shown]
	s_cbranch_scc1 .LBB28_122
; %bb.4:
	v_cmp_eq_u32_e64 s[4:5], 0, v0
	s_and_saveexec_b64 s[8:9], s[4:5]
; %bb.5:
	v_mov_b32_e32 v59, 0
	ds_write_b32 v59, v59 offset:232
; %bb.6:
	s_or_b64 exec, exec, s[8:9]
	v_mov_b32_e32 v59, 0
	v_lshl_add_u32 v59, v0, 3, v59
	s_waitcnt lgkmcnt(0)
	; wave barrier
	buffer_load_dword v60, v59, s[0:3], 0 offen
	buffer_load_dword v61, v59, s[0:3], 0 offen offset:4
	s_waitcnt vmcnt(0)
	v_cmp_eq_f64_e32 vcc, 0, v[60:61]
	s_and_saveexec_b64 s[12:13], vcc
	s_cbranch_execz .LBB28_10
; %bb.7:
	v_mov_b32_e32 v60, 0
	ds_read_b32 v62, v60 offset:232
	v_add_u32_e32 v61, 1, v0
	s_waitcnt lgkmcnt(0)
	v_readfirstlane_b32 s8, v62
	s_cmp_eq_u32 s8, 0
	s_cselect_b64 s[14:15], -1, 0
	v_cmp_gt_i32_e32 vcc, s8, v61
	s_or_b64 s[14:15], s[14:15], vcc
	s_and_b64 exec, exec, s[14:15]
	s_cbranch_execz .LBB28_10
; %bb.8:
	s_mov_b64 s[14:15], 0
	v_mov_b32_e32 v62, s8
.LBB28_9:                               ; =>This Inner Loop Header: Depth=1
	ds_cmpst_rtn_b32 v62, v60, v62, v61 offset:232
	s_waitcnt lgkmcnt(0)
	v_cmp_ne_u32_e32 vcc, 0, v62
	v_cmp_le_i32_e64 s[8:9], v62, v61
	s_and_b64 s[8:9], vcc, s[8:9]
	s_and_b64 s[8:9], exec, s[8:9]
	s_or_b64 s[14:15], s[8:9], s[14:15]
	s_andn2_b64 exec, exec, s[14:15]
	s_cbranch_execnz .LBB28_9
.LBB28_10:
	s_or_b64 exec, exec, s[12:13]
	v_mov_b32_e32 v61, 0
	; wave barrier
	ds_read_b32 v60, v61 offset:232
	s_and_saveexec_b64 s[8:9], s[4:5]
	s_cbranch_execz .LBB28_12
; %bb.11:
	s_lshl_b64 s[12:13], s[6:7], 2
	s_add_u32 s12, s10, s12
	s_addc_u32 s13, s11, s13
	s_waitcnt lgkmcnt(0)
	global_store_dword v61, v60, s[12:13]
.LBB28_12:
	s_or_b64 exec, exec, s[8:9]
	s_waitcnt lgkmcnt(0)
	v_cmp_ne_u32_e32 vcc, 0, v60
	s_mov_b64 s[8:9], 0
	s_cbranch_vccnz .LBB28_122
; %bb.13:
	buffer_load_dword v60, v59, s[0:3], 0 offen
	buffer_load_dword v61, v59, s[0:3], 0 offen offset:4
	s_waitcnt vmcnt(0)
	v_div_scale_f64 v[62:63], s[8:9], v[60:61], v[60:61], 1.0
	v_rcp_f64_e32 v[64:65], v[62:63]
	v_fma_f64 v[66:67], -v[62:63], v[64:65], 1.0
	v_fma_f64 v[64:65], v[64:65], v[66:67], v[64:65]
	v_div_scale_f64 v[66:67], vcc, 1.0, v[60:61], 1.0
	v_fma_f64 v[68:69], -v[62:63], v[64:65], 1.0
	v_fma_f64 v[64:65], v[64:65], v[68:69], v[64:65]
	v_mul_f64 v[68:69], v[66:67], v[64:65]
	v_fma_f64 v[62:63], -v[62:63], v[68:69], v[66:67]
	v_div_fmas_f64 v[62:63], v[62:63], v[64:65], v[68:69]
	v_div_fixup_f64 v[62:63], v[62:63], v[60:61], 1.0
	v_add_u32_e32 v61, 0xf0, v77
	buffer_store_dword v63, v59, s[0:3], 0 offen offset:4
	buffer_store_dword v62, v59, s[0:3], 0 offen
	buffer_load_dword v65, off, s[0:3], 0 offset:12
	buffer_load_dword v64, off, s[0:3], 0 offset:8
	v_xor_b32_e32 v63, 0x80000000, v63
	s_waitcnt vmcnt(0)
	ds_write2_b64 v77, v[62:63], v[64:65] offset1:30
	s_waitcnt lgkmcnt(0)
	; wave barrier
	s_and_saveexec_b64 s[8:9], s[4:5]
	s_cbranch_execz .LBB28_15
; %bb.14:
	buffer_load_dword v62, v59, s[0:3], 0 offen
	buffer_load_dword v63, v59, s[0:3], 0 offen offset:4
	ds_read_b64 v[64:65], v61
	v_mov_b32_e32 v60, 0
	ds_read_b64 v[66:67], v60 offset:8
	s_waitcnt vmcnt(0) lgkmcnt(1)
	v_fma_f64 v[62:63], v[62:63], v[64:65], 0
	s_waitcnt lgkmcnt(0)
	v_mul_f64 v[62:63], v[62:63], v[66:67]
	buffer_store_dword v62, off, s[0:3], 0 offset:8
	buffer_store_dword v63, off, s[0:3], 0 offset:12
.LBB28_15:
	s_or_b64 exec, exec, s[8:9]
	; wave barrier
	buffer_load_dword v62, off, s[0:3], 0 offset:16
	buffer_load_dword v63, off, s[0:3], 0 offset:20
	v_cmp_gt_u32_e32 vcc, 2, v0
	s_waitcnt vmcnt(0)
	ds_write_b64 v61, v[62:63]
	s_waitcnt lgkmcnt(0)
	; wave barrier
	s_and_saveexec_b64 s[8:9], vcc
	s_cbranch_execz .LBB28_17
; %bb.16:
	buffer_load_dword v62, v59, s[0:3], 0 offen
	buffer_load_dword v63, v59, s[0:3], 0 offen offset:4
                                        ; kill: killed $vgpr59
	s_nop 0
	buffer_load_dword v59, off, s[0:3], 0 offset:8
	buffer_load_dword v60, off, s[0:3], 0 offset:12
	ds_read_b64 v[64:65], v61
	s_waitcnt vmcnt(2) lgkmcnt(0)
	v_fma_f64 v[66:67], v[62:63], v[64:65], 0
	v_mov_b32_e32 v62, 0
	ds_read2_b64 v[62:65], v62 offset0:2 offset1:31
	s_waitcnt vmcnt(0) lgkmcnt(0)
	v_fma_f64 v[59:60], v[59:60], v[64:65], v[66:67]
	v_cndmask_b32_e64 v60, v67, v60, s[4:5]
	v_cndmask_b32_e64 v59, v66, v59, s[4:5]
	v_mul_f64 v[59:60], v[59:60], v[62:63]
	buffer_store_dword v60, off, s[0:3], 0 offset:20
	buffer_store_dword v59, off, s[0:3], 0 offset:16
.LBB28_17:
	s_or_b64 exec, exec, s[8:9]
	; wave barrier
	buffer_load_dword v59, off, s[0:3], 0 offset:24
	buffer_load_dword v60, off, s[0:3], 0 offset:28
	v_cmp_gt_u32_e32 vcc, 3, v0
	v_add_u32_e32 v62, -1, v0
	s_waitcnt vmcnt(0)
	ds_write_b64 v61, v[59:60]
	s_waitcnt lgkmcnt(0)
	; wave barrier
	s_and_saveexec_b64 s[4:5], vcc
	s_cbranch_execz .LBB28_21
; %bb.18:
	v_mov_b32_e32 v59, 0
	v_add_u32_e32 v63, -1, v0
	v_add_u32_e32 v64, 0xf0, v77
	v_mov_b32_e32 v65, v77
	v_mov_b32_e32 v60, 0
	s_mov_b64 s[8:9], 0
.LBB28_19:                              ; =>This Inner Loop Header: Depth=1
	buffer_load_dword v66, v65, s[0:3], 0 offen
	buffer_load_dword v67, v65, s[0:3], 0 offen offset:4
	ds_read_b64 v[68:69], v64
	v_add_u32_e32 v63, 1, v63
	v_cmp_lt_u32_e32 vcc, 1, v63
	v_add_u32_e32 v64, 8, v64
	s_or_b64 s[8:9], vcc, s[8:9]
	v_add_u32_e32 v65, 8, v65
	s_waitcnt vmcnt(0) lgkmcnt(0)
	v_fma_f64 v[59:60], v[66:67], v[68:69], v[59:60]
	s_andn2_b64 exec, exec, s[8:9]
	s_cbranch_execnz .LBB28_19
; %bb.20:
	s_or_b64 exec, exec, s[8:9]
	v_mov_b32_e32 v63, 0
	ds_read_b64 v[63:64], v63 offset:24
	s_waitcnt lgkmcnt(0)
	v_mul_f64 v[59:60], v[59:60], v[63:64]
	buffer_store_dword v60, off, s[0:3], 0 offset:28
	buffer_store_dword v59, off, s[0:3], 0 offset:24
.LBB28_21:
	s_or_b64 exec, exec, s[4:5]
	; wave barrier
	buffer_load_dword v59, off, s[0:3], 0 offset:32
	buffer_load_dword v60, off, s[0:3], 0 offset:36
	v_cmp_gt_u32_e32 vcc, 4, v0
	s_waitcnt vmcnt(0)
	ds_write_b64 v61, v[59:60]
	s_waitcnt lgkmcnt(0)
	; wave barrier
	s_and_saveexec_b64 s[4:5], vcc
	s_cbranch_execz .LBB28_25
; %bb.22:
	v_mov_b32_e32 v59, 0
	v_add_u32_e32 v63, -1, v0
	v_add_u32_e32 v64, 0xf0, v77
	v_mov_b32_e32 v65, v77
	v_mov_b32_e32 v60, 0
	s_mov_b64 s[8:9], 0
.LBB28_23:                              ; =>This Inner Loop Header: Depth=1
	buffer_load_dword v66, v65, s[0:3], 0 offen
	buffer_load_dword v67, v65, s[0:3], 0 offen offset:4
	ds_read_b64 v[68:69], v64
	v_add_u32_e32 v63, 1, v63
	v_cmp_lt_u32_e32 vcc, 2, v63
	v_add_u32_e32 v64, 8, v64
	s_or_b64 s[8:9], vcc, s[8:9]
	v_add_u32_e32 v65, 8, v65
	s_waitcnt vmcnt(0) lgkmcnt(0)
	v_fma_f64 v[59:60], v[66:67], v[68:69], v[59:60]
	s_andn2_b64 exec, exec, s[8:9]
	s_cbranch_execnz .LBB28_23
; %bb.24:
	s_or_b64 exec, exec, s[8:9]
	v_mov_b32_e32 v63, 0
	ds_read_b64 v[63:64], v63 offset:32
	s_waitcnt lgkmcnt(0)
	v_mul_f64 v[59:60], v[59:60], v[63:64]
	buffer_store_dword v60, off, s[0:3], 0 offset:36
	buffer_store_dword v59, off, s[0:3], 0 offset:32
.LBB28_25:
	s_or_b64 exec, exec, s[4:5]
	; wave barrier
	buffer_load_dword v59, off, s[0:3], 0 offset:40
	buffer_load_dword v60, off, s[0:3], 0 offset:44
	v_cmp_gt_u32_e32 vcc, 5, v0
	;; [unrolled: 40-line block ×21, first 2 shown]
	s_waitcnt vmcnt(0)
	ds_write_b64 v61, v[59:60]
	s_waitcnt lgkmcnt(0)
	; wave barrier
	s_and_saveexec_b64 s[4:5], vcc
	s_cbranch_execz .LBB28_105
; %bb.102:
	v_mov_b32_e32 v59, 0
	v_add_u32_e32 v63, -1, v0
	v_add_u32_e32 v64, 0xf0, v77
	v_mov_b32_e32 v65, v77
	v_mov_b32_e32 v60, 0
	s_mov_b64 s[8:9], 0
.LBB28_103:                             ; =>This Inner Loop Header: Depth=1
	buffer_load_dword v66, v65, s[0:3], 0 offen
	buffer_load_dword v67, v65, s[0:3], 0 offen offset:4
	ds_read_b64 v[68:69], v64
	v_add_u32_e32 v63, 1, v63
	v_cmp_lt_u32_e32 vcc, 22, v63
	v_add_u32_e32 v64, 8, v64
	s_or_b64 s[8:9], vcc, s[8:9]
	v_add_u32_e32 v65, 8, v65
	s_waitcnt vmcnt(0) lgkmcnt(0)
	v_fma_f64 v[59:60], v[66:67], v[68:69], v[59:60]
	s_andn2_b64 exec, exec, s[8:9]
	s_cbranch_execnz .LBB28_103
; %bb.104:
	s_or_b64 exec, exec, s[8:9]
	v_mov_b32_e32 v63, 0
	ds_read_b64 v[63:64], v63 offset:192
	s_waitcnt lgkmcnt(0)
	v_mul_f64 v[59:60], v[59:60], v[63:64]
	buffer_store_dword v60, off, s[0:3], 0 offset:196
	buffer_store_dword v59, off, s[0:3], 0 offset:192
.LBB28_105:
	s_or_b64 exec, exec, s[4:5]
	; wave barrier
	buffer_load_dword v59, off, s[0:3], 0 offset:200
	buffer_load_dword v60, off, s[0:3], 0 offset:204
	v_cmp_gt_u32_e32 vcc, 25, v0
	s_waitcnt vmcnt(0)
	ds_write_b64 v61, v[59:60]
	s_waitcnt lgkmcnt(0)
	; wave barrier
	s_and_saveexec_b64 s[4:5], vcc
	s_cbranch_execz .LBB28_109
; %bb.106:
	v_mov_b32_e32 v59, 0
	v_add_u32_e32 v63, -1, v0
	v_add_u32_e32 v64, 0xf0, v77
	v_mov_b32_e32 v65, v77
	v_mov_b32_e32 v60, 0
	s_mov_b64 s[8:9], 0
.LBB28_107:                             ; =>This Inner Loop Header: Depth=1
	buffer_load_dword v66, v65, s[0:3], 0 offen
	buffer_load_dword v67, v65, s[0:3], 0 offen offset:4
	ds_read_b64 v[68:69], v64
	v_add_u32_e32 v63, 1, v63
	v_cmp_lt_u32_e32 vcc, 23, v63
	v_add_u32_e32 v64, 8, v64
	s_or_b64 s[8:9], vcc, s[8:9]
	v_add_u32_e32 v65, 8, v65
	s_waitcnt vmcnt(0) lgkmcnt(0)
	v_fma_f64 v[59:60], v[66:67], v[68:69], v[59:60]
	s_andn2_b64 exec, exec, s[8:9]
	s_cbranch_execnz .LBB28_107
; %bb.108:
	s_or_b64 exec, exec, s[8:9]
	v_mov_b32_e32 v63, 0
	ds_read_b64 v[63:64], v63 offset:200
	s_waitcnt lgkmcnt(0)
	v_mul_f64 v[59:60], v[59:60], v[63:64]
	buffer_store_dword v60, off, s[0:3], 0 offset:204
	buffer_store_dword v59, off, s[0:3], 0 offset:200
.LBB28_109:
	s_or_b64 exec, exec, s[4:5]
	; wave barrier
	buffer_load_dword v59, off, s[0:3], 0 offset:208
	buffer_load_dword v60, off, s[0:3], 0 offset:212
	v_cmp_gt_u32_e32 vcc, 26, v0
	;; [unrolled: 40-line block ×3, first 2 shown]
	s_waitcnt vmcnt(0)
	ds_write_b64 v61, v[59:60]
	s_waitcnt lgkmcnt(0)
	; wave barrier
	s_and_saveexec_b64 s[4:5], vcc
	s_cbranch_execz .LBB28_117
; %bb.114:
	v_mov_b32_e32 v59, 0
	v_add_u32_e32 v63, -1, v0
	v_add_u32_e32 v64, 0xf0, v77
	v_mov_b32_e32 v65, v77
	v_mov_b32_e32 v60, 0
	s_mov_b64 s[8:9], 0
.LBB28_115:                             ; =>This Inner Loop Header: Depth=1
	buffer_load_dword v66, v65, s[0:3], 0 offen
	buffer_load_dword v67, v65, s[0:3], 0 offen offset:4
	ds_read_b64 v[68:69], v64
	v_add_u32_e32 v63, 1, v63
	v_cmp_lt_u32_e32 vcc, 25, v63
	v_add_u32_e32 v64, 8, v64
	s_or_b64 s[8:9], vcc, s[8:9]
	v_add_u32_e32 v65, 8, v65
	s_waitcnt vmcnt(0) lgkmcnt(0)
	v_fma_f64 v[59:60], v[66:67], v[68:69], v[59:60]
	s_andn2_b64 exec, exec, s[8:9]
	s_cbranch_execnz .LBB28_115
; %bb.116:
	s_or_b64 exec, exec, s[8:9]
	v_mov_b32_e32 v63, 0
	ds_read_b64 v[63:64], v63 offset:216
	s_waitcnt lgkmcnt(0)
	v_mul_f64 v[59:60], v[59:60], v[63:64]
	buffer_store_dword v60, off, s[0:3], 0 offset:220
	buffer_store_dword v59, off, s[0:3], 0 offset:216
.LBB28_117:
	s_or_b64 exec, exec, s[4:5]
	; wave barrier
	buffer_load_dword v59, off, s[0:3], 0 offset:224
	buffer_load_dword v60, off, s[0:3], 0 offset:228
	v_cmp_ne_u32_e32 vcc, 28, v0
	s_waitcnt vmcnt(0)
	ds_write_b64 v61, v[59:60]
	s_waitcnt lgkmcnt(0)
	; wave barrier
	s_and_saveexec_b64 s[4:5], vcc
	s_cbranch_execz .LBB28_121
; %bb.118:
	v_mov_b32_e32 v59, 0
	v_add_u32_e32 v61, 0xf0, v77
	v_mov_b32_e32 v63, v77
	v_mov_b32_e32 v60, 0
	s_mov_b64 s[8:9], 0
.LBB28_119:                             ; =>This Inner Loop Header: Depth=1
	buffer_load_dword v64, v63, s[0:3], 0 offen
	buffer_load_dword v65, v63, s[0:3], 0 offen offset:4
	ds_read_b64 v[66:67], v61
	v_add_u32_e32 v62, 1, v62
	v_cmp_lt_u32_e32 vcc, 26, v62
	v_add_u32_e32 v61, 8, v61
	s_or_b64 s[8:9], vcc, s[8:9]
	v_add_u32_e32 v63, 8, v63
	s_waitcnt vmcnt(0) lgkmcnt(0)
	v_fma_f64 v[59:60], v[64:65], v[66:67], v[59:60]
	s_andn2_b64 exec, exec, s[8:9]
	s_cbranch_execnz .LBB28_119
; %bb.120:
	s_or_b64 exec, exec, s[8:9]
	v_mov_b32_e32 v61, 0
	ds_read_b64 v[61:62], v61 offset:224
	s_waitcnt lgkmcnt(0)
	v_mul_f64 v[59:60], v[59:60], v[61:62]
	buffer_store_dword v60, off, s[0:3], 0 offset:228
	buffer_store_dword v59, off, s[0:3], 0 offset:224
.LBB28_121:
	s_or_b64 exec, exec, s[4:5]
	s_mov_b64 s[8:9], -1
	; wave barrier
.LBB28_122:
	s_and_b64 vcc, exec, s[8:9]
	s_cbranch_vccz .LBB28_124
; %bb.123:
	s_lshl_b64 s[4:5], s[6:7], 2
	s_add_u32 s4, s10, s4
	s_addc_u32 s5, s11, s5
	v_mov_b32_e32 v59, 0
	global_load_dword v59, v59, s[4:5]
	s_waitcnt vmcnt(0)
	v_cmp_ne_u32_e32 vcc, 0, v59
	s_cbranch_vccz .LBB28_125
.LBB28_124:
	s_endpgm
.LBB28_125:
	v_mov_b32_e32 v59, 0xf0
	v_lshl_add_u32 v59, v0, 3, v59
	v_cmp_eq_u32_e32 vcc, 28, v0
	s_and_saveexec_b64 s[4:5], vcc
	s_cbranch_execz .LBB28_127
; %bb.126:
	buffer_load_dword v60, off, s[0:3], 0 offset:216
	buffer_load_dword v61, off, s[0:3], 0 offset:220
	v_mov_b32_e32 v62, 0
	buffer_store_dword v62, off, s[0:3], 0 offset:216
	buffer_store_dword v62, off, s[0:3], 0 offset:220
	s_waitcnt vmcnt(2)
	ds_write_b64 v59, v[60:61]
.LBB28_127:
	s_or_b64 exec, exec, s[4:5]
	s_waitcnt lgkmcnt(0)
	; wave barrier
	buffer_load_dword v61, off, s[0:3], 0 offset:224
	buffer_load_dword v62, off, s[0:3], 0 offset:228
	;; [unrolled: 1-line block ×4, first 2 shown]
	v_mov_b32_e32 v60, 0
	ds_read_b64 v[65:66], v60 offset:464
	v_cmp_lt_u32_e32 vcc, 26, v0
	s_waitcnt vmcnt(2) lgkmcnt(0)
	v_fma_f64 v[61:62], v[61:62], v[65:66], 0
	s_waitcnt vmcnt(0)
	v_add_f64 v[61:62], v[63:64], -v[61:62]
	buffer_store_dword v61, off, s[0:3], 0 offset:216
	buffer_store_dword v62, off, s[0:3], 0 offset:220
	s_and_saveexec_b64 s[4:5], vcc
	s_cbranch_execz .LBB28_129
; %bb.128:
	buffer_load_dword v61, off, s[0:3], 0 offset:208
	buffer_load_dword v62, off, s[0:3], 0 offset:212
	s_waitcnt vmcnt(0)
	ds_write_b64 v59, v[61:62]
	buffer_store_dword v60, off, s[0:3], 0 offset:208
	buffer_store_dword v60, off, s[0:3], 0 offset:212
.LBB28_129:
	s_or_b64 exec, exec, s[4:5]
	s_waitcnt lgkmcnt(0)
	; wave barrier
	buffer_load_dword v64, off, s[0:3], 0 offset:216
	buffer_load_dword v65, off, s[0:3], 0 offset:220
	;; [unrolled: 1-line block ×6, first 2 shown]
	ds_read2_b64 v[60:63], v60 offset0:57 offset1:58
	v_cmp_lt_u32_e32 vcc, 25, v0
	s_waitcnt vmcnt(4) lgkmcnt(0)
	v_fma_f64 v[60:61], v[64:65], v[60:61], 0
	s_waitcnt vmcnt(2)
	v_fma_f64 v[60:61], v[66:67], v[62:63], v[60:61]
	s_waitcnt vmcnt(0)
	v_add_f64 v[60:61], v[68:69], -v[60:61]
	buffer_store_dword v60, off, s[0:3], 0 offset:208
	buffer_store_dword v61, off, s[0:3], 0 offset:212
	s_and_saveexec_b64 s[4:5], vcc
	s_cbranch_execz .LBB28_131
; %bb.130:
	buffer_load_dword v60, off, s[0:3], 0 offset:200
	buffer_load_dword v61, off, s[0:3], 0 offset:204
	v_mov_b32_e32 v62, 0
	buffer_store_dword v62, off, s[0:3], 0 offset:200
	buffer_store_dword v62, off, s[0:3], 0 offset:204
	s_waitcnt vmcnt(2)
	ds_write_b64 v59, v[60:61]
.LBB28_131:
	s_or_b64 exec, exec, s[4:5]
	s_waitcnt lgkmcnt(0)
	; wave barrier
	buffer_load_dword v65, off, s[0:3], 0 offset:208
	buffer_load_dword v66, off, s[0:3], 0 offset:212
	;; [unrolled: 1-line block ×8, first 2 shown]
	v_mov_b32_e32 v60, 0
	ds_read_b128 v[61:64], v60 offset:448
	ds_read_b64 v[73:74], v60 offset:464
	v_cmp_lt_u32_e32 vcc, 24, v0
	s_waitcnt vmcnt(6) lgkmcnt(1)
	v_fma_f64 v[61:62], v[65:66], v[61:62], 0
	s_waitcnt vmcnt(4)
	v_fma_f64 v[61:62], v[67:68], v[63:64], v[61:62]
	s_waitcnt vmcnt(2) lgkmcnt(0)
	v_fma_f64 v[61:62], v[69:70], v[73:74], v[61:62]
	s_waitcnt vmcnt(0)
	v_add_f64 v[61:62], v[71:72], -v[61:62]
	buffer_store_dword v61, off, s[0:3], 0 offset:200
	buffer_store_dword v62, off, s[0:3], 0 offset:204
	s_and_saveexec_b64 s[4:5], vcc
	s_cbranch_execz .LBB28_133
; %bb.132:
	buffer_load_dword v61, off, s[0:3], 0 offset:192
	buffer_load_dword v62, off, s[0:3], 0 offset:196
	s_waitcnt vmcnt(0)
	ds_write_b64 v59, v[61:62]
	buffer_store_dword v60, off, s[0:3], 0 offset:192
	buffer_store_dword v60, off, s[0:3], 0 offset:196
.LBB28_133:
	s_or_b64 exec, exec, s[4:5]
	s_waitcnt lgkmcnt(0)
	; wave barrier
	buffer_load_dword v69, off, s[0:3], 0 offset:200
	buffer_load_dword v70, off, s[0:3], 0 offset:204
	;; [unrolled: 1-line block ×10, first 2 shown]
	ds_read2_b64 v[61:64], v60 offset0:55 offset1:56
	ds_read2_b64 v[65:68], v60 offset0:57 offset1:58
	v_cmp_lt_u32_e32 vcc, 23, v0
	s_waitcnt vmcnt(8) lgkmcnt(1)
	v_fma_f64 v[60:61], v[69:70], v[61:62], 0
	s_waitcnt vmcnt(6)
	v_fma_f64 v[60:61], v[71:72], v[63:64], v[60:61]
	s_waitcnt vmcnt(4) lgkmcnt(0)
	v_fma_f64 v[60:61], v[73:74], v[65:66], v[60:61]
	s_waitcnt vmcnt(2)
	v_fma_f64 v[60:61], v[75:76], v[67:68], v[60:61]
	s_waitcnt vmcnt(0)
	v_add_f64 v[60:61], v[77:78], -v[60:61]
	buffer_store_dword v60, off, s[0:3], 0 offset:192
	buffer_store_dword v61, off, s[0:3], 0 offset:196
	s_and_saveexec_b64 s[4:5], vcc
	s_cbranch_execz .LBB28_135
; %bb.134:
	buffer_load_dword v60, off, s[0:3], 0 offset:184
	buffer_load_dword v61, off, s[0:3], 0 offset:188
	v_mov_b32_e32 v62, 0
	buffer_store_dword v62, off, s[0:3], 0 offset:184
	buffer_store_dword v62, off, s[0:3], 0 offset:188
	s_waitcnt vmcnt(2)
	ds_write_b64 v59, v[60:61]
.LBB28_135:
	s_or_b64 exec, exec, s[4:5]
	s_waitcnt lgkmcnt(0)
	; wave barrier
	buffer_load_dword v69, off, s[0:3], 0 offset:192
	buffer_load_dword v70, off, s[0:3], 0 offset:196
	buffer_load_dword v71, off, s[0:3], 0 offset:200
	buffer_load_dword v72, off, s[0:3], 0 offset:204
	buffer_load_dword v73, off, s[0:3], 0 offset:208
	buffer_load_dword v74, off, s[0:3], 0 offset:212
	buffer_load_dword v75, off, s[0:3], 0 offset:216
	buffer_load_dword v76, off, s[0:3], 0 offset:220
	buffer_load_dword v77, off, s[0:3], 0 offset:224
	buffer_load_dword v78, off, s[0:3], 0 offset:228
	buffer_load_dword v79, off, s[0:3], 0 offset:184
	buffer_load_dword v80, off, s[0:3], 0 offset:188
	v_mov_b32_e32 v60, 0
	ds_read_b128 v[61:64], v60 offset:432
	ds_read_b128 v[65:68], v60 offset:448
	v_cmp_lt_u32_e32 vcc, 22, v0
	s_waitcnt vmcnt(10) lgkmcnt(1)
	v_fma_f64 v[61:62], v[69:70], v[61:62], 0
	s_waitcnt vmcnt(8)
	v_fma_f64 v[61:62], v[71:72], v[63:64], v[61:62]
	ds_read_b64 v[63:64], v60 offset:464
	s_waitcnt vmcnt(6) lgkmcnt(1)
	v_fma_f64 v[61:62], v[73:74], v[65:66], v[61:62]
	s_waitcnt vmcnt(4)
	v_fma_f64 v[61:62], v[75:76], v[67:68], v[61:62]
	s_waitcnt vmcnt(2) lgkmcnt(0)
	v_fma_f64 v[61:62], v[77:78], v[63:64], v[61:62]
	s_waitcnt vmcnt(0)
	v_add_f64 v[61:62], v[79:80], -v[61:62]
	buffer_store_dword v61, off, s[0:3], 0 offset:184
	buffer_store_dword v62, off, s[0:3], 0 offset:188
	s_and_saveexec_b64 s[4:5], vcc
	s_cbranch_execz .LBB28_137
; %bb.136:
	buffer_load_dword v61, off, s[0:3], 0 offset:176
	buffer_load_dword v62, off, s[0:3], 0 offset:180
	s_waitcnt vmcnt(0)
	ds_write_b64 v59, v[61:62]
	buffer_store_dword v60, off, s[0:3], 0 offset:176
	buffer_store_dword v60, off, s[0:3], 0 offset:180
.LBB28_137:
	s_or_b64 exec, exec, s[4:5]
	s_waitcnt lgkmcnt(0)
	; wave barrier
	buffer_load_dword v65, off, s[0:3], 0 offset:176
	buffer_load_dword v66, off, s[0:3], 0 offset:180
	;; [unrolled: 1-line block ×14, first 2 shown]
	ds_read2_b64 v[61:64], v60 offset0:53 offset1:54
	v_cmp_lt_u32_e32 vcc, 21, v0
	s_waitcnt vmcnt(10) lgkmcnt(0)
	v_fma_f64 v[61:62], v[67:68], v[61:62], 0
	s_waitcnt vmcnt(8)
	v_fma_f64 v[67:68], v[69:70], v[63:64], v[61:62]
	ds_read2_b64 v[61:64], v60 offset0:55 offset1:56
	s_waitcnt vmcnt(6) lgkmcnt(0)
	v_fma_f64 v[61:62], v[71:72], v[61:62], v[67:68]
	s_waitcnt vmcnt(4)
	v_fma_f64 v[67:68], v[73:74], v[63:64], v[61:62]
	ds_read2_b64 v[60:63], v60 offset0:57 offset1:58
	s_waitcnt vmcnt(2) lgkmcnt(0)
	v_fma_f64 v[60:61], v[75:76], v[60:61], v[67:68]
	s_waitcnt vmcnt(0)
	v_fma_f64 v[60:61], v[77:78], v[62:63], v[60:61]
	v_add_f64 v[60:61], v[65:66], -v[60:61]
	buffer_store_dword v60, off, s[0:3], 0 offset:176
	buffer_store_dword v61, off, s[0:3], 0 offset:180
	s_and_saveexec_b64 s[4:5], vcc
	s_cbranch_execz .LBB28_139
; %bb.138:
	buffer_load_dword v60, off, s[0:3], 0 offset:168
	buffer_load_dword v61, off, s[0:3], 0 offset:172
	v_mov_b32_e32 v62, 0
	buffer_store_dword v62, off, s[0:3], 0 offset:168
	buffer_store_dword v62, off, s[0:3], 0 offset:172
	s_waitcnt vmcnt(2)
	ds_write_b64 v59, v[60:61]
.LBB28_139:
	s_or_b64 exec, exec, s[4:5]
	s_waitcnt lgkmcnt(0)
	; wave barrier
	buffer_load_dword v65, off, s[0:3], 0 offset:176
	buffer_load_dword v66, off, s[0:3], 0 offset:180
	;; [unrolled: 1-line block ×16, first 2 shown]
	v_mov_b32_e32 v60, 0
	ds_read_b128 v[61:64], v60 offset:416
	v_cmp_lt_u32_e32 vcc, 20, v0
	s_waitcnt vmcnt(14) lgkmcnt(0)
	v_fma_f64 v[61:62], v[65:66], v[61:62], 0
	s_waitcnt vmcnt(12)
	v_fma_f64 v[65:66], v[67:68], v[63:64], v[61:62]
	ds_read_b128 v[61:64], v60 offset:432
	s_waitcnt vmcnt(10) lgkmcnt(0)
	v_fma_f64 v[61:62], v[69:70], v[61:62], v[65:66]
	s_waitcnt vmcnt(8)
	v_fma_f64 v[65:66], v[71:72], v[63:64], v[61:62]
	ds_read_b128 v[61:64], v60 offset:448
	s_waitcnt vmcnt(6) lgkmcnt(0)
	v_fma_f64 v[61:62], v[73:74], v[61:62], v[65:66]
	s_waitcnt vmcnt(4)
	v_fma_f64 v[61:62], v[75:76], v[63:64], v[61:62]
	ds_read_b64 v[63:64], v60 offset:464
	s_waitcnt vmcnt(2) lgkmcnt(0)
	v_fma_f64 v[61:62], v[77:78], v[63:64], v[61:62]
	s_waitcnt vmcnt(0)
	v_add_f64 v[61:62], v[79:80], -v[61:62]
	buffer_store_dword v61, off, s[0:3], 0 offset:168
	buffer_store_dword v62, off, s[0:3], 0 offset:172
	s_and_saveexec_b64 s[4:5], vcc
	s_cbranch_execz .LBB28_141
; %bb.140:
	buffer_load_dword v61, off, s[0:3], 0 offset:160
	buffer_load_dword v62, off, s[0:3], 0 offset:164
	s_waitcnt vmcnt(0)
	ds_write_b64 v59, v[61:62]
	buffer_store_dword v60, off, s[0:3], 0 offset:160
	buffer_store_dword v60, off, s[0:3], 0 offset:164
.LBB28_141:
	s_or_b64 exec, exec, s[4:5]
	s_waitcnt lgkmcnt(0)
	; wave barrier
	buffer_load_dword v65, off, s[0:3], 0 offset:168
	buffer_load_dword v66, off, s[0:3], 0 offset:172
	;; [unrolled: 1-line block ×18, first 2 shown]
	ds_read2_b64 v[61:64], v60 offset0:51 offset1:52
	v_cmp_lt_u32_e32 vcc, 19, v0
	s_waitcnt vmcnt(16) lgkmcnt(0)
	v_fma_f64 v[61:62], v[65:66], v[61:62], 0
	s_waitcnt vmcnt(14)
	v_fma_f64 v[65:66], v[67:68], v[63:64], v[61:62]
	ds_read2_b64 v[61:64], v60 offset0:53 offset1:54
	s_waitcnt vmcnt(12) lgkmcnt(0)
	v_fma_f64 v[61:62], v[69:70], v[61:62], v[65:66]
	s_waitcnt vmcnt(10)
	v_fma_f64 v[65:66], v[71:72], v[63:64], v[61:62]
	ds_read2_b64 v[61:64], v60 offset0:55 offset1:56
	;; [unrolled: 5-line block ×3, first 2 shown]
	s_waitcnt vmcnt(4) lgkmcnt(0)
	v_fma_f64 v[60:61], v[77:78], v[60:61], v[64:65]
	s_waitcnt vmcnt(2)
	v_fma_f64 v[60:61], v[79:80], v[62:63], v[60:61]
	s_waitcnt vmcnt(0)
	v_add_f64 v[60:61], v[81:82], -v[60:61]
	buffer_store_dword v60, off, s[0:3], 0 offset:160
	buffer_store_dword v61, off, s[0:3], 0 offset:164
	s_and_saveexec_b64 s[4:5], vcc
	s_cbranch_execz .LBB28_143
; %bb.142:
	buffer_load_dword v60, off, s[0:3], 0 offset:152
	buffer_load_dword v61, off, s[0:3], 0 offset:156
	v_mov_b32_e32 v62, 0
	buffer_store_dword v62, off, s[0:3], 0 offset:152
	buffer_store_dword v62, off, s[0:3], 0 offset:156
	s_waitcnt vmcnt(2)
	ds_write_b64 v59, v[60:61]
.LBB28_143:
	s_or_b64 exec, exec, s[4:5]
	s_waitcnt lgkmcnt(0)
	; wave barrier
	buffer_load_dword v69, off, s[0:3], 0 offset:160
	buffer_load_dword v70, off, s[0:3], 0 offset:164
	;; [unrolled: 1-line block ×20, first 2 shown]
	v_mov_b32_e32 v60, 0
	ds_read_b128 v[61:64], v60 offset:400
	ds_read_b128 v[65:68], v60 offset:416
	v_cmp_lt_u32_e32 vcc, 18, v0
	s_waitcnt vmcnt(18) lgkmcnt(1)
	v_fma_f64 v[61:62], v[69:70], v[61:62], 0
	s_waitcnt vmcnt(16)
	v_fma_f64 v[61:62], v[71:72], v[63:64], v[61:62]
	s_waitcnt vmcnt(14) lgkmcnt(0)
	v_fma_f64 v[61:62], v[73:74], v[65:66], v[61:62]
	s_waitcnt vmcnt(12)
	v_fma_f64 v[69:70], v[75:76], v[67:68], v[61:62]
	ds_read_b128 v[61:64], v60 offset:432
	ds_read_b128 v[65:68], v60 offset:448
	s_waitcnt vmcnt(10) lgkmcnt(1)
	v_fma_f64 v[61:62], v[77:78], v[61:62], v[69:70]
	s_waitcnt vmcnt(8)
	v_fma_f64 v[61:62], v[79:80], v[63:64], v[61:62]
	ds_read_b64 v[63:64], v60 offset:464
	s_waitcnt vmcnt(6) lgkmcnt(1)
	v_fma_f64 v[61:62], v[81:82], v[65:66], v[61:62]
	s_waitcnt vmcnt(3)
	v_fma_f64 v[61:62], v[83:84], v[67:68], v[61:62]
	s_waitcnt vmcnt(2) lgkmcnt(0)
	v_fma_f64 v[61:62], v[85:86], v[63:64], v[61:62]
	s_waitcnt vmcnt(0)
	v_add_f64 v[61:62], v[87:88], -v[61:62]
	buffer_store_dword v61, off, s[0:3], 0 offset:152
	buffer_store_dword v62, off, s[0:3], 0 offset:156
	s_and_saveexec_b64 s[4:5], vcc
	s_cbranch_execz .LBB28_145
; %bb.144:
	buffer_load_dword v61, off, s[0:3], 0 offset:144
	buffer_load_dword v62, off, s[0:3], 0 offset:148
	s_waitcnt vmcnt(0)
	ds_write_b64 v59, v[61:62]
	buffer_store_dword v60, off, s[0:3], 0 offset:144
	buffer_store_dword v60, off, s[0:3], 0 offset:148
.LBB28_145:
	s_or_b64 exec, exec, s[4:5]
	s_waitcnt lgkmcnt(0)
	; wave barrier
	buffer_load_dword v69, off, s[0:3], 0 offset:152
	buffer_load_dword v70, off, s[0:3], 0 offset:156
	;; [unrolled: 1-line block ×20, first 2 shown]
	ds_read2_b64 v[61:64], v60 offset0:49 offset1:50
	buffer_load_dword v89, off, s[0:3], 0 offset:144
	buffer_load_dword v90, off, s[0:3], 0 offset:148
	ds_read2_b64 v[65:68], v60 offset0:51 offset1:52
	v_cmp_lt_u32_e32 vcc, 17, v0
	s_waitcnt vmcnt(20) lgkmcnt(1)
	v_fma_f64 v[61:62], v[69:70], v[61:62], 0
	s_waitcnt vmcnt(18)
	v_fma_f64 v[61:62], v[71:72], v[63:64], v[61:62]
	s_waitcnt vmcnt(16) lgkmcnt(0)
	v_fma_f64 v[61:62], v[73:74], v[65:66], v[61:62]
	s_waitcnt vmcnt(14)
	v_fma_f64 v[69:70], v[75:76], v[67:68], v[61:62]
	ds_read2_b64 v[61:64], v60 offset0:53 offset1:54
	ds_read2_b64 v[65:68], v60 offset0:55 offset1:56
	s_waitcnt vmcnt(12) lgkmcnt(1)
	v_fma_f64 v[61:62], v[77:78], v[61:62], v[69:70]
	s_waitcnt vmcnt(10)
	v_fma_f64 v[61:62], v[79:80], v[63:64], v[61:62]
	s_waitcnt vmcnt(8) lgkmcnt(0)
	v_fma_f64 v[61:62], v[81:82], v[65:66], v[61:62]
	s_waitcnt vmcnt(4)
	v_fma_f64 v[64:65], v[83:84], v[67:68], v[61:62]
	ds_read2_b64 v[60:63], v60 offset0:57 offset1:58
	s_waitcnt vmcnt(3) lgkmcnt(0)
	v_fma_f64 v[60:61], v[87:88], v[60:61], v[64:65]
	s_waitcnt vmcnt(2)
	v_fma_f64 v[60:61], v[85:86], v[62:63], v[60:61]
	s_waitcnt vmcnt(0)
	v_add_f64 v[60:61], v[89:90], -v[60:61]
	buffer_store_dword v60, off, s[0:3], 0 offset:144
	buffer_store_dword v61, off, s[0:3], 0 offset:148
	s_and_saveexec_b64 s[4:5], vcc
	s_cbranch_execz .LBB28_147
; %bb.146:
	buffer_load_dword v60, off, s[0:3], 0 offset:136
	buffer_load_dword v61, off, s[0:3], 0 offset:140
	v_mov_b32_e32 v62, 0
	buffer_store_dword v62, off, s[0:3], 0 offset:136
	buffer_store_dword v62, off, s[0:3], 0 offset:140
	s_waitcnt vmcnt(2)
	ds_write_b64 v59, v[60:61]
.LBB28_147:
	s_or_b64 exec, exec, s[4:5]
	s_waitcnt lgkmcnt(0)
	; wave barrier
	buffer_load_dword v69, off, s[0:3], 0 offset:144
	buffer_load_dword v70, off, s[0:3], 0 offset:148
	;; [unrolled: 1-line block ×21, first 2 shown]
	v_mov_b32_e32 v60, 0
	ds_read_b128 v[61:64], v60 offset:384
	ds_read_b128 v[65:68], v60 offset:400
	buffer_load_dword v86, off, s[0:3], 0 offset:228
	v_cmp_lt_u32_e32 vcc, 16, v0
	s_waitcnt vmcnt(20) lgkmcnt(1)
	v_fma_f64 v[61:62], v[69:70], v[61:62], 0
	buffer_load_dword v69, off, s[0:3], 0 offset:136
	buffer_load_dword v70, off, s[0:3], 0 offset:140
	s_waitcnt vmcnt(20)
	v_fma_f64 v[61:62], v[71:72], v[63:64], v[61:62]
	s_waitcnt vmcnt(18) lgkmcnt(0)
	v_fma_f64 v[61:62], v[73:74], v[65:66], v[61:62]
	s_waitcnt vmcnt(16)
	v_fma_f64 v[71:72], v[75:76], v[67:68], v[61:62]
	ds_read_b128 v[61:64], v60 offset:416
	ds_read_b128 v[65:68], v60 offset:432
	s_waitcnt vmcnt(14) lgkmcnt(1)
	v_fma_f64 v[61:62], v[77:78], v[61:62], v[71:72]
	s_waitcnt vmcnt(12)
	v_fma_f64 v[61:62], v[79:80], v[63:64], v[61:62]
	s_waitcnt vmcnt(10) lgkmcnt(0)
	v_fma_f64 v[61:62], v[81:82], v[65:66], v[61:62]
	s_waitcnt vmcnt(5)
	v_fma_f64 v[65:66], v[83:84], v[67:68], v[61:62]
	ds_read_b128 v[61:64], v60 offset:448
	ds_read_b64 v[67:68], v60 offset:464
	s_waitcnt vmcnt(4) lgkmcnt(1)
	v_fma_f64 v[61:62], v[89:90], v[61:62], v[65:66]
	s_waitcnt vmcnt(3)
	v_fma_f64 v[61:62], v[87:88], v[63:64], v[61:62]
	s_waitcnt vmcnt(2) lgkmcnt(0)
	v_fma_f64 v[61:62], v[85:86], v[67:68], v[61:62]
	s_waitcnt vmcnt(0)
	v_add_f64 v[61:62], v[69:70], -v[61:62]
	buffer_store_dword v62, off, s[0:3], 0 offset:140
	buffer_store_dword v61, off, s[0:3], 0 offset:136
	s_and_saveexec_b64 s[4:5], vcc
	s_cbranch_execz .LBB28_149
; %bb.148:
	buffer_load_dword v61, off, s[0:3], 0 offset:128
	buffer_load_dword v62, off, s[0:3], 0 offset:132
	s_waitcnt vmcnt(0)
	ds_write_b64 v59, v[61:62]
	buffer_store_dword v60, off, s[0:3], 0 offset:128
	buffer_store_dword v60, off, s[0:3], 0 offset:132
.LBB28_149:
	s_or_b64 exec, exec, s[4:5]
	s_waitcnt lgkmcnt(0)
	; wave barrier
	buffer_load_dword v69, off, s[0:3], 0 offset:136
	buffer_load_dword v70, off, s[0:3], 0 offset:140
	;; [unrolled: 1-line block ×21, first 2 shown]
	ds_read2_b64 v[61:64], v60 offset0:47 offset1:48
	ds_read2_b64 v[65:68], v60 offset0:49 offset1:50
	buffer_load_dword v86, off, s[0:3], 0 offset:220
	v_cmp_lt_u32_e32 vcc, 15, v0
	s_waitcnt vmcnt(20) lgkmcnt(1)
	v_fma_f64 v[61:62], v[69:70], v[61:62], 0
	buffer_load_dword v70, off, s[0:3], 0 offset:228
	buffer_load_dword v69, off, s[0:3], 0 offset:224
	s_waitcnt vmcnt(20)
	v_fma_f64 v[61:62], v[71:72], v[63:64], v[61:62]
	buffer_load_dword v71, off, s[0:3], 0 offset:128
	buffer_load_dword v72, off, s[0:3], 0 offset:132
	s_waitcnt vmcnt(20) lgkmcnt(0)
	v_fma_f64 v[61:62], v[73:74], v[65:66], v[61:62]
	s_waitcnt vmcnt(18)
	v_fma_f64 v[73:74], v[75:76], v[67:68], v[61:62]
	ds_read2_b64 v[61:64], v60 offset0:51 offset1:52
	ds_read2_b64 v[65:68], v60 offset0:53 offset1:54
	s_waitcnt vmcnt(16) lgkmcnt(1)
	v_fma_f64 v[61:62], v[77:78], v[61:62], v[73:74]
	s_waitcnt vmcnt(14)
	v_fma_f64 v[61:62], v[79:80], v[63:64], v[61:62]
	s_waitcnt vmcnt(12) lgkmcnt(0)
	v_fma_f64 v[61:62], v[81:82], v[65:66], v[61:62]
	s_waitcnt vmcnt(7)
	v_fma_f64 v[73:74], v[83:84], v[67:68], v[61:62]
	ds_read2_b64 v[61:64], v60 offset0:55 offset1:56
	ds_read2_b64 v[65:68], v60 offset0:57 offset1:58
	s_waitcnt vmcnt(6) lgkmcnt(1)
	v_fma_f64 v[60:61], v[89:90], v[61:62], v[73:74]
	s_waitcnt vmcnt(5)
	v_fma_f64 v[60:61], v[87:88], v[63:64], v[60:61]
	s_waitcnt vmcnt(4) lgkmcnt(0)
	v_fma_f64 v[60:61], v[85:86], v[65:66], v[60:61]
	s_waitcnt vmcnt(2)
	v_fma_f64 v[60:61], v[69:70], v[67:68], v[60:61]
	s_waitcnt vmcnt(0)
	v_add_f64 v[60:61], v[71:72], -v[60:61]
	buffer_store_dword v61, off, s[0:3], 0 offset:132
	buffer_store_dword v60, off, s[0:3], 0 offset:128
	s_and_saveexec_b64 s[4:5], vcc
	s_cbranch_execz .LBB28_151
; %bb.150:
	buffer_load_dword v60, off, s[0:3], 0 offset:120
	buffer_load_dword v61, off, s[0:3], 0 offset:124
	v_mov_b32_e32 v62, 0
	buffer_store_dword v62, off, s[0:3], 0 offset:120
	buffer_store_dword v62, off, s[0:3], 0 offset:124
	s_waitcnt vmcnt(2)
	ds_write_b64 v59, v[60:61]
.LBB28_151:
	s_or_b64 exec, exec, s[4:5]
	s_waitcnt lgkmcnt(0)
	; wave barrier
	buffer_load_dword v69, off, s[0:3], 0 offset:128
	buffer_load_dword v70, off, s[0:3], 0 offset:132
	;; [unrolled: 1-line block ×21, first 2 shown]
	v_mov_b32_e32 v60, 0
	ds_read_b128 v[61:64], v60 offset:368
	ds_read_b128 v[65:68], v60 offset:384
	buffer_load_dword v86, off, s[0:3], 0 offset:212
	v_cmp_lt_u32_e32 vcc, 14, v0
	s_waitcnt vmcnt(20) lgkmcnt(1)
	v_fma_f64 v[61:62], v[69:70], v[61:62], 0
	s_waitcnt vmcnt(18)
	v_fma_f64 v[61:62], v[71:72], v[63:64], v[61:62]
	buffer_load_dword v70, off, s[0:3], 0 offset:220
	buffer_load_dword v71, off, s[0:3], 0 offset:224
	;; [unrolled: 1-line block ×4, first 2 shown]
	s_waitcnt vmcnt(20) lgkmcnt(0)
	v_fma_f64 v[61:62], v[73:74], v[65:66], v[61:62]
	buffer_load_dword v73, off, s[0:3], 0 offset:120
	buffer_load_dword v74, off, s[0:3], 0 offset:124
	s_waitcnt vmcnt(20)
	v_fma_f64 v[75:76], v[75:76], v[67:68], v[61:62]
	ds_read_b128 v[61:64], v60 offset:400
	ds_read_b128 v[65:68], v60 offset:416
	s_waitcnt vmcnt(18) lgkmcnt(1)
	v_fma_f64 v[61:62], v[77:78], v[61:62], v[75:76]
	s_waitcnt vmcnt(16)
	v_fma_f64 v[61:62], v[79:80], v[63:64], v[61:62]
	s_waitcnt vmcnt(14) lgkmcnt(0)
	v_fma_f64 v[61:62], v[81:82], v[65:66], v[61:62]
	s_waitcnt vmcnt(9)
	v_fma_f64 v[75:76], v[83:84], v[67:68], v[61:62]
	ds_read_b128 v[61:64], v60 offset:432
	ds_read_b128 v[65:68], v60 offset:448
	s_waitcnt vmcnt(8) lgkmcnt(1)
	v_fma_f64 v[61:62], v[89:90], v[61:62], v[75:76]
	s_waitcnt vmcnt(7)
	v_fma_f64 v[61:62], v[87:88], v[63:64], v[61:62]
	ds_read_b64 v[63:64], v60 offset:464
	s_waitcnt vmcnt(6) lgkmcnt(1)
	v_fma_f64 v[61:62], v[85:86], v[65:66], v[61:62]
	s_waitcnt vmcnt(3)
	v_fma_f64 v[61:62], v[69:70], v[67:68], v[61:62]
	s_waitcnt vmcnt(2) lgkmcnt(0)
	v_fma_f64 v[61:62], v[71:72], v[63:64], v[61:62]
	s_waitcnt vmcnt(0)
	v_add_f64 v[61:62], v[73:74], -v[61:62]
	buffer_store_dword v62, off, s[0:3], 0 offset:124
	buffer_store_dword v61, off, s[0:3], 0 offset:120
	s_and_saveexec_b64 s[4:5], vcc
	s_cbranch_execz .LBB28_153
; %bb.152:
	buffer_load_dword v61, off, s[0:3], 0 offset:112
	buffer_load_dword v62, off, s[0:3], 0 offset:116
	s_waitcnt vmcnt(0)
	ds_write_b64 v59, v[61:62]
	buffer_store_dword v60, off, s[0:3], 0 offset:112
	buffer_store_dword v60, off, s[0:3], 0 offset:116
.LBB28_153:
	s_or_b64 exec, exec, s[4:5]
	s_waitcnt lgkmcnt(0)
	; wave barrier
	buffer_load_dword v69, off, s[0:3], 0 offset:120
	buffer_load_dword v70, off, s[0:3], 0 offset:124
	;; [unrolled: 1-line block ×22, first 2 shown]
	ds_read2_b64 v[61:64], v60 offset0:45 offset1:46
	ds_read2_b64 v[65:68], v60 offset0:47 offset1:48
	v_cmp_lt_u32_e32 vcc, 13, v0
	s_waitcnt vmcnt(20) lgkmcnt(1)
	v_fma_f64 v[61:62], v[69:70], v[61:62], 0
	s_waitcnt vmcnt(18)
	v_fma_f64 v[61:62], v[71:72], v[63:64], v[61:62]
	buffer_load_dword v70, off, s[0:3], 0 offset:212
	buffer_load_dword v71, off, s[0:3], 0 offset:224
	;; [unrolled: 1-line block ×6, first 2 shown]
	s_waitcnt vmcnt(22) lgkmcnt(0)
	v_fma_f64 v[61:62], v[73:74], v[65:66], v[61:62]
	s_waitcnt vmcnt(20)
	v_fma_f64 v[73:74], v[75:76], v[67:68], v[61:62]
	ds_read2_b64 v[61:64], v60 offset0:49 offset1:50
	buffer_load_dword v75, off, s[0:3], 0 offset:112
	buffer_load_dword v76, off, s[0:3], 0 offset:116
	ds_read2_b64 v[65:68], v60 offset0:51 offset1:52
	s_waitcnt vmcnt(20) lgkmcnt(1)
	v_fma_f64 v[61:62], v[77:78], v[61:62], v[73:74]
	s_waitcnt vmcnt(18)
	v_fma_f64 v[61:62], v[79:80], v[63:64], v[61:62]
	s_waitcnt vmcnt(16) lgkmcnt(0)
	v_fma_f64 v[61:62], v[81:82], v[65:66], v[61:62]
	s_waitcnt vmcnt(11)
	v_fma_f64 v[73:74], v[83:84], v[67:68], v[61:62]
	ds_read2_b64 v[61:64], v60 offset0:53 offset1:54
	ds_read2_b64 v[65:68], v60 offset0:55 offset1:56
	s_waitcnt vmcnt(10) lgkmcnt(1)
	v_fma_f64 v[61:62], v[89:90], v[61:62], v[73:74]
	s_waitcnt vmcnt(9)
	v_fma_f64 v[61:62], v[87:88], v[63:64], v[61:62]
	s_waitcnt vmcnt(8) lgkmcnt(0)
	v_fma_f64 v[61:62], v[85:86], v[65:66], v[61:62]
	s_waitcnt vmcnt(4)
	v_fma_f64 v[64:65], v[69:70], v[67:68], v[61:62]
	ds_read2_b64 v[60:63], v60 offset0:57 offset1:58
	s_waitcnt vmcnt(3) lgkmcnt(0)
	v_fma_f64 v[60:61], v[91:92], v[60:61], v[64:65]
	s_waitcnt vmcnt(2)
	v_fma_f64 v[60:61], v[71:72], v[62:63], v[60:61]
	s_waitcnt vmcnt(0)
	v_add_f64 v[60:61], v[75:76], -v[60:61]
	buffer_store_dword v61, off, s[0:3], 0 offset:116
	buffer_store_dword v60, off, s[0:3], 0 offset:112
	s_and_saveexec_b64 s[4:5], vcc
	s_cbranch_execz .LBB28_155
; %bb.154:
	buffer_load_dword v60, off, s[0:3], 0 offset:104
	buffer_load_dword v61, off, s[0:3], 0 offset:108
	v_mov_b32_e32 v62, 0
	buffer_store_dword v62, off, s[0:3], 0 offset:104
	buffer_store_dword v62, off, s[0:3], 0 offset:108
	s_waitcnt vmcnt(2)
	ds_write_b64 v59, v[60:61]
.LBB28_155:
	s_or_b64 exec, exec, s[4:5]
	s_waitcnt lgkmcnt(0)
	; wave barrier
	buffer_load_dword v69, off, s[0:3], 0 offset:112
	buffer_load_dword v70, off, s[0:3], 0 offset:116
	;; [unrolled: 1-line block ×22, first 2 shown]
	v_mov_b32_e32 v60, 0
	ds_read_b128 v[61:64], v60 offset:352
	ds_read_b128 v[65:68], v60 offset:368
	v_cmp_lt_u32_e32 vcc, 12, v0
	s_waitcnt vmcnt(20) lgkmcnt(1)
	v_fma_f64 v[61:62], v[69:70], v[61:62], 0
	s_waitcnt vmcnt(18)
	v_fma_f64 v[61:62], v[71:72], v[63:64], v[61:62]
	buffer_load_dword v70, off, s[0:3], 0 offset:204
	buffer_load_dword v71, off, s[0:3], 0 offset:224
	;; [unrolled: 1-line block ×8, first 2 shown]
	s_waitcnt vmcnt(24) lgkmcnt(0)
	v_fma_f64 v[61:62], v[73:74], v[65:66], v[61:62]
	s_waitcnt vmcnt(22)
	v_fma_f64 v[73:74], v[75:76], v[67:68], v[61:62]
	ds_read_b128 v[61:64], v60 offset:384
	ds_read_b128 v[65:68], v60 offset:400
	s_waitcnt vmcnt(20) lgkmcnt(1)
	v_fma_f64 v[61:62], v[77:78], v[61:62], v[73:74]
	buffer_load_dword v73, off, s[0:3], 0 offset:104
	buffer_load_dword v74, off, s[0:3], 0 offset:108
	s_waitcnt vmcnt(20)
	v_fma_f64 v[61:62], v[79:80], v[63:64], v[61:62]
	s_waitcnt vmcnt(18) lgkmcnt(0)
	v_fma_f64 v[61:62], v[81:82], v[65:66], v[61:62]
	s_waitcnt vmcnt(13)
	v_fma_f64 v[75:76], v[83:84], v[67:68], v[61:62]
	ds_read_b128 v[61:64], v60 offset:416
	ds_read_b128 v[65:68], v60 offset:432
	s_waitcnt vmcnt(12) lgkmcnt(1)
	v_fma_f64 v[61:62], v[89:90], v[61:62], v[75:76]
	s_waitcnt vmcnt(11)
	v_fma_f64 v[61:62], v[87:88], v[63:64], v[61:62]
	s_waitcnt vmcnt(10) lgkmcnt(0)
	v_fma_f64 v[61:62], v[85:86], v[65:66], v[61:62]
	s_waitcnt vmcnt(5)
	v_fma_f64 v[65:66], v[69:70], v[67:68], v[61:62]
	ds_read_b128 v[61:64], v60 offset:448
	ds_read_b64 v[67:68], v60 offset:464
	s_waitcnt vmcnt(4) lgkmcnt(1)
	v_fma_f64 v[61:62], v[93:94], v[61:62], v[65:66]
	s_waitcnt vmcnt(3)
	v_fma_f64 v[61:62], v[91:92], v[63:64], v[61:62]
	s_waitcnt vmcnt(2) lgkmcnt(0)
	v_fma_f64 v[61:62], v[71:72], v[67:68], v[61:62]
	s_waitcnt vmcnt(0)
	v_add_f64 v[61:62], v[73:74], -v[61:62]
	buffer_store_dword v62, off, s[0:3], 0 offset:108
	buffer_store_dword v61, off, s[0:3], 0 offset:104
	s_and_saveexec_b64 s[4:5], vcc
	s_cbranch_execz .LBB28_157
; %bb.156:
	buffer_load_dword v61, off, s[0:3], 0 offset:96
	buffer_load_dword v62, off, s[0:3], 0 offset:100
	s_waitcnt vmcnt(0)
	ds_write_b64 v59, v[61:62]
	buffer_store_dword v60, off, s[0:3], 0 offset:96
	buffer_store_dword v60, off, s[0:3], 0 offset:100
.LBB28_157:
	s_or_b64 exec, exec, s[4:5]
	s_waitcnt lgkmcnt(0)
	; wave barrier
	buffer_load_dword v69, off, s[0:3], 0 offset:104
	buffer_load_dword v70, off, s[0:3], 0 offset:108
	;; [unrolled: 1-line block ×22, first 2 shown]
	ds_read2_b64 v[61:64], v60 offset0:43 offset1:44
	ds_read2_b64 v[65:68], v60 offset0:45 offset1:46
	v_cmp_lt_u32_e32 vcc, 11, v0
	s_waitcnt vmcnt(20) lgkmcnt(1)
	v_fma_f64 v[61:62], v[69:70], v[61:62], 0
	s_waitcnt vmcnt(18)
	v_fma_f64 v[61:62], v[71:72], v[63:64], v[61:62]
	buffer_load_dword v70, off, s[0:3], 0 offset:196
	buffer_load_dword v71, off, s[0:3], 0 offset:216
	;; [unrolled: 1-line block ×8, first 2 shown]
	s_waitcnt vmcnt(24) lgkmcnt(0)
	v_fma_f64 v[61:62], v[73:74], v[65:66], v[61:62]
	s_waitcnt vmcnt(22)
	v_fma_f64 v[73:74], v[75:76], v[67:68], v[61:62]
	ds_read2_b64 v[61:64], v60 offset0:47 offset1:48
	ds_read2_b64 v[65:68], v60 offset0:49 offset1:50
	s_waitcnt vmcnt(20) lgkmcnt(1)
	v_fma_f64 v[61:62], v[77:78], v[61:62], v[73:74]
	buffer_load_dword v74, off, s[0:3], 0 offset:228
	buffer_load_dword v73, off, s[0:3], 0 offset:224
	;; [unrolled: 1-line block ×4, first 2 shown]
	s_waitcnt vmcnt(22)
	v_fma_f64 v[61:62], v[79:80], v[63:64], v[61:62]
	s_waitcnt vmcnt(20) lgkmcnt(0)
	v_fma_f64 v[61:62], v[81:82], v[65:66], v[61:62]
	s_waitcnt vmcnt(15)
	v_fma_f64 v[77:78], v[83:84], v[67:68], v[61:62]
	ds_read2_b64 v[61:64], v60 offset0:51 offset1:52
	ds_read2_b64 v[65:68], v60 offset0:53 offset1:54
	s_waitcnt vmcnt(14) lgkmcnt(1)
	v_fma_f64 v[61:62], v[89:90], v[61:62], v[77:78]
	s_waitcnt vmcnt(13)
	v_fma_f64 v[61:62], v[87:88], v[63:64], v[61:62]
	s_waitcnt vmcnt(12) lgkmcnt(0)
	v_fma_f64 v[61:62], v[85:86], v[65:66], v[61:62]
	s_waitcnt vmcnt(7)
	v_fma_f64 v[69:70], v[69:70], v[67:68], v[61:62]
	ds_read2_b64 v[61:64], v60 offset0:55 offset1:56
	ds_read2_b64 v[65:68], v60 offset0:57 offset1:58
	s_waitcnt vmcnt(6) lgkmcnt(1)
	v_fma_f64 v[60:61], v[93:94], v[61:62], v[69:70]
	s_waitcnt vmcnt(5)
	v_fma_f64 v[60:61], v[91:92], v[63:64], v[60:61]
	s_waitcnt vmcnt(4) lgkmcnt(0)
	v_fma_f64 v[60:61], v[71:72], v[65:66], v[60:61]
	s_waitcnt vmcnt(2)
	v_fma_f64 v[60:61], v[73:74], v[67:68], v[60:61]
	s_waitcnt vmcnt(0)
	v_add_f64 v[60:61], v[75:76], -v[60:61]
	buffer_store_dword v61, off, s[0:3], 0 offset:100
	buffer_store_dword v60, off, s[0:3], 0 offset:96
	s_and_saveexec_b64 s[4:5], vcc
	s_cbranch_execz .LBB28_159
; %bb.158:
	buffer_load_dword v60, off, s[0:3], 0 offset:88
	buffer_load_dword v61, off, s[0:3], 0 offset:92
	v_mov_b32_e32 v62, 0
	buffer_store_dword v62, off, s[0:3], 0 offset:88
	buffer_store_dword v62, off, s[0:3], 0 offset:92
	s_waitcnt vmcnt(2)
	ds_write_b64 v59, v[60:61]
.LBB28_159:
	s_or_b64 exec, exec, s[4:5]
	s_waitcnt lgkmcnt(0)
	; wave barrier
	buffer_load_dword v69, off, s[0:3], 0 offset:96
	buffer_load_dword v70, off, s[0:3], 0 offset:100
	buffer_load_dword v71, off, s[0:3], 0 offset:104
	buffer_load_dword v72, off, s[0:3], 0 offset:108
	buffer_load_dword v73, off, s[0:3], 0 offset:112
	buffer_load_dword v74, off, s[0:3], 0 offset:116
	buffer_load_dword v75, off, s[0:3], 0 offset:120
	buffer_load_dword v76, off, s[0:3], 0 offset:124
	buffer_load_dword v77, off, s[0:3], 0 offset:128
	buffer_load_dword v78, off, s[0:3], 0 offset:132
	buffer_load_dword v79, off, s[0:3], 0 offset:136
	buffer_load_dword v80, off, s[0:3], 0 offset:140
	buffer_load_dword v81, off, s[0:3], 0 offset:144
	buffer_load_dword v82, off, s[0:3], 0 offset:148
	buffer_load_dword v84, off, s[0:3], 0 offset:156
	buffer_load_dword v85, off, s[0:3], 0 offset:176
	buffer_load_dword v87, off, s[0:3], 0 offset:168
	buffer_load_dword v89, off, s[0:3], 0 offset:160
	buffer_load_dword v83, off, s[0:3], 0 offset:152
	buffer_load_dword v90, off, s[0:3], 0 offset:164
	buffer_load_dword v88, off, s[0:3], 0 offset:172
	buffer_load_dword v86, off, s[0:3], 0 offset:180
	v_mov_b32_e32 v60, 0
	ds_read_b128 v[61:64], v60 offset:336
	ds_read_b128 v[65:68], v60 offset:352
	v_cmp_lt_u32_e32 vcc, 10, v0
	s_waitcnt vmcnt(20) lgkmcnt(1)
	v_fma_f64 v[61:62], v[69:70], v[61:62], 0
	s_waitcnt vmcnt(18)
	v_fma_f64 v[61:62], v[71:72], v[63:64], v[61:62]
	buffer_load_dword v70, off, s[0:3], 0 offset:188
	buffer_load_dword v71, off, s[0:3], 0 offset:208
	;; [unrolled: 1-line block ×7, first 2 shown]
	s_waitcnt vmcnt(23) lgkmcnt(0)
	v_fma_f64 v[61:62], v[73:74], v[65:66], v[61:62]
	s_waitcnt vmcnt(21)
	v_fma_f64 v[72:73], v[75:76], v[67:68], v[61:62]
	ds_read_b128 v[61:64], v60 offset:368
	ds_read_b128 v[65:68], v60 offset:384
	s_waitcnt vmcnt(19) lgkmcnt(1)
	v_fma_f64 v[61:62], v[77:78], v[61:62], v[72:73]
	buffer_load_dword v72, off, s[0:3], 0 offset:212
	buffer_load_dword v74, off, s[0:3], 0 offset:220
	;; [unrolled: 1-line block ×7, first 2 shown]
	s_waitcnt vmcnt(24)
	v_fma_f64 v[61:62], v[79:80], v[63:64], v[61:62]
	s_waitcnt vmcnt(22) lgkmcnt(0)
	v_fma_f64 v[61:62], v[81:82], v[65:66], v[61:62]
	s_waitcnt vmcnt(17)
	v_fma_f64 v[79:80], v[83:84], v[67:68], v[61:62]
	ds_read_b128 v[61:64], v60 offset:400
	ds_read_b128 v[65:68], v60 offset:416
	s_waitcnt vmcnt(16) lgkmcnt(1)
	v_fma_f64 v[61:62], v[89:90], v[61:62], v[79:80]
	s_waitcnt vmcnt(15)
	v_fma_f64 v[61:62], v[87:88], v[63:64], v[61:62]
	s_waitcnt vmcnt(14) lgkmcnt(0)
	v_fma_f64 v[61:62], v[85:86], v[65:66], v[61:62]
	s_waitcnt vmcnt(9)
	v_fma_f64 v[69:70], v[69:70], v[67:68], v[61:62]
	ds_read_b128 v[61:64], v60 offset:432
	ds_read_b128 v[65:68], v60 offset:448
	s_waitcnt vmcnt(8) lgkmcnt(1)
	v_fma_f64 v[61:62], v[93:94], v[61:62], v[69:70]
	s_waitcnt vmcnt(7)
	v_fma_f64 v[61:62], v[91:92], v[63:64], v[61:62]
	ds_read_b64 v[63:64], v60 offset:464
	s_waitcnt vmcnt(6) lgkmcnt(1)
	v_fma_f64 v[61:62], v[71:72], v[65:66], v[61:62]
	s_waitcnt vmcnt(3)
	v_fma_f64 v[61:62], v[73:74], v[67:68], v[61:62]
	s_waitcnt vmcnt(2) lgkmcnt(0)
	v_fma_f64 v[61:62], v[75:76], v[63:64], v[61:62]
	s_waitcnt vmcnt(0)
	v_add_f64 v[61:62], v[77:78], -v[61:62]
	buffer_store_dword v62, off, s[0:3], 0 offset:92
	buffer_store_dword v61, off, s[0:3], 0 offset:88
	s_and_saveexec_b64 s[4:5], vcc
	s_cbranch_execz .LBB28_161
; %bb.160:
	buffer_load_dword v61, off, s[0:3], 0 offset:80
	buffer_load_dword v62, off, s[0:3], 0 offset:84
	s_waitcnt vmcnt(0)
	ds_write_b64 v59, v[61:62]
	buffer_store_dword v60, off, s[0:3], 0 offset:80
	buffer_store_dword v60, off, s[0:3], 0 offset:84
.LBB28_161:
	s_or_b64 exec, exec, s[4:5]
	s_waitcnt lgkmcnt(0)
	; wave barrier
	buffer_load_dword v69, off, s[0:3], 0 offset:88
	buffer_load_dword v70, off, s[0:3], 0 offset:92
	;; [unrolled: 1-line block ×22, first 2 shown]
	ds_read2_b64 v[61:64], v60 offset0:41 offset1:42
	ds_read2_b64 v[65:68], v60 offset0:43 offset1:44
	v_cmp_lt_u32_e32 vcc, 9, v0
	s_waitcnt vmcnt(20) lgkmcnt(1)
	v_fma_f64 v[61:62], v[69:70], v[61:62], 0
	s_waitcnt vmcnt(18)
	v_fma_f64 v[61:62], v[71:72], v[63:64], v[61:62]
	buffer_load_dword v70, off, s[0:3], 0 offset:180
	buffer_load_dword v71, off, s[0:3], 0 offset:200
	;; [unrolled: 1-line block ×7, first 2 shown]
	s_waitcnt vmcnt(23) lgkmcnt(0)
	v_fma_f64 v[61:62], v[73:74], v[65:66], v[61:62]
	s_waitcnt vmcnt(21)
	v_fma_f64 v[72:73], v[75:76], v[67:68], v[61:62]
	ds_read2_b64 v[61:64], v60 offset0:45 offset1:46
	ds_read2_b64 v[65:68], v60 offset0:47 offset1:48
	s_waitcnt vmcnt(19) lgkmcnt(1)
	v_fma_f64 v[61:62], v[77:78], v[61:62], v[72:73]
	buffer_load_dword v72, off, s[0:3], 0 offset:204
	buffer_load_dword v74, off, s[0:3], 0 offset:212
	;; [unrolled: 1-line block ×7, first 2 shown]
	s_waitcnt vmcnt(24)
	v_fma_f64 v[61:62], v[79:80], v[63:64], v[61:62]
	s_waitcnt vmcnt(22) lgkmcnt(0)
	v_fma_f64 v[61:62], v[81:82], v[65:66], v[61:62]
	s_waitcnt vmcnt(17)
	v_fma_f64 v[79:80], v[83:84], v[67:68], v[61:62]
	ds_read2_b64 v[61:64], v60 offset0:49 offset1:50
	buffer_load_dword v81, off, s[0:3], 0 offset:80
	buffer_load_dword v82, off, s[0:3], 0 offset:84
	ds_read2_b64 v[65:68], v60 offset0:51 offset1:52
	s_waitcnt vmcnt(18) lgkmcnt(1)
	v_fma_f64 v[61:62], v[89:90], v[61:62], v[79:80]
	s_waitcnt vmcnt(17)
	v_fma_f64 v[61:62], v[87:88], v[63:64], v[61:62]
	s_waitcnt vmcnt(16) lgkmcnt(0)
	v_fma_f64 v[61:62], v[85:86], v[65:66], v[61:62]
	s_waitcnt vmcnt(11)
	v_fma_f64 v[69:70], v[69:70], v[67:68], v[61:62]
	ds_read2_b64 v[61:64], v60 offset0:53 offset1:54
	ds_read2_b64 v[65:68], v60 offset0:55 offset1:56
	s_waitcnt vmcnt(10) lgkmcnt(1)
	v_fma_f64 v[61:62], v[93:94], v[61:62], v[69:70]
	s_waitcnt vmcnt(9)
	v_fma_f64 v[61:62], v[91:92], v[63:64], v[61:62]
	s_waitcnt vmcnt(8) lgkmcnt(0)
	v_fma_f64 v[61:62], v[71:72], v[65:66], v[61:62]
	s_waitcnt vmcnt(4)
	v_fma_f64 v[64:65], v[73:74], v[67:68], v[61:62]
	ds_read2_b64 v[60:63], v60 offset0:57 offset1:58
	s_waitcnt vmcnt(3) lgkmcnt(0)
	v_fma_f64 v[60:61], v[77:78], v[60:61], v[64:65]
	s_waitcnt vmcnt(2)
	v_fma_f64 v[60:61], v[75:76], v[62:63], v[60:61]
	s_waitcnt vmcnt(0)
	v_add_f64 v[60:61], v[81:82], -v[60:61]
	buffer_store_dword v61, off, s[0:3], 0 offset:84
	buffer_store_dword v60, off, s[0:3], 0 offset:80
	s_and_saveexec_b64 s[4:5], vcc
	s_cbranch_execz .LBB28_163
; %bb.162:
	buffer_load_dword v60, off, s[0:3], 0 offset:72
	buffer_load_dword v61, off, s[0:3], 0 offset:76
	v_mov_b32_e32 v62, 0
	buffer_store_dword v62, off, s[0:3], 0 offset:72
	buffer_store_dword v62, off, s[0:3], 0 offset:76
	s_waitcnt vmcnt(2)
	ds_write_b64 v59, v[60:61]
.LBB28_163:
	s_or_b64 exec, exec, s[4:5]
	s_waitcnt lgkmcnt(0)
	; wave barrier
	buffer_load_dword v69, off, s[0:3], 0 offset:80
	buffer_load_dword v70, off, s[0:3], 0 offset:84
	;; [unrolled: 1-line block ×22, first 2 shown]
	v_mov_b32_e32 v60, 0
	ds_read_b128 v[61:64], v60 offset:320
	ds_read_b128 v[65:68], v60 offset:336
	v_cmp_lt_u32_e32 vcc, 8, v0
	s_waitcnt vmcnt(20) lgkmcnt(1)
	v_fma_f64 v[61:62], v[69:70], v[61:62], 0
	s_waitcnt vmcnt(18)
	v_fma_f64 v[61:62], v[71:72], v[63:64], v[61:62]
	buffer_load_dword v70, off, s[0:3], 0 offset:172
	buffer_load_dword v71, off, s[0:3], 0 offset:192
	;; [unrolled: 1-line block ×7, first 2 shown]
	s_waitcnt vmcnt(23) lgkmcnt(0)
	v_fma_f64 v[61:62], v[73:74], v[65:66], v[61:62]
	s_waitcnt vmcnt(21)
	v_fma_f64 v[72:73], v[75:76], v[67:68], v[61:62]
	ds_read_b128 v[61:64], v60 offset:352
	ds_read_b128 v[65:68], v60 offset:368
	s_waitcnt vmcnt(19) lgkmcnt(1)
	v_fma_f64 v[61:62], v[77:78], v[61:62], v[72:73]
	buffer_load_dword v72, off, s[0:3], 0 offset:196
	s_waitcnt vmcnt(18)
	v_fma_f64 v[61:62], v[79:80], v[63:64], v[61:62]
	buffer_load_dword v74, off, s[0:3], 0 offset:204
	buffer_load_dword v75, off, s[0:3], 0 offset:224
	;; [unrolled: 1-line block ×8, first 2 shown]
	s_waitcnt vmcnt(24) lgkmcnt(0)
	v_fma_f64 v[61:62], v[81:82], v[65:66], v[61:62]
	s_waitcnt vmcnt(19)
	v_fma_f64 v[81:82], v[83:84], v[67:68], v[61:62]
	ds_read_b128 v[61:64], v60 offset:384
	ds_read_b128 v[65:68], v60 offset:400
	s_waitcnt vmcnt(18) lgkmcnt(1)
	v_fma_f64 v[61:62], v[89:90], v[61:62], v[81:82]
	buffer_load_dword v81, off, s[0:3], 0 offset:72
	buffer_load_dword v82, off, s[0:3], 0 offset:76
	s_waitcnt vmcnt(19)
	v_fma_f64 v[61:62], v[87:88], v[63:64], v[61:62]
	s_waitcnt vmcnt(18) lgkmcnt(0)
	v_fma_f64 v[61:62], v[85:86], v[65:66], v[61:62]
	s_waitcnt vmcnt(13)
	v_fma_f64 v[69:70], v[69:70], v[67:68], v[61:62]
	ds_read_b128 v[61:64], v60 offset:416
	ds_read_b128 v[65:68], v60 offset:432
	s_waitcnt vmcnt(12) lgkmcnt(1)
	v_fma_f64 v[61:62], v[93:94], v[61:62], v[69:70]
	s_waitcnt vmcnt(11)
	v_fma_f64 v[61:62], v[91:92], v[63:64], v[61:62]
	s_waitcnt vmcnt(10) lgkmcnt(0)
	v_fma_f64 v[61:62], v[71:72], v[65:66], v[61:62]
	s_waitcnt vmcnt(5)
	v_fma_f64 v[65:66], v[73:74], v[67:68], v[61:62]
	ds_read_b128 v[61:64], v60 offset:448
	ds_read_b64 v[67:68], v60 offset:464
	s_waitcnt vmcnt(4) lgkmcnt(1)
	v_fma_f64 v[61:62], v[79:80], v[61:62], v[65:66]
	s_waitcnt vmcnt(3)
	v_fma_f64 v[61:62], v[77:78], v[63:64], v[61:62]
	s_waitcnt vmcnt(2) lgkmcnt(0)
	v_fma_f64 v[61:62], v[75:76], v[67:68], v[61:62]
	s_waitcnt vmcnt(0)
	v_add_f64 v[61:62], v[81:82], -v[61:62]
	buffer_store_dword v62, off, s[0:3], 0 offset:76
	buffer_store_dword v61, off, s[0:3], 0 offset:72
	s_and_saveexec_b64 s[4:5], vcc
	s_cbranch_execz .LBB28_165
; %bb.164:
	buffer_load_dword v61, off, s[0:3], 0 offset:64
	buffer_load_dword v62, off, s[0:3], 0 offset:68
	s_waitcnt vmcnt(0)
	ds_write_b64 v59, v[61:62]
	buffer_store_dword v60, off, s[0:3], 0 offset:64
	buffer_store_dword v60, off, s[0:3], 0 offset:68
.LBB28_165:
	s_or_b64 exec, exec, s[4:5]
	s_waitcnt lgkmcnt(0)
	; wave barrier
	buffer_load_dword v69, off, s[0:3], 0 offset:72
	buffer_load_dword v70, off, s[0:3], 0 offset:76
	;; [unrolled: 1-line block ×22, first 2 shown]
	ds_read2_b64 v[61:64], v60 offset0:39 offset1:40
	ds_read2_b64 v[65:68], v60 offset0:41 offset1:42
	v_cmp_lt_u32_e32 vcc, 7, v0
	s_waitcnt vmcnt(20) lgkmcnt(1)
	v_fma_f64 v[61:62], v[69:70], v[61:62], 0
	s_waitcnt vmcnt(18)
	v_fma_f64 v[61:62], v[71:72], v[63:64], v[61:62]
	buffer_load_dword v70, off, s[0:3], 0 offset:164
	buffer_load_dword v71, off, s[0:3], 0 offset:184
	;; [unrolled: 1-line block ×7, first 2 shown]
	s_waitcnt vmcnt(23) lgkmcnt(0)
	v_fma_f64 v[61:62], v[73:74], v[65:66], v[61:62]
	s_waitcnt vmcnt(21)
	v_fma_f64 v[72:73], v[75:76], v[67:68], v[61:62]
	ds_read2_b64 v[61:64], v60 offset0:43 offset1:44
	ds_read2_b64 v[65:68], v60 offset0:45 offset1:46
	s_waitcnt vmcnt(19) lgkmcnt(1)
	v_fma_f64 v[61:62], v[77:78], v[61:62], v[72:73]
	buffer_load_dword v72, off, s[0:3], 0 offset:188
	s_waitcnt vmcnt(18)
	v_fma_f64 v[61:62], v[79:80], v[63:64], v[61:62]
	buffer_load_dword v74, off, s[0:3], 0 offset:196
	buffer_load_dword v75, off, s[0:3], 0 offset:216
	buffer_load_dword v77, off, s[0:3], 0 offset:208
	buffer_load_dword v79, off, s[0:3], 0 offset:200
	buffer_load_dword v73, off, s[0:3], 0 offset:192
	buffer_load_dword v80, off, s[0:3], 0 offset:204
	buffer_load_dword v78, off, s[0:3], 0 offset:212
	buffer_load_dword v76, off, s[0:3], 0 offset:220
	s_waitcnt vmcnt(24) lgkmcnt(0)
	v_fma_f64 v[61:62], v[81:82], v[65:66], v[61:62]
	s_waitcnt vmcnt(19)
	v_fma_f64 v[81:82], v[83:84], v[67:68], v[61:62]
	ds_read2_b64 v[61:64], v60 offset0:47 offset1:48
	ds_read2_b64 v[65:68], v60 offset0:49 offset1:50
	s_waitcnt vmcnt(18) lgkmcnt(1)
	v_fma_f64 v[61:62], v[89:90], v[61:62], v[81:82]
	buffer_load_dword v82, off, s[0:3], 0 offset:228
	buffer_load_dword v81, off, s[0:3], 0 offset:224
	;; [unrolled: 1-line block ×4, first 2 shown]
	s_waitcnt vmcnt(21)
	v_fma_f64 v[61:62], v[87:88], v[63:64], v[61:62]
	s_waitcnt vmcnt(20) lgkmcnt(0)
	v_fma_f64 v[61:62], v[85:86], v[65:66], v[61:62]
	s_waitcnt vmcnt(15)
	v_fma_f64 v[69:70], v[69:70], v[67:68], v[61:62]
	ds_read2_b64 v[61:64], v60 offset0:51 offset1:52
	ds_read2_b64 v[65:68], v60 offset0:53 offset1:54
	s_waitcnt vmcnt(14) lgkmcnt(1)
	v_fma_f64 v[61:62], v[93:94], v[61:62], v[69:70]
	s_waitcnt vmcnt(13)
	v_fma_f64 v[61:62], v[91:92], v[63:64], v[61:62]
	s_waitcnt vmcnt(12) lgkmcnt(0)
	v_fma_f64 v[61:62], v[71:72], v[65:66], v[61:62]
	s_waitcnt vmcnt(7)
	v_fma_f64 v[69:70], v[73:74], v[67:68], v[61:62]
	ds_read2_b64 v[61:64], v60 offset0:55 offset1:56
	ds_read2_b64 v[65:68], v60 offset0:57 offset1:58
	s_waitcnt vmcnt(6) lgkmcnt(1)
	v_fma_f64 v[60:61], v[79:80], v[61:62], v[69:70]
	s_waitcnt vmcnt(5)
	v_fma_f64 v[60:61], v[77:78], v[63:64], v[60:61]
	s_waitcnt vmcnt(4) lgkmcnt(0)
	v_fma_f64 v[60:61], v[75:76], v[65:66], v[60:61]
	s_waitcnt vmcnt(2)
	v_fma_f64 v[60:61], v[81:82], v[67:68], v[60:61]
	s_waitcnt vmcnt(0)
	v_add_f64 v[60:61], v[83:84], -v[60:61]
	buffer_store_dword v61, off, s[0:3], 0 offset:68
	buffer_store_dword v60, off, s[0:3], 0 offset:64
	s_and_saveexec_b64 s[4:5], vcc
	s_cbranch_execz .LBB28_167
; %bb.166:
	buffer_load_dword v60, off, s[0:3], 0 offset:56
	buffer_load_dword v61, off, s[0:3], 0 offset:60
	v_mov_b32_e32 v62, 0
	buffer_store_dword v62, off, s[0:3], 0 offset:56
	buffer_store_dword v62, off, s[0:3], 0 offset:60
	s_waitcnt vmcnt(2)
	ds_write_b64 v59, v[60:61]
.LBB28_167:
	s_or_b64 exec, exec, s[4:5]
	s_waitcnt lgkmcnt(0)
	; wave barrier
	buffer_load_dword v69, off, s[0:3], 0 offset:64
	buffer_load_dword v70, off, s[0:3], 0 offset:68
	;; [unrolled: 1-line block ×21, first 2 shown]
	v_mov_b32_e32 v60, 0
	ds_read_b128 v[61:64], v60 offset:304
	ds_read_b128 v[65:68], v60 offset:320
	buffer_load_dword v86, off, s[0:3], 0 offset:148
	v_cmp_lt_u32_e32 vcc, 6, v0
	s_waitcnt vmcnt(20) lgkmcnt(1)
	v_fma_f64 v[61:62], v[69:70], v[61:62], 0
	s_waitcnt vmcnt(18)
	v_fma_f64 v[61:62], v[71:72], v[63:64], v[61:62]
	buffer_load_dword v70, off, s[0:3], 0 offset:156
	buffer_load_dword v71, off, s[0:3], 0 offset:176
	;; [unrolled: 1-line block ×7, first 2 shown]
	s_waitcnt vmcnt(23) lgkmcnt(0)
	v_fma_f64 v[61:62], v[73:74], v[65:66], v[61:62]
	s_waitcnt vmcnt(21)
	v_fma_f64 v[72:73], v[75:76], v[67:68], v[61:62]
	ds_read_b128 v[61:64], v60 offset:336
	ds_read_b128 v[65:68], v60 offset:352
	s_waitcnt vmcnt(19) lgkmcnt(1)
	v_fma_f64 v[61:62], v[77:78], v[61:62], v[72:73]
	buffer_load_dword v72, off, s[0:3], 0 offset:180
	s_waitcnt vmcnt(18)
	v_fma_f64 v[61:62], v[79:80], v[63:64], v[61:62]
	buffer_load_dword v74, off, s[0:3], 0 offset:188
	buffer_load_dword v75, off, s[0:3], 0 offset:208
	;; [unrolled: 1-line block ×7, first 2 shown]
	s_waitcnt vmcnt(23) lgkmcnt(0)
	v_fma_f64 v[61:62], v[81:82], v[65:66], v[61:62]
	s_waitcnt vmcnt(18)
	v_fma_f64 v[81:82], v[83:84], v[67:68], v[61:62]
	ds_read_b128 v[61:64], v60 offset:368
	ds_read_b128 v[65:68], v60 offset:384
	buffer_load_dword v76, off, s[0:3], 0 offset:212
	s_waitcnt vmcnt(18) lgkmcnt(1)
	v_fma_f64 v[61:62], v[89:90], v[61:62], v[81:82]
	buffer_load_dword v82, off, s[0:3], 0 offset:220
	buffer_load_dword v83, off, s[0:3], 0 offset:224
	;; [unrolled: 1-line block ×4, first 2 shown]
	s_waitcnt vmcnt(21)
	v_fma_f64 v[61:62], v[87:88], v[63:64], v[61:62]
	s_waitcnt vmcnt(20) lgkmcnt(0)
	v_fma_f64 v[61:62], v[85:86], v[65:66], v[61:62]
	buffer_load_dword v85, off, s[0:3], 0 offset:56
	buffer_load_dword v86, off, s[0:3], 0 offset:60
	s_waitcnt vmcnt(17)
	v_fma_f64 v[69:70], v[69:70], v[67:68], v[61:62]
	ds_read_b128 v[61:64], v60 offset:400
	ds_read_b128 v[65:68], v60 offset:416
	s_waitcnt vmcnt(16) lgkmcnt(1)
	v_fma_f64 v[61:62], v[93:94], v[61:62], v[69:70]
	s_waitcnt vmcnt(15)
	v_fma_f64 v[61:62], v[91:92], v[63:64], v[61:62]
	s_waitcnt vmcnt(14) lgkmcnt(0)
	v_fma_f64 v[61:62], v[71:72], v[65:66], v[61:62]
	s_waitcnt vmcnt(9)
	v_fma_f64 v[69:70], v[73:74], v[67:68], v[61:62]
	ds_read_b128 v[61:64], v60 offset:432
	ds_read_b128 v[65:68], v60 offset:448
	s_waitcnt vmcnt(8) lgkmcnt(1)
	v_fma_f64 v[61:62], v[79:80], v[61:62], v[69:70]
	s_waitcnt vmcnt(7)
	v_fma_f64 v[61:62], v[77:78], v[63:64], v[61:62]
	ds_read_b64 v[63:64], v60 offset:464
	s_waitcnt vmcnt(6) lgkmcnt(1)
	v_fma_f64 v[61:62], v[75:76], v[65:66], v[61:62]
	s_waitcnt vmcnt(3)
	v_fma_f64 v[61:62], v[81:82], v[67:68], v[61:62]
	s_waitcnt vmcnt(2) lgkmcnt(0)
	v_fma_f64 v[61:62], v[83:84], v[63:64], v[61:62]
	s_waitcnt vmcnt(0)
	v_add_f64 v[61:62], v[85:86], -v[61:62]
	buffer_store_dword v62, off, s[0:3], 0 offset:60
	buffer_store_dword v61, off, s[0:3], 0 offset:56
	s_and_saveexec_b64 s[4:5], vcc
	s_cbranch_execz .LBB28_169
; %bb.168:
	buffer_load_dword v61, off, s[0:3], 0 offset:48
	buffer_load_dword v62, off, s[0:3], 0 offset:52
	s_waitcnt vmcnt(0)
	ds_write_b64 v59, v[61:62]
	buffer_store_dword v60, off, s[0:3], 0 offset:48
	buffer_store_dword v60, off, s[0:3], 0 offset:52
.LBB28_169:
	s_or_b64 exec, exec, s[4:5]
	s_waitcnt lgkmcnt(0)
	; wave barrier
	buffer_load_dword v69, off, s[0:3], 0 offset:56
	buffer_load_dword v70, off, s[0:3], 0 offset:60
	;; [unrolled: 1-line block ×21, first 2 shown]
	ds_read2_b64 v[61:64], v60 offset0:37 offset1:38
	ds_read2_b64 v[65:68], v60 offset0:39 offset1:40
	buffer_load_dword v86, off, s[0:3], 0 offset:140
	v_cmp_lt_u32_e32 vcc, 5, v0
	s_waitcnt vmcnt(20) lgkmcnt(1)
	v_fma_f64 v[61:62], v[69:70], v[61:62], 0
	s_waitcnt vmcnt(18)
	v_fma_f64 v[61:62], v[71:72], v[63:64], v[61:62]
	buffer_load_dword v70, off, s[0:3], 0 offset:148
	buffer_load_dword v71, off, s[0:3], 0 offset:168
	;; [unrolled: 1-line block ×7, first 2 shown]
	s_waitcnt vmcnt(23) lgkmcnt(0)
	v_fma_f64 v[61:62], v[73:74], v[65:66], v[61:62]
	s_waitcnt vmcnt(21)
	v_fma_f64 v[72:73], v[75:76], v[67:68], v[61:62]
	ds_read2_b64 v[61:64], v60 offset0:41 offset1:42
	ds_read2_b64 v[65:68], v60 offset0:43 offset1:44
	s_waitcnt vmcnt(19) lgkmcnt(1)
	v_fma_f64 v[61:62], v[77:78], v[61:62], v[72:73]
	buffer_load_dword v72, off, s[0:3], 0 offset:172
	s_waitcnt vmcnt(18)
	v_fma_f64 v[61:62], v[79:80], v[63:64], v[61:62]
	buffer_load_dword v74, off, s[0:3], 0 offset:180
	buffer_load_dword v75, off, s[0:3], 0 offset:200
	;; [unrolled: 1-line block ×8, first 2 shown]
	s_waitcnt vmcnt(24) lgkmcnt(0)
	v_fma_f64 v[61:62], v[81:82], v[65:66], v[61:62]
	s_waitcnt vmcnt(19)
	v_fma_f64 v[81:82], v[83:84], v[67:68], v[61:62]
	ds_read2_b64 v[61:64], v60 offset0:45 offset1:46
	ds_read2_b64 v[65:68], v60 offset0:47 offset1:48
	s_waitcnt vmcnt(18) lgkmcnt(1)
	v_fma_f64 v[61:62], v[89:90], v[61:62], v[81:82]
	s_waitcnt vmcnt(17)
	v_fma_f64 v[61:62], v[87:88], v[63:64], v[61:62]
	buffer_load_dword v82, off, s[0:3], 0 offset:212
	buffer_load_dword v83, off, s[0:3], 0 offset:224
	;; [unrolled: 1-line block ×6, first 2 shown]
	s_waitcnt vmcnt(22) lgkmcnt(0)
	v_fma_f64 v[61:62], v[85:86], v[65:66], v[61:62]
	s_waitcnt vmcnt(17)
	v_fma_f64 v[69:70], v[69:70], v[67:68], v[61:62]
	ds_read2_b64 v[61:64], v60 offset0:49 offset1:50
	buffer_load_dword v85, off, s[0:3], 0 offset:48
	buffer_load_dword v86, off, s[0:3], 0 offset:52
	ds_read2_b64 v[65:68], v60 offset0:51 offset1:52
	s_waitcnt vmcnt(18) lgkmcnt(1)
	v_fma_f64 v[61:62], v[93:94], v[61:62], v[69:70]
	s_waitcnt vmcnt(17)
	v_fma_f64 v[61:62], v[91:92], v[63:64], v[61:62]
	s_waitcnt vmcnt(16) lgkmcnt(0)
	v_fma_f64 v[61:62], v[71:72], v[65:66], v[61:62]
	s_waitcnt vmcnt(11)
	v_fma_f64 v[69:70], v[73:74], v[67:68], v[61:62]
	ds_read2_b64 v[61:64], v60 offset0:53 offset1:54
	ds_read2_b64 v[65:68], v60 offset0:55 offset1:56
	s_waitcnt vmcnt(10) lgkmcnt(1)
	v_fma_f64 v[61:62], v[79:80], v[61:62], v[69:70]
	s_waitcnt vmcnt(9)
	v_fma_f64 v[61:62], v[77:78], v[63:64], v[61:62]
	s_waitcnt vmcnt(8) lgkmcnt(0)
	v_fma_f64 v[61:62], v[75:76], v[65:66], v[61:62]
	s_waitcnt vmcnt(4)
	v_fma_f64 v[64:65], v[81:82], v[67:68], v[61:62]
	ds_read2_b64 v[60:63], v60 offset0:57 offset1:58
	s_waitcnt vmcnt(3) lgkmcnt(0)
	v_fma_f64 v[60:61], v[87:88], v[60:61], v[64:65]
	s_waitcnt vmcnt(2)
	v_fma_f64 v[60:61], v[83:84], v[62:63], v[60:61]
	s_waitcnt vmcnt(0)
	v_add_f64 v[60:61], v[85:86], -v[60:61]
	buffer_store_dword v61, off, s[0:3], 0 offset:52
	buffer_store_dword v60, off, s[0:3], 0 offset:48
	s_and_saveexec_b64 s[4:5], vcc
	s_cbranch_execz .LBB28_171
; %bb.170:
	buffer_load_dword v60, off, s[0:3], 0 offset:40
	buffer_load_dword v61, off, s[0:3], 0 offset:44
	v_mov_b32_e32 v62, 0
	buffer_store_dword v62, off, s[0:3], 0 offset:40
	buffer_store_dword v62, off, s[0:3], 0 offset:44
	s_waitcnt vmcnt(2)
	ds_write_b64 v59, v[60:61]
.LBB28_171:
	s_or_b64 exec, exec, s[4:5]
	s_waitcnt lgkmcnt(0)
	; wave barrier
	buffer_load_dword v69, off, s[0:3], 0 offset:48
	buffer_load_dword v70, off, s[0:3], 0 offset:52
	;; [unrolled: 1-line block ×21, first 2 shown]
	v_mov_b32_e32 v60, 0
	ds_read_b128 v[61:64], v60 offset:288
	ds_read_b128 v[65:68], v60 offset:304
	buffer_load_dword v86, off, s[0:3], 0 offset:132
	v_cmp_lt_u32_e32 vcc, 4, v0
	s_waitcnt vmcnt(20) lgkmcnt(1)
	v_fma_f64 v[61:62], v[69:70], v[61:62], 0
	s_waitcnt vmcnt(18)
	v_fma_f64 v[61:62], v[71:72], v[63:64], v[61:62]
	buffer_load_dword v70, off, s[0:3], 0 offset:140
	buffer_load_dword v71, off, s[0:3], 0 offset:160
	;; [unrolled: 1-line block ×7, first 2 shown]
	s_waitcnt vmcnt(23) lgkmcnt(0)
	v_fma_f64 v[61:62], v[73:74], v[65:66], v[61:62]
	s_waitcnt vmcnt(21)
	v_fma_f64 v[72:73], v[75:76], v[67:68], v[61:62]
	ds_read_b128 v[61:64], v60 offset:320
	ds_read_b128 v[65:68], v60 offset:336
	s_waitcnt vmcnt(19) lgkmcnt(1)
	v_fma_f64 v[61:62], v[77:78], v[61:62], v[72:73]
	buffer_load_dword v72, off, s[0:3], 0 offset:164
	s_waitcnt vmcnt(18)
	v_fma_f64 v[61:62], v[79:80], v[63:64], v[61:62]
	buffer_load_dword v74, off, s[0:3], 0 offset:172
	buffer_load_dword v75, off, s[0:3], 0 offset:192
	;; [unrolled: 1-line block ×8, first 2 shown]
	s_waitcnt vmcnt(24) lgkmcnt(0)
	v_fma_f64 v[61:62], v[81:82], v[65:66], v[61:62]
	s_waitcnt vmcnt(19)
	v_fma_f64 v[81:82], v[83:84], v[67:68], v[61:62]
	ds_read_b128 v[61:64], v60 offset:352
	ds_read_b128 v[65:68], v60 offset:368
	s_waitcnt vmcnt(18) lgkmcnt(1)
	v_fma_f64 v[61:62], v[89:90], v[61:62], v[81:82]
	s_waitcnt vmcnt(17)
	v_fma_f64 v[61:62], v[87:88], v[63:64], v[61:62]
	buffer_load_dword v82, off, s[0:3], 0 offset:204
	buffer_load_dword v83, off, s[0:3], 0 offset:224
	;; [unrolled: 1-line block ×8, first 2 shown]
	s_waitcnt vmcnt(24) lgkmcnt(0)
	v_fma_f64 v[61:62], v[85:86], v[65:66], v[61:62]
	s_waitcnt vmcnt(19)
	v_fma_f64 v[69:70], v[69:70], v[67:68], v[61:62]
	ds_read_b128 v[61:64], v60 offset:384
	ds_read_b128 v[65:68], v60 offset:400
	s_waitcnt vmcnt(18) lgkmcnt(1)
	v_fma_f64 v[61:62], v[93:94], v[61:62], v[69:70]
	buffer_load_dword v69, off, s[0:3], 0 offset:40
	buffer_load_dword v70, off, s[0:3], 0 offset:44
	s_waitcnt vmcnt(19)
	v_fma_f64 v[61:62], v[91:92], v[63:64], v[61:62]
	s_waitcnt vmcnt(18) lgkmcnt(0)
	v_fma_f64 v[61:62], v[71:72], v[65:66], v[61:62]
	s_waitcnt vmcnt(13)
	v_fma_f64 v[71:72], v[73:74], v[67:68], v[61:62]
	ds_read_b128 v[61:64], v60 offset:416
	ds_read_b128 v[65:68], v60 offset:432
	s_waitcnt vmcnt(12) lgkmcnt(1)
	v_fma_f64 v[61:62], v[79:80], v[61:62], v[71:72]
	s_waitcnt vmcnt(11)
	v_fma_f64 v[61:62], v[77:78], v[63:64], v[61:62]
	s_waitcnt vmcnt(10) lgkmcnt(0)
	v_fma_f64 v[61:62], v[75:76], v[65:66], v[61:62]
	s_waitcnt vmcnt(5)
	v_fma_f64 v[65:66], v[81:82], v[67:68], v[61:62]
	ds_read_b128 v[61:64], v60 offset:448
	ds_read_b64 v[67:68], v60 offset:464
	s_waitcnt vmcnt(4) lgkmcnt(1)
	v_fma_f64 v[61:62], v[89:90], v[61:62], v[65:66]
	s_waitcnt vmcnt(3)
	v_fma_f64 v[61:62], v[87:88], v[63:64], v[61:62]
	s_waitcnt vmcnt(2) lgkmcnt(0)
	v_fma_f64 v[61:62], v[83:84], v[67:68], v[61:62]
	s_waitcnt vmcnt(0)
	v_add_f64 v[61:62], v[69:70], -v[61:62]
	buffer_store_dword v62, off, s[0:3], 0 offset:44
	buffer_store_dword v61, off, s[0:3], 0 offset:40
	s_and_saveexec_b64 s[4:5], vcc
	s_cbranch_execz .LBB28_173
; %bb.172:
	buffer_load_dword v61, off, s[0:3], 0 offset:32
	buffer_load_dword v62, off, s[0:3], 0 offset:36
	s_waitcnt vmcnt(0)
	ds_write_b64 v59, v[61:62]
	buffer_store_dword v60, off, s[0:3], 0 offset:32
	buffer_store_dword v60, off, s[0:3], 0 offset:36
.LBB28_173:
	s_or_b64 exec, exec, s[4:5]
	s_waitcnt lgkmcnt(0)
	; wave barrier
	buffer_load_dword v69, off, s[0:3], 0 offset:40
	buffer_load_dword v70, off, s[0:3], 0 offset:44
	;; [unrolled: 1-line block ×21, first 2 shown]
	ds_read2_b64 v[61:64], v60 offset0:35 offset1:36
	ds_read2_b64 v[65:68], v60 offset0:37 offset1:38
	buffer_load_dword v86, off, s[0:3], 0 offset:124
	v_cmp_lt_u32_e32 vcc, 3, v0
	s_waitcnt vmcnt(20) lgkmcnt(1)
	v_fma_f64 v[61:62], v[69:70], v[61:62], 0
	s_waitcnt vmcnt(18)
	v_fma_f64 v[61:62], v[71:72], v[63:64], v[61:62]
	buffer_load_dword v70, off, s[0:3], 0 offset:132
	buffer_load_dword v71, off, s[0:3], 0 offset:152
	;; [unrolled: 1-line block ×7, first 2 shown]
	s_waitcnt vmcnt(23) lgkmcnt(0)
	v_fma_f64 v[61:62], v[73:74], v[65:66], v[61:62]
	s_waitcnt vmcnt(21)
	v_fma_f64 v[72:73], v[75:76], v[67:68], v[61:62]
	ds_read2_b64 v[61:64], v60 offset0:39 offset1:40
	ds_read2_b64 v[65:68], v60 offset0:41 offset1:42
	s_waitcnt vmcnt(19) lgkmcnt(1)
	v_fma_f64 v[61:62], v[77:78], v[61:62], v[72:73]
	buffer_load_dword v72, off, s[0:3], 0 offset:156
	s_waitcnt vmcnt(18)
	v_fma_f64 v[61:62], v[79:80], v[63:64], v[61:62]
	buffer_load_dword v74, off, s[0:3], 0 offset:164
	buffer_load_dword v75, off, s[0:3], 0 offset:184
	;; [unrolled: 1-line block ×8, first 2 shown]
	s_waitcnt vmcnt(24) lgkmcnt(0)
	v_fma_f64 v[61:62], v[81:82], v[65:66], v[61:62]
	s_waitcnt vmcnt(19)
	v_fma_f64 v[81:82], v[83:84], v[67:68], v[61:62]
	ds_read2_b64 v[61:64], v60 offset0:43 offset1:44
	ds_read2_b64 v[65:68], v60 offset0:45 offset1:46
	s_waitcnt vmcnt(18) lgkmcnt(1)
	v_fma_f64 v[61:62], v[89:90], v[61:62], v[81:82]
	s_waitcnt vmcnt(17)
	v_fma_f64 v[61:62], v[87:88], v[63:64], v[61:62]
	buffer_load_dword v82, off, s[0:3], 0 offset:196
	buffer_load_dword v83, off, s[0:3], 0 offset:216
	;; [unrolled: 1-line block ×8, first 2 shown]
	s_waitcnt vmcnt(24) lgkmcnt(0)
	v_fma_f64 v[61:62], v[85:86], v[65:66], v[61:62]
	s_waitcnt vmcnt(19)
	v_fma_f64 v[69:70], v[69:70], v[67:68], v[61:62]
	ds_read2_b64 v[61:64], v60 offset0:47 offset1:48
	ds_read2_b64 v[65:68], v60 offset0:49 offset1:50
	s_waitcnt vmcnt(18) lgkmcnt(1)
	v_fma_f64 v[61:62], v[93:94], v[61:62], v[69:70]
	buffer_load_dword v70, off, s[0:3], 0 offset:228
	buffer_load_dword v69, off, s[0:3], 0 offset:224
	;; [unrolled: 1-line block ×4, first 2 shown]
	s_waitcnt vmcnt(21)
	v_fma_f64 v[61:62], v[91:92], v[63:64], v[61:62]
	s_waitcnt vmcnt(20) lgkmcnt(0)
	v_fma_f64 v[61:62], v[71:72], v[65:66], v[61:62]
	s_waitcnt vmcnt(15)
	v_fma_f64 v[71:72], v[73:74], v[67:68], v[61:62]
	ds_read2_b64 v[61:64], v60 offset0:51 offset1:52
	ds_read2_b64 v[65:68], v60 offset0:53 offset1:54
	s_waitcnt vmcnt(14) lgkmcnt(1)
	v_fma_f64 v[61:62], v[79:80], v[61:62], v[71:72]
	s_waitcnt vmcnt(13)
	v_fma_f64 v[61:62], v[77:78], v[63:64], v[61:62]
	s_waitcnt vmcnt(12) lgkmcnt(0)
	v_fma_f64 v[61:62], v[75:76], v[65:66], v[61:62]
	s_waitcnt vmcnt(7)
	v_fma_f64 v[71:72], v[81:82], v[67:68], v[61:62]
	ds_read2_b64 v[61:64], v60 offset0:55 offset1:56
	ds_read2_b64 v[65:68], v60 offset0:57 offset1:58
	s_waitcnt vmcnt(6) lgkmcnt(1)
	v_fma_f64 v[60:61], v[89:90], v[61:62], v[71:72]
	s_waitcnt vmcnt(5)
	v_fma_f64 v[60:61], v[87:88], v[63:64], v[60:61]
	s_waitcnt vmcnt(4) lgkmcnt(0)
	v_fma_f64 v[60:61], v[83:84], v[65:66], v[60:61]
	s_waitcnt vmcnt(2)
	v_fma_f64 v[60:61], v[69:70], v[67:68], v[60:61]
	s_waitcnt vmcnt(0)
	v_add_f64 v[60:61], v[85:86], -v[60:61]
	buffer_store_dword v61, off, s[0:3], 0 offset:36
	buffer_store_dword v60, off, s[0:3], 0 offset:32
	s_and_saveexec_b64 s[4:5], vcc
	s_cbranch_execz .LBB28_175
; %bb.174:
	buffer_load_dword v60, off, s[0:3], 0 offset:24
	buffer_load_dword v61, off, s[0:3], 0 offset:28
	v_mov_b32_e32 v62, 0
	buffer_store_dword v62, off, s[0:3], 0 offset:24
	buffer_store_dword v62, off, s[0:3], 0 offset:28
	s_waitcnt vmcnt(2)
	ds_write_b64 v59, v[60:61]
.LBB28_175:
	s_or_b64 exec, exec, s[4:5]
	s_waitcnt lgkmcnt(0)
	; wave barrier
	buffer_load_dword v69, off, s[0:3], 0 offset:32
	buffer_load_dword v70, off, s[0:3], 0 offset:36
	;; [unrolled: 1-line block ×21, first 2 shown]
	v_mov_b32_e32 v60, 0
	ds_read_b128 v[61:64], v60 offset:272
	ds_read_b128 v[65:68], v60 offset:288
	buffer_load_dword v86, off, s[0:3], 0 offset:116
	v_cmp_lt_u32_e32 vcc, 2, v0
	s_waitcnt vmcnt(20) lgkmcnt(1)
	v_fma_f64 v[61:62], v[69:70], v[61:62], 0
	s_waitcnt vmcnt(18)
	v_fma_f64 v[61:62], v[71:72], v[63:64], v[61:62]
	buffer_load_dword v70, off, s[0:3], 0 offset:124
	buffer_load_dword v71, off, s[0:3], 0 offset:144
	;; [unrolled: 1-line block ×7, first 2 shown]
	s_waitcnt vmcnt(23) lgkmcnt(0)
	v_fma_f64 v[61:62], v[73:74], v[65:66], v[61:62]
	s_waitcnt vmcnt(21)
	v_fma_f64 v[72:73], v[75:76], v[67:68], v[61:62]
	ds_read_b128 v[61:64], v60 offset:304
	ds_read_b128 v[65:68], v60 offset:320
	s_waitcnt vmcnt(19) lgkmcnt(1)
	v_fma_f64 v[61:62], v[77:78], v[61:62], v[72:73]
	buffer_load_dword v72, off, s[0:3], 0 offset:148
	s_waitcnt vmcnt(18)
	v_fma_f64 v[61:62], v[79:80], v[63:64], v[61:62]
	buffer_load_dword v74, off, s[0:3], 0 offset:156
	buffer_load_dword v75, off, s[0:3], 0 offset:176
	;; [unrolled: 1-line block ×8, first 2 shown]
	s_waitcnt vmcnt(24) lgkmcnt(0)
	v_fma_f64 v[61:62], v[81:82], v[65:66], v[61:62]
	s_waitcnt vmcnt(19)
	v_fma_f64 v[81:82], v[83:84], v[67:68], v[61:62]
	ds_read_b128 v[61:64], v60 offset:336
	ds_read_b128 v[65:68], v60 offset:352
	s_waitcnt vmcnt(18) lgkmcnt(1)
	v_fma_f64 v[61:62], v[89:90], v[61:62], v[81:82]
	s_waitcnt vmcnt(17)
	v_fma_f64 v[61:62], v[87:88], v[63:64], v[61:62]
	buffer_load_dword v82, off, s[0:3], 0 offset:188
	buffer_load_dword v83, off, s[0:3], 0 offset:208
	;; [unrolled: 1-line block ×7, first 2 shown]
	s_waitcnt vmcnt(23) lgkmcnt(0)
	v_fma_f64 v[61:62], v[85:86], v[65:66], v[61:62]
	s_waitcnt vmcnt(18)
	v_fma_f64 v[69:70], v[69:70], v[67:68], v[61:62]
	ds_read_b128 v[61:64], v60 offset:368
	ds_read_b128 v[65:68], v60 offset:384
	buffer_load_dword v84, off, s[0:3], 0 offset:212
	s_waitcnt vmcnt(18) lgkmcnt(1)
	v_fma_f64 v[61:62], v[93:94], v[61:62], v[69:70]
	buffer_load_dword v70, off, s[0:3], 0 offset:220
	buffer_load_dword v85, off, s[0:3], 0 offset:224
	;; [unrolled: 1-line block ×4, first 2 shown]
	s_waitcnt vmcnt(21)
	v_fma_f64 v[61:62], v[91:92], v[63:64], v[61:62]
	s_waitcnt vmcnt(20) lgkmcnt(0)
	v_fma_f64 v[61:62], v[71:72], v[65:66], v[61:62]
	buffer_load_dword v71, off, s[0:3], 0 offset:24
	buffer_load_dword v72, off, s[0:3], 0 offset:28
	s_waitcnt vmcnt(17)
	v_fma_f64 v[73:74], v[73:74], v[67:68], v[61:62]
	ds_read_b128 v[61:64], v60 offset:400
	ds_read_b128 v[65:68], v60 offset:416
	s_waitcnt vmcnt(16) lgkmcnt(1)
	v_fma_f64 v[61:62], v[79:80], v[61:62], v[73:74]
	s_waitcnt vmcnt(15)
	v_fma_f64 v[61:62], v[77:78], v[63:64], v[61:62]
	s_waitcnt vmcnt(14) lgkmcnt(0)
	v_fma_f64 v[61:62], v[75:76], v[65:66], v[61:62]
	s_waitcnt vmcnt(9)
	v_fma_f64 v[73:74], v[81:82], v[67:68], v[61:62]
	ds_read_b128 v[61:64], v60 offset:432
	ds_read_b128 v[65:68], v60 offset:448
	s_waitcnt vmcnt(8) lgkmcnt(1)
	v_fma_f64 v[61:62], v[89:90], v[61:62], v[73:74]
	s_waitcnt vmcnt(7)
	v_fma_f64 v[61:62], v[87:88], v[63:64], v[61:62]
	ds_read_b64 v[63:64], v60 offset:464
	s_waitcnt vmcnt(6) lgkmcnt(1)
	v_fma_f64 v[61:62], v[83:84], v[65:66], v[61:62]
	s_waitcnt vmcnt(3)
	v_fma_f64 v[61:62], v[69:70], v[67:68], v[61:62]
	s_waitcnt vmcnt(2) lgkmcnt(0)
	v_fma_f64 v[61:62], v[85:86], v[63:64], v[61:62]
	s_waitcnt vmcnt(0)
	v_add_f64 v[61:62], v[71:72], -v[61:62]
	buffer_store_dword v62, off, s[0:3], 0 offset:28
	buffer_store_dword v61, off, s[0:3], 0 offset:24
	s_and_saveexec_b64 s[4:5], vcc
	s_cbranch_execz .LBB28_177
; %bb.176:
	buffer_load_dword v61, off, s[0:3], 0 offset:16
	buffer_load_dword v62, off, s[0:3], 0 offset:20
	s_waitcnt vmcnt(0)
	ds_write_b64 v59, v[61:62]
	buffer_store_dword v60, off, s[0:3], 0 offset:16
	buffer_store_dword v60, off, s[0:3], 0 offset:20
.LBB28_177:
	s_or_b64 exec, exec, s[4:5]
	s_waitcnt lgkmcnt(0)
	; wave barrier
	buffer_load_dword v69, off, s[0:3], 0 offset:24
	buffer_load_dword v70, off, s[0:3], 0 offset:28
	;; [unrolled: 1-line block ×22, first 2 shown]
	ds_read2_b64 v[61:64], v60 offset0:33 offset1:34
	ds_read2_b64 v[65:68], v60 offset0:35 offset1:36
	v_cmp_lt_u32_e32 vcc, 1, v0
	s_waitcnt vmcnt(20) lgkmcnt(1)
	v_fma_f64 v[61:62], v[69:70], v[61:62], 0
	s_waitcnt vmcnt(18)
	v_fma_f64 v[61:62], v[71:72], v[63:64], v[61:62]
	buffer_load_dword v70, off, s[0:3], 0 offset:116
	buffer_load_dword v71, off, s[0:3], 0 offset:136
	;; [unrolled: 1-line block ×7, first 2 shown]
	s_waitcnt vmcnt(23) lgkmcnt(0)
	v_fma_f64 v[61:62], v[73:74], v[65:66], v[61:62]
	s_waitcnt vmcnt(21)
	v_fma_f64 v[72:73], v[75:76], v[67:68], v[61:62]
	ds_read2_b64 v[61:64], v60 offset0:37 offset1:38
	ds_read2_b64 v[65:68], v60 offset0:39 offset1:40
	s_waitcnt vmcnt(19) lgkmcnt(1)
	v_fma_f64 v[61:62], v[77:78], v[61:62], v[72:73]
	buffer_load_dword v72, off, s[0:3], 0 offset:140
	s_waitcnt vmcnt(18)
	v_fma_f64 v[61:62], v[79:80], v[63:64], v[61:62]
	buffer_load_dword v74, off, s[0:3], 0 offset:148
	buffer_load_dword v75, off, s[0:3], 0 offset:168
	;; [unrolled: 1-line block ×8, first 2 shown]
	s_waitcnt vmcnt(24) lgkmcnt(0)
	v_fma_f64 v[61:62], v[81:82], v[65:66], v[61:62]
	s_waitcnt vmcnt(19)
	v_fma_f64 v[81:82], v[83:84], v[67:68], v[61:62]
	ds_read2_b64 v[61:64], v60 offset0:41 offset1:42
	ds_read2_b64 v[65:68], v60 offset0:43 offset1:44
	s_waitcnt vmcnt(18) lgkmcnt(1)
	v_fma_f64 v[61:62], v[89:90], v[61:62], v[81:82]
	s_waitcnt vmcnt(17)
	v_fma_f64 v[61:62], v[87:88], v[63:64], v[61:62]
	buffer_load_dword v82, off, s[0:3], 0 offset:180
	buffer_load_dword v83, off, s[0:3], 0 offset:200
	;; [unrolled: 1-line block ×8, first 2 shown]
	s_waitcnt vmcnt(24) lgkmcnt(0)
	v_fma_f64 v[61:62], v[85:86], v[65:66], v[61:62]
	s_waitcnt vmcnt(19)
	v_fma_f64 v[69:70], v[69:70], v[67:68], v[61:62]
	ds_read2_b64 v[61:64], v60 offset0:45 offset1:46
	ds_read2_b64 v[65:68], v60 offset0:47 offset1:48
	s_waitcnt vmcnt(18) lgkmcnt(1)
	v_fma_f64 v[61:62], v[93:94], v[61:62], v[69:70]
	s_waitcnt vmcnt(17)
	v_fma_f64 v[61:62], v[91:92], v[63:64], v[61:62]
	buffer_load_dword v70, off, s[0:3], 0 offset:212
	buffer_load_dword v85, off, s[0:3], 0 offset:224
	;; [unrolled: 1-line block ×6, first 2 shown]
	s_waitcnt vmcnt(22) lgkmcnt(0)
	v_fma_f64 v[61:62], v[71:72], v[65:66], v[61:62]
	s_waitcnt vmcnt(17)
	v_fma_f64 v[71:72], v[73:74], v[67:68], v[61:62]
	ds_read2_b64 v[61:64], v60 offset0:49 offset1:50
	buffer_load_dword v73, off, s[0:3], 0 offset:16
	buffer_load_dword v74, off, s[0:3], 0 offset:20
	ds_read2_b64 v[65:68], v60 offset0:51 offset1:52
	s_waitcnt vmcnt(18) lgkmcnt(1)
	v_fma_f64 v[61:62], v[79:80], v[61:62], v[71:72]
	s_waitcnt vmcnt(17)
	v_fma_f64 v[61:62], v[77:78], v[63:64], v[61:62]
	s_waitcnt vmcnt(16) lgkmcnt(0)
	v_fma_f64 v[61:62], v[75:76], v[65:66], v[61:62]
	s_waitcnt vmcnt(11)
	v_fma_f64 v[71:72], v[81:82], v[67:68], v[61:62]
	ds_read2_b64 v[61:64], v60 offset0:53 offset1:54
	ds_read2_b64 v[65:68], v60 offset0:55 offset1:56
	s_waitcnt vmcnt(10) lgkmcnt(1)
	v_fma_f64 v[61:62], v[89:90], v[61:62], v[71:72]
	s_waitcnt vmcnt(9)
	v_fma_f64 v[61:62], v[87:88], v[63:64], v[61:62]
	s_waitcnt vmcnt(8) lgkmcnt(0)
	v_fma_f64 v[61:62], v[83:84], v[65:66], v[61:62]
	s_waitcnt vmcnt(4)
	v_fma_f64 v[64:65], v[69:70], v[67:68], v[61:62]
	ds_read2_b64 v[60:63], v60 offset0:57 offset1:58
	s_waitcnt vmcnt(3) lgkmcnt(0)
	v_fma_f64 v[60:61], v[91:92], v[60:61], v[64:65]
	s_waitcnt vmcnt(2)
	v_fma_f64 v[60:61], v[85:86], v[62:63], v[60:61]
	s_waitcnt vmcnt(0)
	v_add_f64 v[60:61], v[73:74], -v[60:61]
	buffer_store_dword v61, off, s[0:3], 0 offset:20
	buffer_store_dword v60, off, s[0:3], 0 offset:16
	s_and_saveexec_b64 s[4:5], vcc
	s_cbranch_execz .LBB28_179
; %bb.178:
	buffer_load_dword v60, off, s[0:3], 0 offset:8
	buffer_load_dword v61, off, s[0:3], 0 offset:12
	v_mov_b32_e32 v62, 0
	buffer_store_dword v62, off, s[0:3], 0 offset:8
	buffer_store_dword v62, off, s[0:3], 0 offset:12
	s_waitcnt vmcnt(2)
	ds_write_b64 v59, v[60:61]
.LBB28_179:
	s_or_b64 exec, exec, s[4:5]
	s_waitcnt lgkmcnt(0)
	; wave barrier
	buffer_load_dword v69, off, s[0:3], 0 offset:16
	buffer_load_dword v70, off, s[0:3], 0 offset:20
	;; [unrolled: 1-line block ×22, first 2 shown]
	v_mov_b32_e32 v60, 0
	ds_read_b128 v[61:64], v60 offset:256
	ds_read_b128 v[65:68], v60 offset:272
	v_cmp_ne_u32_e32 vcc, 0, v0
	s_waitcnt vmcnt(20) lgkmcnt(1)
	v_fma_f64 v[61:62], v[69:70], v[61:62], 0
	s_waitcnt vmcnt(18)
	v_fma_f64 v[61:62], v[71:72], v[63:64], v[61:62]
	buffer_load_dword v70, off, s[0:3], 0 offset:108
	buffer_load_dword v71, off, s[0:3], 0 offset:128
	;; [unrolled: 1-line block ×7, first 2 shown]
	s_waitcnt vmcnt(23) lgkmcnt(0)
	v_fma_f64 v[61:62], v[73:74], v[65:66], v[61:62]
	s_waitcnt vmcnt(21)
	v_fma_f64 v[72:73], v[75:76], v[67:68], v[61:62]
	ds_read_b128 v[61:64], v60 offset:288
	ds_read_b128 v[65:68], v60 offset:304
	s_waitcnt vmcnt(19) lgkmcnt(1)
	v_fma_f64 v[61:62], v[77:78], v[61:62], v[72:73]
	buffer_load_dword v72, off, s[0:3], 0 offset:132
	s_waitcnt vmcnt(18)
	v_fma_f64 v[61:62], v[79:80], v[63:64], v[61:62]
	buffer_load_dword v74, off, s[0:3], 0 offset:140
	buffer_load_dword v75, off, s[0:3], 0 offset:160
	buffer_load_dword v77, off, s[0:3], 0 offset:152
	buffer_load_dword v79, off, s[0:3], 0 offset:144
	buffer_load_dword v73, off, s[0:3], 0 offset:136
	buffer_load_dword v80, off, s[0:3], 0 offset:148
	buffer_load_dword v78, off, s[0:3], 0 offset:156
	buffer_load_dword v76, off, s[0:3], 0 offset:164
	s_waitcnt vmcnt(24) lgkmcnt(0)
	v_fma_f64 v[61:62], v[81:82], v[65:66], v[61:62]
	s_waitcnt vmcnt(19)
	v_fma_f64 v[81:82], v[83:84], v[67:68], v[61:62]
	ds_read_b128 v[61:64], v60 offset:320
	ds_read_b128 v[65:68], v60 offset:336
	s_waitcnt vmcnt(18) lgkmcnt(1)
	v_fma_f64 v[61:62], v[89:90], v[61:62], v[81:82]
	s_waitcnt vmcnt(17)
	v_fma_f64 v[61:62], v[87:88], v[63:64], v[61:62]
	buffer_load_dword v82, off, s[0:3], 0 offset:172
	buffer_load_dword v83, off, s[0:3], 0 offset:192
	buffer_load_dword v87, off, s[0:3], 0 offset:184
	buffer_load_dword v89, off, s[0:3], 0 offset:176
	buffer_load_dword v81, off, s[0:3], 0 offset:168
	buffer_load_dword v90, off, s[0:3], 0 offset:180
	buffer_load_dword v88, off, s[0:3], 0 offset:188
	buffer_load_dword v84, off, s[0:3], 0 offset:196
	s_waitcnt vmcnt(24) lgkmcnt(0)
	v_fma_f64 v[61:62], v[85:86], v[65:66], v[61:62]
	s_waitcnt vmcnt(19)
	v_fma_f64 v[69:70], v[69:70], v[67:68], v[61:62]
	ds_read_b128 v[61:64], v60 offset:352
	ds_read_b128 v[65:68], v60 offset:368
	s_waitcnt vmcnt(18) lgkmcnt(1)
	v_fma_f64 v[61:62], v[93:94], v[61:62], v[69:70]
	s_waitcnt vmcnt(17)
	v_fma_f64 v[61:62], v[91:92], v[63:64], v[61:62]
	buffer_load_dword v70, off, s[0:3], 0 offset:204
	buffer_load_dword v85, off, s[0:3], 0 offset:224
	buffer_load_dword v91, off, s[0:3], 0 offset:216
	buffer_load_dword v93, off, s[0:3], 0 offset:208
	buffer_load_dword v69, off, s[0:3], 0 offset:200
	buffer_load_dword v94, off, s[0:3], 0 offset:212
	buffer_load_dword v92, off, s[0:3], 0 offset:220
	buffer_load_dword v86, off, s[0:3], 0 offset:228
	s_waitcnt vmcnt(24) lgkmcnt(0)
	v_fma_f64 v[61:62], v[71:72], v[65:66], v[61:62]
	s_waitcnt vmcnt(19)
	v_fma_f64 v[71:72], v[73:74], v[67:68], v[61:62]
	ds_read_b128 v[61:64], v60 offset:384
	ds_read_b128 v[65:68], v60 offset:400
	s_waitcnt vmcnt(18) lgkmcnt(1)
	v_fma_f64 v[61:62], v[79:80], v[61:62], v[71:72]
	buffer_load_dword v71, off, s[0:3], 0 offset:8
	buffer_load_dword v72, off, s[0:3], 0 offset:12
	s_waitcnt vmcnt(19)
	v_fma_f64 v[61:62], v[77:78], v[63:64], v[61:62]
	s_waitcnt vmcnt(18) lgkmcnt(0)
	v_fma_f64 v[61:62], v[75:76], v[65:66], v[61:62]
	s_waitcnt vmcnt(13)
	v_fma_f64 v[73:74], v[81:82], v[67:68], v[61:62]
	ds_read_b128 v[61:64], v60 offset:416
	ds_read_b128 v[65:68], v60 offset:432
	s_waitcnt vmcnt(12) lgkmcnt(1)
	v_fma_f64 v[61:62], v[89:90], v[61:62], v[73:74]
	s_waitcnt vmcnt(11)
	v_fma_f64 v[61:62], v[87:88], v[63:64], v[61:62]
	s_waitcnt vmcnt(10) lgkmcnt(0)
	v_fma_f64 v[61:62], v[83:84], v[65:66], v[61:62]
	s_waitcnt vmcnt(5)
	v_fma_f64 v[65:66], v[69:70], v[67:68], v[61:62]
	ds_read_b128 v[61:64], v60 offset:448
	ds_read_b64 v[67:68], v60 offset:464
	s_waitcnt vmcnt(4) lgkmcnt(1)
	v_fma_f64 v[61:62], v[93:94], v[61:62], v[65:66]
	s_waitcnt vmcnt(3)
	v_fma_f64 v[61:62], v[91:92], v[63:64], v[61:62]
	s_waitcnt vmcnt(2) lgkmcnt(0)
	v_fma_f64 v[61:62], v[85:86], v[67:68], v[61:62]
	s_waitcnt vmcnt(0)
	v_add_f64 v[61:62], v[71:72], -v[61:62]
	buffer_store_dword v62, off, s[0:3], 0 offset:12
	buffer_store_dword v61, off, s[0:3], 0 offset:8
	s_and_saveexec_b64 s[4:5], vcc
	s_cbranch_execz .LBB28_181
; %bb.180:
	buffer_load_dword v61, off, s[0:3], 0
	buffer_load_dword v62, off, s[0:3], 0 offset:4
	s_waitcnt vmcnt(0)
	ds_write_b64 v59, v[61:62]
	buffer_store_dword v60, off, s[0:3], 0
	buffer_store_dword v60, off, s[0:3], 0 offset:4
.LBB28_181:
	s_or_b64 exec, exec, s[4:5]
	s_waitcnt lgkmcnt(0)
	; wave barrier
	buffer_load_dword v69, off, s[0:3], 0 offset:8
	buffer_load_dword v70, off, s[0:3], 0 offset:12
	;; [unrolled: 1-line block ×22, first 2 shown]
	ds_read2_b64 v[61:64], v60 offset0:31 offset1:32
	ds_read2_b64 v[65:68], v60 offset0:33 offset1:34
	s_and_b64 vcc, exec, s[22:23]
	s_waitcnt vmcnt(20) lgkmcnt(1)
	v_fma_f64 v[61:62], v[69:70], v[61:62], 0
	s_waitcnt vmcnt(18)
	v_fma_f64 v[61:62], v[71:72], v[63:64], v[61:62]
	buffer_load_dword v70, off, s[0:3], 0 offset:100
	buffer_load_dword v71, off, s[0:3], 0 offset:120
	buffer_load_dword v91, off, s[0:3], 0 offset:112
	buffer_load_dword v93, off, s[0:3], 0 offset:104
	buffer_load_dword v69, off, s[0:3], 0 offset:96
	buffer_load_dword v94, off, s[0:3], 0 offset:108
	buffer_load_dword v92, off, s[0:3], 0 offset:116
	s_waitcnt vmcnt(23) lgkmcnt(0)
	v_fma_f64 v[61:62], v[73:74], v[65:66], v[61:62]
	s_waitcnt vmcnt(21)
	v_fma_f64 v[72:73], v[75:76], v[67:68], v[61:62]
	ds_read2_b64 v[61:64], v60 offset0:35 offset1:36
	ds_read2_b64 v[65:68], v60 offset0:37 offset1:38
	s_waitcnt vmcnt(19) lgkmcnt(1)
	v_fma_f64 v[61:62], v[77:78], v[61:62], v[72:73]
	buffer_load_dword v72, off, s[0:3], 0 offset:124
	s_waitcnt vmcnt(18)
	v_fma_f64 v[61:62], v[79:80], v[63:64], v[61:62]
	buffer_load_dword v74, off, s[0:3], 0 offset:132
	buffer_load_dword v75, off, s[0:3], 0 offset:152
	;; [unrolled: 1-line block ×8, first 2 shown]
	s_waitcnt vmcnt(24) lgkmcnt(0)
	v_fma_f64 v[61:62], v[81:82], v[65:66], v[61:62]
	s_waitcnt vmcnt(19)
	v_fma_f64 v[81:82], v[83:84], v[67:68], v[61:62]
	ds_read2_b64 v[61:64], v60 offset0:39 offset1:40
	ds_read2_b64 v[65:68], v60 offset0:41 offset1:42
	s_waitcnt vmcnt(18) lgkmcnt(1)
	v_fma_f64 v[61:62], v[89:90], v[61:62], v[81:82]
	s_waitcnt vmcnt(17)
	v_fma_f64 v[61:62], v[87:88], v[63:64], v[61:62]
	buffer_load_dword v82, off, s[0:3], 0 offset:164
	buffer_load_dword v83, off, s[0:3], 0 offset:184
	;; [unrolled: 1-line block ×8, first 2 shown]
	s_waitcnt vmcnt(24) lgkmcnt(0)
	v_fma_f64 v[61:62], v[85:86], v[65:66], v[61:62]
	s_waitcnt vmcnt(19)
	v_fma_f64 v[69:70], v[69:70], v[67:68], v[61:62]
	ds_read2_b64 v[61:64], v60 offset0:43 offset1:44
	ds_read2_b64 v[65:68], v60 offset0:45 offset1:46
	s_waitcnt vmcnt(18) lgkmcnt(1)
	v_fma_f64 v[61:62], v[93:94], v[61:62], v[69:70]
	s_waitcnt vmcnt(17)
	v_fma_f64 v[62:63], v[91:92], v[63:64], v[61:62]
	buffer_load_dword v86, off, s[0:3], 0 offset:196
	buffer_load_dword v61, off, s[0:3], 0 offset:216
	;; [unrolled: 1-line block ×7, first 2 shown]
	s_waitcnt vmcnt(23) lgkmcnt(0)
	v_fma_f64 v[62:63], v[71:72], v[65:66], v[62:63]
	s_waitcnt vmcnt(18)
	v_fma_f64 v[71:72], v[73:74], v[67:68], v[62:63]
	ds_read2_b64 v[63:66], v60 offset0:47 offset1:48
	ds_read2_b64 v[67:70], v60 offset0:49 offset1:50
	buffer_load_dword v62, off, s[0:3], 0 offset:220
	s_waitcnt vmcnt(18) lgkmcnt(1)
	v_fma_f64 v[63:64], v[79:80], v[63:64], v[71:72]
	buffer_load_dword v72, off, s[0:3], 0 offset:228
	buffer_load_dword v71, off, s[0:3], 0 offset:224
	buffer_load_dword v73, off, s[0:3], 0
	buffer_load_dword v74, off, s[0:3], 0 offset:4
	s_waitcnt vmcnt(21)
	v_fma_f64 v[63:64], v[77:78], v[65:66], v[63:64]
	s_waitcnt vmcnt(20) lgkmcnt(0)
	v_fma_f64 v[63:64], v[75:76], v[67:68], v[63:64]
	s_waitcnt vmcnt(15)
	v_fma_f64 v[75:76], v[81:82], v[69:70], v[63:64]
	ds_read2_b64 v[63:66], v60 offset0:51 offset1:52
	ds_read2_b64 v[67:70], v60 offset0:53 offset1:54
	s_waitcnt vmcnt(14) lgkmcnt(1)
	v_fma_f64 v[63:64], v[89:90], v[63:64], v[75:76]
	s_waitcnt vmcnt(13)
	v_fma_f64 v[63:64], v[87:88], v[65:66], v[63:64]
	s_waitcnt vmcnt(12) lgkmcnt(0)
	v_fma_f64 v[63:64], v[83:84], v[67:68], v[63:64]
	s_waitcnt vmcnt(7)
	v_fma_f64 v[75:76], v[85:86], v[69:70], v[63:64]
	ds_read2_b64 v[63:66], v60 offset0:55 offset1:56
	ds_read2_b64 v[67:70], v60 offset0:57 offset1:58
	s_waitcnt vmcnt(6) lgkmcnt(1)
	v_fma_f64 v[59:60], v[93:94], v[63:64], v[75:76]
	s_waitcnt vmcnt(5)
	v_fma_f64 v[59:60], v[91:92], v[65:66], v[59:60]
	s_waitcnt vmcnt(4) lgkmcnt(0)
	v_fma_f64 v[59:60], v[61:62], v[67:68], v[59:60]
	s_waitcnt vmcnt(2)
	v_fma_f64 v[59:60], v[71:72], v[69:70], v[59:60]
	s_waitcnt vmcnt(0)
	v_add_f64 v[59:60], v[73:74], -v[59:60]
	buffer_store_dword v60, off, s[0:3], 0 offset:4
	buffer_store_dword v59, off, s[0:3], 0
	s_cbranch_vccz .LBB28_238
; %bb.182:
	v_mov_b32_e32 v0, 0
	global_load_dword v59, v0, s[20:21] offset:108
	s_waitcnt vmcnt(0)
	v_add_u32_e32 v59, -1, v59
	v_cmp_ne_u32_e32 vcc, 27, v59
	s_cbranch_vccz .LBB28_184
; %bb.183:
	v_lshlrev_b32_e32 v59, 3, v59
	buffer_load_dword v60, v59, s[0:3], 0 offen
	buffer_load_dword v63, v59, s[0:3], 0 offen offset:4
	s_waitcnt vmcnt(1)
	buffer_store_dword v60, off, s[0:3], 0 offset:216
	s_waitcnt vmcnt(1)
	buffer_store_dword v63, off, s[0:3], 0 offset:220
	buffer_store_dword v61, v59, s[0:3], 0 offen
	buffer_store_dword v62, v59, s[0:3], 0 offen offset:4
.LBB28_184:
	global_load_dword v0, v0, s[20:21] offset:104
	s_waitcnt vmcnt(0)
	v_add_u32_e32 v0, -1, v0
	v_cmp_eq_u32_e32 vcc, 26, v0
	s_cbranch_vccnz .LBB28_186
; %bb.185:
	v_lshlrev_b32_e32 v0, 3, v0
	buffer_load_dword v59, v0, s[0:3], 0 offen
	buffer_load_dword v60, v0, s[0:3], 0 offen offset:4
	buffer_load_dword v61, off, s[0:3], 0 offset:212
	buffer_load_dword v62, off, s[0:3], 0 offset:208
	s_waitcnt vmcnt(3)
	buffer_store_dword v59, off, s[0:3], 0 offset:208
	s_waitcnt vmcnt(3)
	buffer_store_dword v60, off, s[0:3], 0 offset:212
	s_waitcnt vmcnt(3)
	buffer_store_dword v61, v0, s[0:3], 0 offen offset:4
	s_waitcnt vmcnt(3)
	buffer_store_dword v62, v0, s[0:3], 0 offen
.LBB28_186:
	v_mov_b32_e32 v0, 0
	global_load_dword v59, v0, s[20:21] offset:100
	s_waitcnt vmcnt(0)
	v_add_u32_e32 v59, -1, v59
	v_cmp_eq_u32_e32 vcc, 25, v59
	s_cbranch_vccnz .LBB28_188
; %bb.187:
	v_lshlrev_b32_e32 v59, 3, v59
	buffer_load_dword v60, v59, s[0:3], 0 offen
	buffer_load_dword v61, v59, s[0:3], 0 offen offset:4
	buffer_load_dword v62, off, s[0:3], 0 offset:200
	buffer_load_dword v63, off, s[0:3], 0 offset:204
	s_waitcnt vmcnt(3)
	buffer_store_dword v60, off, s[0:3], 0 offset:200
	s_waitcnt vmcnt(3)
	buffer_store_dword v61, off, s[0:3], 0 offset:204
	s_waitcnt vmcnt(3)
	buffer_store_dword v62, v59, s[0:3], 0 offen
	s_waitcnt vmcnt(3)
	buffer_store_dword v63, v59, s[0:3], 0 offen offset:4
.LBB28_188:
	global_load_dword v0, v0, s[20:21] offset:96
	s_waitcnt vmcnt(0)
	v_add_u32_e32 v0, -1, v0
	v_cmp_eq_u32_e32 vcc, 24, v0
	s_cbranch_vccnz .LBB28_190
; %bb.189:
	v_lshlrev_b32_e32 v0, 3, v0
	buffer_load_dword v59, v0, s[0:3], 0 offen
	buffer_load_dword v60, v0, s[0:3], 0 offen offset:4
	buffer_load_dword v61, off, s[0:3], 0 offset:196
	buffer_load_dword v62, off, s[0:3], 0 offset:192
	s_waitcnt vmcnt(3)
	buffer_store_dword v59, off, s[0:3], 0 offset:192
	s_waitcnt vmcnt(3)
	buffer_store_dword v60, off, s[0:3], 0 offset:196
	s_waitcnt vmcnt(3)
	buffer_store_dword v61, v0, s[0:3], 0 offen offset:4
	s_waitcnt vmcnt(3)
	buffer_store_dword v62, v0, s[0:3], 0 offen
.LBB28_190:
	v_mov_b32_e32 v0, 0
	global_load_dword v59, v0, s[20:21] offset:92
	s_waitcnt vmcnt(0)
	v_add_u32_e32 v59, -1, v59
	v_cmp_eq_u32_e32 vcc, 23, v59
	s_cbranch_vccnz .LBB28_192
; %bb.191:
	v_lshlrev_b32_e32 v59, 3, v59
	buffer_load_dword v60, v59, s[0:3], 0 offen
	buffer_load_dword v61, v59, s[0:3], 0 offen offset:4
	buffer_load_dword v62, off, s[0:3], 0 offset:184
	buffer_load_dword v63, off, s[0:3], 0 offset:188
	s_waitcnt vmcnt(3)
	buffer_store_dword v60, off, s[0:3], 0 offset:184
	s_waitcnt vmcnt(3)
	buffer_store_dword v61, off, s[0:3], 0 offset:188
	s_waitcnt vmcnt(3)
	buffer_store_dword v62, v59, s[0:3], 0 offen
	s_waitcnt vmcnt(3)
	buffer_store_dword v63, v59, s[0:3], 0 offen offset:4
.LBB28_192:
	;; [unrolled: 41-line block ×13, first 2 shown]
	global_load_dword v0, v0, s[20:21]
	s_nop 0
	buffer_load_dword v59, off, s[0:3], 0
	buffer_load_dword v60, off, s[0:3], 0 offset:4
	s_waitcnt vmcnt(2)
	v_add_u32_e32 v0, -1, v0
	v_cmp_eq_u32_e32 vcc, 0, v0
	s_cbranch_vccnz .LBB28_238
; %bb.237:
	v_lshlrev_b32_e32 v0, 3, v0
	buffer_load_dword v61, v0, s[0:3], 0 offen offset:4
	buffer_load_dword v62, v0, s[0:3], 0 offen
	s_waitcnt vmcnt(1)
	buffer_store_dword v61, off, s[0:3], 0 offset:4
	s_waitcnt vmcnt(1)
	buffer_store_dword v62, off, s[0:3], 0
	buffer_store_dword v60, v0, s[0:3], 0 offen offset:4
	buffer_store_dword v59, v0, s[0:3], 0 offen
	buffer_load_dword v59, off, s[0:3], 0
	s_nop 0
	buffer_load_dword v60, off, s[0:3], 0 offset:4
.LBB28_238:
	buffer_load_dword v61, off, s[0:3], 0 offset:8
	buffer_load_dword v62, off, s[0:3], 0 offset:12
	;; [unrolled: 1-line block ×56, first 2 shown]
	s_waitcnt vmcnt(56)
	global_store_dwordx2 v[1:2], v[59:60], off
	s_waitcnt vmcnt(55)
	global_store_dwordx2 v[3:4], v[61:62], off
	;; [unrolled: 2-line block ×29, first 2 shown]
	s_endpgm
	.section	.rodata,"a",@progbits
	.p2align	6, 0x0
	.amdhsa_kernel _ZN9rocsolver6v33100L18getri_kernel_smallILi29EdPdEEvT1_iilPiilS4_bb
		.amdhsa_group_segment_fixed_size 472
		.amdhsa_private_segment_fixed_size 240
		.amdhsa_kernarg_size 60
		.amdhsa_user_sgpr_count 6
		.amdhsa_user_sgpr_private_segment_buffer 1
		.amdhsa_user_sgpr_dispatch_ptr 0
		.amdhsa_user_sgpr_queue_ptr 0
		.amdhsa_user_sgpr_kernarg_segment_ptr 1
		.amdhsa_user_sgpr_dispatch_id 0
		.amdhsa_user_sgpr_flat_scratch_init 0
		.amdhsa_user_sgpr_private_segment_size 0
		.amdhsa_uses_dynamic_stack 0
		.amdhsa_system_sgpr_private_segment_wavefront_offset 1
		.amdhsa_system_sgpr_workgroup_id_x 1
		.amdhsa_system_sgpr_workgroup_id_y 0
		.amdhsa_system_sgpr_workgroup_id_z 0
		.amdhsa_system_sgpr_workgroup_info 0
		.amdhsa_system_vgpr_workitem_id 0
		.amdhsa_next_free_vgpr 118
		.amdhsa_next_free_sgpr 24
		.amdhsa_reserve_vcc 1
		.amdhsa_reserve_flat_scratch 0
		.amdhsa_float_round_mode_32 0
		.amdhsa_float_round_mode_16_64 0
		.amdhsa_float_denorm_mode_32 3
		.amdhsa_float_denorm_mode_16_64 3
		.amdhsa_dx10_clamp 1
		.amdhsa_ieee_mode 1
		.amdhsa_fp16_overflow 0
		.amdhsa_exception_fp_ieee_invalid_op 0
		.amdhsa_exception_fp_denorm_src 0
		.amdhsa_exception_fp_ieee_div_zero 0
		.amdhsa_exception_fp_ieee_overflow 0
		.amdhsa_exception_fp_ieee_underflow 0
		.amdhsa_exception_fp_ieee_inexact 0
		.amdhsa_exception_int_div_zero 0
	.end_amdhsa_kernel
	.section	.text._ZN9rocsolver6v33100L18getri_kernel_smallILi29EdPdEEvT1_iilPiilS4_bb,"axG",@progbits,_ZN9rocsolver6v33100L18getri_kernel_smallILi29EdPdEEvT1_iilPiilS4_bb,comdat
.Lfunc_end28:
	.size	_ZN9rocsolver6v33100L18getri_kernel_smallILi29EdPdEEvT1_iilPiilS4_bb, .Lfunc_end28-_ZN9rocsolver6v33100L18getri_kernel_smallILi29EdPdEEvT1_iilPiilS4_bb
                                        ; -- End function
	.set _ZN9rocsolver6v33100L18getri_kernel_smallILi29EdPdEEvT1_iilPiilS4_bb.num_vgpr, 118
	.set _ZN9rocsolver6v33100L18getri_kernel_smallILi29EdPdEEvT1_iilPiilS4_bb.num_agpr, 0
	.set _ZN9rocsolver6v33100L18getri_kernel_smallILi29EdPdEEvT1_iilPiilS4_bb.numbered_sgpr, 24
	.set _ZN9rocsolver6v33100L18getri_kernel_smallILi29EdPdEEvT1_iilPiilS4_bb.num_named_barrier, 0
	.set _ZN9rocsolver6v33100L18getri_kernel_smallILi29EdPdEEvT1_iilPiilS4_bb.private_seg_size, 240
	.set _ZN9rocsolver6v33100L18getri_kernel_smallILi29EdPdEEvT1_iilPiilS4_bb.uses_vcc, 1
	.set _ZN9rocsolver6v33100L18getri_kernel_smallILi29EdPdEEvT1_iilPiilS4_bb.uses_flat_scratch, 0
	.set _ZN9rocsolver6v33100L18getri_kernel_smallILi29EdPdEEvT1_iilPiilS4_bb.has_dyn_sized_stack, 0
	.set _ZN9rocsolver6v33100L18getri_kernel_smallILi29EdPdEEvT1_iilPiilS4_bb.has_recursion, 0
	.set _ZN9rocsolver6v33100L18getri_kernel_smallILi29EdPdEEvT1_iilPiilS4_bb.has_indirect_call, 0
	.section	.AMDGPU.csdata,"",@progbits
; Kernel info:
; codeLenInByte = 27420
; TotalNumSgprs: 28
; NumVgprs: 118
; ScratchSize: 240
; MemoryBound: 0
; FloatMode: 240
; IeeeMode: 1
; LDSByteSize: 472 bytes/workgroup (compile time only)
; SGPRBlocks: 3
; VGPRBlocks: 29
; NumSGPRsForWavesPerEU: 28
; NumVGPRsForWavesPerEU: 118
; Occupancy: 2
; WaveLimiterHint : 1
; COMPUTE_PGM_RSRC2:SCRATCH_EN: 1
; COMPUTE_PGM_RSRC2:USER_SGPR: 6
; COMPUTE_PGM_RSRC2:TRAP_HANDLER: 0
; COMPUTE_PGM_RSRC2:TGID_X_EN: 1
; COMPUTE_PGM_RSRC2:TGID_Y_EN: 0
; COMPUTE_PGM_RSRC2:TGID_Z_EN: 0
; COMPUTE_PGM_RSRC2:TIDIG_COMP_CNT: 0
	.section	.text._ZN9rocsolver6v33100L18getri_kernel_smallILi30EdPdEEvT1_iilPiilS4_bb,"axG",@progbits,_ZN9rocsolver6v33100L18getri_kernel_smallILi30EdPdEEvT1_iilPiilS4_bb,comdat
	.globl	_ZN9rocsolver6v33100L18getri_kernel_smallILi30EdPdEEvT1_iilPiilS4_bb ; -- Begin function _ZN9rocsolver6v33100L18getri_kernel_smallILi30EdPdEEvT1_iilPiilS4_bb
	.p2align	8
	.type	_ZN9rocsolver6v33100L18getri_kernel_smallILi30EdPdEEvT1_iilPiilS4_bb,@function
_ZN9rocsolver6v33100L18getri_kernel_smallILi30EdPdEEvT1_iilPiilS4_bb: ; @_ZN9rocsolver6v33100L18getri_kernel_smallILi30EdPdEEvT1_iilPiilS4_bb
; %bb.0:
	s_add_u32 s0, s0, s7
	s_addc_u32 s1, s1, 0
	v_cmp_gt_u32_e32 vcc, 30, v0
	s_and_saveexec_b64 s[8:9], vcc
	s_cbranch_execz .LBB29_128
; %bb.1:
	s_load_dword s12, s[4:5], 0x38
	s_load_dwordx4 s[16:19], s[4:5], 0x10
	s_load_dwordx4 s[8:11], s[4:5], 0x28
                                        ; implicit-def: $sgpr20_sgpr21
	s_waitcnt lgkmcnt(0)
	s_bitcmp1_b32 s12, 8
	s_cselect_b64 s[22:23], -1, 0
	s_ashr_i32 s7, s6, 31
	s_bfe_u32 s12, s12, 0x10008
	s_cmp_eq_u32 s12, 0
	s_cbranch_scc1 .LBB29_3
; %bb.2:
	s_load_dword s12, s[4:5], 0x20
	s_mul_i32 s13, s8, s7
	s_mul_hi_u32 s14, s8, s6
	s_mul_i32 s9, s9, s6
	s_add_i32 s14, s14, s13
	s_add_i32 s9, s14, s9
	s_mul_i32 s8, s8, s6
	s_waitcnt lgkmcnt(0)
	s_ashr_i32 s13, s12, 31
	s_lshl_b64 s[8:9], s[8:9], 2
	s_add_u32 s14, s18, s8
	s_addc_u32 s15, s19, s9
	s_lshl_b64 s[8:9], s[12:13], 2
	s_add_u32 s20, s14, s8
	s_addc_u32 s21, s15, s9
.LBB29_3:
	s_load_dwordx4 s[12:15], s[4:5], 0x0
	s_load_dword s8, s[4:5], 0x38
	s_mul_i32 s9, s16, s7
	s_mul_hi_u32 s18, s16, s6
	s_add_i32 s9, s18, s9
	s_waitcnt lgkmcnt(0)
	s_ashr_i32 s5, s14, 31
	s_mov_b32 s4, s14
	s_mul_i32 s14, s17, s6
	s_add_i32 s17, s9, s14
	s_mul_i32 s16, s16, s6
	s_lshl_b64 s[16:17], s[16:17], 3
	s_add_u32 s9, s12, s16
	s_addc_u32 s12, s13, s17
	s_lshl_b64 s[4:5], s[4:5], 3
	s_add_u32 s4, s9, s4
	s_addc_u32 s5, s12, s5
	v_lshlrev_b32_e32 v79, 3, v0
	s_add_i32 s9, s15, s15
	v_mov_b32_e32 v2, s5
	v_add_co_u32_e32 v1, vcc, s4, v79
	s_ashr_i32 s13, s15, 31
	s_mov_b32 s12, s15
	v_add_u32_e32 v7, s9, v0
	v_addc_co_u32_e32 v2, vcc, 0, v2, vcc
	s_lshl_b64 s[12:13], s[12:13], 3
	v_ashrrev_i32_e32 v8, 31, v7
	v_mov_b32_e32 v4, s13
	v_add_co_u32_e32 v3, vcc, s12, v1
	v_lshlrev_b64 v[5:6], 3, v[7:8]
	v_addc_co_u32_e32 v4, vcc, v2, v4, vcc
	v_add_u32_e32 v9, s15, v7
	v_mov_b32_e32 v8, s5
	v_add_co_u32_e32 v5, vcc, s4, v5
	v_ashrrev_i32_e32 v10, 31, v9
	v_addc_co_u32_e32 v6, vcc, v8, v6, vcc
	v_lshlrev_b64 v[7:8], 3, v[9:10]
	v_add_u32_e32 v11, s15, v9
	v_mov_b32_e32 v10, s5
	v_add_co_u32_e32 v7, vcc, s4, v7
	v_ashrrev_i32_e32 v12, 31, v11
	v_addc_co_u32_e32 v8, vcc, v10, v8, vcc
	v_lshlrev_b64 v[9:10], 3, v[11:12]
	;; [unrolled: 6-line block ×26, first 2 shown]
	v_mov_b32_e32 v60, s5
	v_add_co_u32_e32 v57, vcc, s4, v57
	global_load_dwordx2 v[61:62], v79, s[4:5]
	global_load_dwordx2 v[69:70], v[3:4], off
	global_load_dwordx2 v[67:68], v[5:6], off
	;; [unrolled: 1-line block ×24, first 2 shown]
	v_addc_co_u32_e32 v58, vcc, v60, v58, vcc
	global_load_dwordx2 v[112:113], v[51:52], off
	global_load_dwordx2 v[114:115], v[53:54], off
	;; [unrolled: 1-line block ×4, first 2 shown]
	v_add_u32_e32 v59, s15, v59
	v_ashrrev_i32_e32 v60, 31, v59
	v_lshlrev_b64 v[59:60], 3, v[59:60]
	v_mov_b32_e32 v120, s5
	v_add_co_u32_e32 v59, vcc, s4, v59
	v_addc_co_u32_e32 v60, vcc, v120, v60, vcc
	global_load_dwordx2 v[120:121], v[59:60], off
	s_bitcmp0_b32 s8, 0
	s_mov_b64 s[8:9], -1
	s_waitcnt vmcnt(29)
	buffer_store_dword v62, off, s[0:3], 0 offset:4
	buffer_store_dword v61, off, s[0:3], 0
	s_waitcnt vmcnt(30)
	buffer_store_dword v70, off, s[0:3], 0 offset:12
	buffer_store_dword v69, off, s[0:3], 0 offset:8
	s_waitcnt vmcnt(31)
	buffer_store_dword v68, off, s[0:3], 0 offset:20
	buffer_store_dword v67, off, s[0:3], 0 offset:16
	s_waitcnt vmcnt(32)
	buffer_store_dword v66, off, s[0:3], 0 offset:28
	buffer_store_dword v65, off, s[0:3], 0 offset:24
	s_waitcnt vmcnt(33)
	buffer_store_dword v64, off, s[0:3], 0 offset:36
	buffer_store_dword v63, off, s[0:3], 0 offset:32
	s_waitcnt vmcnt(34)
	buffer_store_dword v78, off, s[0:3], 0 offset:44
	buffer_store_dword v77, off, s[0:3], 0 offset:40
	s_waitcnt vmcnt(35)
	buffer_store_dword v76, off, s[0:3], 0 offset:52
	buffer_store_dword v75, off, s[0:3], 0 offset:48
	s_waitcnt vmcnt(36)
	buffer_store_dword v74, off, s[0:3], 0 offset:60
	buffer_store_dword v73, off, s[0:3], 0 offset:56
	s_waitcnt vmcnt(37)
	buffer_store_dword v72, off, s[0:3], 0 offset:68
	buffer_store_dword v71, off, s[0:3], 0 offset:64
	s_waitcnt vmcnt(38)
	buffer_store_dword v80, off, s[0:3], 0 offset:72
	buffer_store_dword v81, off, s[0:3], 0 offset:76
	s_waitcnt vmcnt(39)
	buffer_store_dword v82, off, s[0:3], 0 offset:80
	buffer_store_dword v83, off, s[0:3], 0 offset:84
	s_waitcnt vmcnt(40)
	buffer_store_dword v84, off, s[0:3], 0 offset:88
	buffer_store_dword v85, off, s[0:3], 0 offset:92
	s_waitcnt vmcnt(41)
	buffer_store_dword v86, off, s[0:3], 0 offset:96
	buffer_store_dword v87, off, s[0:3], 0 offset:100
	s_waitcnt vmcnt(42)
	buffer_store_dword v88, off, s[0:3], 0 offset:104
	buffer_store_dword v89, off, s[0:3], 0 offset:108
	s_waitcnt vmcnt(43)
	buffer_store_dword v91, off, s[0:3], 0 offset:116
	buffer_store_dword v90, off, s[0:3], 0 offset:112
	s_waitcnt vmcnt(44)
	buffer_store_dword v92, off, s[0:3], 0 offset:120
	buffer_store_dword v93, off, s[0:3], 0 offset:124
	s_waitcnt vmcnt(45)
	buffer_store_dword v94, off, s[0:3], 0 offset:128
	buffer_store_dword v95, off, s[0:3], 0 offset:132
	s_waitcnt vmcnt(46)
	buffer_store_dword v96, off, s[0:3], 0 offset:136
	buffer_store_dword v97, off, s[0:3], 0 offset:140
	s_waitcnt vmcnt(47)
	buffer_store_dword v98, off, s[0:3], 0 offset:144
	buffer_store_dword v99, off, s[0:3], 0 offset:148
	s_waitcnt vmcnt(48)
	buffer_store_dword v101, off, s[0:3], 0 offset:156
	buffer_store_dword v100, off, s[0:3], 0 offset:152
	s_waitcnt vmcnt(49)
	buffer_store_dword v103, off, s[0:3], 0 offset:164
	buffer_store_dword v102, off, s[0:3], 0 offset:160
	s_waitcnt vmcnt(50)
	buffer_store_dword v104, off, s[0:3], 0 offset:168
	buffer_store_dword v105, off, s[0:3], 0 offset:172
	s_waitcnt vmcnt(51)
	buffer_store_dword v106, off, s[0:3], 0 offset:176
	buffer_store_dword v107, off, s[0:3], 0 offset:180
	s_waitcnt vmcnt(52)
	buffer_store_dword v108, off, s[0:3], 0 offset:184
	buffer_store_dword v109, off, s[0:3], 0 offset:188
	s_waitcnt vmcnt(53)
	buffer_store_dword v110, off, s[0:3], 0 offset:192
	buffer_store_dword v111, off, s[0:3], 0 offset:196
	s_waitcnt vmcnt(54)
	buffer_store_dword v113, off, s[0:3], 0 offset:204
	buffer_store_dword v112, off, s[0:3], 0 offset:200
	s_waitcnt vmcnt(55)
	buffer_store_dword v115, off, s[0:3], 0 offset:212
	buffer_store_dword v114, off, s[0:3], 0 offset:208
	s_waitcnt vmcnt(56)
	buffer_store_dword v116, off, s[0:3], 0 offset:216
	buffer_store_dword v117, off, s[0:3], 0 offset:220
	s_waitcnt vmcnt(57)
	buffer_store_dword v118, off, s[0:3], 0 offset:224
	buffer_store_dword v119, off, s[0:3], 0 offset:228
	s_waitcnt vmcnt(58)
	buffer_store_dword v120, off, s[0:3], 0 offset:232
	buffer_store_dword v121, off, s[0:3], 0 offset:236
	s_cbranch_scc1 .LBB29_126
; %bb.4:
	v_cmp_eq_u32_e64 s[4:5], 0, v0
	s_and_saveexec_b64 s[8:9], s[4:5]
; %bb.5:
	v_mov_b32_e32 v61, 0
	ds_write_b32 v61, v61 offset:480
; %bb.6:
	s_or_b64 exec, exec, s[8:9]
	v_mov_b32_e32 v61, 0
	v_lshl_add_u32 v61, v0, 3, v61
	s_waitcnt lgkmcnt(0)
	; wave barrier
	buffer_load_dword v62, v61, s[0:3], 0 offen
	buffer_load_dword v63, v61, s[0:3], 0 offen offset:4
	s_waitcnt vmcnt(0)
	v_cmp_eq_f64_e32 vcc, 0, v[62:63]
	s_and_saveexec_b64 s[12:13], vcc
	s_cbranch_execz .LBB29_10
; %bb.7:
	v_mov_b32_e32 v62, 0
	ds_read_b32 v64, v62 offset:480
	v_add_u32_e32 v63, 1, v0
	s_waitcnt lgkmcnt(0)
	v_readfirstlane_b32 s8, v64
	s_cmp_eq_u32 s8, 0
	s_cselect_b64 s[14:15], -1, 0
	v_cmp_gt_i32_e32 vcc, s8, v63
	s_or_b64 s[14:15], s[14:15], vcc
	s_and_b64 exec, exec, s[14:15]
	s_cbranch_execz .LBB29_10
; %bb.8:
	s_mov_b64 s[14:15], 0
	v_mov_b32_e32 v64, s8
.LBB29_9:                               ; =>This Inner Loop Header: Depth=1
	ds_cmpst_rtn_b32 v64, v62, v64, v63 offset:480
	s_waitcnt lgkmcnt(0)
	v_cmp_ne_u32_e32 vcc, 0, v64
	v_cmp_le_i32_e64 s[8:9], v64, v63
	s_and_b64 s[8:9], vcc, s[8:9]
	s_and_b64 s[8:9], exec, s[8:9]
	s_or_b64 s[14:15], s[8:9], s[14:15]
	s_andn2_b64 exec, exec, s[14:15]
	s_cbranch_execnz .LBB29_9
.LBB29_10:
	s_or_b64 exec, exec, s[12:13]
	v_mov_b32_e32 v63, 0
	; wave barrier
	ds_read_b32 v62, v63 offset:480
	s_and_saveexec_b64 s[8:9], s[4:5]
	s_cbranch_execz .LBB29_12
; %bb.11:
	s_lshl_b64 s[12:13], s[6:7], 2
	s_add_u32 s12, s10, s12
	s_addc_u32 s13, s11, s13
	s_waitcnt lgkmcnt(0)
	global_store_dword v63, v62, s[12:13]
.LBB29_12:
	s_or_b64 exec, exec, s[8:9]
	s_waitcnt lgkmcnt(0)
	v_cmp_ne_u32_e32 vcc, 0, v62
	s_mov_b64 s[8:9], 0
	s_cbranch_vccnz .LBB29_126
; %bb.13:
	buffer_load_dword v62, v61, s[0:3], 0 offen
	buffer_load_dword v63, v61, s[0:3], 0 offen offset:4
	s_waitcnt vmcnt(0)
	v_div_scale_f64 v[64:65], s[8:9], v[62:63], v[62:63], 1.0
	v_rcp_f64_e32 v[66:67], v[64:65]
	v_fma_f64 v[68:69], -v[64:65], v[66:67], 1.0
	v_fma_f64 v[66:67], v[66:67], v[68:69], v[66:67]
	v_div_scale_f64 v[68:69], vcc, 1.0, v[62:63], 1.0
	v_fma_f64 v[70:71], -v[64:65], v[66:67], 1.0
	v_fma_f64 v[66:67], v[66:67], v[70:71], v[66:67]
	v_mul_f64 v[70:71], v[68:69], v[66:67]
	v_fma_f64 v[64:65], -v[64:65], v[70:71], v[68:69]
	v_div_fmas_f64 v[64:65], v[64:65], v[66:67], v[70:71]
	v_div_fixup_f64 v[64:65], v[64:65], v[62:63], 1.0
	v_add_u32_e32 v63, 0xf0, v79
	buffer_store_dword v65, v61, s[0:3], 0 offen offset:4
	buffer_store_dword v64, v61, s[0:3], 0 offen
	buffer_load_dword v67, off, s[0:3], 0 offset:12
	buffer_load_dword v66, off, s[0:3], 0 offset:8
	v_xor_b32_e32 v65, 0x80000000, v65
	s_waitcnt vmcnt(0)
	ds_write2_b64 v79, v[64:65], v[66:67] offset1:30
	s_waitcnt lgkmcnt(0)
	; wave barrier
	s_and_saveexec_b64 s[8:9], s[4:5]
	s_cbranch_execz .LBB29_15
; %bb.14:
	buffer_load_dword v64, v61, s[0:3], 0 offen
	buffer_load_dword v65, v61, s[0:3], 0 offen offset:4
	ds_read_b64 v[66:67], v63
	v_mov_b32_e32 v62, 0
	ds_read_b64 v[68:69], v62 offset:8
	s_waitcnt vmcnt(0) lgkmcnt(1)
	v_fma_f64 v[64:65], v[64:65], v[66:67], 0
	s_waitcnt lgkmcnt(0)
	v_mul_f64 v[64:65], v[64:65], v[68:69]
	buffer_store_dword v64, off, s[0:3], 0 offset:8
	buffer_store_dword v65, off, s[0:3], 0 offset:12
.LBB29_15:
	s_or_b64 exec, exec, s[8:9]
	; wave barrier
	buffer_load_dword v64, off, s[0:3], 0 offset:16
	buffer_load_dword v65, off, s[0:3], 0 offset:20
	v_cmp_gt_u32_e32 vcc, 2, v0
	s_waitcnt vmcnt(0)
	ds_write_b64 v63, v[64:65]
	s_waitcnt lgkmcnt(0)
	; wave barrier
	s_and_saveexec_b64 s[8:9], vcc
	s_cbranch_execz .LBB29_17
; %bb.16:
	buffer_load_dword v64, v61, s[0:3], 0 offen
	buffer_load_dword v65, v61, s[0:3], 0 offen offset:4
                                        ; kill: killed $vgpr61
	s_nop 0
	buffer_load_dword v61, off, s[0:3], 0 offset:8
	buffer_load_dword v62, off, s[0:3], 0 offset:12
	ds_read_b64 v[66:67], v63
	s_waitcnt vmcnt(2) lgkmcnt(0)
	v_fma_f64 v[68:69], v[64:65], v[66:67], 0
	v_mov_b32_e32 v64, 0
	ds_read2_b64 v[64:67], v64 offset0:2 offset1:31
	s_waitcnt vmcnt(0) lgkmcnt(0)
	v_fma_f64 v[61:62], v[61:62], v[66:67], v[68:69]
	v_cndmask_b32_e64 v62, v69, v62, s[4:5]
	v_cndmask_b32_e64 v61, v68, v61, s[4:5]
	v_mul_f64 v[61:62], v[61:62], v[64:65]
	buffer_store_dword v62, off, s[0:3], 0 offset:20
	buffer_store_dword v61, off, s[0:3], 0 offset:16
.LBB29_17:
	s_or_b64 exec, exec, s[8:9]
	; wave barrier
	buffer_load_dword v61, off, s[0:3], 0 offset:24
	buffer_load_dword v62, off, s[0:3], 0 offset:28
	v_cmp_gt_u32_e32 vcc, 3, v0
	v_add_u32_e32 v64, -1, v0
	s_waitcnt vmcnt(0)
	ds_write_b64 v63, v[61:62]
	s_waitcnt lgkmcnt(0)
	; wave barrier
	s_and_saveexec_b64 s[4:5], vcc
	s_cbranch_execz .LBB29_21
; %bb.18:
	v_mov_b32_e32 v61, 0
	v_add_u32_e32 v65, -1, v0
	v_add_u32_e32 v66, 0xf0, v79
	v_mov_b32_e32 v67, v79
	v_mov_b32_e32 v62, 0
	s_mov_b64 s[8:9], 0
.LBB29_19:                              ; =>This Inner Loop Header: Depth=1
	buffer_load_dword v68, v67, s[0:3], 0 offen
	buffer_load_dword v69, v67, s[0:3], 0 offen offset:4
	ds_read_b64 v[70:71], v66
	v_add_u32_e32 v65, 1, v65
	v_cmp_lt_u32_e32 vcc, 1, v65
	v_add_u32_e32 v66, 8, v66
	s_or_b64 s[8:9], vcc, s[8:9]
	v_add_u32_e32 v67, 8, v67
	s_waitcnt vmcnt(0) lgkmcnt(0)
	v_fma_f64 v[61:62], v[68:69], v[70:71], v[61:62]
	s_andn2_b64 exec, exec, s[8:9]
	s_cbranch_execnz .LBB29_19
; %bb.20:
	s_or_b64 exec, exec, s[8:9]
	v_mov_b32_e32 v65, 0
	ds_read_b64 v[65:66], v65 offset:24
	s_waitcnt lgkmcnt(0)
	v_mul_f64 v[61:62], v[61:62], v[65:66]
	buffer_store_dword v62, off, s[0:3], 0 offset:28
	buffer_store_dword v61, off, s[0:3], 0 offset:24
.LBB29_21:
	s_or_b64 exec, exec, s[4:5]
	; wave barrier
	buffer_load_dword v61, off, s[0:3], 0 offset:32
	buffer_load_dword v62, off, s[0:3], 0 offset:36
	v_cmp_gt_u32_e32 vcc, 4, v0
	s_waitcnt vmcnt(0)
	ds_write_b64 v63, v[61:62]
	s_waitcnt lgkmcnt(0)
	; wave barrier
	s_and_saveexec_b64 s[4:5], vcc
	s_cbranch_execz .LBB29_25
; %bb.22:
	v_mov_b32_e32 v61, 0
	v_add_u32_e32 v65, -1, v0
	v_add_u32_e32 v66, 0xf0, v79
	v_mov_b32_e32 v67, v79
	v_mov_b32_e32 v62, 0
	s_mov_b64 s[8:9], 0
.LBB29_23:                              ; =>This Inner Loop Header: Depth=1
	buffer_load_dword v68, v67, s[0:3], 0 offen
	buffer_load_dword v69, v67, s[0:3], 0 offen offset:4
	ds_read_b64 v[70:71], v66
	v_add_u32_e32 v65, 1, v65
	v_cmp_lt_u32_e32 vcc, 2, v65
	v_add_u32_e32 v66, 8, v66
	s_or_b64 s[8:9], vcc, s[8:9]
	v_add_u32_e32 v67, 8, v67
	s_waitcnt vmcnt(0) lgkmcnt(0)
	v_fma_f64 v[61:62], v[68:69], v[70:71], v[61:62]
	s_andn2_b64 exec, exec, s[8:9]
	s_cbranch_execnz .LBB29_23
; %bb.24:
	s_or_b64 exec, exec, s[8:9]
	v_mov_b32_e32 v65, 0
	ds_read_b64 v[65:66], v65 offset:32
	s_waitcnt lgkmcnt(0)
	v_mul_f64 v[61:62], v[61:62], v[65:66]
	buffer_store_dword v62, off, s[0:3], 0 offset:36
	buffer_store_dword v61, off, s[0:3], 0 offset:32
.LBB29_25:
	s_or_b64 exec, exec, s[4:5]
	; wave barrier
	buffer_load_dword v61, off, s[0:3], 0 offset:40
	buffer_load_dword v62, off, s[0:3], 0 offset:44
	v_cmp_gt_u32_e32 vcc, 5, v0
	;; [unrolled: 40-line block ×21, first 2 shown]
	s_waitcnt vmcnt(0)
	ds_write_b64 v63, v[61:62]
	s_waitcnt lgkmcnt(0)
	; wave barrier
	s_and_saveexec_b64 s[4:5], vcc
	s_cbranch_execz .LBB29_105
; %bb.102:
	v_mov_b32_e32 v61, 0
	v_add_u32_e32 v65, -1, v0
	v_add_u32_e32 v66, 0xf0, v79
	v_mov_b32_e32 v67, v79
	v_mov_b32_e32 v62, 0
	s_mov_b64 s[8:9], 0
.LBB29_103:                             ; =>This Inner Loop Header: Depth=1
	buffer_load_dword v68, v67, s[0:3], 0 offen
	buffer_load_dword v69, v67, s[0:3], 0 offen offset:4
	ds_read_b64 v[70:71], v66
	v_add_u32_e32 v65, 1, v65
	v_cmp_lt_u32_e32 vcc, 22, v65
	v_add_u32_e32 v66, 8, v66
	s_or_b64 s[8:9], vcc, s[8:9]
	v_add_u32_e32 v67, 8, v67
	s_waitcnt vmcnt(0) lgkmcnt(0)
	v_fma_f64 v[61:62], v[68:69], v[70:71], v[61:62]
	s_andn2_b64 exec, exec, s[8:9]
	s_cbranch_execnz .LBB29_103
; %bb.104:
	s_or_b64 exec, exec, s[8:9]
	v_mov_b32_e32 v65, 0
	ds_read_b64 v[65:66], v65 offset:192
	s_waitcnt lgkmcnt(0)
	v_mul_f64 v[61:62], v[61:62], v[65:66]
	buffer_store_dword v62, off, s[0:3], 0 offset:196
	buffer_store_dword v61, off, s[0:3], 0 offset:192
.LBB29_105:
	s_or_b64 exec, exec, s[4:5]
	; wave barrier
	buffer_load_dword v61, off, s[0:3], 0 offset:200
	buffer_load_dword v62, off, s[0:3], 0 offset:204
	v_cmp_gt_u32_e32 vcc, 25, v0
	s_waitcnt vmcnt(0)
	ds_write_b64 v63, v[61:62]
	s_waitcnt lgkmcnt(0)
	; wave barrier
	s_and_saveexec_b64 s[4:5], vcc
	s_cbranch_execz .LBB29_109
; %bb.106:
	v_mov_b32_e32 v61, 0
	v_add_u32_e32 v65, -1, v0
	v_add_u32_e32 v66, 0xf0, v79
	v_mov_b32_e32 v67, v79
	v_mov_b32_e32 v62, 0
	s_mov_b64 s[8:9], 0
.LBB29_107:                             ; =>This Inner Loop Header: Depth=1
	buffer_load_dword v68, v67, s[0:3], 0 offen
	buffer_load_dword v69, v67, s[0:3], 0 offen offset:4
	ds_read_b64 v[70:71], v66
	v_add_u32_e32 v65, 1, v65
	v_cmp_lt_u32_e32 vcc, 23, v65
	v_add_u32_e32 v66, 8, v66
	s_or_b64 s[8:9], vcc, s[8:9]
	v_add_u32_e32 v67, 8, v67
	s_waitcnt vmcnt(0) lgkmcnt(0)
	v_fma_f64 v[61:62], v[68:69], v[70:71], v[61:62]
	s_andn2_b64 exec, exec, s[8:9]
	s_cbranch_execnz .LBB29_107
; %bb.108:
	s_or_b64 exec, exec, s[8:9]
	v_mov_b32_e32 v65, 0
	ds_read_b64 v[65:66], v65 offset:200
	s_waitcnt lgkmcnt(0)
	v_mul_f64 v[61:62], v[61:62], v[65:66]
	buffer_store_dword v62, off, s[0:3], 0 offset:204
	buffer_store_dword v61, off, s[0:3], 0 offset:200
.LBB29_109:
	s_or_b64 exec, exec, s[4:5]
	; wave barrier
	buffer_load_dword v61, off, s[0:3], 0 offset:208
	buffer_load_dword v62, off, s[0:3], 0 offset:212
	v_cmp_gt_u32_e32 vcc, 26, v0
	;; [unrolled: 40-line block ×4, first 2 shown]
	s_waitcnt vmcnt(0)
	ds_write_b64 v63, v[61:62]
	s_waitcnt lgkmcnt(0)
	; wave barrier
	s_and_saveexec_b64 s[4:5], vcc
	s_cbranch_execz .LBB29_121
; %bb.118:
	v_mov_b32_e32 v61, 0
	v_add_u32_e32 v65, -1, v0
	v_add_u32_e32 v66, 0xf0, v79
	v_mov_b32_e32 v67, v79
	v_mov_b32_e32 v62, 0
	s_mov_b64 s[8:9], 0
.LBB29_119:                             ; =>This Inner Loop Header: Depth=1
	buffer_load_dword v68, v67, s[0:3], 0 offen
	buffer_load_dword v69, v67, s[0:3], 0 offen offset:4
	ds_read_b64 v[70:71], v66
	v_add_u32_e32 v65, 1, v65
	v_cmp_lt_u32_e32 vcc, 26, v65
	v_add_u32_e32 v66, 8, v66
	s_or_b64 s[8:9], vcc, s[8:9]
	v_add_u32_e32 v67, 8, v67
	s_waitcnt vmcnt(0) lgkmcnt(0)
	v_fma_f64 v[61:62], v[68:69], v[70:71], v[61:62]
	s_andn2_b64 exec, exec, s[8:9]
	s_cbranch_execnz .LBB29_119
; %bb.120:
	s_or_b64 exec, exec, s[8:9]
	v_mov_b32_e32 v65, 0
	ds_read_b64 v[65:66], v65 offset:224
	s_waitcnt lgkmcnt(0)
	v_mul_f64 v[61:62], v[61:62], v[65:66]
	buffer_store_dword v62, off, s[0:3], 0 offset:228
	buffer_store_dword v61, off, s[0:3], 0 offset:224
.LBB29_121:
	s_or_b64 exec, exec, s[4:5]
	; wave barrier
	buffer_load_dword v61, off, s[0:3], 0 offset:232
	buffer_load_dword v62, off, s[0:3], 0 offset:236
	v_cmp_ne_u32_e32 vcc, 29, v0
	s_waitcnt vmcnt(0)
	ds_write_b64 v63, v[61:62]
	s_waitcnt lgkmcnt(0)
	; wave barrier
	s_and_saveexec_b64 s[4:5], vcc
	s_cbranch_execz .LBB29_125
; %bb.122:
	v_mov_b32_e32 v61, 0
	v_add_u32_e32 v63, 0xf0, v79
	v_mov_b32_e32 v65, v79
	v_mov_b32_e32 v62, 0
	s_mov_b64 s[8:9], 0
.LBB29_123:                             ; =>This Inner Loop Header: Depth=1
	buffer_load_dword v66, v65, s[0:3], 0 offen
	buffer_load_dword v67, v65, s[0:3], 0 offen offset:4
	ds_read_b64 v[68:69], v63
	v_add_u32_e32 v64, 1, v64
	v_cmp_lt_u32_e32 vcc, 27, v64
	v_add_u32_e32 v63, 8, v63
	s_or_b64 s[8:9], vcc, s[8:9]
	v_add_u32_e32 v65, 8, v65
	s_waitcnt vmcnt(0) lgkmcnt(0)
	v_fma_f64 v[61:62], v[66:67], v[68:69], v[61:62]
	s_andn2_b64 exec, exec, s[8:9]
	s_cbranch_execnz .LBB29_123
; %bb.124:
	s_or_b64 exec, exec, s[8:9]
	v_mov_b32_e32 v63, 0
	ds_read_b64 v[63:64], v63 offset:232
	s_waitcnt lgkmcnt(0)
	v_mul_f64 v[61:62], v[61:62], v[63:64]
	buffer_store_dword v62, off, s[0:3], 0 offset:236
	buffer_store_dword v61, off, s[0:3], 0 offset:232
.LBB29_125:
	s_or_b64 exec, exec, s[4:5]
	s_mov_b64 s[8:9], -1
	; wave barrier
.LBB29_126:
	s_and_b64 vcc, exec, s[8:9]
	s_cbranch_vccz .LBB29_128
; %bb.127:
	s_lshl_b64 s[4:5], s[6:7], 2
	s_add_u32 s4, s10, s4
	s_addc_u32 s5, s11, s5
	v_mov_b32_e32 v61, 0
	global_load_dword v61, v61, s[4:5]
	s_waitcnt vmcnt(0)
	v_cmp_ne_u32_e32 vcc, 0, v61
	s_cbranch_vccz .LBB29_129
.LBB29_128:
	s_endpgm
.LBB29_129:
	v_mov_b32_e32 v61, 0xf0
	v_lshl_add_u32 v61, v0, 3, v61
	v_cmp_eq_u32_e32 vcc, 29, v0
	s_and_saveexec_b64 s[4:5], vcc
	s_cbranch_execz .LBB29_131
; %bb.130:
	buffer_load_dword v62, off, s[0:3], 0 offset:224
	buffer_load_dword v63, off, s[0:3], 0 offset:228
	v_mov_b32_e32 v64, 0
	buffer_store_dword v64, off, s[0:3], 0 offset:224
	buffer_store_dword v64, off, s[0:3], 0 offset:228
	s_waitcnt vmcnt(2)
	ds_write_b64 v61, v[62:63]
.LBB29_131:
	s_or_b64 exec, exec, s[4:5]
	s_waitcnt lgkmcnt(0)
	; wave barrier
	buffer_load_dword v63, off, s[0:3], 0 offset:232
	buffer_load_dword v64, off, s[0:3], 0 offset:236
	;; [unrolled: 1-line block ×4, first 2 shown]
	v_mov_b32_e32 v62, 0
	ds_read_b64 v[67:68], v62 offset:472
	v_cmp_lt_u32_e32 vcc, 27, v0
	s_waitcnt vmcnt(2) lgkmcnt(0)
	v_fma_f64 v[63:64], v[63:64], v[67:68], 0
	s_waitcnt vmcnt(0)
	v_add_f64 v[63:64], v[65:66], -v[63:64]
	buffer_store_dword v63, off, s[0:3], 0 offset:224
	buffer_store_dword v64, off, s[0:3], 0 offset:228
	s_and_saveexec_b64 s[4:5], vcc
	s_cbranch_execz .LBB29_133
; %bb.132:
	buffer_load_dword v63, off, s[0:3], 0 offset:216
	buffer_load_dword v64, off, s[0:3], 0 offset:220
	s_waitcnt vmcnt(0)
	ds_write_b64 v61, v[63:64]
	buffer_store_dword v62, off, s[0:3], 0 offset:216
	buffer_store_dword v62, off, s[0:3], 0 offset:220
.LBB29_133:
	s_or_b64 exec, exec, s[4:5]
	s_waitcnt lgkmcnt(0)
	; wave barrier
	buffer_load_dword v66, off, s[0:3], 0 offset:224
	buffer_load_dword v67, off, s[0:3], 0 offset:228
	;; [unrolled: 1-line block ×6, first 2 shown]
	ds_read_b128 v[62:65], v62 offset:464
	v_cmp_lt_u32_e32 vcc, 26, v0
	s_waitcnt vmcnt(4) lgkmcnt(0)
	v_fma_f64 v[62:63], v[66:67], v[62:63], 0
	s_waitcnt vmcnt(2)
	v_fma_f64 v[62:63], v[68:69], v[64:65], v[62:63]
	s_waitcnt vmcnt(0)
	v_add_f64 v[62:63], v[70:71], -v[62:63]
	buffer_store_dword v62, off, s[0:3], 0 offset:216
	buffer_store_dword v63, off, s[0:3], 0 offset:220
	s_and_saveexec_b64 s[4:5], vcc
	s_cbranch_execz .LBB29_135
; %bb.134:
	buffer_load_dword v62, off, s[0:3], 0 offset:208
	buffer_load_dword v63, off, s[0:3], 0 offset:212
	v_mov_b32_e32 v64, 0
	buffer_store_dword v64, off, s[0:3], 0 offset:208
	buffer_store_dword v64, off, s[0:3], 0 offset:212
	s_waitcnt vmcnt(2)
	ds_write_b64 v61, v[62:63]
.LBB29_135:
	s_or_b64 exec, exec, s[4:5]
	s_waitcnt lgkmcnt(0)
	; wave barrier
	buffer_load_dword v67, off, s[0:3], 0 offset:216
	buffer_load_dword v68, off, s[0:3], 0 offset:220
	;; [unrolled: 1-line block ×8, first 2 shown]
	v_mov_b32_e32 v62, 0
	ds_read2_b64 v[63:66], v62 offset0:57 offset1:58
	ds_read_b64 v[75:76], v62 offset:472
	v_cmp_lt_u32_e32 vcc, 25, v0
	s_waitcnt vmcnt(6) lgkmcnt(1)
	v_fma_f64 v[63:64], v[67:68], v[63:64], 0
	s_waitcnt vmcnt(4)
	v_fma_f64 v[63:64], v[69:70], v[65:66], v[63:64]
	s_waitcnt vmcnt(2) lgkmcnt(0)
	v_fma_f64 v[63:64], v[71:72], v[75:76], v[63:64]
	s_waitcnt vmcnt(0)
	v_add_f64 v[63:64], v[73:74], -v[63:64]
	buffer_store_dword v63, off, s[0:3], 0 offset:208
	buffer_store_dword v64, off, s[0:3], 0 offset:212
	s_and_saveexec_b64 s[4:5], vcc
	s_cbranch_execz .LBB29_137
; %bb.136:
	buffer_load_dword v63, off, s[0:3], 0 offset:200
	buffer_load_dword v64, off, s[0:3], 0 offset:204
	s_waitcnt vmcnt(0)
	ds_write_b64 v61, v[63:64]
	buffer_store_dword v62, off, s[0:3], 0 offset:200
	buffer_store_dword v62, off, s[0:3], 0 offset:204
.LBB29_137:
	s_or_b64 exec, exec, s[4:5]
	s_waitcnt lgkmcnt(0)
	; wave barrier
	buffer_load_dword v71, off, s[0:3], 0 offset:208
	buffer_load_dword v72, off, s[0:3], 0 offset:212
	;; [unrolled: 1-line block ×10, first 2 shown]
	ds_read_b128 v[63:66], v62 offset:448
	ds_read_b128 v[67:70], v62 offset:464
	v_cmp_lt_u32_e32 vcc, 24, v0
	s_waitcnt vmcnt(8) lgkmcnt(1)
	v_fma_f64 v[62:63], v[71:72], v[63:64], 0
	s_waitcnt vmcnt(6)
	v_fma_f64 v[62:63], v[73:74], v[65:66], v[62:63]
	s_waitcnt vmcnt(4) lgkmcnt(0)
	v_fma_f64 v[62:63], v[75:76], v[67:68], v[62:63]
	s_waitcnt vmcnt(2)
	v_fma_f64 v[62:63], v[77:78], v[69:70], v[62:63]
	s_waitcnt vmcnt(0)
	v_add_f64 v[62:63], v[79:80], -v[62:63]
	buffer_store_dword v62, off, s[0:3], 0 offset:200
	buffer_store_dword v63, off, s[0:3], 0 offset:204
	s_and_saveexec_b64 s[4:5], vcc
	s_cbranch_execz .LBB29_139
; %bb.138:
	buffer_load_dword v62, off, s[0:3], 0 offset:192
	buffer_load_dword v63, off, s[0:3], 0 offset:196
	v_mov_b32_e32 v64, 0
	buffer_store_dword v64, off, s[0:3], 0 offset:192
	buffer_store_dword v64, off, s[0:3], 0 offset:196
	s_waitcnt vmcnt(2)
	ds_write_b64 v61, v[62:63]
.LBB29_139:
	s_or_b64 exec, exec, s[4:5]
	s_waitcnt lgkmcnt(0)
	; wave barrier
	buffer_load_dword v67, off, s[0:3], 0 offset:192
	buffer_load_dword v68, off, s[0:3], 0 offset:196
	;; [unrolled: 1-line block ×12, first 2 shown]
	v_mov_b32_e32 v62, 0
	ds_read2_b64 v[63:66], v62 offset0:55 offset1:56
	v_cmp_lt_u32_e32 vcc, 23, v0
	s_waitcnt vmcnt(8) lgkmcnt(0)
	v_fma_f64 v[63:64], v[69:70], v[63:64], 0
	s_waitcnt vmcnt(6)
	v_fma_f64 v[69:70], v[71:72], v[65:66], v[63:64]
	ds_read2_b64 v[63:66], v62 offset0:57 offset1:58
	s_waitcnt vmcnt(4) lgkmcnt(0)
	v_fma_f64 v[63:64], v[73:74], v[63:64], v[69:70]
	s_waitcnt vmcnt(2)
	v_fma_f64 v[63:64], v[75:76], v[65:66], v[63:64]
	ds_read_b64 v[65:66], v62 offset:472
	s_waitcnt vmcnt(0) lgkmcnt(0)
	v_fma_f64 v[63:64], v[77:78], v[65:66], v[63:64]
	v_add_f64 v[63:64], v[67:68], -v[63:64]
	buffer_store_dword v63, off, s[0:3], 0 offset:192
	buffer_store_dword v64, off, s[0:3], 0 offset:196
	s_and_saveexec_b64 s[4:5], vcc
	s_cbranch_execz .LBB29_141
; %bb.140:
	buffer_load_dword v63, off, s[0:3], 0 offset:184
	buffer_load_dword v64, off, s[0:3], 0 offset:188
	s_waitcnt vmcnt(0)
	ds_write_b64 v61, v[63:64]
	buffer_store_dword v62, off, s[0:3], 0 offset:184
	buffer_store_dword v62, off, s[0:3], 0 offset:188
.LBB29_141:
	s_or_b64 exec, exec, s[4:5]
	s_waitcnt lgkmcnt(0)
	; wave barrier
	buffer_load_dword v67, off, s[0:3], 0 offset:192
	buffer_load_dword v68, off, s[0:3], 0 offset:196
	;; [unrolled: 1-line block ×14, first 2 shown]
	ds_read_b128 v[63:66], v62 offset:432
	v_cmp_lt_u32_e32 vcc, 22, v0
	s_waitcnt vmcnt(12) lgkmcnt(0)
	v_fma_f64 v[63:64], v[67:68], v[63:64], 0
	s_waitcnt vmcnt(10)
	v_fma_f64 v[67:68], v[69:70], v[65:66], v[63:64]
	ds_read_b128 v[63:66], v62 offset:448
	s_waitcnt vmcnt(8) lgkmcnt(0)
	v_fma_f64 v[63:64], v[71:72], v[63:64], v[67:68]
	s_waitcnt vmcnt(6)
	v_fma_f64 v[66:67], v[73:74], v[65:66], v[63:64]
	ds_read_b128 v[62:65], v62 offset:464
	s_waitcnt vmcnt(4) lgkmcnt(0)
	v_fma_f64 v[62:63], v[75:76], v[62:63], v[66:67]
	s_waitcnt vmcnt(2)
	v_fma_f64 v[62:63], v[77:78], v[64:65], v[62:63]
	s_waitcnt vmcnt(0)
	v_add_f64 v[62:63], v[79:80], -v[62:63]
	buffer_store_dword v62, off, s[0:3], 0 offset:184
	buffer_store_dword v63, off, s[0:3], 0 offset:188
	s_and_saveexec_b64 s[4:5], vcc
	s_cbranch_execz .LBB29_143
; %bb.142:
	buffer_load_dword v62, off, s[0:3], 0 offset:176
	buffer_load_dword v63, off, s[0:3], 0 offset:180
	v_mov_b32_e32 v64, 0
	buffer_store_dword v64, off, s[0:3], 0 offset:176
	buffer_store_dword v64, off, s[0:3], 0 offset:180
	s_waitcnt vmcnt(2)
	ds_write_b64 v61, v[62:63]
.LBB29_143:
	s_or_b64 exec, exec, s[4:5]
	s_waitcnt lgkmcnt(0)
	; wave barrier
	buffer_load_dword v67, off, s[0:3], 0 offset:184
	buffer_load_dword v68, off, s[0:3], 0 offset:188
	;; [unrolled: 1-line block ×16, first 2 shown]
	v_mov_b32_e32 v62, 0
	ds_read2_b64 v[63:66], v62 offset0:53 offset1:54
	v_cmp_lt_u32_e32 vcc, 21, v0
	s_waitcnt vmcnt(14) lgkmcnt(0)
	v_fma_f64 v[63:64], v[67:68], v[63:64], 0
	s_waitcnt vmcnt(12)
	v_fma_f64 v[67:68], v[69:70], v[65:66], v[63:64]
	ds_read2_b64 v[63:66], v62 offset0:55 offset1:56
	s_waitcnt vmcnt(10) lgkmcnt(0)
	v_fma_f64 v[63:64], v[71:72], v[63:64], v[67:68]
	s_waitcnt vmcnt(8)
	v_fma_f64 v[67:68], v[73:74], v[65:66], v[63:64]
	ds_read2_b64 v[63:66], v62 offset0:57 offset1:58
	s_waitcnt vmcnt(6) lgkmcnt(0)
	v_fma_f64 v[63:64], v[75:76], v[63:64], v[67:68]
	s_waitcnt vmcnt(4)
	v_fma_f64 v[63:64], v[77:78], v[65:66], v[63:64]
	ds_read_b64 v[65:66], v62 offset:472
	s_waitcnt vmcnt(2) lgkmcnt(0)
	v_fma_f64 v[63:64], v[79:80], v[65:66], v[63:64]
	s_waitcnt vmcnt(0)
	v_add_f64 v[63:64], v[81:82], -v[63:64]
	buffer_store_dword v63, off, s[0:3], 0 offset:176
	buffer_store_dword v64, off, s[0:3], 0 offset:180
	s_and_saveexec_b64 s[4:5], vcc
	s_cbranch_execz .LBB29_145
; %bb.144:
	buffer_load_dword v63, off, s[0:3], 0 offset:168
	buffer_load_dword v64, off, s[0:3], 0 offset:172
	s_waitcnt vmcnt(0)
	ds_write_b64 v61, v[63:64]
	buffer_store_dword v62, off, s[0:3], 0 offset:168
	buffer_store_dword v62, off, s[0:3], 0 offset:172
.LBB29_145:
	s_or_b64 exec, exec, s[4:5]
	s_waitcnt lgkmcnt(0)
	; wave barrier
	buffer_load_dword v71, off, s[0:3], 0 offset:176
	buffer_load_dword v72, off, s[0:3], 0 offset:180
	;; [unrolled: 1-line block ×18, first 2 shown]
	ds_read_b128 v[63:66], v62 offset:416
	ds_read_b128 v[67:70], v62 offset:432
	v_cmp_lt_u32_e32 vcc, 20, v0
	s_waitcnt vmcnt(16) lgkmcnt(1)
	v_fma_f64 v[63:64], v[71:72], v[63:64], 0
	s_waitcnt vmcnt(14)
	v_fma_f64 v[63:64], v[73:74], v[65:66], v[63:64]
	s_waitcnt vmcnt(12) lgkmcnt(0)
	v_fma_f64 v[63:64], v[75:76], v[67:68], v[63:64]
	s_waitcnt vmcnt(10)
	v_fma_f64 v[71:72], v[77:78], v[69:70], v[63:64]
	ds_read_b128 v[63:66], v62 offset:448
	ds_read_b128 v[67:70], v62 offset:464
	s_waitcnt vmcnt(8) lgkmcnt(1)
	v_fma_f64 v[62:63], v[79:80], v[63:64], v[71:72]
	s_waitcnt vmcnt(6)
	v_fma_f64 v[62:63], v[81:82], v[65:66], v[62:63]
	s_waitcnt vmcnt(4) lgkmcnt(0)
	v_fma_f64 v[62:63], v[83:84], v[67:68], v[62:63]
	s_waitcnt vmcnt(2)
	v_fma_f64 v[62:63], v[85:86], v[69:70], v[62:63]
	s_waitcnt vmcnt(0)
	v_add_f64 v[62:63], v[87:88], -v[62:63]
	buffer_store_dword v62, off, s[0:3], 0 offset:168
	buffer_store_dword v63, off, s[0:3], 0 offset:172
	s_and_saveexec_b64 s[4:5], vcc
	s_cbranch_execz .LBB29_147
; %bb.146:
	buffer_load_dword v62, off, s[0:3], 0 offset:160
	buffer_load_dword v63, off, s[0:3], 0 offset:164
	v_mov_b32_e32 v64, 0
	buffer_store_dword v64, off, s[0:3], 0 offset:160
	buffer_store_dword v64, off, s[0:3], 0 offset:164
	s_waitcnt vmcnt(2)
	ds_write_b64 v61, v[62:63]
.LBB29_147:
	s_or_b64 exec, exec, s[4:5]
	s_waitcnt lgkmcnt(0)
	; wave barrier
	buffer_load_dword v71, off, s[0:3], 0 offset:168
	buffer_load_dword v72, off, s[0:3], 0 offset:172
	;; [unrolled: 1-line block ×20, first 2 shown]
	v_mov_b32_e32 v62, 0
	ds_read2_b64 v[63:66], v62 offset0:51 offset1:52
	ds_read2_b64 v[67:70], v62 offset0:53 offset1:54
	v_cmp_lt_u32_e32 vcc, 19, v0
	s_waitcnt vmcnt(18) lgkmcnt(1)
	v_fma_f64 v[63:64], v[71:72], v[63:64], 0
	s_waitcnt vmcnt(16)
	v_fma_f64 v[63:64], v[73:74], v[65:66], v[63:64]
	s_waitcnt vmcnt(14) lgkmcnt(0)
	v_fma_f64 v[63:64], v[75:76], v[67:68], v[63:64]
	s_waitcnt vmcnt(12)
	v_fma_f64 v[71:72], v[77:78], v[69:70], v[63:64]
	ds_read2_b64 v[63:66], v62 offset0:55 offset1:56
	ds_read2_b64 v[67:70], v62 offset0:57 offset1:58
	s_waitcnt vmcnt(10) lgkmcnt(1)
	v_fma_f64 v[63:64], v[79:80], v[63:64], v[71:72]
	s_waitcnt vmcnt(8)
	v_fma_f64 v[63:64], v[81:82], v[65:66], v[63:64]
	ds_read_b64 v[65:66], v62 offset:472
	s_waitcnt vmcnt(6) lgkmcnt(1)
	v_fma_f64 v[63:64], v[83:84], v[67:68], v[63:64]
	s_waitcnt vmcnt(3)
	v_fma_f64 v[63:64], v[85:86], v[69:70], v[63:64]
	s_waitcnt vmcnt(2) lgkmcnt(0)
	v_fma_f64 v[63:64], v[87:88], v[65:66], v[63:64]
	s_waitcnt vmcnt(0)
	v_add_f64 v[63:64], v[89:90], -v[63:64]
	buffer_store_dword v63, off, s[0:3], 0 offset:160
	buffer_store_dword v64, off, s[0:3], 0 offset:164
	s_and_saveexec_b64 s[4:5], vcc
	s_cbranch_execz .LBB29_149
; %bb.148:
	buffer_load_dword v63, off, s[0:3], 0 offset:152
	buffer_load_dword v64, off, s[0:3], 0 offset:156
	s_waitcnt vmcnt(0)
	ds_write_b64 v61, v[63:64]
	buffer_store_dword v62, off, s[0:3], 0 offset:152
	buffer_store_dword v62, off, s[0:3], 0 offset:156
.LBB29_149:
	s_or_b64 exec, exec, s[4:5]
	s_waitcnt lgkmcnt(0)
	; wave barrier
	buffer_load_dword v71, off, s[0:3], 0 offset:160
	buffer_load_dword v72, off, s[0:3], 0 offset:164
	buffer_load_dword v73, off, s[0:3], 0 offset:168
	buffer_load_dword v74, off, s[0:3], 0 offset:172
	buffer_load_dword v75, off, s[0:3], 0 offset:176
	buffer_load_dword v76, off, s[0:3], 0 offset:180
	buffer_load_dword v77, off, s[0:3], 0 offset:184
	buffer_load_dword v78, off, s[0:3], 0 offset:188
	buffer_load_dword v79, off, s[0:3], 0 offset:192
	buffer_load_dword v80, off, s[0:3], 0 offset:196
	buffer_load_dword v81, off, s[0:3], 0 offset:200
	buffer_load_dword v82, off, s[0:3], 0 offset:204
	buffer_load_dword v83, off, s[0:3], 0 offset:208
	buffer_load_dword v84, off, s[0:3], 0 offset:212
	buffer_load_dword v86, off, s[0:3], 0 offset:220
	buffer_load_dword v87, off, s[0:3], 0 offset:232
	buffer_load_dword v89, off, s[0:3], 0 offset:224
	buffer_load_dword v85, off, s[0:3], 0 offset:216
	buffer_load_dword v90, off, s[0:3], 0 offset:228
	buffer_load_dword v88, off, s[0:3], 0 offset:236
	ds_read_b128 v[63:66], v62 offset:400
	buffer_load_dword v91, off, s[0:3], 0 offset:152
	buffer_load_dword v92, off, s[0:3], 0 offset:156
	ds_read_b128 v[67:70], v62 offset:416
	v_cmp_lt_u32_e32 vcc, 18, v0
	s_waitcnt vmcnt(20) lgkmcnt(1)
	v_fma_f64 v[63:64], v[71:72], v[63:64], 0
	s_waitcnt vmcnt(18)
	v_fma_f64 v[63:64], v[73:74], v[65:66], v[63:64]
	s_waitcnt vmcnt(16) lgkmcnt(0)
	v_fma_f64 v[63:64], v[75:76], v[67:68], v[63:64]
	s_waitcnt vmcnt(14)
	v_fma_f64 v[71:72], v[77:78], v[69:70], v[63:64]
	ds_read_b128 v[63:66], v62 offset:432
	ds_read_b128 v[67:70], v62 offset:448
	s_waitcnt vmcnt(12) lgkmcnt(1)
	v_fma_f64 v[63:64], v[79:80], v[63:64], v[71:72]
	s_waitcnt vmcnt(10)
	v_fma_f64 v[63:64], v[81:82], v[65:66], v[63:64]
	s_waitcnt vmcnt(8) lgkmcnt(0)
	v_fma_f64 v[63:64], v[83:84], v[67:68], v[63:64]
	s_waitcnt vmcnt(4)
	v_fma_f64 v[66:67], v[85:86], v[69:70], v[63:64]
	ds_read_b128 v[62:65], v62 offset:464
	s_waitcnt vmcnt(3) lgkmcnt(0)
	v_fma_f64 v[62:63], v[89:90], v[62:63], v[66:67]
	s_waitcnt vmcnt(2)
	v_fma_f64 v[62:63], v[87:88], v[64:65], v[62:63]
	s_waitcnt vmcnt(0)
	v_add_f64 v[62:63], v[91:92], -v[62:63]
	buffer_store_dword v62, off, s[0:3], 0 offset:152
	buffer_store_dword v63, off, s[0:3], 0 offset:156
	s_and_saveexec_b64 s[4:5], vcc
	s_cbranch_execz .LBB29_151
; %bb.150:
	buffer_load_dword v62, off, s[0:3], 0 offset:144
	buffer_load_dword v63, off, s[0:3], 0 offset:148
	v_mov_b32_e32 v64, 0
	buffer_store_dword v64, off, s[0:3], 0 offset:144
	buffer_store_dword v64, off, s[0:3], 0 offset:148
	s_waitcnt vmcnt(2)
	ds_write_b64 v61, v[62:63]
.LBB29_151:
	s_or_b64 exec, exec, s[4:5]
	s_waitcnt lgkmcnt(0)
	; wave barrier
	buffer_load_dword v71, off, s[0:3], 0 offset:152
	buffer_load_dword v72, off, s[0:3], 0 offset:156
	;; [unrolled: 1-line block ×21, first 2 shown]
	v_mov_b32_e32 v62, 0
	ds_read2_b64 v[63:66], v62 offset0:49 offset1:50
	ds_read2_b64 v[67:70], v62 offset0:51 offset1:52
	buffer_load_dword v88, off, s[0:3], 0 offset:236
	v_cmp_lt_u32_e32 vcc, 17, v0
	s_waitcnt vmcnt(20) lgkmcnt(1)
	v_fma_f64 v[63:64], v[71:72], v[63:64], 0
	buffer_load_dword v71, off, s[0:3], 0 offset:144
	buffer_load_dword v72, off, s[0:3], 0 offset:148
	s_waitcnt vmcnt(20)
	v_fma_f64 v[63:64], v[73:74], v[65:66], v[63:64]
	s_waitcnt vmcnt(18) lgkmcnt(0)
	v_fma_f64 v[63:64], v[75:76], v[67:68], v[63:64]
	s_waitcnt vmcnt(16)
	v_fma_f64 v[73:74], v[77:78], v[69:70], v[63:64]
	ds_read2_b64 v[63:66], v62 offset0:53 offset1:54
	ds_read2_b64 v[67:70], v62 offset0:55 offset1:56
	s_waitcnt vmcnt(14) lgkmcnt(1)
	v_fma_f64 v[63:64], v[79:80], v[63:64], v[73:74]
	s_waitcnt vmcnt(12)
	v_fma_f64 v[63:64], v[81:82], v[65:66], v[63:64]
	s_waitcnt vmcnt(10) lgkmcnt(0)
	v_fma_f64 v[63:64], v[83:84], v[67:68], v[63:64]
	s_waitcnt vmcnt(5)
	v_fma_f64 v[67:68], v[85:86], v[69:70], v[63:64]
	ds_read2_b64 v[63:66], v62 offset0:57 offset1:58
	ds_read_b64 v[69:70], v62 offset:472
	s_waitcnt vmcnt(4) lgkmcnt(1)
	v_fma_f64 v[63:64], v[91:92], v[63:64], v[67:68]
	s_waitcnt vmcnt(3)
	v_fma_f64 v[63:64], v[89:90], v[65:66], v[63:64]
	s_waitcnt vmcnt(2) lgkmcnt(0)
	v_fma_f64 v[63:64], v[87:88], v[69:70], v[63:64]
	s_waitcnt vmcnt(0)
	v_add_f64 v[63:64], v[71:72], -v[63:64]
	buffer_store_dword v64, off, s[0:3], 0 offset:148
	buffer_store_dword v63, off, s[0:3], 0 offset:144
	s_and_saveexec_b64 s[4:5], vcc
	s_cbranch_execz .LBB29_153
; %bb.152:
	buffer_load_dword v63, off, s[0:3], 0 offset:136
	buffer_load_dword v64, off, s[0:3], 0 offset:140
	s_waitcnt vmcnt(0)
	ds_write_b64 v61, v[63:64]
	buffer_store_dword v62, off, s[0:3], 0 offset:136
	buffer_store_dword v62, off, s[0:3], 0 offset:140
.LBB29_153:
	s_or_b64 exec, exec, s[4:5]
	s_waitcnt lgkmcnt(0)
	; wave barrier
	buffer_load_dword v71, off, s[0:3], 0 offset:144
	buffer_load_dword v72, off, s[0:3], 0 offset:148
	;; [unrolled: 1-line block ×21, first 2 shown]
	ds_read_b128 v[63:66], v62 offset:384
	ds_read_b128 v[67:70], v62 offset:400
	buffer_load_dword v88, off, s[0:3], 0 offset:228
	v_cmp_lt_u32_e32 vcc, 16, v0
	s_waitcnt vmcnt(20) lgkmcnt(1)
	v_fma_f64 v[63:64], v[71:72], v[63:64], 0
	buffer_load_dword v72, off, s[0:3], 0 offset:236
	buffer_load_dword v71, off, s[0:3], 0 offset:232
	s_waitcnt vmcnt(20)
	v_fma_f64 v[63:64], v[73:74], v[65:66], v[63:64]
	buffer_load_dword v73, off, s[0:3], 0 offset:136
	buffer_load_dword v74, off, s[0:3], 0 offset:140
	s_waitcnt vmcnt(20) lgkmcnt(0)
	v_fma_f64 v[63:64], v[75:76], v[67:68], v[63:64]
	s_waitcnt vmcnt(18)
	v_fma_f64 v[75:76], v[77:78], v[69:70], v[63:64]
	ds_read_b128 v[63:66], v62 offset:416
	ds_read_b128 v[67:70], v62 offset:432
	s_waitcnt vmcnt(16) lgkmcnt(1)
	v_fma_f64 v[63:64], v[79:80], v[63:64], v[75:76]
	s_waitcnt vmcnt(14)
	v_fma_f64 v[63:64], v[81:82], v[65:66], v[63:64]
	s_waitcnt vmcnt(12) lgkmcnt(0)
	v_fma_f64 v[63:64], v[83:84], v[67:68], v[63:64]
	s_waitcnt vmcnt(7)
	v_fma_f64 v[75:76], v[85:86], v[69:70], v[63:64]
	ds_read_b128 v[63:66], v62 offset:448
	ds_read_b128 v[67:70], v62 offset:464
	s_waitcnt vmcnt(6) lgkmcnt(1)
	v_fma_f64 v[62:63], v[91:92], v[63:64], v[75:76]
	s_waitcnt vmcnt(5)
	v_fma_f64 v[62:63], v[89:90], v[65:66], v[62:63]
	s_waitcnt vmcnt(4) lgkmcnt(0)
	v_fma_f64 v[62:63], v[87:88], v[67:68], v[62:63]
	s_waitcnt vmcnt(2)
	v_fma_f64 v[62:63], v[71:72], v[69:70], v[62:63]
	s_waitcnt vmcnt(0)
	v_add_f64 v[62:63], v[73:74], -v[62:63]
	buffer_store_dword v63, off, s[0:3], 0 offset:140
	buffer_store_dword v62, off, s[0:3], 0 offset:136
	s_and_saveexec_b64 s[4:5], vcc
	s_cbranch_execz .LBB29_155
; %bb.154:
	buffer_load_dword v62, off, s[0:3], 0 offset:128
	buffer_load_dword v63, off, s[0:3], 0 offset:132
	v_mov_b32_e32 v64, 0
	buffer_store_dword v64, off, s[0:3], 0 offset:128
	buffer_store_dword v64, off, s[0:3], 0 offset:132
	s_waitcnt vmcnt(2)
	ds_write_b64 v61, v[62:63]
.LBB29_155:
	s_or_b64 exec, exec, s[4:5]
	s_waitcnt lgkmcnt(0)
	; wave barrier
	buffer_load_dword v71, off, s[0:3], 0 offset:136
	buffer_load_dword v72, off, s[0:3], 0 offset:140
	;; [unrolled: 1-line block ×21, first 2 shown]
	v_mov_b32_e32 v62, 0
	ds_read2_b64 v[63:66], v62 offset0:47 offset1:48
	ds_read2_b64 v[67:70], v62 offset0:49 offset1:50
	buffer_load_dword v88, off, s[0:3], 0 offset:220
	v_cmp_lt_u32_e32 vcc, 15, v0
	s_waitcnt vmcnt(20) lgkmcnt(1)
	v_fma_f64 v[63:64], v[71:72], v[63:64], 0
	s_waitcnt vmcnt(18)
	v_fma_f64 v[63:64], v[73:74], v[65:66], v[63:64]
	buffer_load_dword v72, off, s[0:3], 0 offset:228
	buffer_load_dword v73, off, s[0:3], 0 offset:232
	;; [unrolled: 1-line block ×4, first 2 shown]
	s_waitcnt vmcnt(20) lgkmcnt(0)
	v_fma_f64 v[63:64], v[75:76], v[67:68], v[63:64]
	buffer_load_dword v75, off, s[0:3], 0 offset:128
	buffer_load_dword v76, off, s[0:3], 0 offset:132
	s_waitcnt vmcnt(20)
	v_fma_f64 v[77:78], v[77:78], v[69:70], v[63:64]
	ds_read2_b64 v[63:66], v62 offset0:51 offset1:52
	ds_read2_b64 v[67:70], v62 offset0:53 offset1:54
	s_waitcnt vmcnt(18) lgkmcnt(1)
	v_fma_f64 v[63:64], v[79:80], v[63:64], v[77:78]
	s_waitcnt vmcnt(16)
	v_fma_f64 v[63:64], v[81:82], v[65:66], v[63:64]
	s_waitcnt vmcnt(14) lgkmcnt(0)
	v_fma_f64 v[63:64], v[83:84], v[67:68], v[63:64]
	s_waitcnt vmcnt(9)
	v_fma_f64 v[77:78], v[85:86], v[69:70], v[63:64]
	ds_read2_b64 v[63:66], v62 offset0:55 offset1:56
	ds_read2_b64 v[67:70], v62 offset0:57 offset1:58
	s_waitcnt vmcnt(8) lgkmcnt(1)
	v_fma_f64 v[63:64], v[91:92], v[63:64], v[77:78]
	s_waitcnt vmcnt(7)
	v_fma_f64 v[63:64], v[89:90], v[65:66], v[63:64]
	ds_read_b64 v[65:66], v62 offset:472
	s_waitcnt vmcnt(6) lgkmcnt(1)
	v_fma_f64 v[63:64], v[87:88], v[67:68], v[63:64]
	s_waitcnt vmcnt(3)
	v_fma_f64 v[63:64], v[71:72], v[69:70], v[63:64]
	s_waitcnt vmcnt(2) lgkmcnt(0)
	v_fma_f64 v[63:64], v[73:74], v[65:66], v[63:64]
	s_waitcnt vmcnt(0)
	v_add_f64 v[63:64], v[75:76], -v[63:64]
	buffer_store_dword v64, off, s[0:3], 0 offset:132
	buffer_store_dword v63, off, s[0:3], 0 offset:128
	s_and_saveexec_b64 s[4:5], vcc
	s_cbranch_execz .LBB29_157
; %bb.156:
	buffer_load_dword v63, off, s[0:3], 0 offset:120
	buffer_load_dword v64, off, s[0:3], 0 offset:124
	s_waitcnt vmcnt(0)
	ds_write_b64 v61, v[63:64]
	buffer_store_dword v62, off, s[0:3], 0 offset:120
	buffer_store_dword v62, off, s[0:3], 0 offset:124
.LBB29_157:
	s_or_b64 exec, exec, s[4:5]
	s_waitcnt lgkmcnt(0)
	; wave barrier
	buffer_load_dword v71, off, s[0:3], 0 offset:128
	buffer_load_dword v72, off, s[0:3], 0 offset:132
	;; [unrolled: 1-line block ×22, first 2 shown]
	ds_read_b128 v[63:66], v62 offset:368
	ds_read_b128 v[67:70], v62 offset:384
	v_cmp_lt_u32_e32 vcc, 14, v0
	s_waitcnt vmcnt(20) lgkmcnt(1)
	v_fma_f64 v[63:64], v[71:72], v[63:64], 0
	s_waitcnt vmcnt(18)
	v_fma_f64 v[63:64], v[73:74], v[65:66], v[63:64]
	buffer_load_dword v72, off, s[0:3], 0 offset:220
	buffer_load_dword v73, off, s[0:3], 0 offset:232
	;; [unrolled: 1-line block ×6, first 2 shown]
	s_waitcnt vmcnt(22) lgkmcnt(0)
	v_fma_f64 v[63:64], v[75:76], v[67:68], v[63:64]
	s_waitcnt vmcnt(20)
	v_fma_f64 v[75:76], v[77:78], v[69:70], v[63:64]
	ds_read_b128 v[63:66], v62 offset:400
	buffer_load_dword v77, off, s[0:3], 0 offset:120
	buffer_load_dword v78, off, s[0:3], 0 offset:124
	ds_read_b128 v[67:70], v62 offset:416
	s_waitcnt vmcnt(20) lgkmcnt(1)
	v_fma_f64 v[63:64], v[79:80], v[63:64], v[75:76]
	s_waitcnt vmcnt(18)
	v_fma_f64 v[63:64], v[81:82], v[65:66], v[63:64]
	s_waitcnt vmcnt(16) lgkmcnt(0)
	v_fma_f64 v[63:64], v[83:84], v[67:68], v[63:64]
	s_waitcnt vmcnt(11)
	v_fma_f64 v[75:76], v[85:86], v[69:70], v[63:64]
	ds_read_b128 v[63:66], v62 offset:432
	ds_read_b128 v[67:70], v62 offset:448
	s_waitcnt vmcnt(10) lgkmcnt(1)
	v_fma_f64 v[63:64], v[91:92], v[63:64], v[75:76]
	s_waitcnt vmcnt(9)
	v_fma_f64 v[63:64], v[89:90], v[65:66], v[63:64]
	s_waitcnt vmcnt(8) lgkmcnt(0)
	v_fma_f64 v[63:64], v[87:88], v[67:68], v[63:64]
	s_waitcnt vmcnt(4)
	v_fma_f64 v[66:67], v[71:72], v[69:70], v[63:64]
	ds_read_b128 v[62:65], v62 offset:464
	s_waitcnt vmcnt(3) lgkmcnt(0)
	v_fma_f64 v[62:63], v[93:94], v[62:63], v[66:67]
	s_waitcnt vmcnt(2)
	v_fma_f64 v[62:63], v[73:74], v[64:65], v[62:63]
	s_waitcnt vmcnt(0)
	v_add_f64 v[62:63], v[77:78], -v[62:63]
	buffer_store_dword v63, off, s[0:3], 0 offset:124
	buffer_store_dword v62, off, s[0:3], 0 offset:120
	s_and_saveexec_b64 s[4:5], vcc
	s_cbranch_execz .LBB29_159
; %bb.158:
	buffer_load_dword v62, off, s[0:3], 0 offset:112
	buffer_load_dword v63, off, s[0:3], 0 offset:116
	v_mov_b32_e32 v64, 0
	buffer_store_dword v64, off, s[0:3], 0 offset:112
	buffer_store_dword v64, off, s[0:3], 0 offset:116
	s_waitcnt vmcnt(2)
	ds_write_b64 v61, v[62:63]
.LBB29_159:
	s_or_b64 exec, exec, s[4:5]
	s_waitcnt lgkmcnt(0)
	; wave barrier
	buffer_load_dword v71, off, s[0:3], 0 offset:120
	buffer_load_dword v72, off, s[0:3], 0 offset:124
	;; [unrolled: 1-line block ×22, first 2 shown]
	v_mov_b32_e32 v62, 0
	ds_read2_b64 v[63:66], v62 offset0:45 offset1:46
	ds_read2_b64 v[67:70], v62 offset0:47 offset1:48
	v_cmp_lt_u32_e32 vcc, 13, v0
	s_waitcnt vmcnt(20) lgkmcnt(1)
	v_fma_f64 v[63:64], v[71:72], v[63:64], 0
	s_waitcnt vmcnt(18)
	v_fma_f64 v[63:64], v[73:74], v[65:66], v[63:64]
	buffer_load_dword v72, off, s[0:3], 0 offset:212
	buffer_load_dword v73, off, s[0:3], 0 offset:232
	;; [unrolled: 1-line block ×8, first 2 shown]
	s_waitcnt vmcnt(24) lgkmcnt(0)
	v_fma_f64 v[63:64], v[75:76], v[67:68], v[63:64]
	s_waitcnt vmcnt(22)
	v_fma_f64 v[75:76], v[77:78], v[69:70], v[63:64]
	ds_read2_b64 v[63:66], v62 offset0:49 offset1:50
	ds_read2_b64 v[67:70], v62 offset0:51 offset1:52
	s_waitcnt vmcnt(20) lgkmcnt(1)
	v_fma_f64 v[63:64], v[79:80], v[63:64], v[75:76]
	buffer_load_dword v75, off, s[0:3], 0 offset:112
	buffer_load_dword v76, off, s[0:3], 0 offset:116
	s_waitcnt vmcnt(20)
	v_fma_f64 v[63:64], v[81:82], v[65:66], v[63:64]
	s_waitcnt vmcnt(18) lgkmcnt(0)
	v_fma_f64 v[63:64], v[83:84], v[67:68], v[63:64]
	s_waitcnt vmcnt(13)
	v_fma_f64 v[77:78], v[85:86], v[69:70], v[63:64]
	ds_read2_b64 v[63:66], v62 offset0:53 offset1:54
	ds_read2_b64 v[67:70], v62 offset0:55 offset1:56
	s_waitcnt vmcnt(12) lgkmcnt(1)
	v_fma_f64 v[63:64], v[91:92], v[63:64], v[77:78]
	s_waitcnt vmcnt(11)
	v_fma_f64 v[63:64], v[89:90], v[65:66], v[63:64]
	s_waitcnt vmcnt(10) lgkmcnt(0)
	v_fma_f64 v[63:64], v[87:88], v[67:68], v[63:64]
	s_waitcnt vmcnt(5)
	v_fma_f64 v[67:68], v[71:72], v[69:70], v[63:64]
	ds_read2_b64 v[63:66], v62 offset0:57 offset1:58
	ds_read_b64 v[69:70], v62 offset:472
	s_waitcnt vmcnt(4) lgkmcnt(1)
	v_fma_f64 v[63:64], v[95:96], v[63:64], v[67:68]
	s_waitcnt vmcnt(3)
	v_fma_f64 v[63:64], v[93:94], v[65:66], v[63:64]
	s_waitcnt vmcnt(2) lgkmcnt(0)
	v_fma_f64 v[63:64], v[73:74], v[69:70], v[63:64]
	s_waitcnt vmcnt(0)
	v_add_f64 v[63:64], v[75:76], -v[63:64]
	buffer_store_dword v64, off, s[0:3], 0 offset:116
	buffer_store_dword v63, off, s[0:3], 0 offset:112
	s_and_saveexec_b64 s[4:5], vcc
	s_cbranch_execz .LBB29_161
; %bb.160:
	buffer_load_dword v63, off, s[0:3], 0 offset:104
	buffer_load_dword v64, off, s[0:3], 0 offset:108
	s_waitcnt vmcnt(0)
	ds_write_b64 v61, v[63:64]
	buffer_store_dword v62, off, s[0:3], 0 offset:104
	buffer_store_dword v62, off, s[0:3], 0 offset:108
.LBB29_161:
	s_or_b64 exec, exec, s[4:5]
	s_waitcnt lgkmcnt(0)
	; wave barrier
	buffer_load_dword v71, off, s[0:3], 0 offset:112
	buffer_load_dword v72, off, s[0:3], 0 offset:116
	;; [unrolled: 1-line block ×22, first 2 shown]
	ds_read_b128 v[63:66], v62 offset:352
	ds_read_b128 v[67:70], v62 offset:368
	v_cmp_lt_u32_e32 vcc, 12, v0
	s_waitcnt vmcnt(20) lgkmcnt(1)
	v_fma_f64 v[63:64], v[71:72], v[63:64], 0
	s_waitcnt vmcnt(18)
	v_fma_f64 v[63:64], v[73:74], v[65:66], v[63:64]
	buffer_load_dword v72, off, s[0:3], 0 offset:204
	buffer_load_dword v73, off, s[0:3], 0 offset:224
	;; [unrolled: 1-line block ×8, first 2 shown]
	s_waitcnt vmcnt(24) lgkmcnt(0)
	v_fma_f64 v[63:64], v[75:76], v[67:68], v[63:64]
	s_waitcnt vmcnt(22)
	v_fma_f64 v[75:76], v[77:78], v[69:70], v[63:64]
	ds_read_b128 v[63:66], v62 offset:384
	ds_read_b128 v[67:70], v62 offset:400
	s_waitcnt vmcnt(20) lgkmcnt(1)
	v_fma_f64 v[63:64], v[79:80], v[63:64], v[75:76]
	buffer_load_dword v76, off, s[0:3], 0 offset:236
	buffer_load_dword v75, off, s[0:3], 0 offset:232
	;; [unrolled: 1-line block ×4, first 2 shown]
	s_waitcnt vmcnt(22)
	v_fma_f64 v[63:64], v[81:82], v[65:66], v[63:64]
	s_waitcnt vmcnt(20) lgkmcnt(0)
	v_fma_f64 v[63:64], v[83:84], v[67:68], v[63:64]
	s_waitcnt vmcnt(15)
	v_fma_f64 v[79:80], v[85:86], v[69:70], v[63:64]
	ds_read_b128 v[63:66], v62 offset:416
	ds_read_b128 v[67:70], v62 offset:432
	s_waitcnt vmcnt(14) lgkmcnt(1)
	v_fma_f64 v[63:64], v[91:92], v[63:64], v[79:80]
	s_waitcnt vmcnt(13)
	v_fma_f64 v[63:64], v[89:90], v[65:66], v[63:64]
	s_waitcnt vmcnt(12) lgkmcnt(0)
	v_fma_f64 v[63:64], v[87:88], v[67:68], v[63:64]
	s_waitcnt vmcnt(7)
	v_fma_f64 v[71:72], v[71:72], v[69:70], v[63:64]
	ds_read_b128 v[63:66], v62 offset:448
	ds_read_b128 v[67:70], v62 offset:464
	s_waitcnt vmcnt(6) lgkmcnt(1)
	v_fma_f64 v[62:63], v[95:96], v[63:64], v[71:72]
	s_waitcnt vmcnt(5)
	v_fma_f64 v[62:63], v[93:94], v[65:66], v[62:63]
	s_waitcnt vmcnt(4) lgkmcnt(0)
	v_fma_f64 v[62:63], v[73:74], v[67:68], v[62:63]
	s_waitcnt vmcnt(2)
	v_fma_f64 v[62:63], v[75:76], v[69:70], v[62:63]
	s_waitcnt vmcnt(0)
	v_add_f64 v[62:63], v[77:78], -v[62:63]
	buffer_store_dword v63, off, s[0:3], 0 offset:108
	buffer_store_dword v62, off, s[0:3], 0 offset:104
	s_and_saveexec_b64 s[4:5], vcc
	s_cbranch_execz .LBB29_163
; %bb.162:
	buffer_load_dword v62, off, s[0:3], 0 offset:96
	buffer_load_dword v63, off, s[0:3], 0 offset:100
	v_mov_b32_e32 v64, 0
	buffer_store_dword v64, off, s[0:3], 0 offset:96
	buffer_store_dword v64, off, s[0:3], 0 offset:100
	s_waitcnt vmcnt(2)
	ds_write_b64 v61, v[62:63]
.LBB29_163:
	s_or_b64 exec, exec, s[4:5]
	s_waitcnt lgkmcnt(0)
	; wave barrier
	buffer_load_dword v71, off, s[0:3], 0 offset:104
	buffer_load_dword v72, off, s[0:3], 0 offset:108
	;; [unrolled: 1-line block ×22, first 2 shown]
	v_mov_b32_e32 v62, 0
	ds_read2_b64 v[63:66], v62 offset0:43 offset1:44
	ds_read2_b64 v[67:70], v62 offset0:45 offset1:46
	v_cmp_lt_u32_e32 vcc, 11, v0
	s_waitcnt vmcnt(20) lgkmcnt(1)
	v_fma_f64 v[63:64], v[71:72], v[63:64], 0
	s_waitcnt vmcnt(18)
	v_fma_f64 v[63:64], v[73:74], v[65:66], v[63:64]
	buffer_load_dword v72, off, s[0:3], 0 offset:196
	buffer_load_dword v73, off, s[0:3], 0 offset:216
	;; [unrolled: 1-line block ×7, first 2 shown]
	s_waitcnt vmcnt(23) lgkmcnt(0)
	v_fma_f64 v[63:64], v[75:76], v[67:68], v[63:64]
	s_waitcnt vmcnt(21)
	v_fma_f64 v[74:75], v[77:78], v[69:70], v[63:64]
	ds_read2_b64 v[63:66], v62 offset0:47 offset1:48
	ds_read2_b64 v[67:70], v62 offset0:49 offset1:50
	s_waitcnt vmcnt(19) lgkmcnt(1)
	v_fma_f64 v[63:64], v[79:80], v[63:64], v[74:75]
	buffer_load_dword v74, off, s[0:3], 0 offset:220
	buffer_load_dword v76, off, s[0:3], 0 offset:228
	;; [unrolled: 1-line block ×7, first 2 shown]
	s_waitcnt vmcnt(24)
	v_fma_f64 v[63:64], v[81:82], v[65:66], v[63:64]
	s_waitcnt vmcnt(22) lgkmcnt(0)
	v_fma_f64 v[63:64], v[83:84], v[67:68], v[63:64]
	s_waitcnt vmcnt(17)
	v_fma_f64 v[81:82], v[85:86], v[69:70], v[63:64]
	ds_read2_b64 v[63:66], v62 offset0:51 offset1:52
	ds_read2_b64 v[67:70], v62 offset0:53 offset1:54
	s_waitcnt vmcnt(16) lgkmcnt(1)
	v_fma_f64 v[63:64], v[91:92], v[63:64], v[81:82]
	s_waitcnt vmcnt(15)
	v_fma_f64 v[63:64], v[89:90], v[65:66], v[63:64]
	s_waitcnt vmcnt(14) lgkmcnt(0)
	v_fma_f64 v[63:64], v[87:88], v[67:68], v[63:64]
	s_waitcnt vmcnt(9)
	v_fma_f64 v[71:72], v[71:72], v[69:70], v[63:64]
	ds_read2_b64 v[63:66], v62 offset0:55 offset1:56
	ds_read2_b64 v[67:70], v62 offset0:57 offset1:58
	s_waitcnt vmcnt(8) lgkmcnt(1)
	v_fma_f64 v[63:64], v[95:96], v[63:64], v[71:72]
	s_waitcnt vmcnt(7)
	v_fma_f64 v[63:64], v[93:94], v[65:66], v[63:64]
	ds_read_b64 v[65:66], v62 offset:472
	s_waitcnt vmcnt(6) lgkmcnt(1)
	v_fma_f64 v[63:64], v[73:74], v[67:68], v[63:64]
	s_waitcnt vmcnt(3)
	v_fma_f64 v[63:64], v[75:76], v[69:70], v[63:64]
	s_waitcnt vmcnt(2) lgkmcnt(0)
	v_fma_f64 v[63:64], v[77:78], v[65:66], v[63:64]
	s_waitcnt vmcnt(0)
	v_add_f64 v[63:64], v[79:80], -v[63:64]
	buffer_store_dword v64, off, s[0:3], 0 offset:100
	buffer_store_dword v63, off, s[0:3], 0 offset:96
	s_and_saveexec_b64 s[4:5], vcc
	s_cbranch_execz .LBB29_165
; %bb.164:
	buffer_load_dword v63, off, s[0:3], 0 offset:88
	buffer_load_dword v64, off, s[0:3], 0 offset:92
	s_waitcnt vmcnt(0)
	ds_write_b64 v61, v[63:64]
	buffer_store_dword v62, off, s[0:3], 0 offset:88
	buffer_store_dword v62, off, s[0:3], 0 offset:92
.LBB29_165:
	s_or_b64 exec, exec, s[4:5]
	s_waitcnt lgkmcnt(0)
	; wave barrier
	buffer_load_dword v71, off, s[0:3], 0 offset:96
	buffer_load_dword v72, off, s[0:3], 0 offset:100
	;; [unrolled: 1-line block ×22, first 2 shown]
	ds_read_b128 v[63:66], v62 offset:336
	ds_read_b128 v[67:70], v62 offset:352
	v_cmp_lt_u32_e32 vcc, 10, v0
	s_waitcnt vmcnt(20) lgkmcnt(1)
	v_fma_f64 v[63:64], v[71:72], v[63:64], 0
	s_waitcnt vmcnt(18)
	v_fma_f64 v[63:64], v[73:74], v[65:66], v[63:64]
	buffer_load_dword v72, off, s[0:3], 0 offset:188
	buffer_load_dword v73, off, s[0:3], 0 offset:208
	;; [unrolled: 1-line block ×7, first 2 shown]
	s_waitcnt vmcnt(23) lgkmcnt(0)
	v_fma_f64 v[63:64], v[75:76], v[67:68], v[63:64]
	s_waitcnt vmcnt(21)
	v_fma_f64 v[74:75], v[77:78], v[69:70], v[63:64]
	ds_read_b128 v[63:66], v62 offset:368
	ds_read_b128 v[67:70], v62 offset:384
	s_waitcnt vmcnt(19) lgkmcnt(1)
	v_fma_f64 v[63:64], v[79:80], v[63:64], v[74:75]
	buffer_load_dword v74, off, s[0:3], 0 offset:212
	buffer_load_dword v76, off, s[0:3], 0 offset:220
	buffer_load_dword v77, off, s[0:3], 0 offset:232
	buffer_load_dword v79, off, s[0:3], 0 offset:224
	buffer_load_dword v75, off, s[0:3], 0 offset:216
	buffer_load_dword v80, off, s[0:3], 0 offset:228
	buffer_load_dword v78, off, s[0:3], 0 offset:236
	s_waitcnt vmcnt(24)
	v_fma_f64 v[63:64], v[81:82], v[65:66], v[63:64]
	s_waitcnt vmcnt(22) lgkmcnt(0)
	v_fma_f64 v[63:64], v[83:84], v[67:68], v[63:64]
	s_waitcnt vmcnt(17)
	v_fma_f64 v[81:82], v[85:86], v[69:70], v[63:64]
	ds_read_b128 v[63:66], v62 offset:400
	buffer_load_dword v83, off, s[0:3], 0 offset:88
	buffer_load_dword v84, off, s[0:3], 0 offset:92
	ds_read_b128 v[67:70], v62 offset:416
	s_waitcnt vmcnt(18) lgkmcnt(1)
	v_fma_f64 v[63:64], v[91:92], v[63:64], v[81:82]
	s_waitcnt vmcnt(17)
	v_fma_f64 v[63:64], v[89:90], v[65:66], v[63:64]
	s_waitcnt vmcnt(16) lgkmcnt(0)
	v_fma_f64 v[63:64], v[87:88], v[67:68], v[63:64]
	s_waitcnt vmcnt(11)
	v_fma_f64 v[71:72], v[71:72], v[69:70], v[63:64]
	ds_read_b128 v[63:66], v62 offset:432
	ds_read_b128 v[67:70], v62 offset:448
	s_waitcnt vmcnt(10) lgkmcnt(1)
	v_fma_f64 v[63:64], v[95:96], v[63:64], v[71:72]
	s_waitcnt vmcnt(9)
	v_fma_f64 v[63:64], v[93:94], v[65:66], v[63:64]
	s_waitcnt vmcnt(8) lgkmcnt(0)
	v_fma_f64 v[63:64], v[73:74], v[67:68], v[63:64]
	s_waitcnt vmcnt(4)
	v_fma_f64 v[66:67], v[75:76], v[69:70], v[63:64]
	ds_read_b128 v[62:65], v62 offset:464
	s_waitcnt vmcnt(3) lgkmcnt(0)
	v_fma_f64 v[62:63], v[79:80], v[62:63], v[66:67]
	s_waitcnt vmcnt(2)
	v_fma_f64 v[62:63], v[77:78], v[64:65], v[62:63]
	s_waitcnt vmcnt(0)
	v_add_f64 v[62:63], v[83:84], -v[62:63]
	buffer_store_dword v63, off, s[0:3], 0 offset:92
	buffer_store_dword v62, off, s[0:3], 0 offset:88
	s_and_saveexec_b64 s[4:5], vcc
	s_cbranch_execz .LBB29_167
; %bb.166:
	buffer_load_dword v62, off, s[0:3], 0 offset:80
	buffer_load_dword v63, off, s[0:3], 0 offset:84
	v_mov_b32_e32 v64, 0
	buffer_store_dword v64, off, s[0:3], 0 offset:80
	buffer_store_dword v64, off, s[0:3], 0 offset:84
	s_waitcnt vmcnt(2)
	ds_write_b64 v61, v[62:63]
.LBB29_167:
	s_or_b64 exec, exec, s[4:5]
	s_waitcnt lgkmcnt(0)
	; wave barrier
	buffer_load_dword v71, off, s[0:3], 0 offset:88
	buffer_load_dword v72, off, s[0:3], 0 offset:92
	;; [unrolled: 1-line block ×22, first 2 shown]
	v_mov_b32_e32 v62, 0
	ds_read2_b64 v[63:66], v62 offset0:41 offset1:42
	ds_read2_b64 v[67:70], v62 offset0:43 offset1:44
	v_cmp_lt_u32_e32 vcc, 9, v0
	s_waitcnt vmcnt(20) lgkmcnt(1)
	v_fma_f64 v[63:64], v[71:72], v[63:64], 0
	s_waitcnt vmcnt(18)
	v_fma_f64 v[63:64], v[73:74], v[65:66], v[63:64]
	buffer_load_dword v72, off, s[0:3], 0 offset:180
	buffer_load_dword v73, off, s[0:3], 0 offset:200
	;; [unrolled: 1-line block ×7, first 2 shown]
	s_waitcnt vmcnt(23) lgkmcnt(0)
	v_fma_f64 v[63:64], v[75:76], v[67:68], v[63:64]
	s_waitcnt vmcnt(21)
	v_fma_f64 v[74:75], v[77:78], v[69:70], v[63:64]
	ds_read2_b64 v[63:66], v62 offset0:45 offset1:46
	ds_read2_b64 v[67:70], v62 offset0:47 offset1:48
	s_waitcnt vmcnt(19) lgkmcnt(1)
	v_fma_f64 v[63:64], v[79:80], v[63:64], v[74:75]
	buffer_load_dword v74, off, s[0:3], 0 offset:204
	s_waitcnt vmcnt(18)
	v_fma_f64 v[63:64], v[81:82], v[65:66], v[63:64]
	buffer_load_dword v76, off, s[0:3], 0 offset:212
	buffer_load_dword v77, off, s[0:3], 0 offset:232
	;; [unrolled: 1-line block ×8, first 2 shown]
	s_waitcnt vmcnt(24) lgkmcnt(0)
	v_fma_f64 v[63:64], v[83:84], v[67:68], v[63:64]
	s_waitcnt vmcnt(19)
	v_fma_f64 v[83:84], v[85:86], v[69:70], v[63:64]
	ds_read2_b64 v[63:66], v62 offset0:49 offset1:50
	ds_read2_b64 v[67:70], v62 offset0:51 offset1:52
	s_waitcnt vmcnt(18) lgkmcnt(1)
	v_fma_f64 v[63:64], v[91:92], v[63:64], v[83:84]
	buffer_load_dword v83, off, s[0:3], 0 offset:80
	buffer_load_dword v84, off, s[0:3], 0 offset:84
	s_waitcnt vmcnt(19)
	v_fma_f64 v[63:64], v[89:90], v[65:66], v[63:64]
	s_waitcnt vmcnt(18) lgkmcnt(0)
	v_fma_f64 v[63:64], v[87:88], v[67:68], v[63:64]
	s_waitcnt vmcnt(13)
	v_fma_f64 v[71:72], v[71:72], v[69:70], v[63:64]
	ds_read2_b64 v[63:66], v62 offset0:53 offset1:54
	ds_read2_b64 v[67:70], v62 offset0:55 offset1:56
	s_waitcnt vmcnt(12) lgkmcnt(1)
	v_fma_f64 v[63:64], v[95:96], v[63:64], v[71:72]
	s_waitcnt vmcnt(11)
	v_fma_f64 v[63:64], v[93:94], v[65:66], v[63:64]
	s_waitcnt vmcnt(10) lgkmcnt(0)
	v_fma_f64 v[63:64], v[73:74], v[67:68], v[63:64]
	s_waitcnt vmcnt(5)
	v_fma_f64 v[67:68], v[75:76], v[69:70], v[63:64]
	ds_read2_b64 v[63:66], v62 offset0:57 offset1:58
	ds_read_b64 v[69:70], v62 offset:472
	s_waitcnt vmcnt(4) lgkmcnt(1)
	v_fma_f64 v[63:64], v[81:82], v[63:64], v[67:68]
	s_waitcnt vmcnt(3)
	v_fma_f64 v[63:64], v[79:80], v[65:66], v[63:64]
	s_waitcnt vmcnt(2) lgkmcnt(0)
	v_fma_f64 v[63:64], v[77:78], v[69:70], v[63:64]
	s_waitcnt vmcnt(0)
	v_add_f64 v[63:64], v[83:84], -v[63:64]
	buffer_store_dword v64, off, s[0:3], 0 offset:84
	buffer_store_dword v63, off, s[0:3], 0 offset:80
	s_and_saveexec_b64 s[4:5], vcc
	s_cbranch_execz .LBB29_169
; %bb.168:
	buffer_load_dword v63, off, s[0:3], 0 offset:72
	buffer_load_dword v64, off, s[0:3], 0 offset:76
	s_waitcnt vmcnt(0)
	ds_write_b64 v61, v[63:64]
	buffer_store_dword v62, off, s[0:3], 0 offset:72
	buffer_store_dword v62, off, s[0:3], 0 offset:76
.LBB29_169:
	s_or_b64 exec, exec, s[4:5]
	s_waitcnt lgkmcnt(0)
	; wave barrier
	buffer_load_dword v71, off, s[0:3], 0 offset:80
	buffer_load_dword v72, off, s[0:3], 0 offset:84
	;; [unrolled: 1-line block ×22, first 2 shown]
	ds_read_b128 v[63:66], v62 offset:320
	ds_read_b128 v[67:70], v62 offset:336
	v_cmp_lt_u32_e32 vcc, 8, v0
	s_waitcnt vmcnt(20) lgkmcnt(1)
	v_fma_f64 v[63:64], v[71:72], v[63:64], 0
	s_waitcnt vmcnt(18)
	v_fma_f64 v[63:64], v[73:74], v[65:66], v[63:64]
	buffer_load_dword v72, off, s[0:3], 0 offset:172
	buffer_load_dword v73, off, s[0:3], 0 offset:192
	;; [unrolled: 1-line block ×7, first 2 shown]
	s_waitcnt vmcnt(23) lgkmcnt(0)
	v_fma_f64 v[63:64], v[75:76], v[67:68], v[63:64]
	s_waitcnt vmcnt(21)
	v_fma_f64 v[74:75], v[77:78], v[69:70], v[63:64]
	ds_read_b128 v[63:66], v62 offset:352
	ds_read_b128 v[67:70], v62 offset:368
	s_waitcnt vmcnt(19) lgkmcnt(1)
	v_fma_f64 v[63:64], v[79:80], v[63:64], v[74:75]
	buffer_load_dword v74, off, s[0:3], 0 offset:196
	s_waitcnt vmcnt(18)
	v_fma_f64 v[63:64], v[81:82], v[65:66], v[63:64]
	buffer_load_dword v76, off, s[0:3], 0 offset:204
	buffer_load_dword v77, off, s[0:3], 0 offset:224
	;; [unrolled: 1-line block ×8, first 2 shown]
	s_waitcnt vmcnt(24) lgkmcnt(0)
	v_fma_f64 v[63:64], v[83:84], v[67:68], v[63:64]
	s_waitcnt vmcnt(19)
	v_fma_f64 v[83:84], v[85:86], v[69:70], v[63:64]
	ds_read_b128 v[63:66], v62 offset:384
	ds_read_b128 v[67:70], v62 offset:400
	s_waitcnt vmcnt(18) lgkmcnt(1)
	v_fma_f64 v[63:64], v[91:92], v[63:64], v[83:84]
	buffer_load_dword v84, off, s[0:3], 0 offset:236
	buffer_load_dword v83, off, s[0:3], 0 offset:232
	;; [unrolled: 1-line block ×4, first 2 shown]
	s_waitcnt vmcnt(21)
	v_fma_f64 v[63:64], v[89:90], v[65:66], v[63:64]
	s_waitcnt vmcnt(20) lgkmcnt(0)
	v_fma_f64 v[63:64], v[87:88], v[67:68], v[63:64]
	s_waitcnt vmcnt(15)
	v_fma_f64 v[71:72], v[71:72], v[69:70], v[63:64]
	ds_read_b128 v[63:66], v62 offset:416
	ds_read_b128 v[67:70], v62 offset:432
	s_waitcnt vmcnt(14) lgkmcnt(1)
	v_fma_f64 v[63:64], v[95:96], v[63:64], v[71:72]
	s_waitcnt vmcnt(13)
	v_fma_f64 v[63:64], v[93:94], v[65:66], v[63:64]
	s_waitcnt vmcnt(12) lgkmcnt(0)
	v_fma_f64 v[63:64], v[73:74], v[67:68], v[63:64]
	s_waitcnt vmcnt(7)
	v_fma_f64 v[71:72], v[75:76], v[69:70], v[63:64]
	ds_read_b128 v[63:66], v62 offset:448
	ds_read_b128 v[67:70], v62 offset:464
	s_waitcnt vmcnt(6) lgkmcnt(1)
	v_fma_f64 v[62:63], v[81:82], v[63:64], v[71:72]
	s_waitcnt vmcnt(5)
	v_fma_f64 v[62:63], v[79:80], v[65:66], v[62:63]
	s_waitcnt vmcnt(4) lgkmcnt(0)
	v_fma_f64 v[62:63], v[77:78], v[67:68], v[62:63]
	s_waitcnt vmcnt(2)
	v_fma_f64 v[62:63], v[83:84], v[69:70], v[62:63]
	s_waitcnt vmcnt(0)
	v_add_f64 v[62:63], v[85:86], -v[62:63]
	buffer_store_dword v63, off, s[0:3], 0 offset:76
	buffer_store_dword v62, off, s[0:3], 0 offset:72
	s_and_saveexec_b64 s[4:5], vcc
	s_cbranch_execz .LBB29_171
; %bb.170:
	buffer_load_dword v62, off, s[0:3], 0 offset:64
	buffer_load_dword v63, off, s[0:3], 0 offset:68
	v_mov_b32_e32 v64, 0
	buffer_store_dword v64, off, s[0:3], 0 offset:64
	buffer_store_dword v64, off, s[0:3], 0 offset:68
	s_waitcnt vmcnt(2)
	ds_write_b64 v61, v[62:63]
.LBB29_171:
	s_or_b64 exec, exec, s[4:5]
	s_waitcnt lgkmcnt(0)
	; wave barrier
	buffer_load_dword v71, off, s[0:3], 0 offset:72
	buffer_load_dword v72, off, s[0:3], 0 offset:76
	;; [unrolled: 1-line block ×21, first 2 shown]
	v_mov_b32_e32 v62, 0
	ds_read2_b64 v[63:66], v62 offset0:39 offset1:40
	ds_read2_b64 v[67:70], v62 offset0:41 offset1:42
	buffer_load_dword v88, off, s[0:3], 0 offset:156
	v_cmp_lt_u32_e32 vcc, 7, v0
	s_waitcnt vmcnt(20) lgkmcnt(1)
	v_fma_f64 v[63:64], v[71:72], v[63:64], 0
	s_waitcnt vmcnt(18)
	v_fma_f64 v[63:64], v[73:74], v[65:66], v[63:64]
	buffer_load_dword v72, off, s[0:3], 0 offset:164
	buffer_load_dword v73, off, s[0:3], 0 offset:184
	;; [unrolled: 1-line block ×7, first 2 shown]
	s_waitcnt vmcnt(23) lgkmcnt(0)
	v_fma_f64 v[63:64], v[75:76], v[67:68], v[63:64]
	s_waitcnt vmcnt(21)
	v_fma_f64 v[74:75], v[77:78], v[69:70], v[63:64]
	ds_read2_b64 v[63:66], v62 offset0:43 offset1:44
	ds_read2_b64 v[67:70], v62 offset0:45 offset1:46
	s_waitcnt vmcnt(19) lgkmcnt(1)
	v_fma_f64 v[63:64], v[79:80], v[63:64], v[74:75]
	buffer_load_dword v74, off, s[0:3], 0 offset:188
	s_waitcnt vmcnt(18)
	v_fma_f64 v[63:64], v[81:82], v[65:66], v[63:64]
	buffer_load_dword v76, off, s[0:3], 0 offset:196
	buffer_load_dword v77, off, s[0:3], 0 offset:216
	;; [unrolled: 1-line block ×7, first 2 shown]
	s_waitcnt vmcnt(23) lgkmcnt(0)
	v_fma_f64 v[63:64], v[83:84], v[67:68], v[63:64]
	s_waitcnt vmcnt(18)
	v_fma_f64 v[83:84], v[85:86], v[69:70], v[63:64]
	ds_read2_b64 v[63:66], v62 offset0:47 offset1:48
	ds_read2_b64 v[67:70], v62 offset0:49 offset1:50
	buffer_load_dword v78, off, s[0:3], 0 offset:220
	s_waitcnt vmcnt(18) lgkmcnt(1)
	v_fma_f64 v[63:64], v[91:92], v[63:64], v[83:84]
	buffer_load_dword v84, off, s[0:3], 0 offset:228
	buffer_load_dword v85, off, s[0:3], 0 offset:232
	buffer_load_dword v83, off, s[0:3], 0 offset:224
	buffer_load_dword v86, off, s[0:3], 0 offset:236
	s_waitcnt vmcnt(21)
	v_fma_f64 v[63:64], v[89:90], v[65:66], v[63:64]
	s_waitcnt vmcnt(20) lgkmcnt(0)
	v_fma_f64 v[63:64], v[87:88], v[67:68], v[63:64]
	buffer_load_dword v87, off, s[0:3], 0 offset:64
	buffer_load_dword v88, off, s[0:3], 0 offset:68
	s_waitcnt vmcnt(17)
	v_fma_f64 v[71:72], v[71:72], v[69:70], v[63:64]
	ds_read2_b64 v[63:66], v62 offset0:51 offset1:52
	ds_read2_b64 v[67:70], v62 offset0:53 offset1:54
	s_waitcnt vmcnt(16) lgkmcnt(1)
	v_fma_f64 v[63:64], v[95:96], v[63:64], v[71:72]
	s_waitcnt vmcnt(15)
	v_fma_f64 v[63:64], v[93:94], v[65:66], v[63:64]
	s_waitcnt vmcnt(14) lgkmcnt(0)
	v_fma_f64 v[63:64], v[73:74], v[67:68], v[63:64]
	s_waitcnt vmcnt(9)
	v_fma_f64 v[71:72], v[75:76], v[69:70], v[63:64]
	ds_read2_b64 v[63:66], v62 offset0:55 offset1:56
	ds_read2_b64 v[67:70], v62 offset0:57 offset1:58
	s_waitcnt vmcnt(8) lgkmcnt(1)
	v_fma_f64 v[63:64], v[81:82], v[63:64], v[71:72]
	s_waitcnt vmcnt(7)
	v_fma_f64 v[63:64], v[79:80], v[65:66], v[63:64]
	ds_read_b64 v[65:66], v62 offset:472
	s_waitcnt vmcnt(6) lgkmcnt(1)
	v_fma_f64 v[63:64], v[77:78], v[67:68], v[63:64]
	s_waitcnt vmcnt(3)
	v_fma_f64 v[63:64], v[83:84], v[69:70], v[63:64]
	s_waitcnt vmcnt(2) lgkmcnt(0)
	v_fma_f64 v[63:64], v[85:86], v[65:66], v[63:64]
	s_waitcnt vmcnt(0)
	v_add_f64 v[63:64], v[87:88], -v[63:64]
	buffer_store_dword v64, off, s[0:3], 0 offset:68
	buffer_store_dword v63, off, s[0:3], 0 offset:64
	s_and_saveexec_b64 s[4:5], vcc
	s_cbranch_execz .LBB29_173
; %bb.172:
	buffer_load_dword v63, off, s[0:3], 0 offset:56
	buffer_load_dword v64, off, s[0:3], 0 offset:60
	s_waitcnt vmcnt(0)
	ds_write_b64 v61, v[63:64]
	buffer_store_dword v62, off, s[0:3], 0 offset:56
	buffer_store_dword v62, off, s[0:3], 0 offset:60
.LBB29_173:
	s_or_b64 exec, exec, s[4:5]
	s_waitcnt lgkmcnt(0)
	; wave barrier
	buffer_load_dword v71, off, s[0:3], 0 offset:64
	buffer_load_dword v72, off, s[0:3], 0 offset:68
	;; [unrolled: 1-line block ×21, first 2 shown]
	ds_read_b128 v[63:66], v62 offset:304
	ds_read_b128 v[67:70], v62 offset:320
	buffer_load_dword v88, off, s[0:3], 0 offset:148
	v_cmp_lt_u32_e32 vcc, 6, v0
	s_waitcnt vmcnt(20) lgkmcnt(1)
	v_fma_f64 v[63:64], v[71:72], v[63:64], 0
	s_waitcnt vmcnt(18)
	v_fma_f64 v[63:64], v[73:74], v[65:66], v[63:64]
	buffer_load_dword v72, off, s[0:3], 0 offset:156
	buffer_load_dword v73, off, s[0:3], 0 offset:176
	;; [unrolled: 1-line block ×7, first 2 shown]
	s_waitcnt vmcnt(23) lgkmcnt(0)
	v_fma_f64 v[63:64], v[75:76], v[67:68], v[63:64]
	s_waitcnt vmcnt(21)
	v_fma_f64 v[74:75], v[77:78], v[69:70], v[63:64]
	ds_read_b128 v[63:66], v62 offset:336
	ds_read_b128 v[67:70], v62 offset:352
	s_waitcnt vmcnt(19) lgkmcnt(1)
	v_fma_f64 v[63:64], v[79:80], v[63:64], v[74:75]
	buffer_load_dword v74, off, s[0:3], 0 offset:180
	s_waitcnt vmcnt(18)
	v_fma_f64 v[63:64], v[81:82], v[65:66], v[63:64]
	buffer_load_dword v76, off, s[0:3], 0 offset:188
	buffer_load_dword v77, off, s[0:3], 0 offset:208
	;; [unrolled: 1-line block ×8, first 2 shown]
	s_waitcnt vmcnt(24) lgkmcnt(0)
	v_fma_f64 v[63:64], v[83:84], v[67:68], v[63:64]
	s_waitcnt vmcnt(19)
	v_fma_f64 v[83:84], v[85:86], v[69:70], v[63:64]
	ds_read_b128 v[63:66], v62 offset:368
	ds_read_b128 v[67:70], v62 offset:384
	s_waitcnt vmcnt(18) lgkmcnt(1)
	v_fma_f64 v[63:64], v[91:92], v[63:64], v[83:84]
	s_waitcnt vmcnt(17)
	v_fma_f64 v[63:64], v[89:90], v[65:66], v[63:64]
	buffer_load_dword v84, off, s[0:3], 0 offset:220
	buffer_load_dword v85, off, s[0:3], 0 offset:232
	;; [unrolled: 1-line block ×6, first 2 shown]
	s_waitcnt vmcnt(22) lgkmcnt(0)
	v_fma_f64 v[63:64], v[87:88], v[67:68], v[63:64]
	s_waitcnt vmcnt(17)
	v_fma_f64 v[71:72], v[71:72], v[69:70], v[63:64]
	ds_read_b128 v[63:66], v62 offset:400
	buffer_load_dword v87, off, s[0:3], 0 offset:56
	buffer_load_dword v88, off, s[0:3], 0 offset:60
	ds_read_b128 v[67:70], v62 offset:416
	s_waitcnt vmcnt(18) lgkmcnt(1)
	v_fma_f64 v[63:64], v[95:96], v[63:64], v[71:72]
	s_waitcnt vmcnt(17)
	v_fma_f64 v[63:64], v[93:94], v[65:66], v[63:64]
	s_waitcnt vmcnt(16) lgkmcnt(0)
	v_fma_f64 v[63:64], v[73:74], v[67:68], v[63:64]
	s_waitcnt vmcnt(11)
	v_fma_f64 v[71:72], v[75:76], v[69:70], v[63:64]
	ds_read_b128 v[63:66], v62 offset:432
	ds_read_b128 v[67:70], v62 offset:448
	s_waitcnt vmcnt(10) lgkmcnt(1)
	v_fma_f64 v[63:64], v[81:82], v[63:64], v[71:72]
	s_waitcnt vmcnt(9)
	v_fma_f64 v[63:64], v[79:80], v[65:66], v[63:64]
	s_waitcnt vmcnt(8) lgkmcnt(0)
	v_fma_f64 v[63:64], v[77:78], v[67:68], v[63:64]
	s_waitcnt vmcnt(4)
	v_fma_f64 v[66:67], v[83:84], v[69:70], v[63:64]
	ds_read_b128 v[62:65], v62 offset:464
	s_waitcnt vmcnt(3) lgkmcnt(0)
	v_fma_f64 v[62:63], v[89:90], v[62:63], v[66:67]
	s_waitcnt vmcnt(2)
	v_fma_f64 v[62:63], v[85:86], v[64:65], v[62:63]
	s_waitcnt vmcnt(0)
	v_add_f64 v[62:63], v[87:88], -v[62:63]
	buffer_store_dword v63, off, s[0:3], 0 offset:60
	buffer_store_dword v62, off, s[0:3], 0 offset:56
	s_and_saveexec_b64 s[4:5], vcc
	s_cbranch_execz .LBB29_175
; %bb.174:
	buffer_load_dword v62, off, s[0:3], 0 offset:48
	buffer_load_dword v63, off, s[0:3], 0 offset:52
	v_mov_b32_e32 v64, 0
	buffer_store_dword v64, off, s[0:3], 0 offset:48
	buffer_store_dword v64, off, s[0:3], 0 offset:52
	s_waitcnt vmcnt(2)
	ds_write_b64 v61, v[62:63]
.LBB29_175:
	s_or_b64 exec, exec, s[4:5]
	s_waitcnt lgkmcnt(0)
	; wave barrier
	buffer_load_dword v71, off, s[0:3], 0 offset:56
	buffer_load_dword v72, off, s[0:3], 0 offset:60
	;; [unrolled: 1-line block ×21, first 2 shown]
	v_mov_b32_e32 v62, 0
	ds_read2_b64 v[63:66], v62 offset0:37 offset1:38
	ds_read2_b64 v[67:70], v62 offset0:39 offset1:40
	buffer_load_dword v88, off, s[0:3], 0 offset:140
	v_cmp_lt_u32_e32 vcc, 5, v0
	s_waitcnt vmcnt(20) lgkmcnt(1)
	v_fma_f64 v[63:64], v[71:72], v[63:64], 0
	s_waitcnt vmcnt(18)
	v_fma_f64 v[63:64], v[73:74], v[65:66], v[63:64]
	buffer_load_dword v72, off, s[0:3], 0 offset:148
	buffer_load_dword v73, off, s[0:3], 0 offset:168
	;; [unrolled: 1-line block ×7, first 2 shown]
	s_waitcnt vmcnt(23) lgkmcnt(0)
	v_fma_f64 v[63:64], v[75:76], v[67:68], v[63:64]
	s_waitcnt vmcnt(21)
	v_fma_f64 v[74:75], v[77:78], v[69:70], v[63:64]
	ds_read2_b64 v[63:66], v62 offset0:41 offset1:42
	ds_read2_b64 v[67:70], v62 offset0:43 offset1:44
	s_waitcnt vmcnt(19) lgkmcnt(1)
	v_fma_f64 v[63:64], v[79:80], v[63:64], v[74:75]
	buffer_load_dword v74, off, s[0:3], 0 offset:172
	s_waitcnt vmcnt(18)
	v_fma_f64 v[63:64], v[81:82], v[65:66], v[63:64]
	buffer_load_dword v76, off, s[0:3], 0 offset:180
	buffer_load_dword v77, off, s[0:3], 0 offset:200
	;; [unrolled: 1-line block ×8, first 2 shown]
	s_waitcnt vmcnt(24) lgkmcnt(0)
	v_fma_f64 v[63:64], v[83:84], v[67:68], v[63:64]
	s_waitcnt vmcnt(19)
	v_fma_f64 v[83:84], v[85:86], v[69:70], v[63:64]
	ds_read2_b64 v[63:66], v62 offset0:45 offset1:46
	ds_read2_b64 v[67:70], v62 offset0:47 offset1:48
	s_waitcnt vmcnt(18) lgkmcnt(1)
	v_fma_f64 v[63:64], v[91:92], v[63:64], v[83:84]
	s_waitcnt vmcnt(17)
	v_fma_f64 v[63:64], v[89:90], v[65:66], v[63:64]
	buffer_load_dword v84, off, s[0:3], 0 offset:212
	buffer_load_dword v85, off, s[0:3], 0 offset:232
	;; [unrolled: 1-line block ×8, first 2 shown]
	s_waitcnt vmcnt(24) lgkmcnt(0)
	v_fma_f64 v[63:64], v[87:88], v[67:68], v[63:64]
	s_waitcnt vmcnt(19)
	v_fma_f64 v[71:72], v[71:72], v[69:70], v[63:64]
	ds_read2_b64 v[63:66], v62 offset0:49 offset1:50
	ds_read2_b64 v[67:70], v62 offset0:51 offset1:52
	s_waitcnt vmcnt(18) lgkmcnt(1)
	v_fma_f64 v[63:64], v[95:96], v[63:64], v[71:72]
	buffer_load_dword v71, off, s[0:3], 0 offset:48
	buffer_load_dword v72, off, s[0:3], 0 offset:52
	s_waitcnt vmcnt(19)
	v_fma_f64 v[63:64], v[93:94], v[65:66], v[63:64]
	s_waitcnt vmcnt(18) lgkmcnt(0)
	v_fma_f64 v[63:64], v[73:74], v[67:68], v[63:64]
	s_waitcnt vmcnt(13)
	v_fma_f64 v[73:74], v[75:76], v[69:70], v[63:64]
	ds_read2_b64 v[63:66], v62 offset0:53 offset1:54
	ds_read2_b64 v[67:70], v62 offset0:55 offset1:56
	s_waitcnt vmcnt(12) lgkmcnt(1)
	v_fma_f64 v[63:64], v[81:82], v[63:64], v[73:74]
	s_waitcnt vmcnt(11)
	v_fma_f64 v[63:64], v[79:80], v[65:66], v[63:64]
	s_waitcnt vmcnt(10) lgkmcnt(0)
	v_fma_f64 v[63:64], v[77:78], v[67:68], v[63:64]
	s_waitcnt vmcnt(5)
	v_fma_f64 v[67:68], v[83:84], v[69:70], v[63:64]
	ds_read2_b64 v[63:66], v62 offset0:57 offset1:58
	ds_read_b64 v[69:70], v62 offset:472
	s_waitcnt vmcnt(4) lgkmcnt(1)
	v_fma_f64 v[63:64], v[91:92], v[63:64], v[67:68]
	s_waitcnt vmcnt(3)
	v_fma_f64 v[63:64], v[89:90], v[65:66], v[63:64]
	s_waitcnt vmcnt(2) lgkmcnt(0)
	v_fma_f64 v[63:64], v[85:86], v[69:70], v[63:64]
	s_waitcnt vmcnt(0)
	v_add_f64 v[63:64], v[71:72], -v[63:64]
	buffer_store_dword v64, off, s[0:3], 0 offset:52
	buffer_store_dword v63, off, s[0:3], 0 offset:48
	s_and_saveexec_b64 s[4:5], vcc
	s_cbranch_execz .LBB29_177
; %bb.176:
	buffer_load_dword v63, off, s[0:3], 0 offset:40
	buffer_load_dword v64, off, s[0:3], 0 offset:44
	s_waitcnt vmcnt(0)
	ds_write_b64 v61, v[63:64]
	buffer_store_dword v62, off, s[0:3], 0 offset:40
	buffer_store_dword v62, off, s[0:3], 0 offset:44
.LBB29_177:
	s_or_b64 exec, exec, s[4:5]
	s_waitcnt lgkmcnt(0)
	; wave barrier
	buffer_load_dword v71, off, s[0:3], 0 offset:48
	buffer_load_dword v72, off, s[0:3], 0 offset:52
	;; [unrolled: 1-line block ×21, first 2 shown]
	ds_read_b128 v[63:66], v62 offset:288
	ds_read_b128 v[67:70], v62 offset:304
	buffer_load_dword v88, off, s[0:3], 0 offset:132
	v_cmp_lt_u32_e32 vcc, 4, v0
	s_waitcnt vmcnt(20) lgkmcnt(1)
	v_fma_f64 v[63:64], v[71:72], v[63:64], 0
	s_waitcnt vmcnt(18)
	v_fma_f64 v[63:64], v[73:74], v[65:66], v[63:64]
	buffer_load_dword v72, off, s[0:3], 0 offset:140
	buffer_load_dword v73, off, s[0:3], 0 offset:160
	;; [unrolled: 1-line block ×7, first 2 shown]
	s_waitcnt vmcnt(23) lgkmcnt(0)
	v_fma_f64 v[63:64], v[75:76], v[67:68], v[63:64]
	s_waitcnt vmcnt(21)
	v_fma_f64 v[74:75], v[77:78], v[69:70], v[63:64]
	ds_read_b128 v[63:66], v62 offset:320
	ds_read_b128 v[67:70], v62 offset:336
	s_waitcnt vmcnt(19) lgkmcnt(1)
	v_fma_f64 v[63:64], v[79:80], v[63:64], v[74:75]
	buffer_load_dword v74, off, s[0:3], 0 offset:164
	s_waitcnt vmcnt(18)
	v_fma_f64 v[63:64], v[81:82], v[65:66], v[63:64]
	buffer_load_dword v76, off, s[0:3], 0 offset:172
	buffer_load_dword v77, off, s[0:3], 0 offset:192
	;; [unrolled: 1-line block ×8, first 2 shown]
	s_waitcnt vmcnt(24) lgkmcnt(0)
	v_fma_f64 v[63:64], v[83:84], v[67:68], v[63:64]
	s_waitcnt vmcnt(19)
	v_fma_f64 v[83:84], v[85:86], v[69:70], v[63:64]
	ds_read_b128 v[63:66], v62 offset:352
	ds_read_b128 v[67:70], v62 offset:368
	s_waitcnt vmcnt(18) lgkmcnt(1)
	v_fma_f64 v[63:64], v[91:92], v[63:64], v[83:84]
	s_waitcnt vmcnt(17)
	v_fma_f64 v[63:64], v[89:90], v[65:66], v[63:64]
	buffer_load_dword v84, off, s[0:3], 0 offset:204
	buffer_load_dword v85, off, s[0:3], 0 offset:224
	;; [unrolled: 1-line block ×8, first 2 shown]
	s_waitcnt vmcnt(24) lgkmcnt(0)
	v_fma_f64 v[63:64], v[87:88], v[67:68], v[63:64]
	s_waitcnt vmcnt(19)
	v_fma_f64 v[71:72], v[71:72], v[69:70], v[63:64]
	ds_read_b128 v[63:66], v62 offset:384
	ds_read_b128 v[67:70], v62 offset:400
	s_waitcnt vmcnt(18) lgkmcnt(1)
	v_fma_f64 v[63:64], v[95:96], v[63:64], v[71:72]
	buffer_load_dword v72, off, s[0:3], 0 offset:236
	buffer_load_dword v71, off, s[0:3], 0 offset:232
	;; [unrolled: 1-line block ×4, first 2 shown]
	s_waitcnt vmcnt(21)
	v_fma_f64 v[63:64], v[93:94], v[65:66], v[63:64]
	s_waitcnt vmcnt(20) lgkmcnt(0)
	v_fma_f64 v[63:64], v[73:74], v[67:68], v[63:64]
	s_waitcnt vmcnt(15)
	v_fma_f64 v[73:74], v[75:76], v[69:70], v[63:64]
	ds_read_b128 v[63:66], v62 offset:416
	ds_read_b128 v[67:70], v62 offset:432
	s_waitcnt vmcnt(14) lgkmcnt(1)
	v_fma_f64 v[63:64], v[81:82], v[63:64], v[73:74]
	s_waitcnt vmcnt(13)
	v_fma_f64 v[63:64], v[79:80], v[65:66], v[63:64]
	s_waitcnt vmcnt(12) lgkmcnt(0)
	v_fma_f64 v[63:64], v[77:78], v[67:68], v[63:64]
	s_waitcnt vmcnt(7)
	v_fma_f64 v[73:74], v[83:84], v[69:70], v[63:64]
	ds_read_b128 v[63:66], v62 offset:448
	ds_read_b128 v[67:70], v62 offset:464
	s_waitcnt vmcnt(6) lgkmcnt(1)
	v_fma_f64 v[62:63], v[91:92], v[63:64], v[73:74]
	s_waitcnt vmcnt(5)
	v_fma_f64 v[62:63], v[89:90], v[65:66], v[62:63]
	s_waitcnt vmcnt(4) lgkmcnt(0)
	v_fma_f64 v[62:63], v[85:86], v[67:68], v[62:63]
	s_waitcnt vmcnt(2)
	v_fma_f64 v[62:63], v[71:72], v[69:70], v[62:63]
	s_waitcnt vmcnt(0)
	v_add_f64 v[62:63], v[87:88], -v[62:63]
	buffer_store_dword v63, off, s[0:3], 0 offset:44
	buffer_store_dword v62, off, s[0:3], 0 offset:40
	s_and_saveexec_b64 s[4:5], vcc
	s_cbranch_execz .LBB29_179
; %bb.178:
	buffer_load_dword v62, off, s[0:3], 0 offset:32
	buffer_load_dword v63, off, s[0:3], 0 offset:36
	v_mov_b32_e32 v64, 0
	buffer_store_dword v64, off, s[0:3], 0 offset:32
	buffer_store_dword v64, off, s[0:3], 0 offset:36
	s_waitcnt vmcnt(2)
	ds_write_b64 v61, v[62:63]
.LBB29_179:
	s_or_b64 exec, exec, s[4:5]
	s_waitcnt lgkmcnt(0)
	; wave barrier
	buffer_load_dword v71, off, s[0:3], 0 offset:40
	buffer_load_dword v72, off, s[0:3], 0 offset:44
	;; [unrolled: 1-line block ×21, first 2 shown]
	v_mov_b32_e32 v62, 0
	ds_read2_b64 v[63:66], v62 offset0:35 offset1:36
	ds_read2_b64 v[67:70], v62 offset0:37 offset1:38
	buffer_load_dword v88, off, s[0:3], 0 offset:124
	v_cmp_lt_u32_e32 vcc, 3, v0
	s_waitcnt vmcnt(20) lgkmcnt(1)
	v_fma_f64 v[63:64], v[71:72], v[63:64], 0
	s_waitcnt vmcnt(18)
	v_fma_f64 v[63:64], v[73:74], v[65:66], v[63:64]
	buffer_load_dword v72, off, s[0:3], 0 offset:132
	buffer_load_dword v73, off, s[0:3], 0 offset:152
	;; [unrolled: 1-line block ×7, first 2 shown]
	s_waitcnt vmcnt(23) lgkmcnt(0)
	v_fma_f64 v[63:64], v[75:76], v[67:68], v[63:64]
	s_waitcnt vmcnt(21)
	v_fma_f64 v[74:75], v[77:78], v[69:70], v[63:64]
	ds_read2_b64 v[63:66], v62 offset0:39 offset1:40
	ds_read2_b64 v[67:70], v62 offset0:41 offset1:42
	s_waitcnt vmcnt(19) lgkmcnt(1)
	v_fma_f64 v[63:64], v[79:80], v[63:64], v[74:75]
	buffer_load_dword v74, off, s[0:3], 0 offset:156
	s_waitcnt vmcnt(18)
	v_fma_f64 v[63:64], v[81:82], v[65:66], v[63:64]
	buffer_load_dword v76, off, s[0:3], 0 offset:164
	buffer_load_dword v77, off, s[0:3], 0 offset:184
	;; [unrolled: 1-line block ×8, first 2 shown]
	s_waitcnt vmcnt(24) lgkmcnt(0)
	v_fma_f64 v[63:64], v[83:84], v[67:68], v[63:64]
	s_waitcnt vmcnt(19)
	v_fma_f64 v[83:84], v[85:86], v[69:70], v[63:64]
	ds_read2_b64 v[63:66], v62 offset0:43 offset1:44
	ds_read2_b64 v[67:70], v62 offset0:45 offset1:46
	s_waitcnt vmcnt(18) lgkmcnt(1)
	v_fma_f64 v[63:64], v[91:92], v[63:64], v[83:84]
	s_waitcnt vmcnt(17)
	v_fma_f64 v[63:64], v[89:90], v[65:66], v[63:64]
	buffer_load_dword v84, off, s[0:3], 0 offset:196
	buffer_load_dword v85, off, s[0:3], 0 offset:216
	;; [unrolled: 1-line block ×7, first 2 shown]
	s_waitcnt vmcnt(23) lgkmcnt(0)
	v_fma_f64 v[63:64], v[87:88], v[67:68], v[63:64]
	s_waitcnt vmcnt(18)
	v_fma_f64 v[71:72], v[71:72], v[69:70], v[63:64]
	ds_read2_b64 v[63:66], v62 offset0:47 offset1:48
	ds_read2_b64 v[67:70], v62 offset0:49 offset1:50
	buffer_load_dword v86, off, s[0:3], 0 offset:220
	s_waitcnt vmcnt(18) lgkmcnt(1)
	v_fma_f64 v[63:64], v[95:96], v[63:64], v[71:72]
	buffer_load_dword v72, off, s[0:3], 0 offset:228
	buffer_load_dword v87, off, s[0:3], 0 offset:232
	;; [unrolled: 1-line block ×4, first 2 shown]
	s_waitcnt vmcnt(21)
	v_fma_f64 v[63:64], v[93:94], v[65:66], v[63:64]
	s_waitcnt vmcnt(20) lgkmcnt(0)
	v_fma_f64 v[63:64], v[73:74], v[67:68], v[63:64]
	buffer_load_dword v73, off, s[0:3], 0 offset:32
	buffer_load_dword v74, off, s[0:3], 0 offset:36
	s_waitcnt vmcnt(17)
	v_fma_f64 v[75:76], v[75:76], v[69:70], v[63:64]
	ds_read2_b64 v[63:66], v62 offset0:51 offset1:52
	ds_read2_b64 v[67:70], v62 offset0:53 offset1:54
	s_waitcnt vmcnt(16) lgkmcnt(1)
	v_fma_f64 v[63:64], v[81:82], v[63:64], v[75:76]
	s_waitcnt vmcnt(15)
	v_fma_f64 v[63:64], v[79:80], v[65:66], v[63:64]
	s_waitcnt vmcnt(14) lgkmcnt(0)
	v_fma_f64 v[63:64], v[77:78], v[67:68], v[63:64]
	s_waitcnt vmcnt(9)
	v_fma_f64 v[75:76], v[83:84], v[69:70], v[63:64]
	ds_read2_b64 v[63:66], v62 offset0:55 offset1:56
	ds_read2_b64 v[67:70], v62 offset0:57 offset1:58
	s_waitcnt vmcnt(8) lgkmcnt(1)
	v_fma_f64 v[63:64], v[91:92], v[63:64], v[75:76]
	s_waitcnt vmcnt(7)
	v_fma_f64 v[63:64], v[89:90], v[65:66], v[63:64]
	ds_read_b64 v[65:66], v62 offset:472
	s_waitcnt vmcnt(6) lgkmcnt(1)
	v_fma_f64 v[63:64], v[85:86], v[67:68], v[63:64]
	s_waitcnt vmcnt(3)
	v_fma_f64 v[63:64], v[71:72], v[69:70], v[63:64]
	s_waitcnt vmcnt(2) lgkmcnt(0)
	v_fma_f64 v[63:64], v[87:88], v[65:66], v[63:64]
	s_waitcnt vmcnt(0)
	v_add_f64 v[63:64], v[73:74], -v[63:64]
	buffer_store_dword v64, off, s[0:3], 0 offset:36
	buffer_store_dword v63, off, s[0:3], 0 offset:32
	s_and_saveexec_b64 s[4:5], vcc
	s_cbranch_execz .LBB29_181
; %bb.180:
	buffer_load_dword v63, off, s[0:3], 0 offset:24
	buffer_load_dword v64, off, s[0:3], 0 offset:28
	s_waitcnt vmcnt(0)
	ds_write_b64 v61, v[63:64]
	buffer_store_dword v62, off, s[0:3], 0 offset:24
	buffer_store_dword v62, off, s[0:3], 0 offset:28
.LBB29_181:
	s_or_b64 exec, exec, s[4:5]
	s_waitcnt lgkmcnt(0)
	; wave barrier
	buffer_load_dword v71, off, s[0:3], 0 offset:32
	buffer_load_dword v72, off, s[0:3], 0 offset:36
	;; [unrolled: 1-line block ×22, first 2 shown]
	ds_read_b128 v[63:66], v62 offset:272
	ds_read_b128 v[67:70], v62 offset:288
	v_cmp_lt_u32_e32 vcc, 2, v0
	s_waitcnt vmcnt(20) lgkmcnt(1)
	v_fma_f64 v[63:64], v[71:72], v[63:64], 0
	s_waitcnt vmcnt(18)
	v_fma_f64 v[63:64], v[73:74], v[65:66], v[63:64]
	buffer_load_dword v72, off, s[0:3], 0 offset:124
	buffer_load_dword v73, off, s[0:3], 0 offset:144
	;; [unrolled: 1-line block ×7, first 2 shown]
	s_waitcnt vmcnt(23) lgkmcnt(0)
	v_fma_f64 v[63:64], v[75:76], v[67:68], v[63:64]
	s_waitcnt vmcnt(21)
	v_fma_f64 v[74:75], v[77:78], v[69:70], v[63:64]
	ds_read_b128 v[63:66], v62 offset:304
	ds_read_b128 v[67:70], v62 offset:320
	s_waitcnt vmcnt(19) lgkmcnt(1)
	v_fma_f64 v[63:64], v[79:80], v[63:64], v[74:75]
	buffer_load_dword v74, off, s[0:3], 0 offset:148
	s_waitcnt vmcnt(18)
	v_fma_f64 v[63:64], v[81:82], v[65:66], v[63:64]
	buffer_load_dword v76, off, s[0:3], 0 offset:156
	buffer_load_dword v77, off, s[0:3], 0 offset:176
	;; [unrolled: 1-line block ×8, first 2 shown]
	s_waitcnt vmcnt(24) lgkmcnt(0)
	v_fma_f64 v[63:64], v[83:84], v[67:68], v[63:64]
	s_waitcnt vmcnt(19)
	v_fma_f64 v[83:84], v[85:86], v[69:70], v[63:64]
	ds_read_b128 v[63:66], v62 offset:336
	ds_read_b128 v[67:70], v62 offset:352
	s_waitcnt vmcnt(18) lgkmcnt(1)
	v_fma_f64 v[63:64], v[91:92], v[63:64], v[83:84]
	s_waitcnt vmcnt(17)
	v_fma_f64 v[63:64], v[89:90], v[65:66], v[63:64]
	buffer_load_dword v84, off, s[0:3], 0 offset:188
	buffer_load_dword v85, off, s[0:3], 0 offset:208
	;; [unrolled: 1-line block ×8, first 2 shown]
	s_waitcnt vmcnt(24) lgkmcnt(0)
	v_fma_f64 v[63:64], v[87:88], v[67:68], v[63:64]
	s_waitcnt vmcnt(19)
	v_fma_f64 v[71:72], v[71:72], v[69:70], v[63:64]
	ds_read_b128 v[63:66], v62 offset:368
	ds_read_b128 v[67:70], v62 offset:384
	s_waitcnt vmcnt(18) lgkmcnt(1)
	v_fma_f64 v[63:64], v[95:96], v[63:64], v[71:72]
	s_waitcnt vmcnt(17)
	v_fma_f64 v[63:64], v[93:94], v[65:66], v[63:64]
	buffer_load_dword v72, off, s[0:3], 0 offset:220
	buffer_load_dword v87, off, s[0:3], 0 offset:232
	;; [unrolled: 1-line block ×6, first 2 shown]
	s_waitcnt vmcnt(22) lgkmcnt(0)
	v_fma_f64 v[63:64], v[73:74], v[67:68], v[63:64]
	s_waitcnt vmcnt(17)
	v_fma_f64 v[73:74], v[75:76], v[69:70], v[63:64]
	ds_read_b128 v[63:66], v62 offset:400
	buffer_load_dword v75, off, s[0:3], 0 offset:24
	buffer_load_dword v76, off, s[0:3], 0 offset:28
	ds_read_b128 v[67:70], v62 offset:416
	s_waitcnt vmcnt(18) lgkmcnt(1)
	v_fma_f64 v[63:64], v[81:82], v[63:64], v[73:74]
	s_waitcnt vmcnt(17)
	v_fma_f64 v[63:64], v[79:80], v[65:66], v[63:64]
	s_waitcnt vmcnt(16) lgkmcnt(0)
	v_fma_f64 v[63:64], v[77:78], v[67:68], v[63:64]
	s_waitcnt vmcnt(11)
	v_fma_f64 v[73:74], v[83:84], v[69:70], v[63:64]
	ds_read_b128 v[63:66], v62 offset:432
	ds_read_b128 v[67:70], v62 offset:448
	s_waitcnt vmcnt(10) lgkmcnt(1)
	v_fma_f64 v[63:64], v[91:92], v[63:64], v[73:74]
	s_waitcnt vmcnt(9)
	v_fma_f64 v[63:64], v[89:90], v[65:66], v[63:64]
	s_waitcnt vmcnt(8) lgkmcnt(0)
	v_fma_f64 v[63:64], v[85:86], v[67:68], v[63:64]
	s_waitcnt vmcnt(4)
	v_fma_f64 v[66:67], v[71:72], v[69:70], v[63:64]
	ds_read_b128 v[62:65], v62 offset:464
	s_waitcnt vmcnt(3) lgkmcnt(0)
	v_fma_f64 v[62:63], v[93:94], v[62:63], v[66:67]
	s_waitcnt vmcnt(2)
	v_fma_f64 v[62:63], v[87:88], v[64:65], v[62:63]
	s_waitcnt vmcnt(0)
	v_add_f64 v[62:63], v[75:76], -v[62:63]
	buffer_store_dword v63, off, s[0:3], 0 offset:28
	buffer_store_dword v62, off, s[0:3], 0 offset:24
	s_and_saveexec_b64 s[4:5], vcc
	s_cbranch_execz .LBB29_183
; %bb.182:
	buffer_load_dword v62, off, s[0:3], 0 offset:16
	buffer_load_dword v63, off, s[0:3], 0 offset:20
	v_mov_b32_e32 v64, 0
	buffer_store_dword v64, off, s[0:3], 0 offset:16
	buffer_store_dword v64, off, s[0:3], 0 offset:20
	s_waitcnt vmcnt(2)
	ds_write_b64 v61, v[62:63]
.LBB29_183:
	s_or_b64 exec, exec, s[4:5]
	s_waitcnt lgkmcnt(0)
	; wave barrier
	buffer_load_dword v71, off, s[0:3], 0 offset:24
	buffer_load_dword v72, off, s[0:3], 0 offset:28
	;; [unrolled: 1-line block ×22, first 2 shown]
	v_mov_b32_e32 v62, 0
	ds_read2_b64 v[63:66], v62 offset0:33 offset1:34
	ds_read2_b64 v[67:70], v62 offset0:35 offset1:36
	v_cmp_lt_u32_e32 vcc, 1, v0
	s_waitcnt vmcnt(20) lgkmcnt(1)
	v_fma_f64 v[63:64], v[71:72], v[63:64], 0
	s_waitcnt vmcnt(18)
	v_fma_f64 v[63:64], v[73:74], v[65:66], v[63:64]
	buffer_load_dword v72, off, s[0:3], 0 offset:116
	buffer_load_dword v73, off, s[0:3], 0 offset:136
	;; [unrolled: 1-line block ×7, first 2 shown]
	s_waitcnt vmcnt(23) lgkmcnt(0)
	v_fma_f64 v[63:64], v[75:76], v[67:68], v[63:64]
	s_waitcnt vmcnt(21)
	v_fma_f64 v[74:75], v[77:78], v[69:70], v[63:64]
	ds_read2_b64 v[63:66], v62 offset0:37 offset1:38
	ds_read2_b64 v[67:70], v62 offset0:39 offset1:40
	s_waitcnt vmcnt(19) lgkmcnt(1)
	v_fma_f64 v[63:64], v[79:80], v[63:64], v[74:75]
	buffer_load_dword v74, off, s[0:3], 0 offset:140
	s_waitcnt vmcnt(18)
	v_fma_f64 v[63:64], v[81:82], v[65:66], v[63:64]
	buffer_load_dword v76, off, s[0:3], 0 offset:148
	buffer_load_dword v77, off, s[0:3], 0 offset:168
	buffer_load_dword v79, off, s[0:3], 0 offset:160
	buffer_load_dword v81, off, s[0:3], 0 offset:152
	buffer_load_dword v75, off, s[0:3], 0 offset:144
	buffer_load_dword v82, off, s[0:3], 0 offset:156
	buffer_load_dword v80, off, s[0:3], 0 offset:164
	buffer_load_dword v78, off, s[0:3], 0 offset:172
	s_waitcnt vmcnt(24) lgkmcnt(0)
	v_fma_f64 v[63:64], v[83:84], v[67:68], v[63:64]
	s_waitcnt vmcnt(19)
	v_fma_f64 v[83:84], v[85:86], v[69:70], v[63:64]
	ds_read2_b64 v[63:66], v62 offset0:41 offset1:42
	ds_read2_b64 v[67:70], v62 offset0:43 offset1:44
	s_waitcnt vmcnt(18) lgkmcnt(1)
	v_fma_f64 v[63:64], v[91:92], v[63:64], v[83:84]
	s_waitcnt vmcnt(17)
	v_fma_f64 v[63:64], v[89:90], v[65:66], v[63:64]
	buffer_load_dword v84, off, s[0:3], 0 offset:180
	buffer_load_dword v85, off, s[0:3], 0 offset:200
	buffer_load_dword v89, off, s[0:3], 0 offset:192
	buffer_load_dword v91, off, s[0:3], 0 offset:184
	buffer_load_dword v83, off, s[0:3], 0 offset:176
	buffer_load_dword v92, off, s[0:3], 0 offset:188
	buffer_load_dword v90, off, s[0:3], 0 offset:196
	buffer_load_dword v86, off, s[0:3], 0 offset:204
	s_waitcnt vmcnt(24) lgkmcnt(0)
	v_fma_f64 v[63:64], v[87:88], v[67:68], v[63:64]
	s_waitcnt vmcnt(19)
	v_fma_f64 v[71:72], v[71:72], v[69:70], v[63:64]
	ds_read2_b64 v[63:66], v62 offset0:45 offset1:46
	ds_read2_b64 v[67:70], v62 offset0:47 offset1:48
	s_waitcnt vmcnt(18) lgkmcnt(1)
	v_fma_f64 v[63:64], v[95:96], v[63:64], v[71:72]
	;; [unrolled: 18-line block ×3, first 2 shown]
	buffer_load_dword v73, off, s[0:3], 0 offset:16
	buffer_load_dword v74, off, s[0:3], 0 offset:20
	s_waitcnt vmcnt(19)
	v_fma_f64 v[63:64], v[79:80], v[65:66], v[63:64]
	s_waitcnt vmcnt(18) lgkmcnt(0)
	v_fma_f64 v[63:64], v[77:78], v[67:68], v[63:64]
	s_waitcnt vmcnt(13)
	v_fma_f64 v[75:76], v[83:84], v[69:70], v[63:64]
	ds_read2_b64 v[63:66], v62 offset0:53 offset1:54
	ds_read2_b64 v[67:70], v62 offset0:55 offset1:56
	s_waitcnt vmcnt(12) lgkmcnt(1)
	v_fma_f64 v[63:64], v[91:92], v[63:64], v[75:76]
	s_waitcnt vmcnt(11)
	v_fma_f64 v[63:64], v[89:90], v[65:66], v[63:64]
	s_waitcnt vmcnt(10) lgkmcnt(0)
	v_fma_f64 v[63:64], v[85:86], v[67:68], v[63:64]
	s_waitcnt vmcnt(5)
	v_fma_f64 v[67:68], v[71:72], v[69:70], v[63:64]
	ds_read2_b64 v[63:66], v62 offset0:57 offset1:58
	ds_read_b64 v[69:70], v62 offset:472
	s_waitcnt vmcnt(4) lgkmcnt(1)
	v_fma_f64 v[63:64], v[95:96], v[63:64], v[67:68]
	s_waitcnt vmcnt(3)
	v_fma_f64 v[63:64], v[93:94], v[65:66], v[63:64]
	s_waitcnt vmcnt(2) lgkmcnt(0)
	v_fma_f64 v[63:64], v[87:88], v[69:70], v[63:64]
	s_waitcnt vmcnt(0)
	v_add_f64 v[63:64], v[73:74], -v[63:64]
	buffer_store_dword v64, off, s[0:3], 0 offset:20
	buffer_store_dword v63, off, s[0:3], 0 offset:16
	s_and_saveexec_b64 s[4:5], vcc
	s_cbranch_execz .LBB29_185
; %bb.184:
	buffer_load_dword v63, off, s[0:3], 0 offset:8
	buffer_load_dword v64, off, s[0:3], 0 offset:12
	s_waitcnt vmcnt(0)
	ds_write_b64 v61, v[63:64]
	buffer_store_dword v62, off, s[0:3], 0 offset:8
	buffer_store_dword v62, off, s[0:3], 0 offset:12
.LBB29_185:
	s_or_b64 exec, exec, s[4:5]
	s_waitcnt lgkmcnt(0)
	; wave barrier
	buffer_load_dword v71, off, s[0:3], 0 offset:16
	buffer_load_dword v72, off, s[0:3], 0 offset:20
	;; [unrolled: 1-line block ×22, first 2 shown]
	ds_read_b128 v[63:66], v62 offset:256
	ds_read_b128 v[67:70], v62 offset:272
	v_cmp_ne_u32_e32 vcc, 0, v0
	s_waitcnt vmcnt(20) lgkmcnt(1)
	v_fma_f64 v[63:64], v[71:72], v[63:64], 0
	s_waitcnt vmcnt(18)
	v_fma_f64 v[63:64], v[73:74], v[65:66], v[63:64]
	buffer_load_dword v72, off, s[0:3], 0 offset:108
	buffer_load_dword v73, off, s[0:3], 0 offset:128
	;; [unrolled: 1-line block ×7, first 2 shown]
	s_waitcnt vmcnt(23) lgkmcnt(0)
	v_fma_f64 v[63:64], v[75:76], v[67:68], v[63:64]
	s_waitcnt vmcnt(21)
	v_fma_f64 v[74:75], v[77:78], v[69:70], v[63:64]
	ds_read_b128 v[63:66], v62 offset:288
	ds_read_b128 v[67:70], v62 offset:304
	s_waitcnt vmcnt(19) lgkmcnt(1)
	v_fma_f64 v[63:64], v[79:80], v[63:64], v[74:75]
	buffer_load_dword v74, off, s[0:3], 0 offset:132
	s_waitcnt vmcnt(18)
	v_fma_f64 v[63:64], v[81:82], v[65:66], v[63:64]
	buffer_load_dword v76, off, s[0:3], 0 offset:140
	buffer_load_dword v77, off, s[0:3], 0 offset:160
	buffer_load_dword v79, off, s[0:3], 0 offset:152
	buffer_load_dword v81, off, s[0:3], 0 offset:144
	buffer_load_dword v75, off, s[0:3], 0 offset:136
	buffer_load_dword v82, off, s[0:3], 0 offset:148
	buffer_load_dword v80, off, s[0:3], 0 offset:156
	buffer_load_dword v78, off, s[0:3], 0 offset:164
	s_waitcnt vmcnt(24) lgkmcnt(0)
	v_fma_f64 v[63:64], v[83:84], v[67:68], v[63:64]
	s_waitcnt vmcnt(19)
	v_fma_f64 v[83:84], v[85:86], v[69:70], v[63:64]
	ds_read_b128 v[63:66], v62 offset:320
	ds_read_b128 v[67:70], v62 offset:336
	s_waitcnt vmcnt(18) lgkmcnt(1)
	v_fma_f64 v[63:64], v[91:92], v[63:64], v[83:84]
	s_waitcnt vmcnt(17)
	v_fma_f64 v[63:64], v[89:90], v[65:66], v[63:64]
	buffer_load_dword v84, off, s[0:3], 0 offset:172
	buffer_load_dword v85, off, s[0:3], 0 offset:192
	buffer_load_dword v89, off, s[0:3], 0 offset:184
	buffer_load_dword v91, off, s[0:3], 0 offset:176
	buffer_load_dword v83, off, s[0:3], 0 offset:168
	buffer_load_dword v92, off, s[0:3], 0 offset:180
	buffer_load_dword v90, off, s[0:3], 0 offset:188
	buffer_load_dword v86, off, s[0:3], 0 offset:196
	s_waitcnt vmcnt(24) lgkmcnt(0)
	v_fma_f64 v[63:64], v[87:88], v[67:68], v[63:64]
	s_waitcnt vmcnt(19)
	v_fma_f64 v[71:72], v[71:72], v[69:70], v[63:64]
	ds_read_b128 v[63:66], v62 offset:352
	ds_read_b128 v[67:70], v62 offset:368
	s_waitcnt vmcnt(18) lgkmcnt(1)
	v_fma_f64 v[63:64], v[95:96], v[63:64], v[71:72]
	;; [unrolled: 18-line block ×3, first 2 shown]
	buffer_load_dword v74, off, s[0:3], 0 offset:236
	buffer_load_dword v73, off, s[0:3], 0 offset:232
	;; [unrolled: 1-line block ×4, first 2 shown]
	s_waitcnt vmcnt(21)
	v_fma_f64 v[63:64], v[79:80], v[65:66], v[63:64]
	s_waitcnt vmcnt(20) lgkmcnt(0)
	v_fma_f64 v[63:64], v[77:78], v[67:68], v[63:64]
	s_waitcnt vmcnt(15)
	v_fma_f64 v[77:78], v[83:84], v[69:70], v[63:64]
	ds_read_b128 v[63:66], v62 offset:416
	ds_read_b128 v[67:70], v62 offset:432
	s_waitcnt vmcnt(14) lgkmcnt(1)
	v_fma_f64 v[63:64], v[91:92], v[63:64], v[77:78]
	s_waitcnt vmcnt(13)
	v_fma_f64 v[63:64], v[89:90], v[65:66], v[63:64]
	s_waitcnt vmcnt(12) lgkmcnt(0)
	v_fma_f64 v[63:64], v[85:86], v[67:68], v[63:64]
	s_waitcnt vmcnt(7)
	v_fma_f64 v[71:72], v[71:72], v[69:70], v[63:64]
	ds_read_b128 v[63:66], v62 offset:448
	ds_read_b128 v[67:70], v62 offset:464
	s_waitcnt vmcnt(6) lgkmcnt(1)
	v_fma_f64 v[62:63], v[95:96], v[63:64], v[71:72]
	s_waitcnt vmcnt(5)
	v_fma_f64 v[62:63], v[93:94], v[65:66], v[62:63]
	s_waitcnt vmcnt(4) lgkmcnt(0)
	v_fma_f64 v[62:63], v[87:88], v[67:68], v[62:63]
	s_waitcnt vmcnt(2)
	v_fma_f64 v[62:63], v[73:74], v[69:70], v[62:63]
	s_waitcnt vmcnt(0)
	v_add_f64 v[62:63], v[75:76], -v[62:63]
	buffer_store_dword v63, off, s[0:3], 0 offset:12
	buffer_store_dword v62, off, s[0:3], 0 offset:8
	s_and_saveexec_b64 s[4:5], vcc
	s_cbranch_execz .LBB29_187
; %bb.186:
	buffer_load_dword v62, off, s[0:3], 0
	buffer_load_dword v63, off, s[0:3], 0 offset:4
	v_mov_b32_e32 v0, 0
	buffer_store_dword v0, off, s[0:3], 0
	buffer_store_dword v0, off, s[0:3], 0 offset:4
	s_waitcnt vmcnt(2)
	ds_write_b64 v61, v[62:63]
.LBB29_187:
	s_or_b64 exec, exec, s[4:5]
	s_waitcnt lgkmcnt(0)
	; wave barrier
	buffer_load_dword v69, off, s[0:3], 0 offset:8
	buffer_load_dword v70, off, s[0:3], 0 offset:12
	;; [unrolled: 1-line block ×22, first 2 shown]
	v_mov_b32_e32 v0, 0
	ds_read2_b64 v[61:64], v0 offset0:31 offset1:32
	ds_read2_b64 v[65:68], v0 offset0:33 offset1:34
	s_and_b64 vcc, exec, s[22:23]
	s_waitcnt vmcnt(20) lgkmcnt(1)
	v_fma_f64 v[61:62], v[69:70], v[61:62], 0
	s_waitcnt vmcnt(18)
	v_fma_f64 v[61:62], v[71:72], v[63:64], v[61:62]
	buffer_load_dword v70, off, s[0:3], 0 offset:100
	buffer_load_dword v71, off, s[0:3], 0 offset:120
	;; [unrolled: 1-line block ×7, first 2 shown]
	s_waitcnt vmcnt(23) lgkmcnt(0)
	v_fma_f64 v[61:62], v[73:74], v[65:66], v[61:62]
	s_waitcnt vmcnt(21)
	v_fma_f64 v[72:73], v[75:76], v[67:68], v[61:62]
	ds_read2_b64 v[61:64], v0 offset0:35 offset1:36
	ds_read2_b64 v[65:68], v0 offset0:37 offset1:38
	s_waitcnt vmcnt(19) lgkmcnt(1)
	v_fma_f64 v[61:62], v[77:78], v[61:62], v[72:73]
	buffer_load_dword v72, off, s[0:3], 0 offset:124
	s_waitcnt vmcnt(18)
	v_fma_f64 v[61:62], v[79:80], v[63:64], v[61:62]
	buffer_load_dword v74, off, s[0:3], 0 offset:132
	buffer_load_dword v75, off, s[0:3], 0 offset:152
	;; [unrolled: 1-line block ×7, first 2 shown]
	s_waitcnt vmcnt(23) lgkmcnt(0)
	v_fma_f64 v[61:62], v[81:82], v[65:66], v[61:62]
	s_waitcnt vmcnt(18)
	v_fma_f64 v[81:82], v[83:84], v[67:68], v[61:62]
	ds_read2_b64 v[61:64], v0 offset0:39 offset1:40
	ds_read2_b64 v[65:68], v0 offset0:41 offset1:42
	buffer_load_dword v76, off, s[0:3], 0 offset:156
	s_waitcnt vmcnt(18) lgkmcnt(1)
	v_fma_f64 v[61:62], v[89:90], v[61:62], v[81:82]
	s_waitcnt vmcnt(17)
	v_fma_f64 v[61:62], v[87:88], v[63:64], v[61:62]
	buffer_load_dword v82, off, s[0:3], 0 offset:164
	buffer_load_dword v83, off, s[0:3], 0 offset:184
	;; [unrolled: 1-line block ×8, first 2 shown]
	s_waitcnt vmcnt(24) lgkmcnt(0)
	v_fma_f64 v[61:62], v[85:86], v[65:66], v[61:62]
	s_waitcnt vmcnt(19)
	v_fma_f64 v[69:70], v[69:70], v[67:68], v[61:62]
	ds_read2_b64 v[61:64], v0 offset0:43 offset1:44
	ds_read2_b64 v[65:68], v0 offset0:45 offset1:46
	s_waitcnt vmcnt(18) lgkmcnt(1)
	v_fma_f64 v[61:62], v[93:94], v[61:62], v[69:70]
	s_waitcnt vmcnt(17)
	v_fma_f64 v[61:62], v[91:92], v[63:64], v[61:62]
	buffer_load_dword v86, off, s[0:3], 0 offset:196
	buffer_load_dword v91, off, s[0:3], 0 offset:216
	;; [unrolled: 1-line block ×7, first 2 shown]
	s_waitcnt vmcnt(23) lgkmcnt(0)
	v_fma_f64 v[61:62], v[71:72], v[65:66], v[61:62]
	s_waitcnt vmcnt(18)
	v_fma_f64 v[69:70], v[73:74], v[67:68], v[61:62]
	ds_read2_b64 v[61:64], v0 offset0:47 offset1:48
	ds_read2_b64 v[65:68], v0 offset0:49 offset1:50
	buffer_load_dword v92, off, s[0:3], 0 offset:220
	s_waitcnt vmcnt(18) lgkmcnt(1)
	v_fma_f64 v[61:62], v[79:80], v[61:62], v[69:70]
	s_waitcnt vmcnt(17)
	v_fma_f64 v[61:62], v[77:78], v[63:64], v[61:62]
	buffer_load_dword v64, off, s[0:3], 0 offset:228
	buffer_load_dword v73, off, s[0:3], 0 offset:232
	;; [unrolled: 1-line block ×4, first 2 shown]
	s_waitcnt vmcnt(20) lgkmcnt(0)
	v_fma_f64 v[61:62], v[75:76], v[65:66], v[61:62]
	buffer_load_dword v75, off, s[0:3], 0
	buffer_load_dword v76, off, s[0:3], 0 offset:4
	s_waitcnt vmcnt(17)
	v_fma_f64 v[61:62], v[81:82], v[67:68], v[61:62]
	ds_read2_b64 v[65:68], v0 offset0:51 offset1:52
	ds_read2_b64 v[69:72], v0 offset0:53 offset1:54
	s_waitcnt vmcnt(16) lgkmcnt(1)
	v_fma_f64 v[61:62], v[89:90], v[65:66], v[61:62]
	s_waitcnt vmcnt(15)
	v_fma_f64 v[61:62], v[87:88], v[67:68], v[61:62]
	s_waitcnt vmcnt(14) lgkmcnt(0)
	v_fma_f64 v[61:62], v[83:84], v[69:70], v[61:62]
	s_waitcnt vmcnt(9)
	v_fma_f64 v[61:62], v[85:86], v[71:72], v[61:62]
	ds_read2_b64 v[65:68], v0 offset0:55 offset1:56
	ds_read2_b64 v[69:72], v0 offset0:57 offset1:58
	s_waitcnt vmcnt(8) lgkmcnt(1)
	v_fma_f64 v[61:62], v[95:96], v[65:66], v[61:62]
	ds_read_b64 v[65:66], v0 offset:472
	s_waitcnt vmcnt(7)
	v_fma_f64 v[61:62], v[93:94], v[67:68], v[61:62]
	s_waitcnt vmcnt(6) lgkmcnt(1)
	v_fma_f64 v[61:62], v[91:92], v[69:70], v[61:62]
	s_waitcnt vmcnt(3)
	v_fma_f64 v[61:62], v[63:64], v[71:72], v[61:62]
	s_waitcnt vmcnt(2) lgkmcnt(0)
	v_fma_f64 v[61:62], v[73:74], v[65:66], v[61:62]
	s_waitcnt vmcnt(0)
	v_add_f64 v[61:62], v[75:76], -v[61:62]
	buffer_store_dword v62, off, s[0:3], 0 offset:4
	buffer_store_dword v61, off, s[0:3], 0
	s_cbranch_vccz .LBB29_246
; %bb.188:
	global_load_dword v0, v0, s[20:21] offset:112
	s_waitcnt vmcnt(0)
	v_add_u32_e32 v0, -1, v0
	v_cmp_ne_u32_e32 vcc, 28, v0
	s_cbranch_vccz .LBB29_190
; %bb.189:
	v_lshlrev_b32_e32 v0, 3, v0
	buffer_load_dword v61, v0, s[0:3], 0 offen offset:4
	buffer_load_dword v62, v0, s[0:3], 0 offen
	s_waitcnt vmcnt(1)
	buffer_store_dword v61, off, s[0:3], 0 offset:228
	s_waitcnt vmcnt(1)
	buffer_store_dword v62, off, s[0:3], 0 offset:224
	buffer_store_dword v64, v0, s[0:3], 0 offen offset:4
	buffer_store_dword v63, v0, s[0:3], 0 offen
.LBB29_190:
	v_mov_b32_e32 v0, 0
	global_load_dword v61, v0, s[20:21] offset:108
	s_waitcnt vmcnt(0)
	v_add_u32_e32 v61, -1, v61
	v_cmp_eq_u32_e32 vcc, 27, v61
	s_cbranch_vccnz .LBB29_192
; %bb.191:
	v_lshlrev_b32_e32 v61, 3, v61
	buffer_load_dword v62, v61, s[0:3], 0 offen
	buffer_load_dword v63, v61, s[0:3], 0 offen offset:4
	buffer_load_dword v64, off, s[0:3], 0 offset:216
	buffer_load_dword v65, off, s[0:3], 0 offset:220
	s_waitcnt vmcnt(3)
	buffer_store_dword v62, off, s[0:3], 0 offset:216
	s_waitcnt vmcnt(3)
	buffer_store_dword v63, off, s[0:3], 0 offset:220
	s_waitcnt vmcnt(3)
	buffer_store_dword v64, v61, s[0:3], 0 offen
	s_waitcnt vmcnt(3)
	buffer_store_dword v65, v61, s[0:3], 0 offen offset:4
.LBB29_192:
	global_load_dword v0, v0, s[20:21] offset:104
	s_waitcnt vmcnt(0)
	v_add_u32_e32 v0, -1, v0
	v_cmp_eq_u32_e32 vcc, 26, v0
	s_cbranch_vccnz .LBB29_194
; %bb.193:
	v_lshlrev_b32_e32 v0, 3, v0
	buffer_load_dword v61, v0, s[0:3], 0 offen
	buffer_load_dword v62, v0, s[0:3], 0 offen offset:4
	buffer_load_dword v63, off, s[0:3], 0 offset:212
	buffer_load_dword v64, off, s[0:3], 0 offset:208
	s_waitcnt vmcnt(3)
	buffer_store_dword v61, off, s[0:3], 0 offset:208
	s_waitcnt vmcnt(3)
	buffer_store_dword v62, off, s[0:3], 0 offset:212
	s_waitcnt vmcnt(3)
	buffer_store_dword v63, v0, s[0:3], 0 offen offset:4
	s_waitcnt vmcnt(3)
	buffer_store_dword v64, v0, s[0:3], 0 offen
.LBB29_194:
	v_mov_b32_e32 v0, 0
	global_load_dword v61, v0, s[20:21] offset:100
	s_waitcnt vmcnt(0)
	v_add_u32_e32 v61, -1, v61
	v_cmp_eq_u32_e32 vcc, 25, v61
	s_cbranch_vccnz .LBB29_196
; %bb.195:
	v_lshlrev_b32_e32 v61, 3, v61
	buffer_load_dword v62, v61, s[0:3], 0 offen
	buffer_load_dword v63, v61, s[0:3], 0 offen offset:4
	buffer_load_dword v64, off, s[0:3], 0 offset:200
	buffer_load_dword v65, off, s[0:3], 0 offset:204
	s_waitcnt vmcnt(3)
	buffer_store_dword v62, off, s[0:3], 0 offset:200
	s_waitcnt vmcnt(3)
	buffer_store_dword v63, off, s[0:3], 0 offset:204
	s_waitcnt vmcnt(3)
	buffer_store_dword v64, v61, s[0:3], 0 offen
	s_waitcnt vmcnt(3)
	buffer_store_dword v65, v61, s[0:3], 0 offen offset:4
.LBB29_196:
	global_load_dword v0, v0, s[20:21] offset:96
	s_waitcnt vmcnt(0)
	v_add_u32_e32 v0, -1, v0
	v_cmp_eq_u32_e32 vcc, 24, v0
	s_cbranch_vccnz .LBB29_198
; %bb.197:
	v_lshlrev_b32_e32 v0, 3, v0
	buffer_load_dword v61, v0, s[0:3], 0 offen
	buffer_load_dword v62, v0, s[0:3], 0 offen offset:4
	buffer_load_dword v63, off, s[0:3], 0 offset:196
	buffer_load_dword v64, off, s[0:3], 0 offset:192
	s_waitcnt vmcnt(3)
	buffer_store_dword v61, off, s[0:3], 0 offset:192
	s_waitcnt vmcnt(3)
	buffer_store_dword v62, off, s[0:3], 0 offset:196
	s_waitcnt vmcnt(3)
	buffer_store_dword v63, v0, s[0:3], 0 offen offset:4
	s_waitcnt vmcnt(3)
	buffer_store_dword v64, v0, s[0:3], 0 offen
.LBB29_198:
	;; [unrolled: 41-line block ×13, first 2 shown]
	v_mov_b32_e32 v0, 0
	global_load_dword v61, v0, s[20:21] offset:4
	s_waitcnt vmcnt(0)
	v_add_u32_e32 v61, -1, v61
	v_cmp_eq_u32_e32 vcc, 1, v61
	s_cbranch_vccnz .LBB29_244
; %bb.243:
	v_lshlrev_b32_e32 v61, 3, v61
	buffer_load_dword v62, v61, s[0:3], 0 offen
	buffer_load_dword v63, v61, s[0:3], 0 offen offset:4
	buffer_load_dword v64, off, s[0:3], 0 offset:8
	buffer_load_dword v65, off, s[0:3], 0 offset:12
	s_waitcnt vmcnt(3)
	buffer_store_dword v62, off, s[0:3], 0 offset:8
	s_waitcnt vmcnt(3)
	buffer_store_dword v63, off, s[0:3], 0 offset:12
	s_waitcnt vmcnt(3)
	buffer_store_dword v64, v61, s[0:3], 0 offen
	s_waitcnt vmcnt(3)
	buffer_store_dword v65, v61, s[0:3], 0 offen offset:4
.LBB29_244:
	global_load_dword v0, v0, s[20:21]
	s_nop 0
	buffer_load_dword v61, off, s[0:3], 0
	buffer_load_dword v62, off, s[0:3], 0 offset:4
	s_waitcnt vmcnt(2)
	v_add_u32_e32 v0, -1, v0
	v_cmp_eq_u32_e32 vcc, 0, v0
	s_cbranch_vccnz .LBB29_246
; %bb.245:
	v_lshlrev_b32_e32 v0, 3, v0
	buffer_load_dword v63, v0, s[0:3], 0 offen offset:4
	buffer_load_dword v64, v0, s[0:3], 0 offen
	s_waitcnt vmcnt(1)
	buffer_store_dword v63, off, s[0:3], 0 offset:4
	s_waitcnt vmcnt(1)
	buffer_store_dword v64, off, s[0:3], 0
	buffer_store_dword v62, v0, s[0:3], 0 offen offset:4
	buffer_store_dword v61, v0, s[0:3], 0 offen
	buffer_load_dword v61, off, s[0:3], 0
	s_nop 0
	buffer_load_dword v62, off, s[0:3], 0 offset:4
.LBB29_246:
	buffer_load_dword v63, off, s[0:3], 0 offset:8
	buffer_load_dword v64, off, s[0:3], 0 offset:12
	;; [unrolled: 1-line block ×58, first 2 shown]
	s_waitcnt vmcnt(58)
	global_store_dwordx2 v[1:2], v[61:62], off
	s_waitcnt vmcnt(57)
	global_store_dwordx2 v[3:4], v[63:64], off
	;; [unrolled: 2-line block ×30, first 2 shown]
	s_endpgm
	.section	.rodata,"a",@progbits
	.p2align	6, 0x0
	.amdhsa_kernel _ZN9rocsolver6v33100L18getri_kernel_smallILi30EdPdEEvT1_iilPiilS4_bb
		.amdhsa_group_segment_fixed_size 488
		.amdhsa_private_segment_fixed_size 256
		.amdhsa_kernarg_size 60
		.amdhsa_user_sgpr_count 6
		.amdhsa_user_sgpr_private_segment_buffer 1
		.amdhsa_user_sgpr_dispatch_ptr 0
		.amdhsa_user_sgpr_queue_ptr 0
		.amdhsa_user_sgpr_kernarg_segment_ptr 1
		.amdhsa_user_sgpr_dispatch_id 0
		.amdhsa_user_sgpr_flat_scratch_init 0
		.amdhsa_user_sgpr_private_segment_size 0
		.amdhsa_uses_dynamic_stack 0
		.amdhsa_system_sgpr_private_segment_wavefront_offset 1
		.amdhsa_system_sgpr_workgroup_id_x 1
		.amdhsa_system_sgpr_workgroup_id_y 0
		.amdhsa_system_sgpr_workgroup_id_z 0
		.amdhsa_system_sgpr_workgroup_info 0
		.amdhsa_system_vgpr_workitem_id 0
		.amdhsa_next_free_vgpr 122
		.amdhsa_next_free_sgpr 24
		.amdhsa_reserve_vcc 1
		.amdhsa_reserve_flat_scratch 0
		.amdhsa_float_round_mode_32 0
		.amdhsa_float_round_mode_16_64 0
		.amdhsa_float_denorm_mode_32 3
		.amdhsa_float_denorm_mode_16_64 3
		.amdhsa_dx10_clamp 1
		.amdhsa_ieee_mode 1
		.amdhsa_fp16_overflow 0
		.amdhsa_exception_fp_ieee_invalid_op 0
		.amdhsa_exception_fp_denorm_src 0
		.amdhsa_exception_fp_ieee_div_zero 0
		.amdhsa_exception_fp_ieee_overflow 0
		.amdhsa_exception_fp_ieee_underflow 0
		.amdhsa_exception_fp_ieee_inexact 0
		.amdhsa_exception_int_div_zero 0
	.end_amdhsa_kernel
	.section	.text._ZN9rocsolver6v33100L18getri_kernel_smallILi30EdPdEEvT1_iilPiilS4_bb,"axG",@progbits,_ZN9rocsolver6v33100L18getri_kernel_smallILi30EdPdEEvT1_iilPiilS4_bb,comdat
.Lfunc_end29:
	.size	_ZN9rocsolver6v33100L18getri_kernel_smallILi30EdPdEEvT1_iilPiilS4_bb, .Lfunc_end29-_ZN9rocsolver6v33100L18getri_kernel_smallILi30EdPdEEvT1_iilPiilS4_bb
                                        ; -- End function
	.set _ZN9rocsolver6v33100L18getri_kernel_smallILi30EdPdEEvT1_iilPiilS4_bb.num_vgpr, 122
	.set _ZN9rocsolver6v33100L18getri_kernel_smallILi30EdPdEEvT1_iilPiilS4_bb.num_agpr, 0
	.set _ZN9rocsolver6v33100L18getri_kernel_smallILi30EdPdEEvT1_iilPiilS4_bb.numbered_sgpr, 24
	.set _ZN9rocsolver6v33100L18getri_kernel_smallILi30EdPdEEvT1_iilPiilS4_bb.num_named_barrier, 0
	.set _ZN9rocsolver6v33100L18getri_kernel_smallILi30EdPdEEvT1_iilPiilS4_bb.private_seg_size, 256
	.set _ZN9rocsolver6v33100L18getri_kernel_smallILi30EdPdEEvT1_iilPiilS4_bb.uses_vcc, 1
	.set _ZN9rocsolver6v33100L18getri_kernel_smallILi30EdPdEEvT1_iilPiilS4_bb.uses_flat_scratch, 0
	.set _ZN9rocsolver6v33100L18getri_kernel_smallILi30EdPdEEvT1_iilPiilS4_bb.has_dyn_sized_stack, 0
	.set _ZN9rocsolver6v33100L18getri_kernel_smallILi30EdPdEEvT1_iilPiilS4_bb.has_recursion, 0
	.set _ZN9rocsolver6v33100L18getri_kernel_smallILi30EdPdEEvT1_iilPiilS4_bb.has_indirect_call, 0
	.section	.AMDGPU.csdata,"",@progbits
; Kernel info:
; codeLenInByte = 28844
; TotalNumSgprs: 28
; NumVgprs: 122
; ScratchSize: 256
; MemoryBound: 0
; FloatMode: 240
; IeeeMode: 1
; LDSByteSize: 488 bytes/workgroup (compile time only)
; SGPRBlocks: 3
; VGPRBlocks: 30
; NumSGPRsForWavesPerEU: 28
; NumVGPRsForWavesPerEU: 122
; Occupancy: 2
; WaveLimiterHint : 1
; COMPUTE_PGM_RSRC2:SCRATCH_EN: 1
; COMPUTE_PGM_RSRC2:USER_SGPR: 6
; COMPUTE_PGM_RSRC2:TRAP_HANDLER: 0
; COMPUTE_PGM_RSRC2:TGID_X_EN: 1
; COMPUTE_PGM_RSRC2:TGID_Y_EN: 0
; COMPUTE_PGM_RSRC2:TGID_Z_EN: 0
; COMPUTE_PGM_RSRC2:TIDIG_COMP_CNT: 0
	.section	.text._ZN9rocsolver6v33100L18getri_kernel_smallILi31EdPdEEvT1_iilPiilS4_bb,"axG",@progbits,_ZN9rocsolver6v33100L18getri_kernel_smallILi31EdPdEEvT1_iilPiilS4_bb,comdat
	.globl	_ZN9rocsolver6v33100L18getri_kernel_smallILi31EdPdEEvT1_iilPiilS4_bb ; -- Begin function _ZN9rocsolver6v33100L18getri_kernel_smallILi31EdPdEEvT1_iilPiilS4_bb
	.p2align	8
	.type	_ZN9rocsolver6v33100L18getri_kernel_smallILi31EdPdEEvT1_iilPiilS4_bb,@function
_ZN9rocsolver6v33100L18getri_kernel_smallILi31EdPdEEvT1_iilPiilS4_bb: ; @_ZN9rocsolver6v33100L18getri_kernel_smallILi31EdPdEEvT1_iilPiilS4_bb
; %bb.0:
	s_add_u32 s0, s0, s7
	s_addc_u32 s1, s1, 0
	v_cmp_gt_u32_e32 vcc, 31, v0
	s_and_saveexec_b64 s[8:9], vcc
	s_cbranch_execz .LBB30_132
; %bb.1:
	s_load_dword s12, s[4:5], 0x38
	s_load_dwordx4 s[16:19], s[4:5], 0x10
	s_load_dwordx4 s[8:11], s[4:5], 0x28
                                        ; implicit-def: $sgpr20_sgpr21
	s_waitcnt lgkmcnt(0)
	s_bitcmp1_b32 s12, 8
	s_cselect_b64 s[22:23], -1, 0
	s_ashr_i32 s7, s6, 31
	s_bfe_u32 s12, s12, 0x10008
	s_cmp_eq_u32 s12, 0
	s_cbranch_scc1 .LBB30_3
; %bb.2:
	s_load_dword s12, s[4:5], 0x20
	s_mul_i32 s13, s8, s7
	s_mul_hi_u32 s14, s8, s6
	s_mul_i32 s9, s9, s6
	s_add_i32 s14, s14, s13
	s_add_i32 s9, s14, s9
	s_mul_i32 s8, s8, s6
	s_waitcnt lgkmcnt(0)
	s_ashr_i32 s13, s12, 31
	s_lshl_b64 s[8:9], s[8:9], 2
	s_add_u32 s14, s18, s8
	s_addc_u32 s15, s19, s9
	s_lshl_b64 s[8:9], s[12:13], 2
	s_add_u32 s20, s14, s8
	s_addc_u32 s21, s15, s9
.LBB30_3:
	s_load_dwordx4 s[12:15], s[4:5], 0x0
	s_load_dword s8, s[4:5], 0x38
	s_mul_i32 s9, s16, s7
	s_mul_hi_u32 s18, s16, s6
	s_add_i32 s9, s18, s9
	s_waitcnt lgkmcnt(0)
	s_ashr_i32 s5, s14, 31
	s_mov_b32 s4, s14
	s_mul_i32 s14, s17, s6
	s_add_i32 s17, s9, s14
	s_mul_i32 s16, s16, s6
	s_lshl_b64 s[16:17], s[16:17], 3
	s_add_u32 s9, s12, s16
	s_addc_u32 s12, s13, s17
	s_lshl_b64 s[4:5], s[4:5], 3
	s_add_u32 s4, s9, s4
	s_addc_u32 s5, s12, s5
	s_add_i32 s9, s15, s15
	v_add_u32_e32 v3, s9, v0
	v_ashrrev_i32_e32 v4, 31, v3
	v_lshlrev_b64 v[1:2], 3, v[3:4]
	v_add_u32_e32 v5, s15, v3
	v_mov_b32_e32 v4, s5
	v_add_co_u32_e32 v1, vcc, s4, v1
	v_ashrrev_i32_e32 v6, 31, v5
	v_addc_co_u32_e32 v2, vcc, v4, v2, vcc
	v_lshlrev_b64 v[3:4], 3, v[5:6]
	v_add_u32_e32 v7, s15, v5
	v_mov_b32_e32 v6, s5
	v_add_co_u32_e32 v3, vcc, s4, v3
	v_ashrrev_i32_e32 v8, 31, v7
	v_addc_co_u32_e32 v4, vcc, v6, v4, vcc
	;; [unrolled: 6-line block ×8, first 2 shown]
	v_lshlrev_b64 v[17:18], 3, v[19:20]
	v_mov_b32_e32 v21, s5
	v_add_co_u32_e32 v17, vcc, s4, v17
	v_addc_co_u32_e32 v18, vcc, v21, v18, vcc
	v_add_u32_e32 v21, s15, v19
	v_ashrrev_i32_e32 v22, 31, v21
	v_lshlrev_b64 v[19:20], 3, v[21:22]
	v_mov_b32_e32 v23, s5
	v_add_co_u32_e32 v19, vcc, s4, v19
	v_addc_co_u32_e32 v20, vcc, v23, v20, vcc
	v_add_u32_e32 v23, s15, v21
	v_ashrrev_i32_e32 v24, 31, v23
	;; [unrolled: 6-line block ×15, first 2 shown]
	v_lshlrev_b64 v[47:48], 3, v[49:50]
	v_lshlrev_b32_e32 v65, 3, v0
	v_mov_b32_e32 v51, s5
	v_add_co_u32_e32 v47, vcc, s4, v47
	global_load_dwordx2 v[63:64], v65, s[4:5]
	v_addc_co_u32_e32 v48, vcc, v51, v48, vcc
	v_add_u32_e32 v51, s15, v49
	v_ashrrev_i32_e32 v52, 31, v51
	v_lshlrev_b64 v[49:50], 3, v[51:52]
	v_mov_b32_e32 v53, s5
	v_add_co_u32_e32 v49, vcc, s4, v49
	v_addc_co_u32_e32 v50, vcc, v53, v50, vcc
	v_add_u32_e32 v57, s15, v51
	v_mov_b32_e32 v54, s5
	v_add_co_u32_e32 v53, vcc, s4, v65
	s_ashr_i32 s13, s15, 31
	s_mov_b32 s12, s15
	v_ashrrev_i32_e32 v58, 31, v57
	v_addc_co_u32_e32 v54, vcc, 0, v54, vcc
	s_lshl_b64 s[12:13], s[12:13], 3
	v_lshlrev_b64 v[51:52], 3, v[57:58]
	v_mov_b32_e32 v56, s13
	v_add_co_u32_e32 v55, vcc, s12, v53
	v_addc_co_u32_e32 v56, vcc, v54, v56, vcc
	v_mov_b32_e32 v59, s5
	v_add_co_u32_e32 v51, vcc, s4, v51
	v_addc_co_u32_e32 v52, vcc, v59, v52, vcc
	v_add_u32_e32 v59, s15, v57
	v_ashrrev_i32_e32 v60, 31, v59
	v_lshlrev_b64 v[57:58], 3, v[59:60]
	v_mov_b32_e32 v61, s5
	v_add_co_u32_e32 v57, vcc, s4, v57
	v_addc_co_u32_e32 v58, vcc, v61, v58, vcc
	v_add_u32_e32 v61, s15, v59
	v_ashrrev_i32_e32 v62, 31, v61
	v_lshlrev_b64 v[59:60], 3, v[61:62]
	v_mov_b32_e32 v104, s5
	v_add_co_u32_e32 v59, vcc, s4, v59
	global_load_dwordx2 v[66:67], v[55:56], off
	global_load_dwordx2 v[68:69], v[1:2], off
	;; [unrolled: 1-line block ×19, first 2 shown]
	v_addc_co_u32_e32 v60, vcc, v104, v60, vcc
	global_load_dwordx2 v[104:105], v[37:38], off
	global_load_dwordx2 v[106:107], v[39:40], off
	;; [unrolled: 1-line block ×8, first 2 shown]
	v_add_u32_e32 v61, s15, v61
	v_ashrrev_i32_e32 v62, 31, v61
	v_lshlrev_b64 v[61:62], 3, v[61:62]
	v_mov_b32_e32 v120, s5
	v_add_co_u32_e32 v61, vcc, s4, v61
	v_addc_co_u32_e32 v62, vcc, v120, v62, vcc
	global_load_dwordx2 v[120:121], v[57:58], off
	global_load_dwordx2 v[122:123], v[59:60], off
	s_bitcmp0_b32 s8, 0
	s_mov_b64 s[8:9], -1
	s_waitcnt vmcnt(29)
	buffer_store_dword v64, off, s[0:3], 0 offset:4
	buffer_store_dword v63, off, s[0:3], 0
	global_load_dwordx2 v[63:64], v[61:62], off
	s_waitcnt vmcnt(31)
	buffer_store_dword v67, off, s[0:3], 0 offset:12
	buffer_store_dword v66, off, s[0:3], 0 offset:8
	s_waitcnt vmcnt(32)
	buffer_store_dword v69, off, s[0:3], 0 offset:20
	buffer_store_dword v68, off, s[0:3], 0 offset:16
	;; [unrolled: 3-line block ×30, first 2 shown]
	s_cbranch_scc1 .LBB30_130
; %bb.4:
	v_cmp_eq_u32_e64 s[4:5], 0, v0
	s_and_saveexec_b64 s[8:9], s[4:5]
; %bb.5:
	v_mov_b32_e32 v63, 0
	ds_write_b32 v63, v63 offset:248
; %bb.6:
	s_or_b64 exec, exec, s[8:9]
	v_mov_b32_e32 v63, 0
	v_lshl_add_u32 v63, v0, 3, v63
	s_waitcnt lgkmcnt(0)
	; wave barrier
	buffer_load_dword v66, v63, s[0:3], 0 offen
	buffer_load_dword v67, v63, s[0:3], 0 offen offset:4
	s_waitcnt vmcnt(0)
	v_cmp_eq_f64_e32 vcc, 0, v[66:67]
	s_and_saveexec_b64 s[12:13], vcc
	s_cbranch_execz .LBB30_10
; %bb.7:
	v_mov_b32_e32 v64, 0
	ds_read_b32 v67, v64 offset:248
	v_add_u32_e32 v66, 1, v0
	s_waitcnt lgkmcnt(0)
	v_readfirstlane_b32 s8, v67
	s_cmp_eq_u32 s8, 0
	s_cselect_b64 s[14:15], -1, 0
	v_cmp_gt_i32_e32 vcc, s8, v66
	s_or_b64 s[14:15], s[14:15], vcc
	s_and_b64 exec, exec, s[14:15]
	s_cbranch_execz .LBB30_10
; %bb.8:
	s_mov_b64 s[14:15], 0
	v_mov_b32_e32 v67, s8
.LBB30_9:                               ; =>This Inner Loop Header: Depth=1
	ds_cmpst_rtn_b32 v67, v64, v67, v66 offset:248
	s_waitcnt lgkmcnt(0)
	v_cmp_ne_u32_e32 vcc, 0, v67
	v_cmp_le_i32_e64 s[8:9], v67, v66
	s_and_b64 s[8:9], vcc, s[8:9]
	s_and_b64 s[8:9], exec, s[8:9]
	s_or_b64 s[14:15], s[8:9], s[14:15]
	s_andn2_b64 exec, exec, s[14:15]
	s_cbranch_execnz .LBB30_9
.LBB30_10:
	s_or_b64 exec, exec, s[12:13]
	v_mov_b32_e32 v66, 0
	; wave barrier
	ds_read_b32 v64, v66 offset:248
	s_and_saveexec_b64 s[8:9], s[4:5]
	s_cbranch_execz .LBB30_12
; %bb.11:
	s_lshl_b64 s[12:13], s[6:7], 2
	s_add_u32 s12, s10, s12
	s_addc_u32 s13, s11, s13
	s_waitcnt lgkmcnt(0)
	global_store_dword v66, v64, s[12:13]
.LBB30_12:
	s_or_b64 exec, exec, s[8:9]
	s_waitcnt lgkmcnt(0)
	v_cmp_ne_u32_e32 vcc, 0, v64
	s_mov_b64 s[8:9], 0
	s_cbranch_vccnz .LBB30_130
; %bb.13:
	buffer_load_dword v66, v63, s[0:3], 0 offen
	buffer_load_dword v67, v63, s[0:3], 0 offen offset:4
	s_waitcnt vmcnt(0)
	v_div_scale_f64 v[68:69], s[8:9], v[66:67], v[66:67], 1.0
	v_rcp_f64_e32 v[70:71], v[68:69]
	v_fma_f64 v[72:73], -v[68:69], v[70:71], 1.0
	v_fma_f64 v[70:71], v[70:71], v[72:73], v[70:71]
	v_div_scale_f64 v[72:73], vcc, 1.0, v[66:67], 1.0
	v_fma_f64 v[74:75], -v[68:69], v[70:71], 1.0
	v_fma_f64 v[70:71], v[70:71], v[74:75], v[70:71]
	v_mul_f64 v[74:75], v[72:73], v[70:71]
	v_fma_f64 v[68:69], -v[68:69], v[74:75], v[72:73]
	v_div_fmas_f64 v[68:69], v[68:69], v[70:71], v[74:75]
	v_div_fixup_f64 v[67:68], v[68:69], v[66:67], 1.0
	v_add_u32_e32 v66, 0x100, v65
	buffer_store_dword v68, v63, s[0:3], 0 offen offset:4
	buffer_store_dword v67, v63, s[0:3], 0 offen
	buffer_load_dword v70, off, s[0:3], 0 offset:12
	buffer_load_dword v69, off, s[0:3], 0 offset:8
	v_xor_b32_e32 v68, 0x80000000, v68
	s_waitcnt vmcnt(0)
	ds_write2_b64 v65, v[67:68], v[69:70] offset1:32
	s_waitcnt lgkmcnt(0)
	; wave barrier
	s_and_saveexec_b64 s[8:9], s[4:5]
	s_cbranch_execz .LBB30_15
; %bb.14:
	buffer_load_dword v67, v63, s[0:3], 0 offen
	buffer_load_dword v68, v63, s[0:3], 0 offen offset:4
	ds_read_b64 v[69:70], v66
	v_mov_b32_e32 v64, 0
	ds_read_b64 v[71:72], v64 offset:8
	s_waitcnt vmcnt(0) lgkmcnt(1)
	v_fma_f64 v[67:68], v[67:68], v[69:70], 0
	s_waitcnt lgkmcnt(0)
	v_mul_f64 v[67:68], v[67:68], v[71:72]
	buffer_store_dword v67, off, s[0:3], 0 offset:8
	buffer_store_dword v68, off, s[0:3], 0 offset:12
.LBB30_15:
	s_or_b64 exec, exec, s[8:9]
	; wave barrier
	buffer_load_dword v67, off, s[0:3], 0 offset:16
	buffer_load_dword v68, off, s[0:3], 0 offset:20
	v_cmp_gt_u32_e32 vcc, 2, v0
	s_waitcnt vmcnt(0)
	ds_write_b64 v66, v[67:68]
	s_waitcnt lgkmcnt(0)
	; wave barrier
	s_and_saveexec_b64 s[8:9], vcc
	s_cbranch_execz .LBB30_17
; %bb.16:
	buffer_load_dword v67, v63, s[0:3], 0 offen
	buffer_load_dword v68, v63, s[0:3], 0 offen offset:4
                                        ; kill: killed $vgpr63
	s_nop 0
	buffer_load_dword v63, off, s[0:3], 0 offset:8
	buffer_load_dword v64, off, s[0:3], 0 offset:12
	ds_read_b64 v[69:70], v66
	s_waitcnt vmcnt(2) lgkmcnt(0)
	v_fma_f64 v[71:72], v[67:68], v[69:70], 0
	v_mov_b32_e32 v67, 0
	ds_read2_b64 v[67:70], v67 offset0:2 offset1:33
	s_waitcnt vmcnt(0) lgkmcnt(0)
	v_fma_f64 v[63:64], v[63:64], v[69:70], v[71:72]
	v_cndmask_b32_e64 v64, v72, v64, s[4:5]
	v_cndmask_b32_e64 v63, v71, v63, s[4:5]
	v_mul_f64 v[63:64], v[63:64], v[67:68]
	buffer_store_dword v64, off, s[0:3], 0 offset:20
	buffer_store_dword v63, off, s[0:3], 0 offset:16
.LBB30_17:
	s_or_b64 exec, exec, s[8:9]
	; wave barrier
	buffer_load_dword v63, off, s[0:3], 0 offset:24
	buffer_load_dword v64, off, s[0:3], 0 offset:28
	v_cmp_gt_u32_e32 vcc, 3, v0
	v_add_u32_e32 v67, -1, v0
	s_waitcnt vmcnt(0)
	ds_write_b64 v66, v[63:64]
	s_waitcnt lgkmcnt(0)
	; wave barrier
	s_and_saveexec_b64 s[4:5], vcc
	s_cbranch_execz .LBB30_21
; %bb.18:
	v_mov_b32_e32 v63, 0
	v_add_u32_e32 v68, -1, v0
	v_add_u32_e32 v69, 0x100, v65
	v_mov_b32_e32 v70, v65
	v_mov_b32_e32 v64, 0
	s_mov_b64 s[8:9], 0
.LBB30_19:                              ; =>This Inner Loop Header: Depth=1
	buffer_load_dword v71, v70, s[0:3], 0 offen
	buffer_load_dword v72, v70, s[0:3], 0 offen offset:4
	ds_read_b64 v[73:74], v69
	v_add_u32_e32 v68, 1, v68
	v_cmp_lt_u32_e32 vcc, 1, v68
	v_add_u32_e32 v69, 8, v69
	s_or_b64 s[8:9], vcc, s[8:9]
	v_add_u32_e32 v70, 8, v70
	s_waitcnt vmcnt(0) lgkmcnt(0)
	v_fma_f64 v[63:64], v[71:72], v[73:74], v[63:64]
	s_andn2_b64 exec, exec, s[8:9]
	s_cbranch_execnz .LBB30_19
; %bb.20:
	s_or_b64 exec, exec, s[8:9]
	v_mov_b32_e32 v68, 0
	ds_read_b64 v[68:69], v68 offset:24
	s_waitcnt lgkmcnt(0)
	v_mul_f64 v[63:64], v[63:64], v[68:69]
	buffer_store_dword v64, off, s[0:3], 0 offset:28
	buffer_store_dword v63, off, s[0:3], 0 offset:24
.LBB30_21:
	s_or_b64 exec, exec, s[4:5]
	; wave barrier
	buffer_load_dword v63, off, s[0:3], 0 offset:32
	buffer_load_dword v64, off, s[0:3], 0 offset:36
	v_cmp_gt_u32_e32 vcc, 4, v0
	s_waitcnt vmcnt(0)
	ds_write_b64 v66, v[63:64]
	s_waitcnt lgkmcnt(0)
	; wave barrier
	s_and_saveexec_b64 s[4:5], vcc
	s_cbranch_execz .LBB30_25
; %bb.22:
	v_mov_b32_e32 v63, 0
	v_add_u32_e32 v68, -1, v0
	v_add_u32_e32 v69, 0x100, v65
	v_mov_b32_e32 v70, v65
	v_mov_b32_e32 v64, 0
	s_mov_b64 s[8:9], 0
.LBB30_23:                              ; =>This Inner Loop Header: Depth=1
	buffer_load_dword v71, v70, s[0:3], 0 offen
	buffer_load_dword v72, v70, s[0:3], 0 offen offset:4
	ds_read_b64 v[73:74], v69
	v_add_u32_e32 v68, 1, v68
	v_cmp_lt_u32_e32 vcc, 2, v68
	v_add_u32_e32 v69, 8, v69
	s_or_b64 s[8:9], vcc, s[8:9]
	v_add_u32_e32 v70, 8, v70
	s_waitcnt vmcnt(0) lgkmcnt(0)
	v_fma_f64 v[63:64], v[71:72], v[73:74], v[63:64]
	s_andn2_b64 exec, exec, s[8:9]
	s_cbranch_execnz .LBB30_23
; %bb.24:
	s_or_b64 exec, exec, s[8:9]
	v_mov_b32_e32 v68, 0
	ds_read_b64 v[68:69], v68 offset:32
	s_waitcnt lgkmcnt(0)
	v_mul_f64 v[63:64], v[63:64], v[68:69]
	buffer_store_dword v64, off, s[0:3], 0 offset:36
	buffer_store_dword v63, off, s[0:3], 0 offset:32
.LBB30_25:
	s_or_b64 exec, exec, s[4:5]
	; wave barrier
	buffer_load_dword v63, off, s[0:3], 0 offset:40
	buffer_load_dword v64, off, s[0:3], 0 offset:44
	v_cmp_gt_u32_e32 vcc, 5, v0
	s_waitcnt vmcnt(0)
	ds_write_b64 v66, v[63:64]
	s_waitcnt lgkmcnt(0)
	; wave barrier
	s_and_saveexec_b64 s[4:5], vcc
	s_cbranch_execz .LBB30_29
; %bb.26:
	v_mov_b32_e32 v63, 0
	v_add_u32_e32 v68, -1, v0
	v_add_u32_e32 v69, 0x100, v65
	v_mov_b32_e32 v70, v65
	v_mov_b32_e32 v64, 0
	s_mov_b64 s[8:9], 0
.LBB30_27:                              ; =>This Inner Loop Header: Depth=1
	buffer_load_dword v71, v70, s[0:3], 0 offen
	buffer_load_dword v72, v70, s[0:3], 0 offen offset:4
	ds_read_b64 v[73:74], v69
	v_add_u32_e32 v68, 1, v68
	v_cmp_lt_u32_e32 vcc, 3, v68
	v_add_u32_e32 v69, 8, v69
	s_or_b64 s[8:9], vcc, s[8:9]
	v_add_u32_e32 v70, 8, v70
	s_waitcnt vmcnt(0) lgkmcnt(0)
	v_fma_f64 v[63:64], v[71:72], v[73:74], v[63:64]
	s_andn2_b64 exec, exec, s[8:9]
	s_cbranch_execnz .LBB30_27
; %bb.28:
	s_or_b64 exec, exec, s[8:9]
	v_mov_b32_e32 v68, 0
	ds_read_b64 v[68:69], v68 offset:40
	s_waitcnt lgkmcnt(0)
	v_mul_f64 v[63:64], v[63:64], v[68:69]
	buffer_store_dword v64, off, s[0:3], 0 offset:44
	buffer_store_dword v63, off, s[0:3], 0 offset:40
.LBB30_29:
	s_or_b64 exec, exec, s[4:5]
	; wave barrier
	buffer_load_dword v63, off, s[0:3], 0 offset:48
	buffer_load_dword v64, off, s[0:3], 0 offset:52
	v_cmp_gt_u32_e32 vcc, 6, v0
	s_waitcnt vmcnt(0)
	ds_write_b64 v66, v[63:64]
	s_waitcnt lgkmcnt(0)
	; wave barrier
	s_and_saveexec_b64 s[4:5], vcc
	s_cbranch_execz .LBB30_33
; %bb.30:
	v_mov_b32_e32 v63, 0
	v_add_u32_e32 v68, -1, v0
	v_add_u32_e32 v69, 0x100, v65
	v_mov_b32_e32 v70, v65
	v_mov_b32_e32 v64, 0
	s_mov_b64 s[8:9], 0
.LBB30_31:                              ; =>This Inner Loop Header: Depth=1
	buffer_load_dword v71, v70, s[0:3], 0 offen
	buffer_load_dword v72, v70, s[0:3], 0 offen offset:4
	ds_read_b64 v[73:74], v69
	v_add_u32_e32 v68, 1, v68
	v_cmp_lt_u32_e32 vcc, 4, v68
	v_add_u32_e32 v69, 8, v69
	s_or_b64 s[8:9], vcc, s[8:9]
	v_add_u32_e32 v70, 8, v70
	s_waitcnt vmcnt(0) lgkmcnt(0)
	v_fma_f64 v[63:64], v[71:72], v[73:74], v[63:64]
	s_andn2_b64 exec, exec, s[8:9]
	s_cbranch_execnz .LBB30_31
; %bb.32:
	s_or_b64 exec, exec, s[8:9]
	v_mov_b32_e32 v68, 0
	ds_read_b64 v[68:69], v68 offset:48
	s_waitcnt lgkmcnt(0)
	v_mul_f64 v[63:64], v[63:64], v[68:69]
	buffer_store_dword v64, off, s[0:3], 0 offset:52
	buffer_store_dword v63, off, s[0:3], 0 offset:48
.LBB30_33:
	s_or_b64 exec, exec, s[4:5]
	; wave barrier
	buffer_load_dword v63, off, s[0:3], 0 offset:56
	buffer_load_dword v64, off, s[0:3], 0 offset:60
	v_cmp_gt_u32_e32 vcc, 7, v0
	s_waitcnt vmcnt(0)
	ds_write_b64 v66, v[63:64]
	s_waitcnt lgkmcnt(0)
	; wave barrier
	s_and_saveexec_b64 s[4:5], vcc
	s_cbranch_execz .LBB30_37
; %bb.34:
	v_mov_b32_e32 v63, 0
	v_add_u32_e32 v68, -1, v0
	v_add_u32_e32 v69, 0x100, v65
	v_mov_b32_e32 v70, v65
	v_mov_b32_e32 v64, 0
	s_mov_b64 s[8:9], 0
.LBB30_35:                              ; =>This Inner Loop Header: Depth=1
	buffer_load_dword v71, v70, s[0:3], 0 offen
	buffer_load_dword v72, v70, s[0:3], 0 offen offset:4
	ds_read_b64 v[73:74], v69
	v_add_u32_e32 v68, 1, v68
	v_cmp_lt_u32_e32 vcc, 5, v68
	v_add_u32_e32 v69, 8, v69
	s_or_b64 s[8:9], vcc, s[8:9]
	v_add_u32_e32 v70, 8, v70
	s_waitcnt vmcnt(0) lgkmcnt(0)
	v_fma_f64 v[63:64], v[71:72], v[73:74], v[63:64]
	s_andn2_b64 exec, exec, s[8:9]
	s_cbranch_execnz .LBB30_35
; %bb.36:
	s_or_b64 exec, exec, s[8:9]
	v_mov_b32_e32 v68, 0
	ds_read_b64 v[68:69], v68 offset:56
	s_waitcnt lgkmcnt(0)
	v_mul_f64 v[63:64], v[63:64], v[68:69]
	buffer_store_dword v64, off, s[0:3], 0 offset:60
	buffer_store_dword v63, off, s[0:3], 0 offset:56
.LBB30_37:
	s_or_b64 exec, exec, s[4:5]
	; wave barrier
	buffer_load_dword v63, off, s[0:3], 0 offset:64
	buffer_load_dword v64, off, s[0:3], 0 offset:68
	v_cmp_gt_u32_e32 vcc, 8, v0
	s_waitcnt vmcnt(0)
	ds_write_b64 v66, v[63:64]
	s_waitcnt lgkmcnt(0)
	; wave barrier
	s_and_saveexec_b64 s[4:5], vcc
	s_cbranch_execz .LBB30_41
; %bb.38:
	v_mov_b32_e32 v63, 0
	v_add_u32_e32 v68, -1, v0
	v_add_u32_e32 v69, 0x100, v65
	v_mov_b32_e32 v70, v65
	v_mov_b32_e32 v64, 0
	s_mov_b64 s[8:9], 0
.LBB30_39:                              ; =>This Inner Loop Header: Depth=1
	buffer_load_dword v71, v70, s[0:3], 0 offen
	buffer_load_dword v72, v70, s[0:3], 0 offen offset:4
	ds_read_b64 v[73:74], v69
	v_add_u32_e32 v68, 1, v68
	v_cmp_lt_u32_e32 vcc, 6, v68
	v_add_u32_e32 v69, 8, v69
	s_or_b64 s[8:9], vcc, s[8:9]
	v_add_u32_e32 v70, 8, v70
	s_waitcnt vmcnt(0) lgkmcnt(0)
	v_fma_f64 v[63:64], v[71:72], v[73:74], v[63:64]
	s_andn2_b64 exec, exec, s[8:9]
	s_cbranch_execnz .LBB30_39
; %bb.40:
	s_or_b64 exec, exec, s[8:9]
	v_mov_b32_e32 v68, 0
	ds_read_b64 v[68:69], v68 offset:64
	s_waitcnt lgkmcnt(0)
	v_mul_f64 v[63:64], v[63:64], v[68:69]
	buffer_store_dword v64, off, s[0:3], 0 offset:68
	buffer_store_dword v63, off, s[0:3], 0 offset:64
.LBB30_41:
	s_or_b64 exec, exec, s[4:5]
	; wave barrier
	buffer_load_dword v63, off, s[0:3], 0 offset:72
	buffer_load_dword v64, off, s[0:3], 0 offset:76
	v_cmp_gt_u32_e32 vcc, 9, v0
	s_waitcnt vmcnt(0)
	ds_write_b64 v66, v[63:64]
	s_waitcnt lgkmcnt(0)
	; wave barrier
	s_and_saveexec_b64 s[4:5], vcc
	s_cbranch_execz .LBB30_45
; %bb.42:
	v_mov_b32_e32 v63, 0
	v_add_u32_e32 v68, -1, v0
	v_add_u32_e32 v69, 0x100, v65
	v_mov_b32_e32 v70, v65
	v_mov_b32_e32 v64, 0
	s_mov_b64 s[8:9], 0
.LBB30_43:                              ; =>This Inner Loop Header: Depth=1
	buffer_load_dword v71, v70, s[0:3], 0 offen
	buffer_load_dword v72, v70, s[0:3], 0 offen offset:4
	ds_read_b64 v[73:74], v69
	v_add_u32_e32 v68, 1, v68
	v_cmp_lt_u32_e32 vcc, 7, v68
	v_add_u32_e32 v69, 8, v69
	s_or_b64 s[8:9], vcc, s[8:9]
	v_add_u32_e32 v70, 8, v70
	s_waitcnt vmcnt(0) lgkmcnt(0)
	v_fma_f64 v[63:64], v[71:72], v[73:74], v[63:64]
	s_andn2_b64 exec, exec, s[8:9]
	s_cbranch_execnz .LBB30_43
; %bb.44:
	s_or_b64 exec, exec, s[8:9]
	v_mov_b32_e32 v68, 0
	ds_read_b64 v[68:69], v68 offset:72
	s_waitcnt lgkmcnt(0)
	v_mul_f64 v[63:64], v[63:64], v[68:69]
	buffer_store_dword v64, off, s[0:3], 0 offset:76
	buffer_store_dword v63, off, s[0:3], 0 offset:72
.LBB30_45:
	s_or_b64 exec, exec, s[4:5]
	; wave barrier
	buffer_load_dword v63, off, s[0:3], 0 offset:80
	buffer_load_dword v64, off, s[0:3], 0 offset:84
	v_cmp_gt_u32_e32 vcc, 10, v0
	s_waitcnt vmcnt(0)
	ds_write_b64 v66, v[63:64]
	s_waitcnt lgkmcnt(0)
	; wave barrier
	s_and_saveexec_b64 s[4:5], vcc
	s_cbranch_execz .LBB30_49
; %bb.46:
	v_mov_b32_e32 v63, 0
	v_add_u32_e32 v68, -1, v0
	v_add_u32_e32 v69, 0x100, v65
	v_mov_b32_e32 v70, v65
	v_mov_b32_e32 v64, 0
	s_mov_b64 s[8:9], 0
.LBB30_47:                              ; =>This Inner Loop Header: Depth=1
	buffer_load_dword v71, v70, s[0:3], 0 offen
	buffer_load_dword v72, v70, s[0:3], 0 offen offset:4
	ds_read_b64 v[73:74], v69
	v_add_u32_e32 v68, 1, v68
	v_cmp_lt_u32_e32 vcc, 8, v68
	v_add_u32_e32 v69, 8, v69
	s_or_b64 s[8:9], vcc, s[8:9]
	v_add_u32_e32 v70, 8, v70
	s_waitcnt vmcnt(0) lgkmcnt(0)
	v_fma_f64 v[63:64], v[71:72], v[73:74], v[63:64]
	s_andn2_b64 exec, exec, s[8:9]
	s_cbranch_execnz .LBB30_47
; %bb.48:
	s_or_b64 exec, exec, s[8:9]
	v_mov_b32_e32 v68, 0
	ds_read_b64 v[68:69], v68 offset:80
	s_waitcnt lgkmcnt(0)
	v_mul_f64 v[63:64], v[63:64], v[68:69]
	buffer_store_dword v64, off, s[0:3], 0 offset:84
	buffer_store_dword v63, off, s[0:3], 0 offset:80
.LBB30_49:
	s_or_b64 exec, exec, s[4:5]
	; wave barrier
	buffer_load_dword v63, off, s[0:3], 0 offset:88
	buffer_load_dword v64, off, s[0:3], 0 offset:92
	v_cmp_gt_u32_e32 vcc, 11, v0
	s_waitcnt vmcnt(0)
	ds_write_b64 v66, v[63:64]
	s_waitcnt lgkmcnt(0)
	; wave barrier
	s_and_saveexec_b64 s[4:5], vcc
	s_cbranch_execz .LBB30_53
; %bb.50:
	v_mov_b32_e32 v63, 0
	v_add_u32_e32 v68, -1, v0
	v_add_u32_e32 v69, 0x100, v65
	v_mov_b32_e32 v70, v65
	v_mov_b32_e32 v64, 0
	s_mov_b64 s[8:9], 0
.LBB30_51:                              ; =>This Inner Loop Header: Depth=1
	buffer_load_dword v71, v70, s[0:3], 0 offen
	buffer_load_dword v72, v70, s[0:3], 0 offen offset:4
	ds_read_b64 v[73:74], v69
	v_add_u32_e32 v68, 1, v68
	v_cmp_lt_u32_e32 vcc, 9, v68
	v_add_u32_e32 v69, 8, v69
	s_or_b64 s[8:9], vcc, s[8:9]
	v_add_u32_e32 v70, 8, v70
	s_waitcnt vmcnt(0) lgkmcnt(0)
	v_fma_f64 v[63:64], v[71:72], v[73:74], v[63:64]
	s_andn2_b64 exec, exec, s[8:9]
	s_cbranch_execnz .LBB30_51
; %bb.52:
	s_or_b64 exec, exec, s[8:9]
	v_mov_b32_e32 v68, 0
	ds_read_b64 v[68:69], v68 offset:88
	s_waitcnt lgkmcnt(0)
	v_mul_f64 v[63:64], v[63:64], v[68:69]
	buffer_store_dword v64, off, s[0:3], 0 offset:92
	buffer_store_dword v63, off, s[0:3], 0 offset:88
.LBB30_53:
	s_or_b64 exec, exec, s[4:5]
	; wave barrier
	buffer_load_dword v63, off, s[0:3], 0 offset:96
	buffer_load_dword v64, off, s[0:3], 0 offset:100
	v_cmp_gt_u32_e32 vcc, 12, v0
	s_waitcnt vmcnt(0)
	ds_write_b64 v66, v[63:64]
	s_waitcnt lgkmcnt(0)
	; wave barrier
	s_and_saveexec_b64 s[4:5], vcc
	s_cbranch_execz .LBB30_57
; %bb.54:
	v_mov_b32_e32 v63, 0
	v_add_u32_e32 v68, -1, v0
	v_add_u32_e32 v69, 0x100, v65
	v_mov_b32_e32 v70, v65
	v_mov_b32_e32 v64, 0
	s_mov_b64 s[8:9], 0
.LBB30_55:                              ; =>This Inner Loop Header: Depth=1
	buffer_load_dword v71, v70, s[0:3], 0 offen
	buffer_load_dword v72, v70, s[0:3], 0 offen offset:4
	ds_read_b64 v[73:74], v69
	v_add_u32_e32 v68, 1, v68
	v_cmp_lt_u32_e32 vcc, 10, v68
	v_add_u32_e32 v69, 8, v69
	s_or_b64 s[8:9], vcc, s[8:9]
	v_add_u32_e32 v70, 8, v70
	s_waitcnt vmcnt(0) lgkmcnt(0)
	v_fma_f64 v[63:64], v[71:72], v[73:74], v[63:64]
	s_andn2_b64 exec, exec, s[8:9]
	s_cbranch_execnz .LBB30_55
; %bb.56:
	s_or_b64 exec, exec, s[8:9]
	v_mov_b32_e32 v68, 0
	ds_read_b64 v[68:69], v68 offset:96
	s_waitcnt lgkmcnt(0)
	v_mul_f64 v[63:64], v[63:64], v[68:69]
	buffer_store_dword v64, off, s[0:3], 0 offset:100
	buffer_store_dword v63, off, s[0:3], 0 offset:96
.LBB30_57:
	s_or_b64 exec, exec, s[4:5]
	; wave barrier
	buffer_load_dword v63, off, s[0:3], 0 offset:104
	buffer_load_dword v64, off, s[0:3], 0 offset:108
	v_cmp_gt_u32_e32 vcc, 13, v0
	s_waitcnt vmcnt(0)
	ds_write_b64 v66, v[63:64]
	s_waitcnt lgkmcnt(0)
	; wave barrier
	s_and_saveexec_b64 s[4:5], vcc
	s_cbranch_execz .LBB30_61
; %bb.58:
	v_mov_b32_e32 v63, 0
	v_add_u32_e32 v68, -1, v0
	v_add_u32_e32 v69, 0x100, v65
	v_mov_b32_e32 v70, v65
	v_mov_b32_e32 v64, 0
	s_mov_b64 s[8:9], 0
.LBB30_59:                              ; =>This Inner Loop Header: Depth=1
	buffer_load_dword v71, v70, s[0:3], 0 offen
	buffer_load_dword v72, v70, s[0:3], 0 offen offset:4
	ds_read_b64 v[73:74], v69
	v_add_u32_e32 v68, 1, v68
	v_cmp_lt_u32_e32 vcc, 11, v68
	v_add_u32_e32 v69, 8, v69
	s_or_b64 s[8:9], vcc, s[8:9]
	v_add_u32_e32 v70, 8, v70
	s_waitcnt vmcnt(0) lgkmcnt(0)
	v_fma_f64 v[63:64], v[71:72], v[73:74], v[63:64]
	s_andn2_b64 exec, exec, s[8:9]
	s_cbranch_execnz .LBB30_59
; %bb.60:
	s_or_b64 exec, exec, s[8:9]
	v_mov_b32_e32 v68, 0
	ds_read_b64 v[68:69], v68 offset:104
	s_waitcnt lgkmcnt(0)
	v_mul_f64 v[63:64], v[63:64], v[68:69]
	buffer_store_dword v64, off, s[0:3], 0 offset:108
	buffer_store_dword v63, off, s[0:3], 0 offset:104
.LBB30_61:
	s_or_b64 exec, exec, s[4:5]
	; wave barrier
	buffer_load_dword v63, off, s[0:3], 0 offset:112
	buffer_load_dword v64, off, s[0:3], 0 offset:116
	v_cmp_gt_u32_e32 vcc, 14, v0
	s_waitcnt vmcnt(0)
	ds_write_b64 v66, v[63:64]
	s_waitcnt lgkmcnt(0)
	; wave barrier
	s_and_saveexec_b64 s[4:5], vcc
	s_cbranch_execz .LBB30_65
; %bb.62:
	v_mov_b32_e32 v63, 0
	v_add_u32_e32 v68, -1, v0
	v_add_u32_e32 v69, 0x100, v65
	v_mov_b32_e32 v70, v65
	v_mov_b32_e32 v64, 0
	s_mov_b64 s[8:9], 0
.LBB30_63:                              ; =>This Inner Loop Header: Depth=1
	buffer_load_dword v71, v70, s[0:3], 0 offen
	buffer_load_dword v72, v70, s[0:3], 0 offen offset:4
	ds_read_b64 v[73:74], v69
	v_add_u32_e32 v68, 1, v68
	v_cmp_lt_u32_e32 vcc, 12, v68
	v_add_u32_e32 v69, 8, v69
	s_or_b64 s[8:9], vcc, s[8:9]
	v_add_u32_e32 v70, 8, v70
	s_waitcnt vmcnt(0) lgkmcnt(0)
	v_fma_f64 v[63:64], v[71:72], v[73:74], v[63:64]
	s_andn2_b64 exec, exec, s[8:9]
	s_cbranch_execnz .LBB30_63
; %bb.64:
	s_or_b64 exec, exec, s[8:9]
	v_mov_b32_e32 v68, 0
	ds_read_b64 v[68:69], v68 offset:112
	s_waitcnt lgkmcnt(0)
	v_mul_f64 v[63:64], v[63:64], v[68:69]
	buffer_store_dword v64, off, s[0:3], 0 offset:116
	buffer_store_dword v63, off, s[0:3], 0 offset:112
.LBB30_65:
	s_or_b64 exec, exec, s[4:5]
	; wave barrier
	buffer_load_dword v63, off, s[0:3], 0 offset:120
	buffer_load_dword v64, off, s[0:3], 0 offset:124
	v_cmp_gt_u32_e32 vcc, 15, v0
	s_waitcnt vmcnt(0)
	ds_write_b64 v66, v[63:64]
	s_waitcnt lgkmcnt(0)
	; wave barrier
	s_and_saveexec_b64 s[4:5], vcc
	s_cbranch_execz .LBB30_69
; %bb.66:
	v_mov_b32_e32 v63, 0
	v_add_u32_e32 v68, -1, v0
	v_add_u32_e32 v69, 0x100, v65
	v_mov_b32_e32 v70, v65
	v_mov_b32_e32 v64, 0
	s_mov_b64 s[8:9], 0
.LBB30_67:                              ; =>This Inner Loop Header: Depth=1
	buffer_load_dword v71, v70, s[0:3], 0 offen
	buffer_load_dword v72, v70, s[0:3], 0 offen offset:4
	ds_read_b64 v[73:74], v69
	v_add_u32_e32 v68, 1, v68
	v_cmp_lt_u32_e32 vcc, 13, v68
	v_add_u32_e32 v69, 8, v69
	s_or_b64 s[8:9], vcc, s[8:9]
	v_add_u32_e32 v70, 8, v70
	s_waitcnt vmcnt(0) lgkmcnt(0)
	v_fma_f64 v[63:64], v[71:72], v[73:74], v[63:64]
	s_andn2_b64 exec, exec, s[8:9]
	s_cbranch_execnz .LBB30_67
; %bb.68:
	s_or_b64 exec, exec, s[8:9]
	v_mov_b32_e32 v68, 0
	ds_read_b64 v[68:69], v68 offset:120
	s_waitcnt lgkmcnt(0)
	v_mul_f64 v[63:64], v[63:64], v[68:69]
	buffer_store_dword v64, off, s[0:3], 0 offset:124
	buffer_store_dword v63, off, s[0:3], 0 offset:120
.LBB30_69:
	s_or_b64 exec, exec, s[4:5]
	; wave barrier
	buffer_load_dword v63, off, s[0:3], 0 offset:128
	buffer_load_dword v64, off, s[0:3], 0 offset:132
	v_cmp_gt_u32_e32 vcc, 16, v0
	s_waitcnt vmcnt(0)
	ds_write_b64 v66, v[63:64]
	s_waitcnt lgkmcnt(0)
	; wave barrier
	s_and_saveexec_b64 s[4:5], vcc
	s_cbranch_execz .LBB30_73
; %bb.70:
	v_mov_b32_e32 v63, 0
	v_add_u32_e32 v68, -1, v0
	v_add_u32_e32 v69, 0x100, v65
	v_mov_b32_e32 v70, v65
	v_mov_b32_e32 v64, 0
	s_mov_b64 s[8:9], 0
.LBB30_71:                              ; =>This Inner Loop Header: Depth=1
	buffer_load_dword v71, v70, s[0:3], 0 offen
	buffer_load_dword v72, v70, s[0:3], 0 offen offset:4
	ds_read_b64 v[73:74], v69
	v_add_u32_e32 v68, 1, v68
	v_cmp_lt_u32_e32 vcc, 14, v68
	v_add_u32_e32 v69, 8, v69
	s_or_b64 s[8:9], vcc, s[8:9]
	v_add_u32_e32 v70, 8, v70
	s_waitcnt vmcnt(0) lgkmcnt(0)
	v_fma_f64 v[63:64], v[71:72], v[73:74], v[63:64]
	s_andn2_b64 exec, exec, s[8:9]
	s_cbranch_execnz .LBB30_71
; %bb.72:
	s_or_b64 exec, exec, s[8:9]
	v_mov_b32_e32 v68, 0
	ds_read_b64 v[68:69], v68 offset:128
	s_waitcnt lgkmcnt(0)
	v_mul_f64 v[63:64], v[63:64], v[68:69]
	buffer_store_dword v64, off, s[0:3], 0 offset:132
	buffer_store_dword v63, off, s[0:3], 0 offset:128
.LBB30_73:
	s_or_b64 exec, exec, s[4:5]
	; wave barrier
	buffer_load_dword v63, off, s[0:3], 0 offset:136
	buffer_load_dword v64, off, s[0:3], 0 offset:140
	v_cmp_gt_u32_e32 vcc, 17, v0
	s_waitcnt vmcnt(0)
	ds_write_b64 v66, v[63:64]
	s_waitcnt lgkmcnt(0)
	; wave barrier
	s_and_saveexec_b64 s[4:5], vcc
	s_cbranch_execz .LBB30_77
; %bb.74:
	v_mov_b32_e32 v63, 0
	v_add_u32_e32 v68, -1, v0
	v_add_u32_e32 v69, 0x100, v65
	v_mov_b32_e32 v70, v65
	v_mov_b32_e32 v64, 0
	s_mov_b64 s[8:9], 0
.LBB30_75:                              ; =>This Inner Loop Header: Depth=1
	buffer_load_dword v71, v70, s[0:3], 0 offen
	buffer_load_dword v72, v70, s[0:3], 0 offen offset:4
	ds_read_b64 v[73:74], v69
	v_add_u32_e32 v68, 1, v68
	v_cmp_lt_u32_e32 vcc, 15, v68
	v_add_u32_e32 v69, 8, v69
	s_or_b64 s[8:9], vcc, s[8:9]
	v_add_u32_e32 v70, 8, v70
	s_waitcnt vmcnt(0) lgkmcnt(0)
	v_fma_f64 v[63:64], v[71:72], v[73:74], v[63:64]
	s_andn2_b64 exec, exec, s[8:9]
	s_cbranch_execnz .LBB30_75
; %bb.76:
	s_or_b64 exec, exec, s[8:9]
	v_mov_b32_e32 v68, 0
	ds_read_b64 v[68:69], v68 offset:136
	s_waitcnt lgkmcnt(0)
	v_mul_f64 v[63:64], v[63:64], v[68:69]
	buffer_store_dword v64, off, s[0:3], 0 offset:140
	buffer_store_dword v63, off, s[0:3], 0 offset:136
.LBB30_77:
	s_or_b64 exec, exec, s[4:5]
	; wave barrier
	buffer_load_dword v63, off, s[0:3], 0 offset:144
	buffer_load_dword v64, off, s[0:3], 0 offset:148
	v_cmp_gt_u32_e32 vcc, 18, v0
	s_waitcnt vmcnt(0)
	ds_write_b64 v66, v[63:64]
	s_waitcnt lgkmcnt(0)
	; wave barrier
	s_and_saveexec_b64 s[4:5], vcc
	s_cbranch_execz .LBB30_81
; %bb.78:
	v_mov_b32_e32 v63, 0
	v_add_u32_e32 v68, -1, v0
	v_add_u32_e32 v69, 0x100, v65
	v_mov_b32_e32 v70, v65
	v_mov_b32_e32 v64, 0
	s_mov_b64 s[8:9], 0
.LBB30_79:                              ; =>This Inner Loop Header: Depth=1
	buffer_load_dword v71, v70, s[0:3], 0 offen
	buffer_load_dword v72, v70, s[0:3], 0 offen offset:4
	ds_read_b64 v[73:74], v69
	v_add_u32_e32 v68, 1, v68
	v_cmp_lt_u32_e32 vcc, 16, v68
	v_add_u32_e32 v69, 8, v69
	s_or_b64 s[8:9], vcc, s[8:9]
	v_add_u32_e32 v70, 8, v70
	s_waitcnt vmcnt(0) lgkmcnt(0)
	v_fma_f64 v[63:64], v[71:72], v[73:74], v[63:64]
	s_andn2_b64 exec, exec, s[8:9]
	s_cbranch_execnz .LBB30_79
; %bb.80:
	s_or_b64 exec, exec, s[8:9]
	v_mov_b32_e32 v68, 0
	ds_read_b64 v[68:69], v68 offset:144
	s_waitcnt lgkmcnt(0)
	v_mul_f64 v[63:64], v[63:64], v[68:69]
	buffer_store_dword v64, off, s[0:3], 0 offset:148
	buffer_store_dword v63, off, s[0:3], 0 offset:144
.LBB30_81:
	s_or_b64 exec, exec, s[4:5]
	; wave barrier
	buffer_load_dword v63, off, s[0:3], 0 offset:152
	buffer_load_dword v64, off, s[0:3], 0 offset:156
	v_cmp_gt_u32_e32 vcc, 19, v0
	s_waitcnt vmcnt(0)
	ds_write_b64 v66, v[63:64]
	s_waitcnt lgkmcnt(0)
	; wave barrier
	s_and_saveexec_b64 s[4:5], vcc
	s_cbranch_execz .LBB30_85
; %bb.82:
	v_mov_b32_e32 v63, 0
	v_add_u32_e32 v68, -1, v0
	v_add_u32_e32 v69, 0x100, v65
	v_mov_b32_e32 v70, v65
	v_mov_b32_e32 v64, 0
	s_mov_b64 s[8:9], 0
.LBB30_83:                              ; =>This Inner Loop Header: Depth=1
	buffer_load_dword v71, v70, s[0:3], 0 offen
	buffer_load_dword v72, v70, s[0:3], 0 offen offset:4
	ds_read_b64 v[73:74], v69
	v_add_u32_e32 v68, 1, v68
	v_cmp_lt_u32_e32 vcc, 17, v68
	v_add_u32_e32 v69, 8, v69
	s_or_b64 s[8:9], vcc, s[8:9]
	v_add_u32_e32 v70, 8, v70
	s_waitcnt vmcnt(0) lgkmcnt(0)
	v_fma_f64 v[63:64], v[71:72], v[73:74], v[63:64]
	s_andn2_b64 exec, exec, s[8:9]
	s_cbranch_execnz .LBB30_83
; %bb.84:
	s_or_b64 exec, exec, s[8:9]
	v_mov_b32_e32 v68, 0
	ds_read_b64 v[68:69], v68 offset:152
	s_waitcnt lgkmcnt(0)
	v_mul_f64 v[63:64], v[63:64], v[68:69]
	buffer_store_dword v64, off, s[0:3], 0 offset:156
	buffer_store_dword v63, off, s[0:3], 0 offset:152
.LBB30_85:
	s_or_b64 exec, exec, s[4:5]
	; wave barrier
	buffer_load_dword v63, off, s[0:3], 0 offset:160
	buffer_load_dword v64, off, s[0:3], 0 offset:164
	v_cmp_gt_u32_e32 vcc, 20, v0
	s_waitcnt vmcnt(0)
	ds_write_b64 v66, v[63:64]
	s_waitcnt lgkmcnt(0)
	; wave barrier
	s_and_saveexec_b64 s[4:5], vcc
	s_cbranch_execz .LBB30_89
; %bb.86:
	v_mov_b32_e32 v63, 0
	v_add_u32_e32 v68, -1, v0
	v_add_u32_e32 v69, 0x100, v65
	v_mov_b32_e32 v70, v65
	v_mov_b32_e32 v64, 0
	s_mov_b64 s[8:9], 0
.LBB30_87:                              ; =>This Inner Loop Header: Depth=1
	buffer_load_dword v71, v70, s[0:3], 0 offen
	buffer_load_dword v72, v70, s[0:3], 0 offen offset:4
	ds_read_b64 v[73:74], v69
	v_add_u32_e32 v68, 1, v68
	v_cmp_lt_u32_e32 vcc, 18, v68
	v_add_u32_e32 v69, 8, v69
	s_or_b64 s[8:9], vcc, s[8:9]
	v_add_u32_e32 v70, 8, v70
	s_waitcnt vmcnt(0) lgkmcnt(0)
	v_fma_f64 v[63:64], v[71:72], v[73:74], v[63:64]
	s_andn2_b64 exec, exec, s[8:9]
	s_cbranch_execnz .LBB30_87
; %bb.88:
	s_or_b64 exec, exec, s[8:9]
	v_mov_b32_e32 v68, 0
	ds_read_b64 v[68:69], v68 offset:160
	s_waitcnt lgkmcnt(0)
	v_mul_f64 v[63:64], v[63:64], v[68:69]
	buffer_store_dword v64, off, s[0:3], 0 offset:164
	buffer_store_dword v63, off, s[0:3], 0 offset:160
.LBB30_89:
	s_or_b64 exec, exec, s[4:5]
	; wave barrier
	buffer_load_dword v63, off, s[0:3], 0 offset:168
	buffer_load_dword v64, off, s[0:3], 0 offset:172
	v_cmp_gt_u32_e32 vcc, 21, v0
	s_waitcnt vmcnt(0)
	ds_write_b64 v66, v[63:64]
	s_waitcnt lgkmcnt(0)
	; wave barrier
	s_and_saveexec_b64 s[4:5], vcc
	s_cbranch_execz .LBB30_93
; %bb.90:
	v_mov_b32_e32 v63, 0
	v_add_u32_e32 v68, -1, v0
	v_add_u32_e32 v69, 0x100, v65
	v_mov_b32_e32 v70, v65
	v_mov_b32_e32 v64, 0
	s_mov_b64 s[8:9], 0
.LBB30_91:                              ; =>This Inner Loop Header: Depth=1
	buffer_load_dword v71, v70, s[0:3], 0 offen
	buffer_load_dword v72, v70, s[0:3], 0 offen offset:4
	ds_read_b64 v[73:74], v69
	v_add_u32_e32 v68, 1, v68
	v_cmp_lt_u32_e32 vcc, 19, v68
	v_add_u32_e32 v69, 8, v69
	s_or_b64 s[8:9], vcc, s[8:9]
	v_add_u32_e32 v70, 8, v70
	s_waitcnt vmcnt(0) lgkmcnt(0)
	v_fma_f64 v[63:64], v[71:72], v[73:74], v[63:64]
	s_andn2_b64 exec, exec, s[8:9]
	s_cbranch_execnz .LBB30_91
; %bb.92:
	s_or_b64 exec, exec, s[8:9]
	v_mov_b32_e32 v68, 0
	ds_read_b64 v[68:69], v68 offset:168
	s_waitcnt lgkmcnt(0)
	v_mul_f64 v[63:64], v[63:64], v[68:69]
	buffer_store_dword v64, off, s[0:3], 0 offset:172
	buffer_store_dword v63, off, s[0:3], 0 offset:168
.LBB30_93:
	s_or_b64 exec, exec, s[4:5]
	; wave barrier
	buffer_load_dword v63, off, s[0:3], 0 offset:176
	buffer_load_dword v64, off, s[0:3], 0 offset:180
	v_cmp_gt_u32_e32 vcc, 22, v0
	s_waitcnt vmcnt(0)
	ds_write_b64 v66, v[63:64]
	s_waitcnt lgkmcnt(0)
	; wave barrier
	s_and_saveexec_b64 s[4:5], vcc
	s_cbranch_execz .LBB30_97
; %bb.94:
	v_mov_b32_e32 v63, 0
	v_add_u32_e32 v68, -1, v0
	v_add_u32_e32 v69, 0x100, v65
	v_mov_b32_e32 v70, v65
	v_mov_b32_e32 v64, 0
	s_mov_b64 s[8:9], 0
.LBB30_95:                              ; =>This Inner Loop Header: Depth=1
	buffer_load_dword v71, v70, s[0:3], 0 offen
	buffer_load_dword v72, v70, s[0:3], 0 offen offset:4
	ds_read_b64 v[73:74], v69
	v_add_u32_e32 v68, 1, v68
	v_cmp_lt_u32_e32 vcc, 20, v68
	v_add_u32_e32 v69, 8, v69
	s_or_b64 s[8:9], vcc, s[8:9]
	v_add_u32_e32 v70, 8, v70
	s_waitcnt vmcnt(0) lgkmcnt(0)
	v_fma_f64 v[63:64], v[71:72], v[73:74], v[63:64]
	s_andn2_b64 exec, exec, s[8:9]
	s_cbranch_execnz .LBB30_95
; %bb.96:
	s_or_b64 exec, exec, s[8:9]
	v_mov_b32_e32 v68, 0
	ds_read_b64 v[68:69], v68 offset:176
	s_waitcnt lgkmcnt(0)
	v_mul_f64 v[63:64], v[63:64], v[68:69]
	buffer_store_dword v64, off, s[0:3], 0 offset:180
	buffer_store_dword v63, off, s[0:3], 0 offset:176
.LBB30_97:
	s_or_b64 exec, exec, s[4:5]
	; wave barrier
	buffer_load_dword v63, off, s[0:3], 0 offset:184
	buffer_load_dword v64, off, s[0:3], 0 offset:188
	v_cmp_gt_u32_e32 vcc, 23, v0
	s_waitcnt vmcnt(0)
	ds_write_b64 v66, v[63:64]
	s_waitcnt lgkmcnt(0)
	; wave barrier
	s_and_saveexec_b64 s[4:5], vcc
	s_cbranch_execz .LBB30_101
; %bb.98:
	v_mov_b32_e32 v63, 0
	v_add_u32_e32 v68, -1, v0
	v_add_u32_e32 v69, 0x100, v65
	v_mov_b32_e32 v70, v65
	v_mov_b32_e32 v64, 0
	s_mov_b64 s[8:9], 0
.LBB30_99:                              ; =>This Inner Loop Header: Depth=1
	buffer_load_dword v71, v70, s[0:3], 0 offen
	buffer_load_dword v72, v70, s[0:3], 0 offen offset:4
	ds_read_b64 v[73:74], v69
	v_add_u32_e32 v68, 1, v68
	v_cmp_lt_u32_e32 vcc, 21, v68
	v_add_u32_e32 v69, 8, v69
	s_or_b64 s[8:9], vcc, s[8:9]
	v_add_u32_e32 v70, 8, v70
	s_waitcnt vmcnt(0) lgkmcnt(0)
	v_fma_f64 v[63:64], v[71:72], v[73:74], v[63:64]
	s_andn2_b64 exec, exec, s[8:9]
	s_cbranch_execnz .LBB30_99
; %bb.100:
	s_or_b64 exec, exec, s[8:9]
	v_mov_b32_e32 v68, 0
	ds_read_b64 v[68:69], v68 offset:184
	s_waitcnt lgkmcnt(0)
	v_mul_f64 v[63:64], v[63:64], v[68:69]
	buffer_store_dword v64, off, s[0:3], 0 offset:188
	buffer_store_dword v63, off, s[0:3], 0 offset:184
.LBB30_101:
	s_or_b64 exec, exec, s[4:5]
	; wave barrier
	buffer_load_dword v63, off, s[0:3], 0 offset:192
	buffer_load_dword v64, off, s[0:3], 0 offset:196
	v_cmp_gt_u32_e32 vcc, 24, v0
	s_waitcnt vmcnt(0)
	ds_write_b64 v66, v[63:64]
	s_waitcnt lgkmcnt(0)
	; wave barrier
	s_and_saveexec_b64 s[4:5], vcc
	s_cbranch_execz .LBB30_105
; %bb.102:
	v_mov_b32_e32 v63, 0
	v_add_u32_e32 v68, -1, v0
	v_add_u32_e32 v69, 0x100, v65
	v_mov_b32_e32 v70, v65
	v_mov_b32_e32 v64, 0
	s_mov_b64 s[8:9], 0
.LBB30_103:                             ; =>This Inner Loop Header: Depth=1
	buffer_load_dword v71, v70, s[0:3], 0 offen
	buffer_load_dword v72, v70, s[0:3], 0 offen offset:4
	ds_read_b64 v[73:74], v69
	v_add_u32_e32 v68, 1, v68
	v_cmp_lt_u32_e32 vcc, 22, v68
	v_add_u32_e32 v69, 8, v69
	s_or_b64 s[8:9], vcc, s[8:9]
	v_add_u32_e32 v70, 8, v70
	s_waitcnt vmcnt(0) lgkmcnt(0)
	v_fma_f64 v[63:64], v[71:72], v[73:74], v[63:64]
	s_andn2_b64 exec, exec, s[8:9]
	s_cbranch_execnz .LBB30_103
; %bb.104:
	s_or_b64 exec, exec, s[8:9]
	v_mov_b32_e32 v68, 0
	ds_read_b64 v[68:69], v68 offset:192
	s_waitcnt lgkmcnt(0)
	v_mul_f64 v[63:64], v[63:64], v[68:69]
	buffer_store_dword v64, off, s[0:3], 0 offset:196
	buffer_store_dword v63, off, s[0:3], 0 offset:192
.LBB30_105:
	s_or_b64 exec, exec, s[4:5]
	; wave barrier
	buffer_load_dword v63, off, s[0:3], 0 offset:200
	buffer_load_dword v64, off, s[0:3], 0 offset:204
	v_cmp_gt_u32_e32 vcc, 25, v0
	s_waitcnt vmcnt(0)
	ds_write_b64 v66, v[63:64]
	s_waitcnt lgkmcnt(0)
	; wave barrier
	s_and_saveexec_b64 s[4:5], vcc
	s_cbranch_execz .LBB30_109
; %bb.106:
	v_mov_b32_e32 v63, 0
	v_add_u32_e32 v68, -1, v0
	v_add_u32_e32 v69, 0x100, v65
	v_mov_b32_e32 v70, v65
	v_mov_b32_e32 v64, 0
	s_mov_b64 s[8:9], 0
.LBB30_107:                             ; =>This Inner Loop Header: Depth=1
	buffer_load_dword v71, v70, s[0:3], 0 offen
	buffer_load_dword v72, v70, s[0:3], 0 offen offset:4
	ds_read_b64 v[73:74], v69
	v_add_u32_e32 v68, 1, v68
	v_cmp_lt_u32_e32 vcc, 23, v68
	v_add_u32_e32 v69, 8, v69
	s_or_b64 s[8:9], vcc, s[8:9]
	v_add_u32_e32 v70, 8, v70
	s_waitcnt vmcnt(0) lgkmcnt(0)
	v_fma_f64 v[63:64], v[71:72], v[73:74], v[63:64]
	s_andn2_b64 exec, exec, s[8:9]
	s_cbranch_execnz .LBB30_107
; %bb.108:
	s_or_b64 exec, exec, s[8:9]
	v_mov_b32_e32 v68, 0
	ds_read_b64 v[68:69], v68 offset:200
	s_waitcnt lgkmcnt(0)
	v_mul_f64 v[63:64], v[63:64], v[68:69]
	buffer_store_dword v64, off, s[0:3], 0 offset:204
	buffer_store_dword v63, off, s[0:3], 0 offset:200
.LBB30_109:
	s_or_b64 exec, exec, s[4:5]
	; wave barrier
	buffer_load_dword v63, off, s[0:3], 0 offset:208
	buffer_load_dword v64, off, s[0:3], 0 offset:212
	v_cmp_gt_u32_e32 vcc, 26, v0
	;; [unrolled: 40-line block ×5, first 2 shown]
	s_waitcnt vmcnt(0)
	ds_write_b64 v66, v[63:64]
	s_waitcnt lgkmcnt(0)
	; wave barrier
	s_and_saveexec_b64 s[4:5], vcc
	s_cbranch_execz .LBB30_125
; %bb.122:
	v_mov_b32_e32 v63, 0
	v_add_u32_e32 v68, -1, v0
	v_add_u32_e32 v69, 0x100, v65
	v_mov_b32_e32 v70, v65
	v_mov_b32_e32 v64, 0
	s_mov_b64 s[8:9], 0
.LBB30_123:                             ; =>This Inner Loop Header: Depth=1
	buffer_load_dword v71, v70, s[0:3], 0 offen
	buffer_load_dword v72, v70, s[0:3], 0 offen offset:4
	ds_read_b64 v[73:74], v69
	v_add_u32_e32 v68, 1, v68
	v_cmp_lt_u32_e32 vcc, 27, v68
	v_add_u32_e32 v69, 8, v69
	s_or_b64 s[8:9], vcc, s[8:9]
	v_add_u32_e32 v70, 8, v70
	s_waitcnt vmcnt(0) lgkmcnt(0)
	v_fma_f64 v[63:64], v[71:72], v[73:74], v[63:64]
	s_andn2_b64 exec, exec, s[8:9]
	s_cbranch_execnz .LBB30_123
; %bb.124:
	s_or_b64 exec, exec, s[8:9]
	v_mov_b32_e32 v68, 0
	ds_read_b64 v[68:69], v68 offset:232
	s_waitcnt lgkmcnt(0)
	v_mul_f64 v[63:64], v[63:64], v[68:69]
	buffer_store_dword v64, off, s[0:3], 0 offset:236
	buffer_store_dword v63, off, s[0:3], 0 offset:232
.LBB30_125:
	s_or_b64 exec, exec, s[4:5]
	; wave barrier
	buffer_load_dword v63, off, s[0:3], 0 offset:240
	buffer_load_dword v64, off, s[0:3], 0 offset:244
	v_cmp_ne_u32_e32 vcc, 30, v0
	s_waitcnt vmcnt(0)
	ds_write_b64 v66, v[63:64]
	s_waitcnt lgkmcnt(0)
	; wave barrier
	s_and_saveexec_b64 s[4:5], vcc
	s_cbranch_execz .LBB30_129
; %bb.126:
	v_mov_b32_e32 v63, 0
	v_add_u32_e32 v66, 0x100, v65
	v_mov_b32_e32 v64, 0
	s_mov_b64 s[8:9], 0
.LBB30_127:                             ; =>This Inner Loop Header: Depth=1
	buffer_load_dword v68, v65, s[0:3], 0 offen
	buffer_load_dword v69, v65, s[0:3], 0 offen offset:4
	ds_read_b64 v[70:71], v66
	v_add_u32_e32 v67, 1, v67
	v_cmp_lt_u32_e32 vcc, 28, v67
	v_add_u32_e32 v66, 8, v66
	s_or_b64 s[8:9], vcc, s[8:9]
	v_add_u32_e32 v65, 8, v65
	s_waitcnt vmcnt(0) lgkmcnt(0)
	v_fma_f64 v[63:64], v[68:69], v[70:71], v[63:64]
	s_andn2_b64 exec, exec, s[8:9]
	s_cbranch_execnz .LBB30_127
; %bb.128:
	s_or_b64 exec, exec, s[8:9]
	v_mov_b32_e32 v65, 0
	ds_read_b64 v[65:66], v65 offset:240
	s_waitcnt lgkmcnt(0)
	v_mul_f64 v[63:64], v[63:64], v[65:66]
	buffer_store_dword v64, off, s[0:3], 0 offset:244
	buffer_store_dword v63, off, s[0:3], 0 offset:240
.LBB30_129:
	s_or_b64 exec, exec, s[4:5]
	s_mov_b64 s[8:9], -1
	; wave barrier
.LBB30_130:
	s_and_b64 vcc, exec, s[8:9]
	s_cbranch_vccz .LBB30_132
; %bb.131:
	s_lshl_b64 s[4:5], s[6:7], 2
	s_add_u32 s4, s10, s4
	s_addc_u32 s5, s11, s5
	v_mov_b32_e32 v63, 0
	global_load_dword v63, v63, s[4:5]
	s_waitcnt vmcnt(0)
	v_cmp_ne_u32_e32 vcc, 0, v63
	s_cbranch_vccz .LBB30_133
.LBB30_132:
	s_endpgm
.LBB30_133:
	v_mov_b32_e32 v63, 0x100
	v_lshl_add_u32 v63, v0, 3, v63
	v_cmp_eq_u32_e32 vcc, 30, v0
	s_and_saveexec_b64 s[4:5], vcc
	s_cbranch_execz .LBB30_135
; %bb.134:
	buffer_load_dword v64, off, s[0:3], 0 offset:232
	buffer_load_dword v65, off, s[0:3], 0 offset:236
	v_mov_b32_e32 v66, 0
	buffer_store_dword v66, off, s[0:3], 0 offset:232
	buffer_store_dword v66, off, s[0:3], 0 offset:236
	s_waitcnt vmcnt(2)
	ds_write_b64 v63, v[64:65]
.LBB30_135:
	s_or_b64 exec, exec, s[4:5]
	s_waitcnt lgkmcnt(0)
	; wave barrier
	buffer_load_dword v65, off, s[0:3], 0 offset:240
	buffer_load_dword v66, off, s[0:3], 0 offset:244
	;; [unrolled: 1-line block ×4, first 2 shown]
	v_mov_b32_e32 v64, 0
	ds_read_b64 v[69:70], v64 offset:496
	v_cmp_lt_u32_e32 vcc, 28, v0
	s_waitcnt vmcnt(2) lgkmcnt(0)
	v_fma_f64 v[65:66], v[65:66], v[69:70], 0
	s_waitcnt vmcnt(0)
	v_add_f64 v[65:66], v[67:68], -v[65:66]
	buffer_store_dword v65, off, s[0:3], 0 offset:232
	buffer_store_dword v66, off, s[0:3], 0 offset:236
	s_and_saveexec_b64 s[4:5], vcc
	s_cbranch_execz .LBB30_137
; %bb.136:
	buffer_load_dword v65, off, s[0:3], 0 offset:224
	buffer_load_dword v66, off, s[0:3], 0 offset:228
	s_waitcnt vmcnt(0)
	ds_write_b64 v63, v[65:66]
	buffer_store_dword v64, off, s[0:3], 0 offset:224
	buffer_store_dword v64, off, s[0:3], 0 offset:228
.LBB30_137:
	s_or_b64 exec, exec, s[4:5]
	s_waitcnt lgkmcnt(0)
	; wave barrier
	buffer_load_dword v68, off, s[0:3], 0 offset:232
	buffer_load_dword v69, off, s[0:3], 0 offset:236
	;; [unrolled: 1-line block ×6, first 2 shown]
	ds_read2_b64 v[64:67], v64 offset0:61 offset1:62
	v_cmp_lt_u32_e32 vcc, 27, v0
	s_waitcnt vmcnt(4) lgkmcnt(0)
	v_fma_f64 v[64:65], v[68:69], v[64:65], 0
	s_waitcnt vmcnt(2)
	v_fma_f64 v[64:65], v[70:71], v[66:67], v[64:65]
	s_waitcnt vmcnt(0)
	v_add_f64 v[64:65], v[72:73], -v[64:65]
	buffer_store_dword v64, off, s[0:3], 0 offset:224
	buffer_store_dword v65, off, s[0:3], 0 offset:228
	s_and_saveexec_b64 s[4:5], vcc
	s_cbranch_execz .LBB30_139
; %bb.138:
	buffer_load_dword v64, off, s[0:3], 0 offset:216
	buffer_load_dword v65, off, s[0:3], 0 offset:220
	v_mov_b32_e32 v66, 0
	buffer_store_dword v66, off, s[0:3], 0 offset:216
	buffer_store_dword v66, off, s[0:3], 0 offset:220
	s_waitcnt vmcnt(2)
	ds_write_b64 v63, v[64:65]
.LBB30_139:
	s_or_b64 exec, exec, s[4:5]
	s_waitcnt lgkmcnt(0)
	; wave barrier
	buffer_load_dword v69, off, s[0:3], 0 offset:224
	buffer_load_dword v70, off, s[0:3], 0 offset:228
	;; [unrolled: 1-line block ×8, first 2 shown]
	v_mov_b32_e32 v64, 0
	ds_read_b128 v[65:68], v64 offset:480
	ds_read_b64 v[77:78], v64 offset:496
	v_cmp_lt_u32_e32 vcc, 26, v0
	s_waitcnt vmcnt(6) lgkmcnt(1)
	v_fma_f64 v[65:66], v[69:70], v[65:66], 0
	s_waitcnt vmcnt(4)
	v_fma_f64 v[65:66], v[71:72], v[67:68], v[65:66]
	s_waitcnt vmcnt(2) lgkmcnt(0)
	v_fma_f64 v[65:66], v[73:74], v[77:78], v[65:66]
	s_waitcnt vmcnt(0)
	v_add_f64 v[65:66], v[75:76], -v[65:66]
	buffer_store_dword v65, off, s[0:3], 0 offset:216
	buffer_store_dword v66, off, s[0:3], 0 offset:220
	s_and_saveexec_b64 s[4:5], vcc
	s_cbranch_execz .LBB30_141
; %bb.140:
	buffer_load_dword v65, off, s[0:3], 0 offset:208
	buffer_load_dword v66, off, s[0:3], 0 offset:212
	s_waitcnt vmcnt(0)
	ds_write_b64 v63, v[65:66]
	buffer_store_dword v64, off, s[0:3], 0 offset:208
	buffer_store_dword v64, off, s[0:3], 0 offset:212
.LBB30_141:
	s_or_b64 exec, exec, s[4:5]
	s_waitcnt lgkmcnt(0)
	; wave barrier
	buffer_load_dword v73, off, s[0:3], 0 offset:216
	buffer_load_dword v74, off, s[0:3], 0 offset:220
	;; [unrolled: 1-line block ×10, first 2 shown]
	ds_read2_b64 v[65:68], v64 offset0:59 offset1:60
	ds_read2_b64 v[69:72], v64 offset0:61 offset1:62
	v_cmp_lt_u32_e32 vcc, 25, v0
	s_waitcnt vmcnt(8) lgkmcnt(1)
	v_fma_f64 v[64:65], v[73:74], v[65:66], 0
	s_waitcnt vmcnt(6)
	v_fma_f64 v[64:65], v[75:76], v[67:68], v[64:65]
	s_waitcnt vmcnt(4) lgkmcnt(0)
	v_fma_f64 v[64:65], v[77:78], v[69:70], v[64:65]
	s_waitcnt vmcnt(2)
	v_fma_f64 v[64:65], v[79:80], v[71:72], v[64:65]
	s_waitcnt vmcnt(0)
	v_add_f64 v[64:65], v[81:82], -v[64:65]
	buffer_store_dword v64, off, s[0:3], 0 offset:208
	buffer_store_dword v65, off, s[0:3], 0 offset:212
	s_and_saveexec_b64 s[4:5], vcc
	s_cbranch_execz .LBB30_143
; %bb.142:
	buffer_load_dword v64, off, s[0:3], 0 offset:200
	buffer_load_dword v65, off, s[0:3], 0 offset:204
	v_mov_b32_e32 v66, 0
	buffer_store_dword v66, off, s[0:3], 0 offset:200
	buffer_store_dword v66, off, s[0:3], 0 offset:204
	s_waitcnt vmcnt(2)
	ds_write_b64 v63, v[64:65]
.LBB30_143:
	s_or_b64 exec, exec, s[4:5]
	s_waitcnt lgkmcnt(0)
	; wave barrier
	buffer_load_dword v69, off, s[0:3], 0 offset:208
	buffer_load_dword v70, off, s[0:3], 0 offset:212
	;; [unrolled: 1-line block ×12, first 2 shown]
	v_mov_b32_e32 v64, 0
	ds_read_b128 v[65:68], v64 offset:464
	v_cmp_lt_u32_e32 vcc, 24, v0
	s_waitcnt vmcnt(10) lgkmcnt(0)
	v_fma_f64 v[65:66], v[69:70], v[65:66], 0
	s_waitcnt vmcnt(8)
	v_fma_f64 v[69:70], v[71:72], v[67:68], v[65:66]
	ds_read_b128 v[65:68], v64 offset:480
	s_waitcnt vmcnt(6) lgkmcnt(0)
	v_fma_f64 v[65:66], v[73:74], v[65:66], v[69:70]
	s_waitcnt vmcnt(4)
	v_fma_f64 v[65:66], v[75:76], v[67:68], v[65:66]
	ds_read_b64 v[67:68], v64 offset:496
	s_waitcnt vmcnt(2) lgkmcnt(0)
	v_fma_f64 v[65:66], v[77:78], v[67:68], v[65:66]
	s_waitcnt vmcnt(0)
	v_add_f64 v[65:66], v[79:80], -v[65:66]
	buffer_store_dword v65, off, s[0:3], 0 offset:200
	buffer_store_dword v66, off, s[0:3], 0 offset:204
	s_and_saveexec_b64 s[4:5], vcc
	s_cbranch_execz .LBB30_145
; %bb.144:
	buffer_load_dword v65, off, s[0:3], 0 offset:192
	buffer_load_dword v66, off, s[0:3], 0 offset:196
	s_waitcnt vmcnt(0)
	ds_write_b64 v63, v[65:66]
	buffer_store_dword v64, off, s[0:3], 0 offset:192
	buffer_store_dword v64, off, s[0:3], 0 offset:196
.LBB30_145:
	s_or_b64 exec, exec, s[4:5]
	s_waitcnt lgkmcnt(0)
	; wave barrier
	buffer_load_dword v69, off, s[0:3], 0 offset:200
	buffer_load_dword v70, off, s[0:3], 0 offset:204
	buffer_load_dword v71, off, s[0:3], 0 offset:208
	buffer_load_dword v72, off, s[0:3], 0 offset:212
	buffer_load_dword v73, off, s[0:3], 0 offset:216
	buffer_load_dword v74, off, s[0:3], 0 offset:220
	buffer_load_dword v75, off, s[0:3], 0 offset:224
	buffer_load_dword v76, off, s[0:3], 0 offset:228
	buffer_load_dword v77, off, s[0:3], 0 offset:232
	buffer_load_dword v78, off, s[0:3], 0 offset:236
	buffer_load_dword v79, off, s[0:3], 0 offset:240
	buffer_load_dword v80, off, s[0:3], 0 offset:244
	buffer_load_dword v81, off, s[0:3], 0 offset:192
	buffer_load_dword v82, off, s[0:3], 0 offset:196
	ds_read2_b64 v[65:68], v64 offset0:57 offset1:58
	v_cmp_lt_u32_e32 vcc, 23, v0
	s_waitcnt vmcnt(12) lgkmcnt(0)
	v_fma_f64 v[65:66], v[69:70], v[65:66], 0
	s_waitcnt vmcnt(10)
	v_fma_f64 v[69:70], v[71:72], v[67:68], v[65:66]
	ds_read2_b64 v[65:68], v64 offset0:59 offset1:60
	s_waitcnt vmcnt(8) lgkmcnt(0)
	v_fma_f64 v[65:66], v[73:74], v[65:66], v[69:70]
	s_waitcnt vmcnt(6)
	v_fma_f64 v[68:69], v[75:76], v[67:68], v[65:66]
	ds_read2_b64 v[64:67], v64 offset0:61 offset1:62
	s_waitcnt vmcnt(4) lgkmcnt(0)
	v_fma_f64 v[64:65], v[77:78], v[64:65], v[68:69]
	s_waitcnt vmcnt(2)
	v_fma_f64 v[64:65], v[79:80], v[66:67], v[64:65]
	s_waitcnt vmcnt(0)
	v_add_f64 v[64:65], v[81:82], -v[64:65]
	buffer_store_dword v64, off, s[0:3], 0 offset:192
	buffer_store_dword v65, off, s[0:3], 0 offset:196
	s_and_saveexec_b64 s[4:5], vcc
	s_cbranch_execz .LBB30_147
; %bb.146:
	buffer_load_dword v64, off, s[0:3], 0 offset:184
	buffer_load_dword v65, off, s[0:3], 0 offset:188
	v_mov_b32_e32 v66, 0
	buffer_store_dword v66, off, s[0:3], 0 offset:184
	buffer_store_dword v66, off, s[0:3], 0 offset:188
	s_waitcnt vmcnt(2)
	ds_write_b64 v63, v[64:65]
.LBB30_147:
	s_or_b64 exec, exec, s[4:5]
	s_waitcnt lgkmcnt(0)
	; wave barrier
	buffer_load_dword v73, off, s[0:3], 0 offset:192
	buffer_load_dword v74, off, s[0:3], 0 offset:196
	;; [unrolled: 1-line block ×16, first 2 shown]
	v_mov_b32_e32 v64, 0
	ds_read_b128 v[65:68], v64 offset:448
	ds_read_b128 v[69:72], v64 offset:464
	v_cmp_lt_u32_e32 vcc, 22, v0
	s_waitcnt vmcnt(14) lgkmcnt(1)
	v_fma_f64 v[65:66], v[73:74], v[65:66], 0
	s_waitcnt vmcnt(12)
	v_fma_f64 v[65:66], v[75:76], v[67:68], v[65:66]
	s_waitcnt vmcnt(10) lgkmcnt(0)
	v_fma_f64 v[65:66], v[77:78], v[69:70], v[65:66]
	s_waitcnt vmcnt(8)
	v_fma_f64 v[69:70], v[79:80], v[71:72], v[65:66]
	ds_read_b128 v[65:68], v64 offset:480
	ds_read_b64 v[71:72], v64 offset:496
	s_waitcnt vmcnt(6) lgkmcnt(1)
	v_fma_f64 v[65:66], v[81:82], v[65:66], v[69:70]
	s_waitcnt vmcnt(4)
	v_fma_f64 v[65:66], v[83:84], v[67:68], v[65:66]
	s_waitcnt vmcnt(2) lgkmcnt(0)
	v_fma_f64 v[65:66], v[85:86], v[71:72], v[65:66]
	s_waitcnt vmcnt(0)
	v_add_f64 v[65:66], v[87:88], -v[65:66]
	buffer_store_dword v65, off, s[0:3], 0 offset:184
	buffer_store_dword v66, off, s[0:3], 0 offset:188
	s_and_saveexec_b64 s[4:5], vcc
	s_cbranch_execz .LBB30_149
; %bb.148:
	buffer_load_dword v65, off, s[0:3], 0 offset:176
	buffer_load_dword v66, off, s[0:3], 0 offset:180
	s_waitcnt vmcnt(0)
	ds_write_b64 v63, v[65:66]
	buffer_store_dword v64, off, s[0:3], 0 offset:176
	buffer_store_dword v64, off, s[0:3], 0 offset:180
.LBB30_149:
	s_or_b64 exec, exec, s[4:5]
	s_waitcnt lgkmcnt(0)
	; wave barrier
	buffer_load_dword v73, off, s[0:3], 0 offset:184
	buffer_load_dword v74, off, s[0:3], 0 offset:188
	buffer_load_dword v75, off, s[0:3], 0 offset:192
	buffer_load_dword v76, off, s[0:3], 0 offset:196
	buffer_load_dword v77, off, s[0:3], 0 offset:200
	buffer_load_dword v78, off, s[0:3], 0 offset:204
	buffer_load_dword v79, off, s[0:3], 0 offset:208
	buffer_load_dword v80, off, s[0:3], 0 offset:212
	buffer_load_dword v81, off, s[0:3], 0 offset:216
	buffer_load_dword v82, off, s[0:3], 0 offset:220
	buffer_load_dword v83, off, s[0:3], 0 offset:224
	buffer_load_dword v84, off, s[0:3], 0 offset:228
	buffer_load_dword v85, off, s[0:3], 0 offset:232
	buffer_load_dword v86, off, s[0:3], 0 offset:236
	buffer_load_dword v88, off, s[0:3], 0 offset:244
	buffer_load_dword v87, off, s[0:3], 0 offset:240
	buffer_load_dword v89, off, s[0:3], 0 offset:176
	buffer_load_dword v90, off, s[0:3], 0 offset:180
	ds_read2_b64 v[65:68], v64 offset0:55 offset1:56
	ds_read2_b64 v[69:72], v64 offset0:57 offset1:58
	v_cmp_lt_u32_e32 vcc, 21, v0
	s_waitcnt vmcnt(16) lgkmcnt(1)
	v_fma_f64 v[65:66], v[73:74], v[65:66], 0
	s_waitcnt vmcnt(14)
	v_fma_f64 v[65:66], v[75:76], v[67:68], v[65:66]
	s_waitcnt vmcnt(12) lgkmcnt(0)
	v_fma_f64 v[65:66], v[77:78], v[69:70], v[65:66]
	s_waitcnt vmcnt(10)
	v_fma_f64 v[73:74], v[79:80], v[71:72], v[65:66]
	ds_read2_b64 v[65:68], v64 offset0:59 offset1:60
	ds_read2_b64 v[69:72], v64 offset0:61 offset1:62
	s_waitcnt vmcnt(8) lgkmcnt(1)
	v_fma_f64 v[64:65], v[81:82], v[65:66], v[73:74]
	s_waitcnt vmcnt(6)
	v_fma_f64 v[64:65], v[83:84], v[67:68], v[64:65]
	s_waitcnt vmcnt(4) lgkmcnt(0)
	v_fma_f64 v[64:65], v[85:86], v[69:70], v[64:65]
	s_waitcnt vmcnt(2)
	v_fma_f64 v[64:65], v[87:88], v[71:72], v[64:65]
	s_waitcnt vmcnt(0)
	v_add_f64 v[64:65], v[89:90], -v[64:65]
	buffer_store_dword v64, off, s[0:3], 0 offset:176
	buffer_store_dword v65, off, s[0:3], 0 offset:180
	s_and_saveexec_b64 s[4:5], vcc
	s_cbranch_execz .LBB30_151
; %bb.150:
	buffer_load_dword v64, off, s[0:3], 0 offset:168
	buffer_load_dword v65, off, s[0:3], 0 offset:172
	v_mov_b32_e32 v66, 0
	buffer_store_dword v66, off, s[0:3], 0 offset:168
	buffer_store_dword v66, off, s[0:3], 0 offset:172
	s_waitcnt vmcnt(2)
	ds_write_b64 v63, v[64:65]
.LBB30_151:
	s_or_b64 exec, exec, s[4:5]
	s_waitcnt lgkmcnt(0)
	; wave barrier
	buffer_load_dword v73, off, s[0:3], 0 offset:176
	buffer_load_dword v74, off, s[0:3], 0 offset:180
	;; [unrolled: 1-line block ×20, first 2 shown]
	v_mov_b32_e32 v64, 0
	ds_read_b128 v[65:68], v64 offset:432
	ds_read_b128 v[69:72], v64 offset:448
	v_cmp_lt_u32_e32 vcc, 20, v0
	s_waitcnt vmcnt(18) lgkmcnt(1)
	v_fma_f64 v[65:66], v[73:74], v[65:66], 0
	s_waitcnt vmcnt(16)
	v_fma_f64 v[65:66], v[75:76], v[67:68], v[65:66]
	s_waitcnt vmcnt(14) lgkmcnt(0)
	v_fma_f64 v[65:66], v[77:78], v[69:70], v[65:66]
	s_waitcnt vmcnt(12)
	v_fma_f64 v[73:74], v[79:80], v[71:72], v[65:66]
	ds_read_b128 v[65:68], v64 offset:464
	ds_read_b128 v[69:72], v64 offset:480
	s_waitcnt vmcnt(10) lgkmcnt(1)
	v_fma_f64 v[65:66], v[81:82], v[65:66], v[73:74]
	s_waitcnt vmcnt(8)
	v_fma_f64 v[65:66], v[83:84], v[67:68], v[65:66]
	ds_read_b64 v[67:68], v64 offset:496
	s_waitcnt vmcnt(6) lgkmcnt(1)
	v_fma_f64 v[65:66], v[85:86], v[69:70], v[65:66]
	s_waitcnt vmcnt(3)
	v_fma_f64 v[65:66], v[87:88], v[71:72], v[65:66]
	s_waitcnt vmcnt(2) lgkmcnt(0)
	v_fma_f64 v[65:66], v[89:90], v[67:68], v[65:66]
	s_waitcnt vmcnt(0)
	v_add_f64 v[65:66], v[91:92], -v[65:66]
	buffer_store_dword v65, off, s[0:3], 0 offset:168
	buffer_store_dword v66, off, s[0:3], 0 offset:172
	s_and_saveexec_b64 s[4:5], vcc
	s_cbranch_execz .LBB30_153
; %bb.152:
	buffer_load_dword v65, off, s[0:3], 0 offset:160
	buffer_load_dword v66, off, s[0:3], 0 offset:164
	s_waitcnt vmcnt(0)
	ds_write_b64 v63, v[65:66]
	buffer_store_dword v64, off, s[0:3], 0 offset:160
	buffer_store_dword v64, off, s[0:3], 0 offset:164
.LBB30_153:
	s_or_b64 exec, exec, s[4:5]
	s_waitcnt lgkmcnt(0)
	; wave barrier
	buffer_load_dword v73, off, s[0:3], 0 offset:168
	buffer_load_dword v74, off, s[0:3], 0 offset:172
	;; [unrolled: 1-line block ×20, first 2 shown]
	ds_read2_b64 v[65:68], v64 offset0:53 offset1:54
	buffer_load_dword v93, off, s[0:3], 0 offset:160
	buffer_load_dword v94, off, s[0:3], 0 offset:164
	ds_read2_b64 v[69:72], v64 offset0:55 offset1:56
	v_cmp_lt_u32_e32 vcc, 19, v0
	s_waitcnt vmcnt(20) lgkmcnt(1)
	v_fma_f64 v[65:66], v[73:74], v[65:66], 0
	s_waitcnt vmcnt(18)
	v_fma_f64 v[65:66], v[75:76], v[67:68], v[65:66]
	s_waitcnt vmcnt(16) lgkmcnt(0)
	v_fma_f64 v[65:66], v[77:78], v[69:70], v[65:66]
	s_waitcnt vmcnt(14)
	v_fma_f64 v[73:74], v[79:80], v[71:72], v[65:66]
	ds_read2_b64 v[65:68], v64 offset0:57 offset1:58
	ds_read2_b64 v[69:72], v64 offset0:59 offset1:60
	s_waitcnt vmcnt(12) lgkmcnt(1)
	v_fma_f64 v[65:66], v[81:82], v[65:66], v[73:74]
	s_waitcnt vmcnt(10)
	v_fma_f64 v[65:66], v[83:84], v[67:68], v[65:66]
	s_waitcnt vmcnt(8) lgkmcnt(0)
	v_fma_f64 v[65:66], v[85:86], v[69:70], v[65:66]
	s_waitcnt vmcnt(4)
	v_fma_f64 v[68:69], v[87:88], v[71:72], v[65:66]
	ds_read2_b64 v[64:67], v64 offset0:61 offset1:62
	s_waitcnt vmcnt(3) lgkmcnt(0)
	v_fma_f64 v[64:65], v[91:92], v[64:65], v[68:69]
	s_waitcnt vmcnt(2)
	v_fma_f64 v[64:65], v[89:90], v[66:67], v[64:65]
	s_waitcnt vmcnt(0)
	v_add_f64 v[64:65], v[93:94], -v[64:65]
	buffer_store_dword v64, off, s[0:3], 0 offset:160
	buffer_store_dword v65, off, s[0:3], 0 offset:164
	s_and_saveexec_b64 s[4:5], vcc
	s_cbranch_execz .LBB30_155
; %bb.154:
	buffer_load_dword v64, off, s[0:3], 0 offset:152
	buffer_load_dword v65, off, s[0:3], 0 offset:156
	v_mov_b32_e32 v66, 0
	buffer_store_dword v66, off, s[0:3], 0 offset:152
	buffer_store_dword v66, off, s[0:3], 0 offset:156
	s_waitcnt vmcnt(2)
	ds_write_b64 v63, v[64:65]
.LBB30_155:
	s_or_b64 exec, exec, s[4:5]
	s_waitcnt lgkmcnt(0)
	; wave barrier
	buffer_load_dword v73, off, s[0:3], 0 offset:160
	buffer_load_dword v74, off, s[0:3], 0 offset:164
	;; [unrolled: 1-line block ×21, first 2 shown]
	v_mov_b32_e32 v64, 0
	ds_read_b128 v[65:68], v64 offset:416
	ds_read_b128 v[69:72], v64 offset:432
	buffer_load_dword v90, off, s[0:3], 0 offset:244
	v_cmp_lt_u32_e32 vcc, 18, v0
	s_waitcnt vmcnt(20) lgkmcnt(1)
	v_fma_f64 v[65:66], v[73:74], v[65:66], 0
	buffer_load_dword v73, off, s[0:3], 0 offset:152
	buffer_load_dword v74, off, s[0:3], 0 offset:156
	s_waitcnt vmcnt(20)
	v_fma_f64 v[65:66], v[75:76], v[67:68], v[65:66]
	s_waitcnt vmcnt(18) lgkmcnt(0)
	v_fma_f64 v[65:66], v[77:78], v[69:70], v[65:66]
	s_waitcnt vmcnt(16)
	v_fma_f64 v[75:76], v[79:80], v[71:72], v[65:66]
	ds_read_b128 v[65:68], v64 offset:448
	ds_read_b128 v[69:72], v64 offset:464
	s_waitcnt vmcnt(14) lgkmcnt(1)
	v_fma_f64 v[65:66], v[81:82], v[65:66], v[75:76]
	s_waitcnt vmcnt(12)
	v_fma_f64 v[65:66], v[83:84], v[67:68], v[65:66]
	s_waitcnt vmcnt(10) lgkmcnt(0)
	v_fma_f64 v[65:66], v[85:86], v[69:70], v[65:66]
	s_waitcnt vmcnt(5)
	v_fma_f64 v[69:70], v[87:88], v[71:72], v[65:66]
	ds_read_b128 v[65:68], v64 offset:480
	ds_read_b64 v[71:72], v64 offset:496
	s_waitcnt vmcnt(4) lgkmcnt(1)
	v_fma_f64 v[65:66], v[93:94], v[65:66], v[69:70]
	s_waitcnt vmcnt(3)
	v_fma_f64 v[65:66], v[91:92], v[67:68], v[65:66]
	s_waitcnt vmcnt(2) lgkmcnt(0)
	v_fma_f64 v[65:66], v[89:90], v[71:72], v[65:66]
	s_waitcnt vmcnt(0)
	v_add_f64 v[65:66], v[73:74], -v[65:66]
	buffer_store_dword v66, off, s[0:3], 0 offset:156
	buffer_store_dword v65, off, s[0:3], 0 offset:152
	s_and_saveexec_b64 s[4:5], vcc
	s_cbranch_execz .LBB30_157
; %bb.156:
	buffer_load_dword v65, off, s[0:3], 0 offset:144
	buffer_load_dword v66, off, s[0:3], 0 offset:148
	s_waitcnt vmcnt(0)
	ds_write_b64 v63, v[65:66]
	buffer_store_dword v64, off, s[0:3], 0 offset:144
	buffer_store_dword v64, off, s[0:3], 0 offset:148
.LBB30_157:
	s_or_b64 exec, exec, s[4:5]
	s_waitcnt lgkmcnt(0)
	; wave barrier
	buffer_load_dword v73, off, s[0:3], 0 offset:152
	buffer_load_dword v74, off, s[0:3], 0 offset:156
	;; [unrolled: 1-line block ×21, first 2 shown]
	ds_read2_b64 v[65:68], v64 offset0:51 offset1:52
	ds_read2_b64 v[69:72], v64 offset0:53 offset1:54
	buffer_load_dword v90, off, s[0:3], 0 offset:236
	v_cmp_lt_u32_e32 vcc, 17, v0
	s_waitcnt vmcnt(20) lgkmcnt(1)
	v_fma_f64 v[65:66], v[73:74], v[65:66], 0
	buffer_load_dword v74, off, s[0:3], 0 offset:244
	buffer_load_dword v73, off, s[0:3], 0 offset:240
	s_waitcnt vmcnt(20)
	v_fma_f64 v[65:66], v[75:76], v[67:68], v[65:66]
	buffer_load_dword v75, off, s[0:3], 0 offset:144
	buffer_load_dword v76, off, s[0:3], 0 offset:148
	s_waitcnt vmcnt(20) lgkmcnt(0)
	v_fma_f64 v[65:66], v[77:78], v[69:70], v[65:66]
	s_waitcnt vmcnt(18)
	v_fma_f64 v[77:78], v[79:80], v[71:72], v[65:66]
	ds_read2_b64 v[65:68], v64 offset0:55 offset1:56
	ds_read2_b64 v[69:72], v64 offset0:57 offset1:58
	s_waitcnt vmcnt(16) lgkmcnt(1)
	v_fma_f64 v[65:66], v[81:82], v[65:66], v[77:78]
	s_waitcnt vmcnt(14)
	v_fma_f64 v[65:66], v[83:84], v[67:68], v[65:66]
	s_waitcnt vmcnt(12) lgkmcnt(0)
	v_fma_f64 v[65:66], v[85:86], v[69:70], v[65:66]
	s_waitcnt vmcnt(7)
	v_fma_f64 v[77:78], v[87:88], v[71:72], v[65:66]
	ds_read2_b64 v[65:68], v64 offset0:59 offset1:60
	ds_read2_b64 v[69:72], v64 offset0:61 offset1:62
	s_waitcnt vmcnt(6) lgkmcnt(1)
	v_fma_f64 v[64:65], v[93:94], v[65:66], v[77:78]
	s_waitcnt vmcnt(5)
	v_fma_f64 v[64:65], v[91:92], v[67:68], v[64:65]
	s_waitcnt vmcnt(4) lgkmcnt(0)
	v_fma_f64 v[64:65], v[89:90], v[69:70], v[64:65]
	s_waitcnt vmcnt(2)
	v_fma_f64 v[64:65], v[73:74], v[71:72], v[64:65]
	s_waitcnt vmcnt(0)
	v_add_f64 v[64:65], v[75:76], -v[64:65]
	buffer_store_dword v65, off, s[0:3], 0 offset:148
	buffer_store_dword v64, off, s[0:3], 0 offset:144
	s_and_saveexec_b64 s[4:5], vcc
	s_cbranch_execz .LBB30_159
; %bb.158:
	buffer_load_dword v64, off, s[0:3], 0 offset:136
	buffer_load_dword v65, off, s[0:3], 0 offset:140
	v_mov_b32_e32 v66, 0
	buffer_store_dword v66, off, s[0:3], 0 offset:136
	buffer_store_dword v66, off, s[0:3], 0 offset:140
	s_waitcnt vmcnt(2)
	ds_write_b64 v63, v[64:65]
.LBB30_159:
	s_or_b64 exec, exec, s[4:5]
	s_waitcnt lgkmcnt(0)
	; wave barrier
	buffer_load_dword v73, off, s[0:3], 0 offset:144
	buffer_load_dword v74, off, s[0:3], 0 offset:148
	;; [unrolled: 1-line block ×21, first 2 shown]
	v_mov_b32_e32 v64, 0
	ds_read_b128 v[65:68], v64 offset:400
	ds_read_b128 v[69:72], v64 offset:416
	buffer_load_dword v90, off, s[0:3], 0 offset:228
	v_cmp_lt_u32_e32 vcc, 16, v0
	s_waitcnt vmcnt(20) lgkmcnt(1)
	v_fma_f64 v[65:66], v[73:74], v[65:66], 0
	s_waitcnt vmcnt(18)
	v_fma_f64 v[65:66], v[75:76], v[67:68], v[65:66]
	buffer_load_dword v74, off, s[0:3], 0 offset:236
	buffer_load_dword v75, off, s[0:3], 0 offset:240
	buffer_load_dword v73, off, s[0:3], 0 offset:232
	buffer_load_dword v76, off, s[0:3], 0 offset:244
	s_waitcnt vmcnt(20) lgkmcnt(0)
	v_fma_f64 v[65:66], v[77:78], v[69:70], v[65:66]
	buffer_load_dword v77, off, s[0:3], 0 offset:136
	buffer_load_dword v78, off, s[0:3], 0 offset:140
	s_waitcnt vmcnt(20)
	v_fma_f64 v[79:80], v[79:80], v[71:72], v[65:66]
	ds_read_b128 v[65:68], v64 offset:432
	ds_read_b128 v[69:72], v64 offset:448
	s_waitcnt vmcnt(18) lgkmcnt(1)
	v_fma_f64 v[65:66], v[81:82], v[65:66], v[79:80]
	s_waitcnt vmcnt(16)
	v_fma_f64 v[65:66], v[83:84], v[67:68], v[65:66]
	s_waitcnt vmcnt(14) lgkmcnt(0)
	v_fma_f64 v[65:66], v[85:86], v[69:70], v[65:66]
	s_waitcnt vmcnt(9)
	v_fma_f64 v[79:80], v[87:88], v[71:72], v[65:66]
	ds_read_b128 v[65:68], v64 offset:464
	ds_read_b128 v[69:72], v64 offset:480
	s_waitcnt vmcnt(8) lgkmcnt(1)
	v_fma_f64 v[65:66], v[93:94], v[65:66], v[79:80]
	s_waitcnt vmcnt(7)
	v_fma_f64 v[65:66], v[91:92], v[67:68], v[65:66]
	ds_read_b64 v[67:68], v64 offset:496
	s_waitcnt vmcnt(6) lgkmcnt(1)
	v_fma_f64 v[65:66], v[89:90], v[69:70], v[65:66]
	s_waitcnt vmcnt(3)
	v_fma_f64 v[65:66], v[73:74], v[71:72], v[65:66]
	s_waitcnt vmcnt(2) lgkmcnt(0)
	v_fma_f64 v[65:66], v[75:76], v[67:68], v[65:66]
	s_waitcnt vmcnt(0)
	v_add_f64 v[65:66], v[77:78], -v[65:66]
	buffer_store_dword v66, off, s[0:3], 0 offset:140
	buffer_store_dword v65, off, s[0:3], 0 offset:136
	s_and_saveexec_b64 s[4:5], vcc
	s_cbranch_execz .LBB30_161
; %bb.160:
	buffer_load_dword v65, off, s[0:3], 0 offset:128
	buffer_load_dword v66, off, s[0:3], 0 offset:132
	s_waitcnt vmcnt(0)
	ds_write_b64 v63, v[65:66]
	buffer_store_dword v64, off, s[0:3], 0 offset:128
	buffer_store_dword v64, off, s[0:3], 0 offset:132
.LBB30_161:
	s_or_b64 exec, exec, s[4:5]
	s_waitcnt lgkmcnt(0)
	; wave barrier
	buffer_load_dword v73, off, s[0:3], 0 offset:136
	buffer_load_dword v74, off, s[0:3], 0 offset:140
	;; [unrolled: 1-line block ×22, first 2 shown]
	ds_read2_b64 v[65:68], v64 offset0:49 offset1:50
	ds_read2_b64 v[69:72], v64 offset0:51 offset1:52
	v_cmp_lt_u32_e32 vcc, 15, v0
	s_waitcnt vmcnt(20) lgkmcnt(1)
	v_fma_f64 v[65:66], v[73:74], v[65:66], 0
	s_waitcnt vmcnt(18)
	v_fma_f64 v[65:66], v[75:76], v[67:68], v[65:66]
	buffer_load_dword v74, off, s[0:3], 0 offset:228
	buffer_load_dword v75, off, s[0:3], 0 offset:240
	buffer_load_dword v95, off, s[0:3], 0 offset:232
	buffer_load_dword v73, off, s[0:3], 0 offset:224
	buffer_load_dword v96, off, s[0:3], 0 offset:236
	buffer_load_dword v76, off, s[0:3], 0 offset:244
	s_waitcnt vmcnt(22) lgkmcnt(0)
	v_fma_f64 v[65:66], v[77:78], v[69:70], v[65:66]
	s_waitcnt vmcnt(20)
	v_fma_f64 v[77:78], v[79:80], v[71:72], v[65:66]
	ds_read2_b64 v[65:68], v64 offset0:53 offset1:54
	buffer_load_dword v79, off, s[0:3], 0 offset:128
	buffer_load_dword v80, off, s[0:3], 0 offset:132
	ds_read2_b64 v[69:72], v64 offset0:55 offset1:56
	s_waitcnt vmcnt(20) lgkmcnt(1)
	v_fma_f64 v[65:66], v[81:82], v[65:66], v[77:78]
	s_waitcnt vmcnt(18)
	v_fma_f64 v[65:66], v[83:84], v[67:68], v[65:66]
	s_waitcnt vmcnt(16) lgkmcnt(0)
	v_fma_f64 v[65:66], v[85:86], v[69:70], v[65:66]
	s_waitcnt vmcnt(11)
	v_fma_f64 v[77:78], v[87:88], v[71:72], v[65:66]
	ds_read2_b64 v[65:68], v64 offset0:57 offset1:58
	ds_read2_b64 v[69:72], v64 offset0:59 offset1:60
	s_waitcnt vmcnt(10) lgkmcnt(1)
	v_fma_f64 v[65:66], v[93:94], v[65:66], v[77:78]
	s_waitcnt vmcnt(9)
	v_fma_f64 v[65:66], v[91:92], v[67:68], v[65:66]
	s_waitcnt vmcnt(8) lgkmcnt(0)
	v_fma_f64 v[65:66], v[89:90], v[69:70], v[65:66]
	s_waitcnt vmcnt(4)
	v_fma_f64 v[68:69], v[73:74], v[71:72], v[65:66]
	ds_read2_b64 v[64:67], v64 offset0:61 offset1:62
	s_waitcnt vmcnt(3) lgkmcnt(0)
	v_fma_f64 v[64:65], v[95:96], v[64:65], v[68:69]
	s_waitcnt vmcnt(2)
	v_fma_f64 v[64:65], v[75:76], v[66:67], v[64:65]
	s_waitcnt vmcnt(0)
	v_add_f64 v[64:65], v[79:80], -v[64:65]
	buffer_store_dword v65, off, s[0:3], 0 offset:132
	buffer_store_dword v64, off, s[0:3], 0 offset:128
	s_and_saveexec_b64 s[4:5], vcc
	s_cbranch_execz .LBB30_163
; %bb.162:
	buffer_load_dword v64, off, s[0:3], 0 offset:120
	buffer_load_dword v65, off, s[0:3], 0 offset:124
	v_mov_b32_e32 v66, 0
	buffer_store_dword v66, off, s[0:3], 0 offset:120
	buffer_store_dword v66, off, s[0:3], 0 offset:124
	s_waitcnt vmcnt(2)
	ds_write_b64 v63, v[64:65]
.LBB30_163:
	s_or_b64 exec, exec, s[4:5]
	s_waitcnt lgkmcnt(0)
	; wave barrier
	buffer_load_dword v73, off, s[0:3], 0 offset:128
	buffer_load_dword v74, off, s[0:3], 0 offset:132
	buffer_load_dword v75, off, s[0:3], 0 offset:136
	buffer_load_dword v76, off, s[0:3], 0 offset:140
	buffer_load_dword v77, off, s[0:3], 0 offset:144
	buffer_load_dword v78, off, s[0:3], 0 offset:148
	buffer_load_dword v79, off, s[0:3], 0 offset:152
	buffer_load_dword v80, off, s[0:3], 0 offset:156
	buffer_load_dword v81, off, s[0:3], 0 offset:160
	buffer_load_dword v82, off, s[0:3], 0 offset:164
	buffer_load_dword v83, off, s[0:3], 0 offset:168
	buffer_load_dword v84, off, s[0:3], 0 offset:172
	buffer_load_dword v85, off, s[0:3], 0 offset:176
	buffer_load_dword v86, off, s[0:3], 0 offset:180
	buffer_load_dword v88, off, s[0:3], 0 offset:188
	buffer_load_dword v89, off, s[0:3], 0 offset:208
	buffer_load_dword v91, off, s[0:3], 0 offset:200
	buffer_load_dword v93, off, s[0:3], 0 offset:192
	buffer_load_dword v87, off, s[0:3], 0 offset:184
	buffer_load_dword v94, off, s[0:3], 0 offset:196
	buffer_load_dword v92, off, s[0:3], 0 offset:204
	buffer_load_dword v90, off, s[0:3], 0 offset:212
	v_mov_b32_e32 v64, 0
	ds_read_b128 v[65:68], v64 offset:384
	ds_read_b128 v[69:72], v64 offset:400
	v_cmp_lt_u32_e32 vcc, 14, v0
	s_waitcnt vmcnt(20) lgkmcnt(1)
	v_fma_f64 v[65:66], v[73:74], v[65:66], 0
	s_waitcnt vmcnt(18)
	v_fma_f64 v[65:66], v[75:76], v[67:68], v[65:66]
	buffer_load_dword v74, off, s[0:3], 0 offset:220
	buffer_load_dword v75, off, s[0:3], 0 offset:240
	;; [unrolled: 1-line block ×8, first 2 shown]
	s_waitcnt vmcnt(24) lgkmcnt(0)
	v_fma_f64 v[65:66], v[77:78], v[69:70], v[65:66]
	s_waitcnt vmcnt(22)
	v_fma_f64 v[77:78], v[79:80], v[71:72], v[65:66]
	ds_read_b128 v[65:68], v64 offset:416
	ds_read_b128 v[69:72], v64 offset:432
	s_waitcnt vmcnt(20) lgkmcnt(1)
	v_fma_f64 v[65:66], v[81:82], v[65:66], v[77:78]
	buffer_load_dword v77, off, s[0:3], 0 offset:120
	buffer_load_dword v78, off, s[0:3], 0 offset:124
	s_waitcnt vmcnt(20)
	v_fma_f64 v[65:66], v[83:84], v[67:68], v[65:66]
	s_waitcnt vmcnt(18) lgkmcnt(0)
	v_fma_f64 v[65:66], v[85:86], v[69:70], v[65:66]
	s_waitcnt vmcnt(13)
	v_fma_f64 v[79:80], v[87:88], v[71:72], v[65:66]
	ds_read_b128 v[65:68], v64 offset:448
	ds_read_b128 v[69:72], v64 offset:464
	s_waitcnt vmcnt(12) lgkmcnt(1)
	v_fma_f64 v[65:66], v[93:94], v[65:66], v[79:80]
	s_waitcnt vmcnt(11)
	v_fma_f64 v[65:66], v[91:92], v[67:68], v[65:66]
	s_waitcnt vmcnt(10) lgkmcnt(0)
	v_fma_f64 v[65:66], v[89:90], v[69:70], v[65:66]
	s_waitcnt vmcnt(5)
	v_fma_f64 v[69:70], v[73:74], v[71:72], v[65:66]
	ds_read_b128 v[65:68], v64 offset:480
	ds_read_b64 v[71:72], v64 offset:496
	s_waitcnt vmcnt(4) lgkmcnt(1)
	v_fma_f64 v[65:66], v[97:98], v[65:66], v[69:70]
	s_waitcnt vmcnt(3)
	v_fma_f64 v[65:66], v[95:96], v[67:68], v[65:66]
	s_waitcnt vmcnt(2) lgkmcnt(0)
	v_fma_f64 v[65:66], v[75:76], v[71:72], v[65:66]
	s_waitcnt vmcnt(0)
	v_add_f64 v[65:66], v[77:78], -v[65:66]
	buffer_store_dword v66, off, s[0:3], 0 offset:124
	buffer_store_dword v65, off, s[0:3], 0 offset:120
	s_and_saveexec_b64 s[4:5], vcc
	s_cbranch_execz .LBB30_165
; %bb.164:
	buffer_load_dword v65, off, s[0:3], 0 offset:112
	buffer_load_dword v66, off, s[0:3], 0 offset:116
	s_waitcnt vmcnt(0)
	ds_write_b64 v63, v[65:66]
	buffer_store_dword v64, off, s[0:3], 0 offset:112
	buffer_store_dword v64, off, s[0:3], 0 offset:116
.LBB30_165:
	s_or_b64 exec, exec, s[4:5]
	s_waitcnt lgkmcnt(0)
	; wave barrier
	buffer_load_dword v73, off, s[0:3], 0 offset:120
	buffer_load_dword v74, off, s[0:3], 0 offset:124
	;; [unrolled: 1-line block ×22, first 2 shown]
	ds_read2_b64 v[65:68], v64 offset0:47 offset1:48
	ds_read2_b64 v[69:72], v64 offset0:49 offset1:50
	v_cmp_lt_u32_e32 vcc, 13, v0
	s_waitcnt vmcnt(20) lgkmcnt(1)
	v_fma_f64 v[65:66], v[73:74], v[65:66], 0
	s_waitcnt vmcnt(18)
	v_fma_f64 v[65:66], v[75:76], v[67:68], v[65:66]
	buffer_load_dword v74, off, s[0:3], 0 offset:212
	buffer_load_dword v75, off, s[0:3], 0 offset:232
	;; [unrolled: 1-line block ×8, first 2 shown]
	s_waitcnt vmcnt(24) lgkmcnt(0)
	v_fma_f64 v[65:66], v[77:78], v[69:70], v[65:66]
	s_waitcnt vmcnt(22)
	v_fma_f64 v[77:78], v[79:80], v[71:72], v[65:66]
	ds_read2_b64 v[65:68], v64 offset0:51 offset1:52
	ds_read2_b64 v[69:72], v64 offset0:53 offset1:54
	s_waitcnt vmcnt(20) lgkmcnt(1)
	v_fma_f64 v[65:66], v[81:82], v[65:66], v[77:78]
	buffer_load_dword v78, off, s[0:3], 0 offset:244
	buffer_load_dword v77, off, s[0:3], 0 offset:240
	;; [unrolled: 1-line block ×4, first 2 shown]
	s_waitcnt vmcnt(22)
	v_fma_f64 v[65:66], v[83:84], v[67:68], v[65:66]
	s_waitcnt vmcnt(20) lgkmcnt(0)
	v_fma_f64 v[65:66], v[85:86], v[69:70], v[65:66]
	s_waitcnt vmcnt(15)
	v_fma_f64 v[81:82], v[87:88], v[71:72], v[65:66]
	ds_read2_b64 v[65:68], v64 offset0:55 offset1:56
	ds_read2_b64 v[69:72], v64 offset0:57 offset1:58
	s_waitcnt vmcnt(14) lgkmcnt(1)
	v_fma_f64 v[65:66], v[93:94], v[65:66], v[81:82]
	s_waitcnt vmcnt(13)
	v_fma_f64 v[65:66], v[91:92], v[67:68], v[65:66]
	s_waitcnt vmcnt(12) lgkmcnt(0)
	v_fma_f64 v[65:66], v[89:90], v[69:70], v[65:66]
	s_waitcnt vmcnt(7)
	v_fma_f64 v[73:74], v[73:74], v[71:72], v[65:66]
	ds_read2_b64 v[65:68], v64 offset0:59 offset1:60
	ds_read2_b64 v[69:72], v64 offset0:61 offset1:62
	s_waitcnt vmcnt(6) lgkmcnt(1)
	v_fma_f64 v[64:65], v[97:98], v[65:66], v[73:74]
	s_waitcnt vmcnt(5)
	v_fma_f64 v[64:65], v[95:96], v[67:68], v[64:65]
	s_waitcnt vmcnt(4) lgkmcnt(0)
	v_fma_f64 v[64:65], v[75:76], v[69:70], v[64:65]
	s_waitcnt vmcnt(2)
	v_fma_f64 v[64:65], v[77:78], v[71:72], v[64:65]
	s_waitcnt vmcnt(0)
	v_add_f64 v[64:65], v[79:80], -v[64:65]
	buffer_store_dword v65, off, s[0:3], 0 offset:116
	buffer_store_dword v64, off, s[0:3], 0 offset:112
	s_and_saveexec_b64 s[4:5], vcc
	s_cbranch_execz .LBB30_167
; %bb.166:
	buffer_load_dword v64, off, s[0:3], 0 offset:104
	buffer_load_dword v65, off, s[0:3], 0 offset:108
	v_mov_b32_e32 v66, 0
	buffer_store_dword v66, off, s[0:3], 0 offset:104
	buffer_store_dword v66, off, s[0:3], 0 offset:108
	s_waitcnt vmcnt(2)
	ds_write_b64 v63, v[64:65]
.LBB30_167:
	s_or_b64 exec, exec, s[4:5]
	s_waitcnt lgkmcnt(0)
	; wave barrier
	buffer_load_dword v73, off, s[0:3], 0 offset:112
	buffer_load_dword v74, off, s[0:3], 0 offset:116
	buffer_load_dword v75, off, s[0:3], 0 offset:120
	buffer_load_dword v76, off, s[0:3], 0 offset:124
	buffer_load_dword v77, off, s[0:3], 0 offset:128
	buffer_load_dword v78, off, s[0:3], 0 offset:132
	buffer_load_dword v79, off, s[0:3], 0 offset:136
	buffer_load_dword v80, off, s[0:3], 0 offset:140
	buffer_load_dword v81, off, s[0:3], 0 offset:144
	buffer_load_dword v82, off, s[0:3], 0 offset:148
	buffer_load_dword v83, off, s[0:3], 0 offset:152
	buffer_load_dword v84, off, s[0:3], 0 offset:156
	buffer_load_dword v85, off, s[0:3], 0 offset:160
	buffer_load_dword v86, off, s[0:3], 0 offset:164
	buffer_load_dword v88, off, s[0:3], 0 offset:172
	buffer_load_dword v89, off, s[0:3], 0 offset:192
	buffer_load_dword v91, off, s[0:3], 0 offset:184
	buffer_load_dword v93, off, s[0:3], 0 offset:176
	buffer_load_dword v87, off, s[0:3], 0 offset:168
	buffer_load_dword v94, off, s[0:3], 0 offset:180
	buffer_load_dword v92, off, s[0:3], 0 offset:188
	buffer_load_dword v90, off, s[0:3], 0 offset:196
	v_mov_b32_e32 v64, 0
	ds_read_b128 v[65:68], v64 offset:368
	ds_read_b128 v[69:72], v64 offset:384
	v_cmp_lt_u32_e32 vcc, 12, v0
	s_waitcnt vmcnt(20) lgkmcnt(1)
	v_fma_f64 v[65:66], v[73:74], v[65:66], 0
	s_waitcnt vmcnt(18)
	v_fma_f64 v[65:66], v[75:76], v[67:68], v[65:66]
	buffer_load_dword v74, off, s[0:3], 0 offset:204
	buffer_load_dword v75, off, s[0:3], 0 offset:224
	;; [unrolled: 1-line block ×7, first 2 shown]
	s_waitcnt vmcnt(23) lgkmcnt(0)
	v_fma_f64 v[65:66], v[77:78], v[69:70], v[65:66]
	s_waitcnt vmcnt(21)
	v_fma_f64 v[76:77], v[79:80], v[71:72], v[65:66]
	ds_read_b128 v[65:68], v64 offset:400
	ds_read_b128 v[69:72], v64 offset:416
	s_waitcnt vmcnt(19) lgkmcnt(1)
	v_fma_f64 v[65:66], v[81:82], v[65:66], v[76:77]
	buffer_load_dword v76, off, s[0:3], 0 offset:228
	buffer_load_dword v78, off, s[0:3], 0 offset:236
	;; [unrolled: 1-line block ×7, first 2 shown]
	s_waitcnt vmcnt(24)
	v_fma_f64 v[65:66], v[83:84], v[67:68], v[65:66]
	s_waitcnt vmcnt(22) lgkmcnt(0)
	v_fma_f64 v[65:66], v[85:86], v[69:70], v[65:66]
	s_waitcnt vmcnt(17)
	v_fma_f64 v[83:84], v[87:88], v[71:72], v[65:66]
	ds_read_b128 v[65:68], v64 offset:432
	ds_read_b128 v[69:72], v64 offset:448
	s_waitcnt vmcnt(16) lgkmcnt(1)
	v_fma_f64 v[65:66], v[93:94], v[65:66], v[83:84]
	s_waitcnt vmcnt(15)
	v_fma_f64 v[65:66], v[91:92], v[67:68], v[65:66]
	s_waitcnt vmcnt(14) lgkmcnt(0)
	v_fma_f64 v[65:66], v[89:90], v[69:70], v[65:66]
	s_waitcnt vmcnt(9)
	v_fma_f64 v[73:74], v[73:74], v[71:72], v[65:66]
	ds_read_b128 v[65:68], v64 offset:464
	ds_read_b128 v[69:72], v64 offset:480
	s_waitcnt vmcnt(8) lgkmcnt(1)
	v_fma_f64 v[65:66], v[97:98], v[65:66], v[73:74]
	s_waitcnt vmcnt(7)
	v_fma_f64 v[65:66], v[95:96], v[67:68], v[65:66]
	ds_read_b64 v[67:68], v64 offset:496
	s_waitcnt vmcnt(6) lgkmcnt(1)
	v_fma_f64 v[65:66], v[75:76], v[69:70], v[65:66]
	s_waitcnt vmcnt(3)
	v_fma_f64 v[65:66], v[77:78], v[71:72], v[65:66]
	s_waitcnt vmcnt(2) lgkmcnt(0)
	v_fma_f64 v[65:66], v[79:80], v[67:68], v[65:66]
	s_waitcnt vmcnt(0)
	v_add_f64 v[65:66], v[81:82], -v[65:66]
	buffer_store_dword v66, off, s[0:3], 0 offset:108
	buffer_store_dword v65, off, s[0:3], 0 offset:104
	s_and_saveexec_b64 s[4:5], vcc
	s_cbranch_execz .LBB30_169
; %bb.168:
	buffer_load_dword v65, off, s[0:3], 0 offset:96
	buffer_load_dword v66, off, s[0:3], 0 offset:100
	s_waitcnt vmcnt(0)
	ds_write_b64 v63, v[65:66]
	buffer_store_dword v64, off, s[0:3], 0 offset:96
	buffer_store_dword v64, off, s[0:3], 0 offset:100
.LBB30_169:
	s_or_b64 exec, exec, s[4:5]
	s_waitcnt lgkmcnt(0)
	; wave barrier
	buffer_load_dword v73, off, s[0:3], 0 offset:104
	buffer_load_dword v74, off, s[0:3], 0 offset:108
	buffer_load_dword v75, off, s[0:3], 0 offset:112
	buffer_load_dword v76, off, s[0:3], 0 offset:116
	buffer_load_dword v77, off, s[0:3], 0 offset:120
	buffer_load_dword v78, off, s[0:3], 0 offset:124
	buffer_load_dword v79, off, s[0:3], 0 offset:128
	buffer_load_dword v80, off, s[0:3], 0 offset:132
	buffer_load_dword v81, off, s[0:3], 0 offset:136
	buffer_load_dword v82, off, s[0:3], 0 offset:140
	buffer_load_dword v83, off, s[0:3], 0 offset:144
	buffer_load_dword v84, off, s[0:3], 0 offset:148
	buffer_load_dword v85, off, s[0:3], 0 offset:152
	buffer_load_dword v86, off, s[0:3], 0 offset:156
	buffer_load_dword v88, off, s[0:3], 0 offset:164
	buffer_load_dword v89, off, s[0:3], 0 offset:184
	buffer_load_dword v91, off, s[0:3], 0 offset:176
	buffer_load_dword v93, off, s[0:3], 0 offset:168
	buffer_load_dword v87, off, s[0:3], 0 offset:160
	buffer_load_dword v94, off, s[0:3], 0 offset:172
	buffer_load_dword v92, off, s[0:3], 0 offset:180
	buffer_load_dword v90, off, s[0:3], 0 offset:188
	ds_read2_b64 v[65:68], v64 offset0:45 offset1:46
	ds_read2_b64 v[69:72], v64 offset0:47 offset1:48
	v_cmp_lt_u32_e32 vcc, 11, v0
	s_waitcnt vmcnt(20) lgkmcnt(1)
	v_fma_f64 v[65:66], v[73:74], v[65:66], 0
	s_waitcnt vmcnt(18)
	v_fma_f64 v[65:66], v[75:76], v[67:68], v[65:66]
	buffer_load_dword v74, off, s[0:3], 0 offset:196
	buffer_load_dword v75, off, s[0:3], 0 offset:216
	;; [unrolled: 1-line block ×7, first 2 shown]
	s_waitcnt vmcnt(23) lgkmcnt(0)
	v_fma_f64 v[65:66], v[77:78], v[69:70], v[65:66]
	s_waitcnt vmcnt(21)
	v_fma_f64 v[76:77], v[79:80], v[71:72], v[65:66]
	ds_read2_b64 v[65:68], v64 offset0:49 offset1:50
	ds_read2_b64 v[69:72], v64 offset0:51 offset1:52
	s_waitcnt vmcnt(19) lgkmcnt(1)
	v_fma_f64 v[65:66], v[81:82], v[65:66], v[76:77]
	buffer_load_dword v76, off, s[0:3], 0 offset:220
	buffer_load_dword v78, off, s[0:3], 0 offset:228
	;; [unrolled: 1-line block ×7, first 2 shown]
	s_waitcnt vmcnt(24)
	v_fma_f64 v[65:66], v[83:84], v[67:68], v[65:66]
	s_waitcnt vmcnt(22) lgkmcnt(0)
	v_fma_f64 v[65:66], v[85:86], v[69:70], v[65:66]
	s_waitcnt vmcnt(17)
	v_fma_f64 v[83:84], v[87:88], v[71:72], v[65:66]
	ds_read2_b64 v[65:68], v64 offset0:53 offset1:54
	buffer_load_dword v85, off, s[0:3], 0 offset:96
	buffer_load_dword v86, off, s[0:3], 0 offset:100
	ds_read2_b64 v[69:72], v64 offset0:55 offset1:56
	s_waitcnt vmcnt(18) lgkmcnt(1)
	v_fma_f64 v[65:66], v[93:94], v[65:66], v[83:84]
	s_waitcnt vmcnt(17)
	v_fma_f64 v[65:66], v[91:92], v[67:68], v[65:66]
	s_waitcnt vmcnt(16) lgkmcnt(0)
	v_fma_f64 v[65:66], v[89:90], v[69:70], v[65:66]
	s_waitcnt vmcnt(11)
	v_fma_f64 v[73:74], v[73:74], v[71:72], v[65:66]
	ds_read2_b64 v[65:68], v64 offset0:57 offset1:58
	ds_read2_b64 v[69:72], v64 offset0:59 offset1:60
	s_waitcnt vmcnt(10) lgkmcnt(1)
	v_fma_f64 v[65:66], v[97:98], v[65:66], v[73:74]
	s_waitcnt vmcnt(9)
	v_fma_f64 v[65:66], v[95:96], v[67:68], v[65:66]
	s_waitcnt vmcnt(8) lgkmcnt(0)
	v_fma_f64 v[65:66], v[75:76], v[69:70], v[65:66]
	s_waitcnt vmcnt(4)
	v_fma_f64 v[68:69], v[77:78], v[71:72], v[65:66]
	ds_read2_b64 v[64:67], v64 offset0:61 offset1:62
	s_waitcnt vmcnt(3) lgkmcnt(0)
	v_fma_f64 v[64:65], v[81:82], v[64:65], v[68:69]
	s_waitcnt vmcnt(2)
	v_fma_f64 v[64:65], v[79:80], v[66:67], v[64:65]
	s_waitcnt vmcnt(0)
	v_add_f64 v[64:65], v[85:86], -v[64:65]
	buffer_store_dword v65, off, s[0:3], 0 offset:100
	buffer_store_dword v64, off, s[0:3], 0 offset:96
	s_and_saveexec_b64 s[4:5], vcc
	s_cbranch_execz .LBB30_171
; %bb.170:
	buffer_load_dword v64, off, s[0:3], 0 offset:88
	buffer_load_dword v65, off, s[0:3], 0 offset:92
	v_mov_b32_e32 v66, 0
	buffer_store_dword v66, off, s[0:3], 0 offset:88
	buffer_store_dword v66, off, s[0:3], 0 offset:92
	s_waitcnt vmcnt(2)
	ds_write_b64 v63, v[64:65]
.LBB30_171:
	s_or_b64 exec, exec, s[4:5]
	s_waitcnt lgkmcnt(0)
	; wave barrier
	buffer_load_dword v73, off, s[0:3], 0 offset:96
	buffer_load_dword v74, off, s[0:3], 0 offset:100
	;; [unrolled: 1-line block ×22, first 2 shown]
	v_mov_b32_e32 v64, 0
	ds_read_b128 v[65:68], v64 offset:352
	ds_read_b128 v[69:72], v64 offset:368
	v_cmp_lt_u32_e32 vcc, 10, v0
	s_waitcnt vmcnt(20) lgkmcnt(1)
	v_fma_f64 v[65:66], v[73:74], v[65:66], 0
	s_waitcnt vmcnt(18)
	v_fma_f64 v[65:66], v[75:76], v[67:68], v[65:66]
	buffer_load_dword v74, off, s[0:3], 0 offset:188
	buffer_load_dword v75, off, s[0:3], 0 offset:208
	;; [unrolled: 1-line block ×7, first 2 shown]
	s_waitcnt vmcnt(23) lgkmcnt(0)
	v_fma_f64 v[65:66], v[77:78], v[69:70], v[65:66]
	s_waitcnt vmcnt(21)
	v_fma_f64 v[76:77], v[79:80], v[71:72], v[65:66]
	ds_read_b128 v[65:68], v64 offset:384
	ds_read_b128 v[69:72], v64 offset:400
	s_waitcnt vmcnt(19) lgkmcnt(1)
	v_fma_f64 v[65:66], v[81:82], v[65:66], v[76:77]
	buffer_load_dword v76, off, s[0:3], 0 offset:212
	s_waitcnt vmcnt(18)
	v_fma_f64 v[65:66], v[83:84], v[67:68], v[65:66]
	buffer_load_dword v78, off, s[0:3], 0 offset:220
	buffer_load_dword v79, off, s[0:3], 0 offset:240
	;; [unrolled: 1-line block ×8, first 2 shown]
	s_waitcnt vmcnt(24) lgkmcnt(0)
	v_fma_f64 v[65:66], v[85:86], v[69:70], v[65:66]
	s_waitcnt vmcnt(19)
	v_fma_f64 v[85:86], v[87:88], v[71:72], v[65:66]
	ds_read_b128 v[65:68], v64 offset:416
	ds_read_b128 v[69:72], v64 offset:432
	s_waitcnt vmcnt(18) lgkmcnt(1)
	v_fma_f64 v[65:66], v[93:94], v[65:66], v[85:86]
	buffer_load_dword v85, off, s[0:3], 0 offset:88
	buffer_load_dword v86, off, s[0:3], 0 offset:92
	s_waitcnt vmcnt(19)
	v_fma_f64 v[65:66], v[91:92], v[67:68], v[65:66]
	s_waitcnt vmcnt(18) lgkmcnt(0)
	v_fma_f64 v[65:66], v[89:90], v[69:70], v[65:66]
	s_waitcnt vmcnt(13)
	v_fma_f64 v[73:74], v[73:74], v[71:72], v[65:66]
	ds_read_b128 v[65:68], v64 offset:448
	ds_read_b128 v[69:72], v64 offset:464
	s_waitcnt vmcnt(12) lgkmcnt(1)
	v_fma_f64 v[65:66], v[97:98], v[65:66], v[73:74]
	s_waitcnt vmcnt(11)
	v_fma_f64 v[65:66], v[95:96], v[67:68], v[65:66]
	s_waitcnt vmcnt(10) lgkmcnt(0)
	v_fma_f64 v[65:66], v[75:76], v[69:70], v[65:66]
	s_waitcnt vmcnt(5)
	v_fma_f64 v[69:70], v[77:78], v[71:72], v[65:66]
	ds_read_b128 v[65:68], v64 offset:480
	ds_read_b64 v[71:72], v64 offset:496
	s_waitcnt vmcnt(4) lgkmcnt(1)
	v_fma_f64 v[65:66], v[83:84], v[65:66], v[69:70]
	s_waitcnt vmcnt(3)
	v_fma_f64 v[65:66], v[81:82], v[67:68], v[65:66]
	s_waitcnt vmcnt(2) lgkmcnt(0)
	v_fma_f64 v[65:66], v[79:80], v[71:72], v[65:66]
	s_waitcnt vmcnt(0)
	v_add_f64 v[65:66], v[85:86], -v[65:66]
	buffer_store_dword v66, off, s[0:3], 0 offset:92
	buffer_store_dword v65, off, s[0:3], 0 offset:88
	s_and_saveexec_b64 s[4:5], vcc
	s_cbranch_execz .LBB30_173
; %bb.172:
	buffer_load_dword v65, off, s[0:3], 0 offset:80
	buffer_load_dword v66, off, s[0:3], 0 offset:84
	s_waitcnt vmcnt(0)
	ds_write_b64 v63, v[65:66]
	buffer_store_dword v64, off, s[0:3], 0 offset:80
	buffer_store_dword v64, off, s[0:3], 0 offset:84
.LBB30_173:
	s_or_b64 exec, exec, s[4:5]
	s_waitcnt lgkmcnt(0)
	; wave barrier
	buffer_load_dword v73, off, s[0:3], 0 offset:88
	buffer_load_dword v74, off, s[0:3], 0 offset:92
	;; [unrolled: 1-line block ×22, first 2 shown]
	ds_read2_b64 v[65:68], v64 offset0:43 offset1:44
	ds_read2_b64 v[69:72], v64 offset0:45 offset1:46
	v_cmp_lt_u32_e32 vcc, 9, v0
	s_waitcnt vmcnt(20) lgkmcnt(1)
	v_fma_f64 v[65:66], v[73:74], v[65:66], 0
	s_waitcnt vmcnt(18)
	v_fma_f64 v[65:66], v[75:76], v[67:68], v[65:66]
	buffer_load_dword v74, off, s[0:3], 0 offset:180
	buffer_load_dword v75, off, s[0:3], 0 offset:200
	;; [unrolled: 1-line block ×7, first 2 shown]
	s_waitcnt vmcnt(23) lgkmcnt(0)
	v_fma_f64 v[65:66], v[77:78], v[69:70], v[65:66]
	s_waitcnt vmcnt(21)
	v_fma_f64 v[76:77], v[79:80], v[71:72], v[65:66]
	ds_read2_b64 v[65:68], v64 offset0:47 offset1:48
	ds_read2_b64 v[69:72], v64 offset0:49 offset1:50
	s_waitcnt vmcnt(19) lgkmcnt(1)
	v_fma_f64 v[65:66], v[81:82], v[65:66], v[76:77]
	buffer_load_dword v76, off, s[0:3], 0 offset:204
	s_waitcnt vmcnt(18)
	v_fma_f64 v[65:66], v[83:84], v[67:68], v[65:66]
	buffer_load_dword v78, off, s[0:3], 0 offset:212
	buffer_load_dword v79, off, s[0:3], 0 offset:232
	;; [unrolled: 1-line block ×8, first 2 shown]
	s_waitcnt vmcnt(24) lgkmcnt(0)
	v_fma_f64 v[65:66], v[85:86], v[69:70], v[65:66]
	s_waitcnt vmcnt(19)
	v_fma_f64 v[85:86], v[87:88], v[71:72], v[65:66]
	ds_read2_b64 v[65:68], v64 offset0:51 offset1:52
	ds_read2_b64 v[69:72], v64 offset0:53 offset1:54
	s_waitcnt vmcnt(18) lgkmcnt(1)
	v_fma_f64 v[65:66], v[93:94], v[65:66], v[85:86]
	buffer_load_dword v86, off, s[0:3], 0 offset:244
	buffer_load_dword v85, off, s[0:3], 0 offset:240
	;; [unrolled: 1-line block ×4, first 2 shown]
	s_waitcnt vmcnt(21)
	v_fma_f64 v[65:66], v[91:92], v[67:68], v[65:66]
	s_waitcnt vmcnt(20) lgkmcnt(0)
	v_fma_f64 v[65:66], v[89:90], v[69:70], v[65:66]
	s_waitcnt vmcnt(15)
	v_fma_f64 v[73:74], v[73:74], v[71:72], v[65:66]
	ds_read2_b64 v[65:68], v64 offset0:55 offset1:56
	ds_read2_b64 v[69:72], v64 offset0:57 offset1:58
	s_waitcnt vmcnt(14) lgkmcnt(1)
	v_fma_f64 v[65:66], v[97:98], v[65:66], v[73:74]
	s_waitcnt vmcnt(13)
	v_fma_f64 v[65:66], v[95:96], v[67:68], v[65:66]
	s_waitcnt vmcnt(12) lgkmcnt(0)
	v_fma_f64 v[65:66], v[75:76], v[69:70], v[65:66]
	s_waitcnt vmcnt(7)
	v_fma_f64 v[73:74], v[77:78], v[71:72], v[65:66]
	ds_read2_b64 v[65:68], v64 offset0:59 offset1:60
	ds_read2_b64 v[69:72], v64 offset0:61 offset1:62
	s_waitcnt vmcnt(6) lgkmcnt(1)
	v_fma_f64 v[64:65], v[83:84], v[65:66], v[73:74]
	s_waitcnt vmcnt(5)
	v_fma_f64 v[64:65], v[81:82], v[67:68], v[64:65]
	s_waitcnt vmcnt(4) lgkmcnt(0)
	v_fma_f64 v[64:65], v[79:80], v[69:70], v[64:65]
	s_waitcnt vmcnt(2)
	v_fma_f64 v[64:65], v[85:86], v[71:72], v[64:65]
	s_waitcnt vmcnt(0)
	v_add_f64 v[64:65], v[87:88], -v[64:65]
	buffer_store_dword v65, off, s[0:3], 0 offset:84
	buffer_store_dword v64, off, s[0:3], 0 offset:80
	s_and_saveexec_b64 s[4:5], vcc
	s_cbranch_execz .LBB30_175
; %bb.174:
	buffer_load_dword v64, off, s[0:3], 0 offset:72
	buffer_load_dword v65, off, s[0:3], 0 offset:76
	v_mov_b32_e32 v66, 0
	buffer_store_dword v66, off, s[0:3], 0 offset:72
	buffer_store_dword v66, off, s[0:3], 0 offset:76
	s_waitcnt vmcnt(2)
	ds_write_b64 v63, v[64:65]
.LBB30_175:
	s_or_b64 exec, exec, s[4:5]
	s_waitcnt lgkmcnt(0)
	; wave barrier
	buffer_load_dword v73, off, s[0:3], 0 offset:80
	buffer_load_dword v74, off, s[0:3], 0 offset:84
	;; [unrolled: 1-line block ×21, first 2 shown]
	v_mov_b32_e32 v64, 0
	ds_read_b128 v[65:68], v64 offset:336
	ds_read_b128 v[69:72], v64 offset:352
	buffer_load_dword v90, off, s[0:3], 0 offset:164
	v_cmp_lt_u32_e32 vcc, 8, v0
	s_waitcnt vmcnt(20) lgkmcnt(1)
	v_fma_f64 v[65:66], v[73:74], v[65:66], 0
	s_waitcnt vmcnt(18)
	v_fma_f64 v[65:66], v[75:76], v[67:68], v[65:66]
	buffer_load_dword v74, off, s[0:3], 0 offset:172
	buffer_load_dword v75, off, s[0:3], 0 offset:192
	;; [unrolled: 1-line block ×7, first 2 shown]
	s_waitcnt vmcnt(23) lgkmcnt(0)
	v_fma_f64 v[65:66], v[77:78], v[69:70], v[65:66]
	s_waitcnt vmcnt(21)
	v_fma_f64 v[76:77], v[79:80], v[71:72], v[65:66]
	ds_read_b128 v[65:68], v64 offset:368
	ds_read_b128 v[69:72], v64 offset:384
	s_waitcnt vmcnt(19) lgkmcnt(1)
	v_fma_f64 v[65:66], v[81:82], v[65:66], v[76:77]
	buffer_load_dword v76, off, s[0:3], 0 offset:196
	s_waitcnt vmcnt(18)
	v_fma_f64 v[65:66], v[83:84], v[67:68], v[65:66]
	buffer_load_dword v78, off, s[0:3], 0 offset:204
	buffer_load_dword v79, off, s[0:3], 0 offset:224
	;; [unrolled: 1-line block ×7, first 2 shown]
	s_waitcnt vmcnt(23) lgkmcnt(0)
	v_fma_f64 v[65:66], v[85:86], v[69:70], v[65:66]
	s_waitcnt vmcnt(18)
	v_fma_f64 v[85:86], v[87:88], v[71:72], v[65:66]
	ds_read_b128 v[65:68], v64 offset:400
	ds_read_b128 v[69:72], v64 offset:416
	buffer_load_dword v80, off, s[0:3], 0 offset:228
	s_waitcnt vmcnt(18) lgkmcnt(1)
	v_fma_f64 v[65:66], v[93:94], v[65:66], v[85:86]
	buffer_load_dword v86, off, s[0:3], 0 offset:236
	buffer_load_dword v87, off, s[0:3], 0 offset:240
	;; [unrolled: 1-line block ×4, first 2 shown]
	s_waitcnt vmcnt(21)
	v_fma_f64 v[65:66], v[91:92], v[67:68], v[65:66]
	s_waitcnt vmcnt(20) lgkmcnt(0)
	v_fma_f64 v[65:66], v[89:90], v[69:70], v[65:66]
	buffer_load_dword v89, off, s[0:3], 0 offset:72
	buffer_load_dword v90, off, s[0:3], 0 offset:76
	s_waitcnt vmcnt(17)
	v_fma_f64 v[73:74], v[73:74], v[71:72], v[65:66]
	ds_read_b128 v[65:68], v64 offset:432
	ds_read_b128 v[69:72], v64 offset:448
	s_waitcnt vmcnt(16) lgkmcnt(1)
	v_fma_f64 v[65:66], v[97:98], v[65:66], v[73:74]
	s_waitcnt vmcnt(15)
	v_fma_f64 v[65:66], v[95:96], v[67:68], v[65:66]
	s_waitcnt vmcnt(14) lgkmcnt(0)
	v_fma_f64 v[65:66], v[75:76], v[69:70], v[65:66]
	s_waitcnt vmcnt(9)
	v_fma_f64 v[73:74], v[77:78], v[71:72], v[65:66]
	ds_read_b128 v[65:68], v64 offset:464
	ds_read_b128 v[69:72], v64 offset:480
	s_waitcnt vmcnt(8) lgkmcnt(1)
	v_fma_f64 v[65:66], v[83:84], v[65:66], v[73:74]
	s_waitcnt vmcnt(7)
	v_fma_f64 v[65:66], v[81:82], v[67:68], v[65:66]
	ds_read_b64 v[67:68], v64 offset:496
	s_waitcnt vmcnt(6) lgkmcnt(1)
	v_fma_f64 v[65:66], v[79:80], v[69:70], v[65:66]
	s_waitcnt vmcnt(3)
	v_fma_f64 v[65:66], v[85:86], v[71:72], v[65:66]
	s_waitcnt vmcnt(2) lgkmcnt(0)
	v_fma_f64 v[65:66], v[87:88], v[67:68], v[65:66]
	s_waitcnt vmcnt(0)
	v_add_f64 v[65:66], v[89:90], -v[65:66]
	buffer_store_dword v66, off, s[0:3], 0 offset:76
	buffer_store_dword v65, off, s[0:3], 0 offset:72
	s_and_saveexec_b64 s[4:5], vcc
	s_cbranch_execz .LBB30_177
; %bb.176:
	buffer_load_dword v65, off, s[0:3], 0 offset:64
	buffer_load_dword v66, off, s[0:3], 0 offset:68
	s_waitcnt vmcnt(0)
	ds_write_b64 v63, v[65:66]
	buffer_store_dword v64, off, s[0:3], 0 offset:64
	buffer_store_dword v64, off, s[0:3], 0 offset:68
.LBB30_177:
	s_or_b64 exec, exec, s[4:5]
	s_waitcnt lgkmcnt(0)
	; wave barrier
	buffer_load_dword v73, off, s[0:3], 0 offset:72
	buffer_load_dword v74, off, s[0:3], 0 offset:76
	;; [unrolled: 1-line block ×21, first 2 shown]
	ds_read2_b64 v[65:68], v64 offset0:41 offset1:42
	ds_read2_b64 v[69:72], v64 offset0:43 offset1:44
	buffer_load_dword v90, off, s[0:3], 0 offset:156
	v_cmp_lt_u32_e32 vcc, 7, v0
	s_waitcnt vmcnt(20) lgkmcnt(1)
	v_fma_f64 v[65:66], v[73:74], v[65:66], 0
	s_waitcnt vmcnt(18)
	v_fma_f64 v[65:66], v[75:76], v[67:68], v[65:66]
	buffer_load_dword v74, off, s[0:3], 0 offset:164
	buffer_load_dword v75, off, s[0:3], 0 offset:184
	;; [unrolled: 1-line block ×7, first 2 shown]
	s_waitcnt vmcnt(23) lgkmcnt(0)
	v_fma_f64 v[65:66], v[77:78], v[69:70], v[65:66]
	s_waitcnt vmcnt(21)
	v_fma_f64 v[76:77], v[79:80], v[71:72], v[65:66]
	ds_read2_b64 v[65:68], v64 offset0:45 offset1:46
	ds_read2_b64 v[69:72], v64 offset0:47 offset1:48
	s_waitcnt vmcnt(19) lgkmcnt(1)
	v_fma_f64 v[65:66], v[81:82], v[65:66], v[76:77]
	buffer_load_dword v76, off, s[0:3], 0 offset:188
	s_waitcnt vmcnt(18)
	v_fma_f64 v[65:66], v[83:84], v[67:68], v[65:66]
	buffer_load_dword v78, off, s[0:3], 0 offset:196
	buffer_load_dword v79, off, s[0:3], 0 offset:216
	buffer_load_dword v81, off, s[0:3], 0 offset:208
	buffer_load_dword v83, off, s[0:3], 0 offset:200
	buffer_load_dword v77, off, s[0:3], 0 offset:192
	buffer_load_dword v84, off, s[0:3], 0 offset:204
	buffer_load_dword v82, off, s[0:3], 0 offset:212
	buffer_load_dword v80, off, s[0:3], 0 offset:220
	s_waitcnt vmcnt(24) lgkmcnt(0)
	v_fma_f64 v[65:66], v[85:86], v[69:70], v[65:66]
	s_waitcnt vmcnt(19)
	v_fma_f64 v[85:86], v[87:88], v[71:72], v[65:66]
	ds_read2_b64 v[65:68], v64 offset0:49 offset1:50
	ds_read2_b64 v[69:72], v64 offset0:51 offset1:52
	s_waitcnt vmcnt(18) lgkmcnt(1)
	v_fma_f64 v[65:66], v[93:94], v[65:66], v[85:86]
	s_waitcnt vmcnt(17)
	v_fma_f64 v[65:66], v[91:92], v[67:68], v[65:66]
	buffer_load_dword v86, off, s[0:3], 0 offset:228
	buffer_load_dword v87, off, s[0:3], 0 offset:240
	;; [unrolled: 1-line block ×6, first 2 shown]
	s_waitcnt vmcnt(22) lgkmcnt(0)
	v_fma_f64 v[65:66], v[89:90], v[69:70], v[65:66]
	s_waitcnt vmcnt(17)
	v_fma_f64 v[73:74], v[73:74], v[71:72], v[65:66]
	ds_read2_b64 v[65:68], v64 offset0:53 offset1:54
	buffer_load_dword v89, off, s[0:3], 0 offset:64
	buffer_load_dword v90, off, s[0:3], 0 offset:68
	ds_read2_b64 v[69:72], v64 offset0:55 offset1:56
	s_waitcnt vmcnt(18) lgkmcnt(1)
	v_fma_f64 v[65:66], v[97:98], v[65:66], v[73:74]
	s_waitcnt vmcnt(17)
	v_fma_f64 v[65:66], v[95:96], v[67:68], v[65:66]
	s_waitcnt vmcnt(16) lgkmcnt(0)
	v_fma_f64 v[65:66], v[75:76], v[69:70], v[65:66]
	s_waitcnt vmcnt(11)
	v_fma_f64 v[73:74], v[77:78], v[71:72], v[65:66]
	ds_read2_b64 v[65:68], v64 offset0:57 offset1:58
	ds_read2_b64 v[69:72], v64 offset0:59 offset1:60
	s_waitcnt vmcnt(10) lgkmcnt(1)
	v_fma_f64 v[65:66], v[83:84], v[65:66], v[73:74]
	s_waitcnt vmcnt(9)
	v_fma_f64 v[65:66], v[81:82], v[67:68], v[65:66]
	s_waitcnt vmcnt(8) lgkmcnt(0)
	v_fma_f64 v[65:66], v[79:80], v[69:70], v[65:66]
	s_waitcnt vmcnt(4)
	v_fma_f64 v[68:69], v[85:86], v[71:72], v[65:66]
	ds_read2_b64 v[64:67], v64 offset0:61 offset1:62
	s_waitcnt vmcnt(3) lgkmcnt(0)
	v_fma_f64 v[64:65], v[91:92], v[64:65], v[68:69]
	s_waitcnt vmcnt(2)
	v_fma_f64 v[64:65], v[87:88], v[66:67], v[64:65]
	s_waitcnt vmcnt(0)
	v_add_f64 v[64:65], v[89:90], -v[64:65]
	buffer_store_dword v65, off, s[0:3], 0 offset:68
	buffer_store_dword v64, off, s[0:3], 0 offset:64
	s_and_saveexec_b64 s[4:5], vcc
	s_cbranch_execz .LBB30_179
; %bb.178:
	buffer_load_dword v64, off, s[0:3], 0 offset:56
	buffer_load_dword v65, off, s[0:3], 0 offset:60
	v_mov_b32_e32 v66, 0
	buffer_store_dword v66, off, s[0:3], 0 offset:56
	buffer_store_dword v66, off, s[0:3], 0 offset:60
	s_waitcnt vmcnt(2)
	ds_write_b64 v63, v[64:65]
.LBB30_179:
	s_or_b64 exec, exec, s[4:5]
	s_waitcnt lgkmcnt(0)
	; wave barrier
	buffer_load_dword v73, off, s[0:3], 0 offset:64
	buffer_load_dword v74, off, s[0:3], 0 offset:68
	;; [unrolled: 1-line block ×21, first 2 shown]
	v_mov_b32_e32 v64, 0
	ds_read_b128 v[65:68], v64 offset:320
	ds_read_b128 v[69:72], v64 offset:336
	buffer_load_dword v90, off, s[0:3], 0 offset:148
	v_cmp_lt_u32_e32 vcc, 6, v0
	s_waitcnt vmcnt(20) lgkmcnt(1)
	v_fma_f64 v[65:66], v[73:74], v[65:66], 0
	s_waitcnt vmcnt(18)
	v_fma_f64 v[65:66], v[75:76], v[67:68], v[65:66]
	buffer_load_dword v74, off, s[0:3], 0 offset:156
	buffer_load_dword v75, off, s[0:3], 0 offset:176
	;; [unrolled: 1-line block ×7, first 2 shown]
	s_waitcnt vmcnt(23) lgkmcnt(0)
	v_fma_f64 v[65:66], v[77:78], v[69:70], v[65:66]
	s_waitcnt vmcnt(21)
	v_fma_f64 v[76:77], v[79:80], v[71:72], v[65:66]
	ds_read_b128 v[65:68], v64 offset:352
	ds_read_b128 v[69:72], v64 offset:368
	s_waitcnt vmcnt(19) lgkmcnt(1)
	v_fma_f64 v[65:66], v[81:82], v[65:66], v[76:77]
	buffer_load_dword v76, off, s[0:3], 0 offset:180
	s_waitcnt vmcnt(18)
	v_fma_f64 v[65:66], v[83:84], v[67:68], v[65:66]
	buffer_load_dword v78, off, s[0:3], 0 offset:188
	buffer_load_dword v79, off, s[0:3], 0 offset:208
	buffer_load_dword v81, off, s[0:3], 0 offset:200
	buffer_load_dword v83, off, s[0:3], 0 offset:192
	buffer_load_dword v77, off, s[0:3], 0 offset:184
	buffer_load_dword v84, off, s[0:3], 0 offset:196
	buffer_load_dword v82, off, s[0:3], 0 offset:204
	buffer_load_dword v80, off, s[0:3], 0 offset:212
	s_waitcnt vmcnt(24) lgkmcnt(0)
	v_fma_f64 v[65:66], v[85:86], v[69:70], v[65:66]
	s_waitcnt vmcnt(19)
	v_fma_f64 v[85:86], v[87:88], v[71:72], v[65:66]
	ds_read_b128 v[65:68], v64 offset:384
	ds_read_b128 v[69:72], v64 offset:400
	s_waitcnt vmcnt(18) lgkmcnt(1)
	v_fma_f64 v[65:66], v[93:94], v[65:66], v[85:86]
	s_waitcnt vmcnt(17)
	v_fma_f64 v[65:66], v[91:92], v[67:68], v[65:66]
	buffer_load_dword v86, off, s[0:3], 0 offset:220
	buffer_load_dword v87, off, s[0:3], 0 offset:240
	;; [unrolled: 1-line block ×8, first 2 shown]
	s_waitcnt vmcnt(24) lgkmcnt(0)
	v_fma_f64 v[65:66], v[89:90], v[69:70], v[65:66]
	s_waitcnt vmcnt(19)
	v_fma_f64 v[73:74], v[73:74], v[71:72], v[65:66]
	ds_read_b128 v[65:68], v64 offset:416
	ds_read_b128 v[69:72], v64 offset:432
	s_waitcnt vmcnt(18) lgkmcnt(1)
	v_fma_f64 v[65:66], v[97:98], v[65:66], v[73:74]
	buffer_load_dword v73, off, s[0:3], 0 offset:56
	buffer_load_dword v74, off, s[0:3], 0 offset:60
	s_waitcnt vmcnt(19)
	v_fma_f64 v[65:66], v[95:96], v[67:68], v[65:66]
	s_waitcnt vmcnt(18) lgkmcnt(0)
	v_fma_f64 v[65:66], v[75:76], v[69:70], v[65:66]
	s_waitcnt vmcnt(13)
	v_fma_f64 v[75:76], v[77:78], v[71:72], v[65:66]
	ds_read_b128 v[65:68], v64 offset:448
	ds_read_b128 v[69:72], v64 offset:464
	s_waitcnt vmcnt(12) lgkmcnt(1)
	v_fma_f64 v[65:66], v[83:84], v[65:66], v[75:76]
	s_waitcnt vmcnt(11)
	v_fma_f64 v[65:66], v[81:82], v[67:68], v[65:66]
	s_waitcnt vmcnt(10) lgkmcnt(0)
	v_fma_f64 v[65:66], v[79:80], v[69:70], v[65:66]
	s_waitcnt vmcnt(5)
	v_fma_f64 v[69:70], v[85:86], v[71:72], v[65:66]
	ds_read_b128 v[65:68], v64 offset:480
	ds_read_b64 v[71:72], v64 offset:496
	s_waitcnt vmcnt(4) lgkmcnt(1)
	v_fma_f64 v[65:66], v[93:94], v[65:66], v[69:70]
	s_waitcnt vmcnt(3)
	v_fma_f64 v[65:66], v[91:92], v[67:68], v[65:66]
	s_waitcnt vmcnt(2) lgkmcnt(0)
	v_fma_f64 v[65:66], v[87:88], v[71:72], v[65:66]
	s_waitcnt vmcnt(0)
	v_add_f64 v[65:66], v[73:74], -v[65:66]
	buffer_store_dword v66, off, s[0:3], 0 offset:60
	buffer_store_dword v65, off, s[0:3], 0 offset:56
	s_and_saveexec_b64 s[4:5], vcc
	s_cbranch_execz .LBB30_181
; %bb.180:
	buffer_load_dword v65, off, s[0:3], 0 offset:48
	buffer_load_dword v66, off, s[0:3], 0 offset:52
	s_waitcnt vmcnt(0)
	ds_write_b64 v63, v[65:66]
	buffer_store_dword v64, off, s[0:3], 0 offset:48
	buffer_store_dword v64, off, s[0:3], 0 offset:52
.LBB30_181:
	s_or_b64 exec, exec, s[4:5]
	s_waitcnt lgkmcnt(0)
	; wave barrier
	buffer_load_dword v73, off, s[0:3], 0 offset:56
	buffer_load_dword v74, off, s[0:3], 0 offset:60
	;; [unrolled: 1-line block ×21, first 2 shown]
	ds_read2_b64 v[65:68], v64 offset0:39 offset1:40
	ds_read2_b64 v[69:72], v64 offset0:41 offset1:42
	buffer_load_dword v90, off, s[0:3], 0 offset:140
	v_cmp_lt_u32_e32 vcc, 5, v0
	s_waitcnt vmcnt(20) lgkmcnt(1)
	v_fma_f64 v[65:66], v[73:74], v[65:66], 0
	s_waitcnt vmcnt(18)
	v_fma_f64 v[65:66], v[75:76], v[67:68], v[65:66]
	buffer_load_dword v74, off, s[0:3], 0 offset:148
	buffer_load_dword v75, off, s[0:3], 0 offset:168
	buffer_load_dword v95, off, s[0:3], 0 offset:160
	buffer_load_dword v97, off, s[0:3], 0 offset:152
	buffer_load_dword v73, off, s[0:3], 0 offset:144
	buffer_load_dword v98, off, s[0:3], 0 offset:156
	buffer_load_dword v96, off, s[0:3], 0 offset:164
	s_waitcnt vmcnt(23) lgkmcnt(0)
	v_fma_f64 v[65:66], v[77:78], v[69:70], v[65:66]
	s_waitcnt vmcnt(21)
	v_fma_f64 v[76:77], v[79:80], v[71:72], v[65:66]
	ds_read2_b64 v[65:68], v64 offset0:43 offset1:44
	ds_read2_b64 v[69:72], v64 offset0:45 offset1:46
	s_waitcnt vmcnt(19) lgkmcnt(1)
	v_fma_f64 v[65:66], v[81:82], v[65:66], v[76:77]
	buffer_load_dword v76, off, s[0:3], 0 offset:172
	s_waitcnt vmcnt(18)
	v_fma_f64 v[65:66], v[83:84], v[67:68], v[65:66]
	buffer_load_dword v78, off, s[0:3], 0 offset:180
	buffer_load_dword v79, off, s[0:3], 0 offset:200
	;; [unrolled: 1-line block ×8, first 2 shown]
	s_waitcnt vmcnt(24) lgkmcnt(0)
	v_fma_f64 v[65:66], v[85:86], v[69:70], v[65:66]
	s_waitcnt vmcnt(19)
	v_fma_f64 v[85:86], v[87:88], v[71:72], v[65:66]
	ds_read2_b64 v[65:68], v64 offset0:47 offset1:48
	ds_read2_b64 v[69:72], v64 offset0:49 offset1:50
	s_waitcnt vmcnt(18) lgkmcnt(1)
	v_fma_f64 v[65:66], v[93:94], v[65:66], v[85:86]
	s_waitcnt vmcnt(17)
	v_fma_f64 v[65:66], v[91:92], v[67:68], v[65:66]
	buffer_load_dword v86, off, s[0:3], 0 offset:212
	buffer_load_dword v87, off, s[0:3], 0 offset:232
	buffer_load_dword v91, off, s[0:3], 0 offset:224
	buffer_load_dword v93, off, s[0:3], 0 offset:216
	buffer_load_dword v85, off, s[0:3], 0 offset:208
	buffer_load_dword v94, off, s[0:3], 0 offset:220
	buffer_load_dword v92, off, s[0:3], 0 offset:228
	buffer_load_dword v88, off, s[0:3], 0 offset:236
	s_waitcnt vmcnt(24) lgkmcnt(0)
	v_fma_f64 v[65:66], v[89:90], v[69:70], v[65:66]
	s_waitcnt vmcnt(19)
	v_fma_f64 v[73:74], v[73:74], v[71:72], v[65:66]
	ds_read2_b64 v[65:68], v64 offset0:51 offset1:52
	ds_read2_b64 v[69:72], v64 offset0:53 offset1:54
	s_waitcnt vmcnt(18) lgkmcnt(1)
	v_fma_f64 v[65:66], v[97:98], v[65:66], v[73:74]
	buffer_load_dword v74, off, s[0:3], 0 offset:244
	buffer_load_dword v73, off, s[0:3], 0 offset:240
	;; [unrolled: 1-line block ×4, first 2 shown]
	s_waitcnt vmcnt(21)
	v_fma_f64 v[65:66], v[95:96], v[67:68], v[65:66]
	s_waitcnt vmcnt(20) lgkmcnt(0)
	v_fma_f64 v[65:66], v[75:76], v[69:70], v[65:66]
	s_waitcnt vmcnt(15)
	v_fma_f64 v[75:76], v[77:78], v[71:72], v[65:66]
	ds_read2_b64 v[65:68], v64 offset0:55 offset1:56
	ds_read2_b64 v[69:72], v64 offset0:57 offset1:58
	s_waitcnt vmcnt(14) lgkmcnt(1)
	v_fma_f64 v[65:66], v[83:84], v[65:66], v[75:76]
	s_waitcnt vmcnt(13)
	v_fma_f64 v[65:66], v[81:82], v[67:68], v[65:66]
	s_waitcnt vmcnt(12) lgkmcnt(0)
	v_fma_f64 v[65:66], v[79:80], v[69:70], v[65:66]
	s_waitcnt vmcnt(7)
	v_fma_f64 v[75:76], v[85:86], v[71:72], v[65:66]
	ds_read2_b64 v[65:68], v64 offset0:59 offset1:60
	ds_read2_b64 v[69:72], v64 offset0:61 offset1:62
	s_waitcnt vmcnt(6) lgkmcnt(1)
	v_fma_f64 v[64:65], v[93:94], v[65:66], v[75:76]
	s_waitcnt vmcnt(5)
	v_fma_f64 v[64:65], v[91:92], v[67:68], v[64:65]
	s_waitcnt vmcnt(4) lgkmcnt(0)
	v_fma_f64 v[64:65], v[87:88], v[69:70], v[64:65]
	s_waitcnt vmcnt(2)
	v_fma_f64 v[64:65], v[73:74], v[71:72], v[64:65]
	s_waitcnt vmcnt(0)
	v_add_f64 v[64:65], v[89:90], -v[64:65]
	buffer_store_dword v65, off, s[0:3], 0 offset:52
	buffer_store_dword v64, off, s[0:3], 0 offset:48
	s_and_saveexec_b64 s[4:5], vcc
	s_cbranch_execz .LBB30_183
; %bb.182:
	buffer_load_dword v64, off, s[0:3], 0 offset:40
	buffer_load_dword v65, off, s[0:3], 0 offset:44
	v_mov_b32_e32 v66, 0
	buffer_store_dword v66, off, s[0:3], 0 offset:40
	buffer_store_dword v66, off, s[0:3], 0 offset:44
	s_waitcnt vmcnt(2)
	ds_write_b64 v63, v[64:65]
.LBB30_183:
	s_or_b64 exec, exec, s[4:5]
	s_waitcnt lgkmcnt(0)
	; wave barrier
	buffer_load_dword v73, off, s[0:3], 0 offset:48
	buffer_load_dword v74, off, s[0:3], 0 offset:52
	;; [unrolled: 1-line block ×21, first 2 shown]
	v_mov_b32_e32 v64, 0
	ds_read_b128 v[65:68], v64 offset:304
	ds_read_b128 v[69:72], v64 offset:320
	buffer_load_dword v90, off, s[0:3], 0 offset:132
	v_cmp_lt_u32_e32 vcc, 4, v0
	s_waitcnt vmcnt(20) lgkmcnt(1)
	v_fma_f64 v[65:66], v[73:74], v[65:66], 0
	s_waitcnt vmcnt(18)
	v_fma_f64 v[65:66], v[75:76], v[67:68], v[65:66]
	buffer_load_dword v74, off, s[0:3], 0 offset:140
	buffer_load_dword v75, off, s[0:3], 0 offset:160
	buffer_load_dword v95, off, s[0:3], 0 offset:152
	buffer_load_dword v97, off, s[0:3], 0 offset:144
	buffer_load_dword v73, off, s[0:3], 0 offset:136
	buffer_load_dword v98, off, s[0:3], 0 offset:148
	buffer_load_dword v96, off, s[0:3], 0 offset:156
	s_waitcnt vmcnt(23) lgkmcnt(0)
	v_fma_f64 v[65:66], v[77:78], v[69:70], v[65:66]
	s_waitcnt vmcnt(21)
	v_fma_f64 v[76:77], v[79:80], v[71:72], v[65:66]
	ds_read_b128 v[65:68], v64 offset:336
	ds_read_b128 v[69:72], v64 offset:352
	s_waitcnt vmcnt(19) lgkmcnt(1)
	v_fma_f64 v[65:66], v[81:82], v[65:66], v[76:77]
	buffer_load_dword v76, off, s[0:3], 0 offset:164
	s_waitcnt vmcnt(18)
	v_fma_f64 v[65:66], v[83:84], v[67:68], v[65:66]
	buffer_load_dword v78, off, s[0:3], 0 offset:172
	buffer_load_dword v79, off, s[0:3], 0 offset:192
	;; [unrolled: 1-line block ×8, first 2 shown]
	s_waitcnt vmcnt(24) lgkmcnt(0)
	v_fma_f64 v[65:66], v[85:86], v[69:70], v[65:66]
	s_waitcnt vmcnt(19)
	v_fma_f64 v[85:86], v[87:88], v[71:72], v[65:66]
	ds_read_b128 v[65:68], v64 offset:368
	ds_read_b128 v[69:72], v64 offset:384
	s_waitcnt vmcnt(18) lgkmcnt(1)
	v_fma_f64 v[65:66], v[93:94], v[65:66], v[85:86]
	s_waitcnt vmcnt(17)
	v_fma_f64 v[65:66], v[91:92], v[67:68], v[65:66]
	buffer_load_dword v86, off, s[0:3], 0 offset:204
	buffer_load_dword v87, off, s[0:3], 0 offset:224
	buffer_load_dword v91, off, s[0:3], 0 offset:216
	buffer_load_dword v93, off, s[0:3], 0 offset:208
	buffer_load_dword v85, off, s[0:3], 0 offset:200
	buffer_load_dword v94, off, s[0:3], 0 offset:212
	buffer_load_dword v92, off, s[0:3], 0 offset:220
	s_waitcnt vmcnt(23) lgkmcnt(0)
	v_fma_f64 v[65:66], v[89:90], v[69:70], v[65:66]
	s_waitcnt vmcnt(18)
	v_fma_f64 v[73:74], v[73:74], v[71:72], v[65:66]
	ds_read_b128 v[65:68], v64 offset:400
	ds_read_b128 v[69:72], v64 offset:416
	buffer_load_dword v88, off, s[0:3], 0 offset:228
	s_waitcnt vmcnt(18) lgkmcnt(1)
	v_fma_f64 v[65:66], v[97:98], v[65:66], v[73:74]
	buffer_load_dword v74, off, s[0:3], 0 offset:236
	buffer_load_dword v89, off, s[0:3], 0 offset:240
	;; [unrolled: 1-line block ×4, first 2 shown]
	s_waitcnt vmcnt(21)
	v_fma_f64 v[65:66], v[95:96], v[67:68], v[65:66]
	s_waitcnt vmcnt(20) lgkmcnt(0)
	v_fma_f64 v[65:66], v[75:76], v[69:70], v[65:66]
	buffer_load_dword v75, off, s[0:3], 0 offset:40
	buffer_load_dword v76, off, s[0:3], 0 offset:44
	s_waitcnt vmcnt(17)
	v_fma_f64 v[77:78], v[77:78], v[71:72], v[65:66]
	ds_read_b128 v[65:68], v64 offset:432
	ds_read_b128 v[69:72], v64 offset:448
	s_waitcnt vmcnt(16) lgkmcnt(1)
	v_fma_f64 v[65:66], v[83:84], v[65:66], v[77:78]
	s_waitcnt vmcnt(15)
	v_fma_f64 v[65:66], v[81:82], v[67:68], v[65:66]
	s_waitcnt vmcnt(14) lgkmcnt(0)
	v_fma_f64 v[65:66], v[79:80], v[69:70], v[65:66]
	s_waitcnt vmcnt(9)
	v_fma_f64 v[77:78], v[85:86], v[71:72], v[65:66]
	ds_read_b128 v[65:68], v64 offset:464
	ds_read_b128 v[69:72], v64 offset:480
	s_waitcnt vmcnt(8) lgkmcnt(1)
	v_fma_f64 v[65:66], v[93:94], v[65:66], v[77:78]
	s_waitcnt vmcnt(7)
	v_fma_f64 v[65:66], v[91:92], v[67:68], v[65:66]
	ds_read_b64 v[67:68], v64 offset:496
	s_waitcnt vmcnt(6) lgkmcnt(1)
	v_fma_f64 v[65:66], v[87:88], v[69:70], v[65:66]
	s_waitcnt vmcnt(3)
	v_fma_f64 v[65:66], v[73:74], v[71:72], v[65:66]
	s_waitcnt vmcnt(2) lgkmcnt(0)
	v_fma_f64 v[65:66], v[89:90], v[67:68], v[65:66]
	s_waitcnt vmcnt(0)
	v_add_f64 v[65:66], v[75:76], -v[65:66]
	buffer_store_dword v66, off, s[0:3], 0 offset:44
	buffer_store_dword v65, off, s[0:3], 0 offset:40
	s_and_saveexec_b64 s[4:5], vcc
	s_cbranch_execz .LBB30_185
; %bb.184:
	buffer_load_dword v65, off, s[0:3], 0 offset:32
	buffer_load_dword v66, off, s[0:3], 0 offset:36
	s_waitcnt vmcnt(0)
	ds_write_b64 v63, v[65:66]
	buffer_store_dword v64, off, s[0:3], 0 offset:32
	buffer_store_dword v64, off, s[0:3], 0 offset:36
.LBB30_185:
	s_or_b64 exec, exec, s[4:5]
	s_waitcnt lgkmcnt(0)
	; wave barrier
	buffer_load_dword v73, off, s[0:3], 0 offset:40
	buffer_load_dword v74, off, s[0:3], 0 offset:44
	;; [unrolled: 1-line block ×22, first 2 shown]
	ds_read2_b64 v[65:68], v64 offset0:37 offset1:38
	ds_read2_b64 v[69:72], v64 offset0:39 offset1:40
	v_cmp_lt_u32_e32 vcc, 3, v0
	s_waitcnt vmcnt(20) lgkmcnt(1)
	v_fma_f64 v[65:66], v[73:74], v[65:66], 0
	s_waitcnt vmcnt(18)
	v_fma_f64 v[65:66], v[75:76], v[67:68], v[65:66]
	buffer_load_dword v74, off, s[0:3], 0 offset:132
	buffer_load_dword v75, off, s[0:3], 0 offset:152
	;; [unrolled: 1-line block ×7, first 2 shown]
	s_waitcnt vmcnt(23) lgkmcnt(0)
	v_fma_f64 v[65:66], v[77:78], v[69:70], v[65:66]
	s_waitcnt vmcnt(21)
	v_fma_f64 v[76:77], v[79:80], v[71:72], v[65:66]
	ds_read2_b64 v[65:68], v64 offset0:41 offset1:42
	ds_read2_b64 v[69:72], v64 offset0:43 offset1:44
	s_waitcnt vmcnt(19) lgkmcnt(1)
	v_fma_f64 v[65:66], v[81:82], v[65:66], v[76:77]
	buffer_load_dword v76, off, s[0:3], 0 offset:156
	s_waitcnt vmcnt(18)
	v_fma_f64 v[65:66], v[83:84], v[67:68], v[65:66]
	buffer_load_dword v78, off, s[0:3], 0 offset:164
	buffer_load_dword v79, off, s[0:3], 0 offset:184
	;; [unrolled: 1-line block ×8, first 2 shown]
	s_waitcnt vmcnt(24) lgkmcnt(0)
	v_fma_f64 v[65:66], v[85:86], v[69:70], v[65:66]
	s_waitcnt vmcnt(19)
	v_fma_f64 v[85:86], v[87:88], v[71:72], v[65:66]
	ds_read2_b64 v[65:68], v64 offset0:45 offset1:46
	ds_read2_b64 v[69:72], v64 offset0:47 offset1:48
	s_waitcnt vmcnt(18) lgkmcnt(1)
	v_fma_f64 v[65:66], v[93:94], v[65:66], v[85:86]
	s_waitcnt vmcnt(17)
	v_fma_f64 v[65:66], v[91:92], v[67:68], v[65:66]
	buffer_load_dword v86, off, s[0:3], 0 offset:196
	buffer_load_dword v87, off, s[0:3], 0 offset:216
	;; [unrolled: 1-line block ×8, first 2 shown]
	s_waitcnt vmcnt(24) lgkmcnt(0)
	v_fma_f64 v[65:66], v[89:90], v[69:70], v[65:66]
	s_waitcnt vmcnt(19)
	v_fma_f64 v[73:74], v[73:74], v[71:72], v[65:66]
	ds_read2_b64 v[65:68], v64 offset0:49 offset1:50
	ds_read2_b64 v[69:72], v64 offset0:51 offset1:52
	s_waitcnt vmcnt(18) lgkmcnt(1)
	v_fma_f64 v[65:66], v[97:98], v[65:66], v[73:74]
	s_waitcnt vmcnt(17)
	v_fma_f64 v[65:66], v[95:96], v[67:68], v[65:66]
	buffer_load_dword v74, off, s[0:3], 0 offset:228
	buffer_load_dword v89, off, s[0:3], 0 offset:240
	;; [unrolled: 1-line block ×6, first 2 shown]
	s_waitcnt vmcnt(22) lgkmcnt(0)
	v_fma_f64 v[65:66], v[75:76], v[69:70], v[65:66]
	s_waitcnt vmcnt(17)
	v_fma_f64 v[75:76], v[77:78], v[71:72], v[65:66]
	ds_read2_b64 v[65:68], v64 offset0:53 offset1:54
	buffer_load_dword v77, off, s[0:3], 0 offset:32
	buffer_load_dword v78, off, s[0:3], 0 offset:36
	ds_read2_b64 v[69:72], v64 offset0:55 offset1:56
	s_waitcnt vmcnt(18) lgkmcnt(1)
	v_fma_f64 v[65:66], v[83:84], v[65:66], v[75:76]
	s_waitcnt vmcnt(17)
	v_fma_f64 v[65:66], v[81:82], v[67:68], v[65:66]
	s_waitcnt vmcnt(16) lgkmcnt(0)
	v_fma_f64 v[65:66], v[79:80], v[69:70], v[65:66]
	s_waitcnt vmcnt(11)
	v_fma_f64 v[75:76], v[85:86], v[71:72], v[65:66]
	ds_read2_b64 v[65:68], v64 offset0:57 offset1:58
	ds_read2_b64 v[69:72], v64 offset0:59 offset1:60
	s_waitcnt vmcnt(10) lgkmcnt(1)
	v_fma_f64 v[65:66], v[93:94], v[65:66], v[75:76]
	s_waitcnt vmcnt(9)
	v_fma_f64 v[65:66], v[91:92], v[67:68], v[65:66]
	s_waitcnt vmcnt(8) lgkmcnt(0)
	v_fma_f64 v[65:66], v[87:88], v[69:70], v[65:66]
	s_waitcnt vmcnt(4)
	v_fma_f64 v[68:69], v[73:74], v[71:72], v[65:66]
	ds_read2_b64 v[64:67], v64 offset0:61 offset1:62
	s_waitcnt vmcnt(3) lgkmcnt(0)
	v_fma_f64 v[64:65], v[95:96], v[64:65], v[68:69]
	s_waitcnt vmcnt(2)
	v_fma_f64 v[64:65], v[89:90], v[66:67], v[64:65]
	s_waitcnt vmcnt(0)
	v_add_f64 v[64:65], v[77:78], -v[64:65]
	buffer_store_dword v65, off, s[0:3], 0 offset:36
	buffer_store_dword v64, off, s[0:3], 0 offset:32
	s_and_saveexec_b64 s[4:5], vcc
	s_cbranch_execz .LBB30_187
; %bb.186:
	buffer_load_dword v64, off, s[0:3], 0 offset:24
	buffer_load_dword v65, off, s[0:3], 0 offset:28
	v_mov_b32_e32 v66, 0
	buffer_store_dword v66, off, s[0:3], 0 offset:24
	buffer_store_dword v66, off, s[0:3], 0 offset:28
	s_waitcnt vmcnt(2)
	ds_write_b64 v63, v[64:65]
.LBB30_187:
	s_or_b64 exec, exec, s[4:5]
	s_waitcnt lgkmcnt(0)
	; wave barrier
	buffer_load_dword v73, off, s[0:3], 0 offset:32
	buffer_load_dword v74, off, s[0:3], 0 offset:36
	;; [unrolled: 1-line block ×22, first 2 shown]
	v_mov_b32_e32 v64, 0
	ds_read_b128 v[65:68], v64 offset:288
	ds_read_b128 v[69:72], v64 offset:304
	v_cmp_lt_u32_e32 vcc, 2, v0
	s_waitcnt vmcnt(20) lgkmcnt(1)
	v_fma_f64 v[65:66], v[73:74], v[65:66], 0
	s_waitcnt vmcnt(18)
	v_fma_f64 v[65:66], v[75:76], v[67:68], v[65:66]
	buffer_load_dword v74, off, s[0:3], 0 offset:124
	buffer_load_dword v75, off, s[0:3], 0 offset:144
	;; [unrolled: 1-line block ×7, first 2 shown]
	s_waitcnt vmcnt(23) lgkmcnt(0)
	v_fma_f64 v[65:66], v[77:78], v[69:70], v[65:66]
	s_waitcnt vmcnt(21)
	v_fma_f64 v[76:77], v[79:80], v[71:72], v[65:66]
	ds_read_b128 v[65:68], v64 offset:320
	ds_read_b128 v[69:72], v64 offset:336
	s_waitcnt vmcnt(19) lgkmcnt(1)
	v_fma_f64 v[65:66], v[81:82], v[65:66], v[76:77]
	buffer_load_dword v76, off, s[0:3], 0 offset:148
	s_waitcnt vmcnt(18)
	v_fma_f64 v[65:66], v[83:84], v[67:68], v[65:66]
	buffer_load_dword v78, off, s[0:3], 0 offset:156
	buffer_load_dword v79, off, s[0:3], 0 offset:176
	buffer_load_dword v81, off, s[0:3], 0 offset:168
	buffer_load_dword v83, off, s[0:3], 0 offset:160
	buffer_load_dword v77, off, s[0:3], 0 offset:152
	buffer_load_dword v84, off, s[0:3], 0 offset:164
	buffer_load_dword v82, off, s[0:3], 0 offset:172
	buffer_load_dword v80, off, s[0:3], 0 offset:180
	s_waitcnt vmcnt(24) lgkmcnt(0)
	v_fma_f64 v[65:66], v[85:86], v[69:70], v[65:66]
	s_waitcnt vmcnt(19)
	v_fma_f64 v[85:86], v[87:88], v[71:72], v[65:66]
	ds_read_b128 v[65:68], v64 offset:352
	ds_read_b128 v[69:72], v64 offset:368
	s_waitcnt vmcnt(18) lgkmcnt(1)
	v_fma_f64 v[65:66], v[93:94], v[65:66], v[85:86]
	s_waitcnt vmcnt(17)
	v_fma_f64 v[65:66], v[91:92], v[67:68], v[65:66]
	buffer_load_dword v86, off, s[0:3], 0 offset:188
	buffer_load_dword v87, off, s[0:3], 0 offset:208
	buffer_load_dword v91, off, s[0:3], 0 offset:200
	buffer_load_dword v93, off, s[0:3], 0 offset:192
	buffer_load_dword v85, off, s[0:3], 0 offset:184
	buffer_load_dword v94, off, s[0:3], 0 offset:196
	buffer_load_dword v92, off, s[0:3], 0 offset:204
	buffer_load_dword v88, off, s[0:3], 0 offset:212
	s_waitcnt vmcnt(24) lgkmcnt(0)
	v_fma_f64 v[65:66], v[89:90], v[69:70], v[65:66]
	s_waitcnt vmcnt(19)
	v_fma_f64 v[73:74], v[73:74], v[71:72], v[65:66]
	ds_read_b128 v[65:68], v64 offset:384
	ds_read_b128 v[69:72], v64 offset:400
	s_waitcnt vmcnt(18) lgkmcnt(1)
	v_fma_f64 v[65:66], v[97:98], v[65:66], v[73:74]
	;; [unrolled: 18-line block ×3, first 2 shown]
	buffer_load_dword v75, off, s[0:3], 0 offset:24
	buffer_load_dword v76, off, s[0:3], 0 offset:28
	s_waitcnt vmcnt(19)
	v_fma_f64 v[65:66], v[81:82], v[67:68], v[65:66]
	s_waitcnt vmcnt(18) lgkmcnt(0)
	v_fma_f64 v[65:66], v[79:80], v[69:70], v[65:66]
	s_waitcnt vmcnt(13)
	v_fma_f64 v[77:78], v[85:86], v[71:72], v[65:66]
	ds_read_b128 v[65:68], v64 offset:448
	ds_read_b128 v[69:72], v64 offset:464
	s_waitcnt vmcnt(12) lgkmcnt(1)
	v_fma_f64 v[65:66], v[93:94], v[65:66], v[77:78]
	s_waitcnt vmcnt(11)
	v_fma_f64 v[65:66], v[91:92], v[67:68], v[65:66]
	s_waitcnt vmcnt(10) lgkmcnt(0)
	v_fma_f64 v[65:66], v[87:88], v[69:70], v[65:66]
	s_waitcnt vmcnt(5)
	v_fma_f64 v[69:70], v[73:74], v[71:72], v[65:66]
	ds_read_b128 v[65:68], v64 offset:480
	ds_read_b64 v[71:72], v64 offset:496
	s_waitcnt vmcnt(4) lgkmcnt(1)
	v_fma_f64 v[65:66], v[97:98], v[65:66], v[69:70]
	s_waitcnt vmcnt(3)
	v_fma_f64 v[65:66], v[95:96], v[67:68], v[65:66]
	s_waitcnt vmcnt(2) lgkmcnt(0)
	v_fma_f64 v[65:66], v[89:90], v[71:72], v[65:66]
	s_waitcnt vmcnt(0)
	v_add_f64 v[65:66], v[75:76], -v[65:66]
	buffer_store_dword v66, off, s[0:3], 0 offset:28
	buffer_store_dword v65, off, s[0:3], 0 offset:24
	s_and_saveexec_b64 s[4:5], vcc
	s_cbranch_execz .LBB30_189
; %bb.188:
	buffer_load_dword v65, off, s[0:3], 0 offset:16
	buffer_load_dword v66, off, s[0:3], 0 offset:20
	s_waitcnt vmcnt(0)
	ds_write_b64 v63, v[65:66]
	buffer_store_dword v64, off, s[0:3], 0 offset:16
	buffer_store_dword v64, off, s[0:3], 0 offset:20
.LBB30_189:
	s_or_b64 exec, exec, s[4:5]
	s_waitcnt lgkmcnt(0)
	; wave barrier
	buffer_load_dword v73, off, s[0:3], 0 offset:24
	buffer_load_dword v74, off, s[0:3], 0 offset:28
	;; [unrolled: 1-line block ×22, first 2 shown]
	ds_read2_b64 v[65:68], v64 offset0:35 offset1:36
	ds_read2_b64 v[69:72], v64 offset0:37 offset1:38
	v_cmp_lt_u32_e32 vcc, 1, v0
	s_waitcnt vmcnt(20) lgkmcnt(1)
	v_fma_f64 v[65:66], v[73:74], v[65:66], 0
	s_waitcnt vmcnt(18)
	v_fma_f64 v[65:66], v[75:76], v[67:68], v[65:66]
	buffer_load_dword v74, off, s[0:3], 0 offset:116
	buffer_load_dword v75, off, s[0:3], 0 offset:136
	;; [unrolled: 1-line block ×7, first 2 shown]
	s_waitcnt vmcnt(23) lgkmcnt(0)
	v_fma_f64 v[65:66], v[77:78], v[69:70], v[65:66]
	s_waitcnt vmcnt(21)
	v_fma_f64 v[76:77], v[79:80], v[71:72], v[65:66]
	ds_read2_b64 v[65:68], v64 offset0:39 offset1:40
	ds_read2_b64 v[69:72], v64 offset0:41 offset1:42
	s_waitcnt vmcnt(19) lgkmcnt(1)
	v_fma_f64 v[65:66], v[81:82], v[65:66], v[76:77]
	buffer_load_dword v76, off, s[0:3], 0 offset:140
	s_waitcnt vmcnt(18)
	v_fma_f64 v[65:66], v[83:84], v[67:68], v[65:66]
	buffer_load_dword v78, off, s[0:3], 0 offset:148
	buffer_load_dword v79, off, s[0:3], 0 offset:168
	buffer_load_dword v81, off, s[0:3], 0 offset:160
	buffer_load_dword v83, off, s[0:3], 0 offset:152
	buffer_load_dword v77, off, s[0:3], 0 offset:144
	buffer_load_dword v84, off, s[0:3], 0 offset:156
	buffer_load_dword v82, off, s[0:3], 0 offset:164
	buffer_load_dword v80, off, s[0:3], 0 offset:172
	s_waitcnt vmcnt(24) lgkmcnt(0)
	v_fma_f64 v[65:66], v[85:86], v[69:70], v[65:66]
	s_waitcnt vmcnt(19)
	v_fma_f64 v[85:86], v[87:88], v[71:72], v[65:66]
	ds_read2_b64 v[65:68], v64 offset0:43 offset1:44
	ds_read2_b64 v[69:72], v64 offset0:45 offset1:46
	s_waitcnt vmcnt(18) lgkmcnt(1)
	v_fma_f64 v[65:66], v[93:94], v[65:66], v[85:86]
	s_waitcnt vmcnt(17)
	v_fma_f64 v[65:66], v[91:92], v[67:68], v[65:66]
	buffer_load_dword v86, off, s[0:3], 0 offset:180
	buffer_load_dword v87, off, s[0:3], 0 offset:200
	buffer_load_dword v91, off, s[0:3], 0 offset:192
	buffer_load_dword v93, off, s[0:3], 0 offset:184
	buffer_load_dword v85, off, s[0:3], 0 offset:176
	buffer_load_dword v94, off, s[0:3], 0 offset:188
	buffer_load_dword v92, off, s[0:3], 0 offset:196
	buffer_load_dword v88, off, s[0:3], 0 offset:204
	s_waitcnt vmcnt(24) lgkmcnt(0)
	v_fma_f64 v[65:66], v[89:90], v[69:70], v[65:66]
	s_waitcnt vmcnt(19)
	v_fma_f64 v[73:74], v[73:74], v[71:72], v[65:66]
	ds_read2_b64 v[65:68], v64 offset0:47 offset1:48
	ds_read2_b64 v[69:72], v64 offset0:49 offset1:50
	s_waitcnt vmcnt(18) lgkmcnt(1)
	v_fma_f64 v[65:66], v[97:98], v[65:66], v[73:74]
	;; [unrolled: 18-line block ×3, first 2 shown]
	buffer_load_dword v76, off, s[0:3], 0 offset:244
	buffer_load_dword v75, off, s[0:3], 0 offset:240
	;; [unrolled: 1-line block ×4, first 2 shown]
	s_waitcnt vmcnt(21)
	v_fma_f64 v[65:66], v[81:82], v[67:68], v[65:66]
	s_waitcnt vmcnt(20) lgkmcnt(0)
	v_fma_f64 v[65:66], v[79:80], v[69:70], v[65:66]
	s_waitcnt vmcnt(15)
	v_fma_f64 v[79:80], v[85:86], v[71:72], v[65:66]
	ds_read2_b64 v[65:68], v64 offset0:55 offset1:56
	ds_read2_b64 v[69:72], v64 offset0:57 offset1:58
	s_waitcnt vmcnt(14) lgkmcnt(1)
	v_fma_f64 v[65:66], v[93:94], v[65:66], v[79:80]
	s_waitcnt vmcnt(13)
	v_fma_f64 v[65:66], v[91:92], v[67:68], v[65:66]
	s_waitcnt vmcnt(12) lgkmcnt(0)
	v_fma_f64 v[65:66], v[87:88], v[69:70], v[65:66]
	s_waitcnt vmcnt(7)
	v_fma_f64 v[73:74], v[73:74], v[71:72], v[65:66]
	ds_read2_b64 v[65:68], v64 offset0:59 offset1:60
	ds_read2_b64 v[69:72], v64 offset0:61 offset1:62
	s_waitcnt vmcnt(6) lgkmcnt(1)
	v_fma_f64 v[64:65], v[97:98], v[65:66], v[73:74]
	s_waitcnt vmcnt(5)
	v_fma_f64 v[64:65], v[95:96], v[67:68], v[64:65]
	s_waitcnt vmcnt(4) lgkmcnt(0)
	v_fma_f64 v[64:65], v[89:90], v[69:70], v[64:65]
	s_waitcnt vmcnt(2)
	v_fma_f64 v[64:65], v[75:76], v[71:72], v[64:65]
	s_waitcnt vmcnt(0)
	v_add_f64 v[64:65], v[77:78], -v[64:65]
	buffer_store_dword v65, off, s[0:3], 0 offset:20
	buffer_store_dword v64, off, s[0:3], 0 offset:16
	s_and_saveexec_b64 s[4:5], vcc
	s_cbranch_execz .LBB30_191
; %bb.190:
	buffer_load_dword v64, off, s[0:3], 0 offset:8
	buffer_load_dword v65, off, s[0:3], 0 offset:12
	v_mov_b32_e32 v66, 0
	buffer_store_dword v66, off, s[0:3], 0 offset:8
	buffer_store_dword v66, off, s[0:3], 0 offset:12
	s_waitcnt vmcnt(2)
	ds_write_b64 v63, v[64:65]
.LBB30_191:
	s_or_b64 exec, exec, s[4:5]
	s_waitcnt lgkmcnt(0)
	; wave barrier
	buffer_load_dword v73, off, s[0:3], 0 offset:16
	buffer_load_dword v74, off, s[0:3], 0 offset:20
	;; [unrolled: 1-line block ×22, first 2 shown]
	v_mov_b32_e32 v64, 0
	ds_read_b128 v[65:68], v64 offset:272
	ds_read_b128 v[69:72], v64 offset:288
	v_cmp_ne_u32_e32 vcc, 0, v0
	s_waitcnt vmcnt(20) lgkmcnt(1)
	v_fma_f64 v[65:66], v[73:74], v[65:66], 0
	s_waitcnt vmcnt(18)
	v_fma_f64 v[65:66], v[75:76], v[67:68], v[65:66]
	buffer_load_dword v74, off, s[0:3], 0 offset:108
	buffer_load_dword v75, off, s[0:3], 0 offset:128
	;; [unrolled: 1-line block ×7, first 2 shown]
	s_waitcnt vmcnt(23) lgkmcnt(0)
	v_fma_f64 v[65:66], v[77:78], v[69:70], v[65:66]
	s_waitcnt vmcnt(21)
	v_fma_f64 v[76:77], v[79:80], v[71:72], v[65:66]
	ds_read_b128 v[65:68], v64 offset:304
	ds_read_b128 v[69:72], v64 offset:320
	s_waitcnt vmcnt(19) lgkmcnt(1)
	v_fma_f64 v[65:66], v[81:82], v[65:66], v[76:77]
	buffer_load_dword v76, off, s[0:3], 0 offset:132
	s_waitcnt vmcnt(18)
	v_fma_f64 v[65:66], v[83:84], v[67:68], v[65:66]
	buffer_load_dword v78, off, s[0:3], 0 offset:140
	buffer_load_dword v79, off, s[0:3], 0 offset:160
	;; [unrolled: 1-line block ×7, first 2 shown]
	s_waitcnt vmcnt(23) lgkmcnt(0)
	v_fma_f64 v[65:66], v[85:86], v[69:70], v[65:66]
	s_waitcnt vmcnt(18)
	v_fma_f64 v[85:86], v[87:88], v[71:72], v[65:66]
	ds_read_b128 v[65:68], v64 offset:336
	ds_read_b128 v[69:72], v64 offset:352
	buffer_load_dword v80, off, s[0:3], 0 offset:164
	s_waitcnt vmcnt(18) lgkmcnt(1)
	v_fma_f64 v[65:66], v[93:94], v[65:66], v[85:86]
	s_waitcnt vmcnt(17)
	v_fma_f64 v[65:66], v[91:92], v[67:68], v[65:66]
	buffer_load_dword v86, off, s[0:3], 0 offset:172
	buffer_load_dword v87, off, s[0:3], 0 offset:192
	;; [unrolled: 1-line block ×8, first 2 shown]
	s_waitcnt vmcnt(24) lgkmcnt(0)
	v_fma_f64 v[65:66], v[89:90], v[69:70], v[65:66]
	s_waitcnt vmcnt(19)
	v_fma_f64 v[73:74], v[73:74], v[71:72], v[65:66]
	ds_read_b128 v[65:68], v64 offset:368
	ds_read_b128 v[69:72], v64 offset:384
	s_waitcnt vmcnt(18) lgkmcnt(1)
	v_fma_f64 v[65:66], v[97:98], v[65:66], v[73:74]
	s_waitcnt vmcnt(17)
	v_fma_f64 v[65:66], v[95:96], v[67:68], v[65:66]
	buffer_load_dword v74, off, s[0:3], 0 offset:204
	buffer_load_dword v89, off, s[0:3], 0 offset:224
	;; [unrolled: 1-line block ×7, first 2 shown]
	s_waitcnt vmcnt(23) lgkmcnt(0)
	v_fma_f64 v[65:66], v[75:76], v[69:70], v[65:66]
	s_waitcnt vmcnt(18)
	v_fma_f64 v[75:76], v[77:78], v[71:72], v[65:66]
	ds_read_b128 v[65:68], v64 offset:400
	ds_read_b128 v[69:72], v64 offset:416
	buffer_load_dword v90, off, s[0:3], 0 offset:228
	s_waitcnt vmcnt(18) lgkmcnt(1)
	v_fma_f64 v[65:66], v[83:84], v[65:66], v[75:76]
	buffer_load_dword v76, off, s[0:3], 0 offset:236
	buffer_load_dword v77, off, s[0:3], 0 offset:240
	;; [unrolled: 1-line block ×4, first 2 shown]
	s_waitcnt vmcnt(21)
	v_fma_f64 v[65:66], v[81:82], v[67:68], v[65:66]
	s_waitcnt vmcnt(20) lgkmcnt(0)
	v_fma_f64 v[65:66], v[79:80], v[69:70], v[65:66]
	buffer_load_dword v79, off, s[0:3], 0 offset:8
	buffer_load_dword v80, off, s[0:3], 0 offset:12
	s_waitcnt vmcnt(17)
	v_fma_f64 v[81:82], v[85:86], v[71:72], v[65:66]
	ds_read_b128 v[65:68], v64 offset:432
	ds_read_b128 v[69:72], v64 offset:448
	s_waitcnt vmcnt(16) lgkmcnt(1)
	v_fma_f64 v[65:66], v[93:94], v[65:66], v[81:82]
	s_waitcnt vmcnt(15)
	v_fma_f64 v[65:66], v[91:92], v[67:68], v[65:66]
	s_waitcnt vmcnt(14) lgkmcnt(0)
	v_fma_f64 v[65:66], v[87:88], v[69:70], v[65:66]
	s_waitcnt vmcnt(9)
	v_fma_f64 v[73:74], v[73:74], v[71:72], v[65:66]
	ds_read_b128 v[65:68], v64 offset:464
	ds_read_b128 v[69:72], v64 offset:480
	s_waitcnt vmcnt(8) lgkmcnt(1)
	v_fma_f64 v[65:66], v[97:98], v[65:66], v[73:74]
	s_waitcnt vmcnt(7)
	v_fma_f64 v[65:66], v[95:96], v[67:68], v[65:66]
	ds_read_b64 v[67:68], v64 offset:496
	s_waitcnt vmcnt(6) lgkmcnt(1)
	v_fma_f64 v[65:66], v[89:90], v[69:70], v[65:66]
	s_waitcnt vmcnt(3)
	v_fma_f64 v[65:66], v[75:76], v[71:72], v[65:66]
	s_waitcnt vmcnt(2) lgkmcnt(0)
	v_fma_f64 v[65:66], v[77:78], v[67:68], v[65:66]
	s_waitcnt vmcnt(0)
	v_add_f64 v[65:66], v[79:80], -v[65:66]
	buffer_store_dword v66, off, s[0:3], 0 offset:12
	buffer_store_dword v65, off, s[0:3], 0 offset:8
	s_and_saveexec_b64 s[4:5], vcc
	s_cbranch_execz .LBB30_193
; %bb.192:
	buffer_load_dword v65, off, s[0:3], 0
	buffer_load_dword v66, off, s[0:3], 0 offset:4
	s_waitcnt vmcnt(0)
	ds_write_b64 v63, v[65:66]
	buffer_store_dword v64, off, s[0:3], 0
	buffer_store_dword v64, off, s[0:3], 0 offset:4
.LBB30_193:
	s_or_b64 exec, exec, s[4:5]
	s_waitcnt lgkmcnt(0)
	; wave barrier
	buffer_load_dword v73, off, s[0:3], 0 offset:8
	buffer_load_dword v74, off, s[0:3], 0 offset:12
	;; [unrolled: 1-line block ×22, first 2 shown]
	ds_read2_b64 v[65:68], v64 offset0:33 offset1:34
	ds_read2_b64 v[69:72], v64 offset0:35 offset1:36
	s_and_b64 vcc, exec, s[22:23]
	s_waitcnt vmcnt(20) lgkmcnt(1)
	v_fma_f64 v[65:66], v[73:74], v[65:66], 0
	s_waitcnt vmcnt(18)
	v_fma_f64 v[65:66], v[75:76], v[67:68], v[65:66]
	buffer_load_dword v74, off, s[0:3], 0 offset:100
	buffer_load_dword v75, off, s[0:3], 0 offset:120
	;; [unrolled: 1-line block ×7, first 2 shown]
	s_waitcnt vmcnt(23) lgkmcnt(0)
	v_fma_f64 v[65:66], v[77:78], v[69:70], v[65:66]
	s_waitcnt vmcnt(21)
	v_fma_f64 v[76:77], v[79:80], v[71:72], v[65:66]
	ds_read2_b64 v[65:68], v64 offset0:37 offset1:38
	ds_read2_b64 v[69:72], v64 offset0:39 offset1:40
	s_waitcnt vmcnt(19) lgkmcnt(1)
	v_fma_f64 v[65:66], v[81:82], v[65:66], v[76:77]
	buffer_load_dword v76, off, s[0:3], 0 offset:124
	s_waitcnt vmcnt(18)
	v_fma_f64 v[65:66], v[83:84], v[67:68], v[65:66]
	buffer_load_dword v78, off, s[0:3], 0 offset:132
	buffer_load_dword v79, off, s[0:3], 0 offset:152
	;; [unrolled: 1-line block ×7, first 2 shown]
	s_waitcnt vmcnt(23) lgkmcnt(0)
	v_fma_f64 v[65:66], v[85:86], v[69:70], v[65:66]
	s_waitcnt vmcnt(18)
	v_fma_f64 v[85:86], v[87:88], v[71:72], v[65:66]
	ds_read2_b64 v[65:68], v64 offset0:41 offset1:42
	ds_read2_b64 v[69:72], v64 offset0:43 offset1:44
	buffer_load_dword v80, off, s[0:3], 0 offset:156
	s_waitcnt vmcnt(18) lgkmcnt(1)
	v_fma_f64 v[65:66], v[93:94], v[65:66], v[85:86]
	s_waitcnt vmcnt(17)
	v_fma_f64 v[65:66], v[91:92], v[67:68], v[65:66]
	buffer_load_dword v86, off, s[0:3], 0 offset:164
	buffer_load_dword v87, off, s[0:3], 0 offset:184
	;; [unrolled: 1-line block ×8, first 2 shown]
	s_waitcnt vmcnt(24) lgkmcnt(0)
	v_fma_f64 v[65:66], v[89:90], v[69:70], v[65:66]
	s_waitcnt vmcnt(19)
	v_fma_f64 v[73:74], v[73:74], v[71:72], v[65:66]
	ds_read2_b64 v[65:68], v64 offset0:45 offset1:46
	ds_read2_b64 v[69:72], v64 offset0:47 offset1:48
	s_waitcnt vmcnt(18) lgkmcnt(1)
	v_fma_f64 v[65:66], v[97:98], v[65:66], v[73:74]
	s_waitcnt vmcnt(17)
	v_fma_f64 v[65:66], v[95:96], v[67:68], v[65:66]
	buffer_load_dword v90, off, s[0:3], 0 offset:196
	buffer_load_dword v95, off, s[0:3], 0 offset:216
	;; [unrolled: 1-line block ×8, first 2 shown]
	s_waitcnt vmcnt(24) lgkmcnt(0)
	v_fma_f64 v[65:66], v[75:76], v[69:70], v[65:66]
	s_waitcnt vmcnt(19)
	v_fma_f64 v[73:74], v[77:78], v[71:72], v[65:66]
	ds_read2_b64 v[65:68], v64 offset0:49 offset1:50
	ds_read2_b64 v[69:72], v64 offset0:51 offset1:52
	s_waitcnt vmcnt(18) lgkmcnt(1)
	v_fma_f64 v[65:66], v[83:84], v[65:66], v[73:74]
	s_waitcnt vmcnt(17)
	v_fma_f64 v[66:67], v[81:82], v[67:68], v[65:66]
	buffer_load_dword v76, off, s[0:3], 0 offset:228
	buffer_load_dword v77, off, s[0:3], 0 offset:240
	;; [unrolled: 1-line block ×4, first 2 shown]
	s_waitcnt vmcnt(20) lgkmcnt(0)
	v_fma_f64 v[67:68], v[79:80], v[69:70], v[66:67]
	buffer_load_dword v66, off, s[0:3], 0 offset:236
	buffer_load_dword v78, off, s[0:3], 0 offset:244
	s_waitcnt vmcnt(17)
	v_fma_f64 v[79:80], v[85:86], v[71:72], v[67:68]
	ds_read2_b64 v[67:70], v64 offset0:53 offset1:54
	buffer_load_dword v81, off, s[0:3], 0
	buffer_load_dword v82, off, s[0:3], 0 offset:4
	ds_read2_b64 v[71:74], v64 offset0:55 offset1:56
	s_waitcnt vmcnt(18) lgkmcnt(1)
	v_fma_f64 v[67:68], v[93:94], v[67:68], v[79:80]
	s_waitcnt vmcnt(17)
	v_fma_f64 v[67:68], v[91:92], v[69:70], v[67:68]
	s_waitcnt vmcnt(16) lgkmcnt(0)
	v_fma_f64 v[67:68], v[87:88], v[71:72], v[67:68]
	s_waitcnt vmcnt(11)
	v_fma_f64 v[79:80], v[89:90], v[73:74], v[67:68]
	ds_read2_b64 v[67:70], v64 offset0:57 offset1:58
	ds_read2_b64 v[71:74], v64 offset0:59 offset1:60
	s_waitcnt vmcnt(10) lgkmcnt(1)
	v_fma_f64 v[67:68], v[99:100], v[67:68], v[79:80]
	s_waitcnt vmcnt(9)
	v_fma_f64 v[67:68], v[97:98], v[69:70], v[67:68]
	s_waitcnt vmcnt(8) lgkmcnt(0)
	v_fma_f64 v[67:68], v[95:96], v[71:72], v[67:68]
	s_waitcnt vmcnt(4)
	v_fma_f64 v[71:72], v[75:76], v[73:74], v[67:68]
	ds_read2_b64 v[67:70], v64 offset0:61 offset1:62
	s_waitcnt vmcnt(3) lgkmcnt(0)
	v_fma_f64 v[63:64], v[65:66], v[67:68], v[71:72]
	s_waitcnt vmcnt(2)
	v_fma_f64 v[63:64], v[77:78], v[69:70], v[63:64]
	s_waitcnt vmcnt(0)
	v_add_f64 v[63:64], v[81:82], -v[63:64]
	buffer_store_dword v64, off, s[0:3], 0 offset:4
	buffer_store_dword v63, off, s[0:3], 0
	s_cbranch_vccz .LBB30_254
; %bb.194:
	v_mov_b32_e32 v0, 0
	global_load_dword v63, v0, s[20:21] offset:116
	s_waitcnt vmcnt(0)
	v_add_u32_e32 v63, -1, v63
	v_cmp_ne_u32_e32 vcc, 29, v63
	s_cbranch_vccz .LBB30_196
; %bb.195:
	v_lshlrev_b32_e32 v63, 3, v63
	buffer_load_dword v64, v63, s[0:3], 0 offen
	buffer_load_dword v67, v63, s[0:3], 0 offen offset:4
	s_waitcnt vmcnt(1)
	buffer_store_dword v64, off, s[0:3], 0 offset:232
	s_waitcnt vmcnt(1)
	buffer_store_dword v67, off, s[0:3], 0 offset:236
	buffer_store_dword v65, v63, s[0:3], 0 offen
	buffer_store_dword v66, v63, s[0:3], 0 offen offset:4
.LBB30_196:
	global_load_dword v0, v0, s[20:21] offset:112
	s_waitcnt vmcnt(0)
	v_add_u32_e32 v0, -1, v0
	v_cmp_eq_u32_e32 vcc, 28, v0
	s_cbranch_vccnz .LBB30_198
; %bb.197:
	v_lshlrev_b32_e32 v0, 3, v0
	buffer_load_dword v63, v0, s[0:3], 0 offen
	buffer_load_dword v64, v0, s[0:3], 0 offen offset:4
	buffer_load_dword v65, off, s[0:3], 0 offset:228
	buffer_load_dword v66, off, s[0:3], 0 offset:224
	s_waitcnt vmcnt(3)
	buffer_store_dword v63, off, s[0:3], 0 offset:224
	s_waitcnt vmcnt(3)
	buffer_store_dword v64, off, s[0:3], 0 offset:228
	s_waitcnt vmcnt(3)
	buffer_store_dword v65, v0, s[0:3], 0 offen offset:4
	s_waitcnt vmcnt(3)
	buffer_store_dword v66, v0, s[0:3], 0 offen
.LBB30_198:
	v_mov_b32_e32 v0, 0
	global_load_dword v63, v0, s[20:21] offset:108
	s_waitcnt vmcnt(0)
	v_add_u32_e32 v63, -1, v63
	v_cmp_eq_u32_e32 vcc, 27, v63
	s_cbranch_vccnz .LBB30_200
; %bb.199:
	v_lshlrev_b32_e32 v63, 3, v63
	buffer_load_dword v64, v63, s[0:3], 0 offen
	buffer_load_dword v65, v63, s[0:3], 0 offen offset:4
	buffer_load_dword v66, off, s[0:3], 0 offset:216
	buffer_load_dword v67, off, s[0:3], 0 offset:220
	s_waitcnt vmcnt(3)
	buffer_store_dword v64, off, s[0:3], 0 offset:216
	s_waitcnt vmcnt(3)
	buffer_store_dword v65, off, s[0:3], 0 offset:220
	s_waitcnt vmcnt(3)
	buffer_store_dword v66, v63, s[0:3], 0 offen
	s_waitcnt vmcnt(3)
	buffer_store_dword v67, v63, s[0:3], 0 offen offset:4
.LBB30_200:
	global_load_dword v0, v0, s[20:21] offset:104
	s_waitcnt vmcnt(0)
	v_add_u32_e32 v0, -1, v0
	v_cmp_eq_u32_e32 vcc, 26, v0
	s_cbranch_vccnz .LBB30_202
; %bb.201:
	v_lshlrev_b32_e32 v0, 3, v0
	buffer_load_dword v63, v0, s[0:3], 0 offen
	buffer_load_dword v64, v0, s[0:3], 0 offen offset:4
	buffer_load_dword v65, off, s[0:3], 0 offset:212
	buffer_load_dword v66, off, s[0:3], 0 offset:208
	s_waitcnt vmcnt(3)
	buffer_store_dword v63, off, s[0:3], 0 offset:208
	s_waitcnt vmcnt(3)
	buffer_store_dword v64, off, s[0:3], 0 offset:212
	s_waitcnt vmcnt(3)
	buffer_store_dword v65, v0, s[0:3], 0 offen offset:4
	s_waitcnt vmcnt(3)
	buffer_store_dword v66, v0, s[0:3], 0 offen
.LBB30_202:
	v_mov_b32_e32 v0, 0
	global_load_dword v63, v0, s[20:21] offset:100
	s_waitcnt vmcnt(0)
	v_add_u32_e32 v63, -1, v63
	v_cmp_eq_u32_e32 vcc, 25, v63
	s_cbranch_vccnz .LBB30_204
; %bb.203:
	v_lshlrev_b32_e32 v63, 3, v63
	buffer_load_dword v64, v63, s[0:3], 0 offen
	buffer_load_dword v65, v63, s[0:3], 0 offen offset:4
	buffer_load_dword v66, off, s[0:3], 0 offset:200
	buffer_load_dword v67, off, s[0:3], 0 offset:204
	s_waitcnt vmcnt(3)
	buffer_store_dword v64, off, s[0:3], 0 offset:200
	s_waitcnt vmcnt(3)
	buffer_store_dword v65, off, s[0:3], 0 offset:204
	s_waitcnt vmcnt(3)
	buffer_store_dword v66, v63, s[0:3], 0 offen
	s_waitcnt vmcnt(3)
	buffer_store_dword v67, v63, s[0:3], 0 offen offset:4
.LBB30_204:
	;; [unrolled: 41-line block ×14, first 2 shown]
	global_load_dword v0, v0, s[20:21]
	s_nop 0
	buffer_load_dword v63, off, s[0:3], 0
	buffer_load_dword v64, off, s[0:3], 0 offset:4
	s_waitcnt vmcnt(2)
	v_add_u32_e32 v0, -1, v0
	v_cmp_eq_u32_e32 vcc, 0, v0
	s_cbranch_vccnz .LBB30_254
; %bb.253:
	v_lshlrev_b32_e32 v0, 3, v0
	buffer_load_dword v65, v0, s[0:3], 0 offen offset:4
	buffer_load_dword v66, v0, s[0:3], 0 offen
	s_waitcnt vmcnt(1)
	buffer_store_dword v65, off, s[0:3], 0 offset:4
	s_waitcnt vmcnt(1)
	buffer_store_dword v66, off, s[0:3], 0
	buffer_store_dword v64, v0, s[0:3], 0 offen offset:4
	buffer_store_dword v63, v0, s[0:3], 0 offen
	buffer_load_dword v63, off, s[0:3], 0
	s_nop 0
	buffer_load_dword v64, off, s[0:3], 0 offset:4
.LBB30_254:
	buffer_load_dword v65, off, s[0:3], 0 offset:8
	buffer_load_dword v66, off, s[0:3], 0 offset:12
	;; [unrolled: 1-line block ×60, first 2 shown]
	s_waitcnt vmcnt(60)
	global_store_dwordx2 v[53:54], v[63:64], off
	s_waitcnt vmcnt(59)
	global_store_dwordx2 v[55:56], v[65:66], off
	s_waitcnt vmcnt(58)
	global_store_dwordx2 v[1:2], v[67:68], off
	s_waitcnt vmcnt(57)
	global_store_dwordx2 v[3:4], v[69:70], off
	s_waitcnt vmcnt(56)
	global_store_dwordx2 v[5:6], v[71:72], off
	s_waitcnt vmcnt(55)
	global_store_dwordx2 v[7:8], v[73:74], off
	s_waitcnt vmcnt(54)
	global_store_dwordx2 v[9:10], v[75:76], off
	s_waitcnt vmcnt(53)
	global_store_dwordx2 v[11:12], v[77:78], off
	s_waitcnt vmcnt(52)
	global_store_dwordx2 v[13:14], v[79:80], off
	s_waitcnt vmcnt(51)
	global_store_dwordx2 v[15:16], v[81:82], off
	s_waitcnt vmcnt(50)
	global_store_dwordx2 v[17:18], v[83:84], off
	s_waitcnt vmcnt(49)
	global_store_dwordx2 v[19:20], v[85:86], off
	s_waitcnt vmcnt(48)
	global_store_dwordx2 v[21:22], v[87:88], off
	s_waitcnt vmcnt(47)
	global_store_dwordx2 v[23:24], v[89:90], off
	s_waitcnt vmcnt(46)
	global_store_dwordx2 v[25:26], v[91:92], off
	s_waitcnt vmcnt(45)
	global_store_dwordx2 v[27:28], v[93:94], off
	s_waitcnt vmcnt(44)
	global_store_dwordx2 v[29:30], v[95:96], off
	s_waitcnt vmcnt(43)
	global_store_dwordx2 v[31:32], v[97:98], off
	s_waitcnt vmcnt(42)
	global_store_dwordx2 v[33:34], v[99:100], off
	s_waitcnt vmcnt(41)
	global_store_dwordx2 v[35:36], v[101:102], off
	s_waitcnt vmcnt(40)
	global_store_dwordx2 v[37:38], v[103:104], off
	s_waitcnt vmcnt(39)
	global_store_dwordx2 v[39:40], v[105:106], off
	s_waitcnt vmcnt(38)
	global_store_dwordx2 v[41:42], v[107:108], off
	s_waitcnt vmcnt(37)
	global_store_dwordx2 v[43:44], v[109:110], off
	s_waitcnt vmcnt(36)
	global_store_dwordx2 v[45:46], v[111:112], off
	s_waitcnt vmcnt(35)
	global_store_dwordx2 v[47:48], v[113:114], off
	s_waitcnt vmcnt(34)
	global_store_dwordx2 v[49:50], v[115:116], off
	s_waitcnt vmcnt(33)
	global_store_dwordx2 v[51:52], v[117:118], off
	s_waitcnt vmcnt(32)
	global_store_dwordx2 v[57:58], v[119:120], off
	s_waitcnt vmcnt(31)
	global_store_dwordx2 v[59:60], v[121:122], off
	s_waitcnt vmcnt(30)
	global_store_dwordx2 v[61:62], v[123:124], off
	s_endpgm
	.section	.rodata,"a",@progbits
	.p2align	6, 0x0
	.amdhsa_kernel _ZN9rocsolver6v33100L18getri_kernel_smallILi31EdPdEEvT1_iilPiilS4_bb
		.amdhsa_group_segment_fixed_size 504
		.amdhsa_private_segment_fixed_size 256
		.amdhsa_kernarg_size 60
		.amdhsa_user_sgpr_count 6
		.amdhsa_user_sgpr_private_segment_buffer 1
		.amdhsa_user_sgpr_dispatch_ptr 0
		.amdhsa_user_sgpr_queue_ptr 0
		.amdhsa_user_sgpr_kernarg_segment_ptr 1
		.amdhsa_user_sgpr_dispatch_id 0
		.amdhsa_user_sgpr_flat_scratch_init 0
		.amdhsa_user_sgpr_private_segment_size 0
		.amdhsa_uses_dynamic_stack 0
		.amdhsa_system_sgpr_private_segment_wavefront_offset 1
		.amdhsa_system_sgpr_workgroup_id_x 1
		.amdhsa_system_sgpr_workgroup_id_y 0
		.amdhsa_system_sgpr_workgroup_id_z 0
		.amdhsa_system_sgpr_workgroup_info 0
		.amdhsa_system_vgpr_workitem_id 0
		.amdhsa_next_free_vgpr 125
		.amdhsa_next_free_sgpr 24
		.amdhsa_reserve_vcc 1
		.amdhsa_reserve_flat_scratch 0
		.amdhsa_float_round_mode_32 0
		.amdhsa_float_round_mode_16_64 0
		.amdhsa_float_denorm_mode_32 3
		.amdhsa_float_denorm_mode_16_64 3
		.amdhsa_dx10_clamp 1
		.amdhsa_ieee_mode 1
		.amdhsa_fp16_overflow 0
		.amdhsa_exception_fp_ieee_invalid_op 0
		.amdhsa_exception_fp_denorm_src 0
		.amdhsa_exception_fp_ieee_div_zero 0
		.amdhsa_exception_fp_ieee_overflow 0
		.amdhsa_exception_fp_ieee_underflow 0
		.amdhsa_exception_fp_ieee_inexact 0
		.amdhsa_exception_int_div_zero 0
	.end_amdhsa_kernel
	.section	.text._ZN9rocsolver6v33100L18getri_kernel_smallILi31EdPdEEvT1_iilPiilS4_bb,"axG",@progbits,_ZN9rocsolver6v33100L18getri_kernel_smallILi31EdPdEEvT1_iilPiilS4_bb,comdat
.Lfunc_end30:
	.size	_ZN9rocsolver6v33100L18getri_kernel_smallILi31EdPdEEvT1_iilPiilS4_bb, .Lfunc_end30-_ZN9rocsolver6v33100L18getri_kernel_smallILi31EdPdEEvT1_iilPiilS4_bb
                                        ; -- End function
	.set _ZN9rocsolver6v33100L18getri_kernel_smallILi31EdPdEEvT1_iilPiilS4_bb.num_vgpr, 125
	.set _ZN9rocsolver6v33100L18getri_kernel_smallILi31EdPdEEvT1_iilPiilS4_bb.num_agpr, 0
	.set _ZN9rocsolver6v33100L18getri_kernel_smallILi31EdPdEEvT1_iilPiilS4_bb.numbered_sgpr, 24
	.set _ZN9rocsolver6v33100L18getri_kernel_smallILi31EdPdEEvT1_iilPiilS4_bb.num_named_barrier, 0
	.set _ZN9rocsolver6v33100L18getri_kernel_smallILi31EdPdEEvT1_iilPiilS4_bb.private_seg_size, 256
	.set _ZN9rocsolver6v33100L18getri_kernel_smallILi31EdPdEEvT1_iilPiilS4_bb.uses_vcc, 1
	.set _ZN9rocsolver6v33100L18getri_kernel_smallILi31EdPdEEvT1_iilPiilS4_bb.uses_flat_scratch, 0
	.set _ZN9rocsolver6v33100L18getri_kernel_smallILi31EdPdEEvT1_iilPiilS4_bb.has_dyn_sized_stack, 0
	.set _ZN9rocsolver6v33100L18getri_kernel_smallILi31EdPdEEvT1_iilPiilS4_bb.has_recursion, 0
	.set _ZN9rocsolver6v33100L18getri_kernel_smallILi31EdPdEEvT1_iilPiilS4_bb.has_indirect_call, 0
	.section	.AMDGPU.csdata,"",@progbits
; Kernel info:
; codeLenInByte = 30292
; TotalNumSgprs: 28
; NumVgprs: 125
; ScratchSize: 256
; MemoryBound: 0
; FloatMode: 240
; IeeeMode: 1
; LDSByteSize: 504 bytes/workgroup (compile time only)
; SGPRBlocks: 3
; VGPRBlocks: 31
; NumSGPRsForWavesPerEU: 28
; NumVGPRsForWavesPerEU: 125
; Occupancy: 2
; WaveLimiterHint : 1
; COMPUTE_PGM_RSRC2:SCRATCH_EN: 1
; COMPUTE_PGM_RSRC2:USER_SGPR: 6
; COMPUTE_PGM_RSRC2:TRAP_HANDLER: 0
; COMPUTE_PGM_RSRC2:TGID_X_EN: 1
; COMPUTE_PGM_RSRC2:TGID_Y_EN: 0
; COMPUTE_PGM_RSRC2:TGID_Z_EN: 0
; COMPUTE_PGM_RSRC2:TIDIG_COMP_CNT: 0
	.section	.text._ZN9rocsolver6v33100L18getri_kernel_smallILi32EdPdEEvT1_iilPiilS4_bb,"axG",@progbits,_ZN9rocsolver6v33100L18getri_kernel_smallILi32EdPdEEvT1_iilPiilS4_bb,comdat
	.globl	_ZN9rocsolver6v33100L18getri_kernel_smallILi32EdPdEEvT1_iilPiilS4_bb ; -- Begin function _ZN9rocsolver6v33100L18getri_kernel_smallILi32EdPdEEvT1_iilPiilS4_bb
	.p2align	8
	.type	_ZN9rocsolver6v33100L18getri_kernel_smallILi32EdPdEEvT1_iilPiilS4_bb,@function
_ZN9rocsolver6v33100L18getri_kernel_smallILi32EdPdEEvT1_iilPiilS4_bb: ; @_ZN9rocsolver6v33100L18getri_kernel_smallILi32EdPdEEvT1_iilPiilS4_bb
; %bb.0:
	s_add_u32 s0, s0, s7
	s_addc_u32 s1, s1, 0
	v_cmp_gt_u32_e32 vcc, 32, v0
	s_and_saveexec_b64 s[8:9], vcc
	s_cbranch_execz .LBB31_136
; %bb.1:
	s_load_dword s12, s[4:5], 0x38
	s_load_dwordx4 s[16:19], s[4:5], 0x10
	s_load_dwordx4 s[8:11], s[4:5], 0x28
                                        ; implicit-def: $sgpr20_sgpr21
	s_waitcnt lgkmcnt(0)
	s_bitcmp1_b32 s12, 8
	s_cselect_b64 s[22:23], -1, 0
	s_ashr_i32 s7, s6, 31
	s_bfe_u32 s12, s12, 0x10008
	s_cmp_eq_u32 s12, 0
	s_cbranch_scc1 .LBB31_3
; %bb.2:
	s_load_dword s12, s[4:5], 0x20
	s_mul_i32 s13, s8, s7
	s_mul_hi_u32 s14, s8, s6
	s_mul_i32 s9, s9, s6
	s_add_i32 s14, s14, s13
	s_add_i32 s9, s14, s9
	s_mul_i32 s8, s8, s6
	s_waitcnt lgkmcnt(0)
	s_ashr_i32 s13, s12, 31
	s_lshl_b64 s[8:9], s[8:9], 2
	s_add_u32 s14, s18, s8
	s_addc_u32 s15, s19, s9
	s_lshl_b64 s[8:9], s[12:13], 2
	s_add_u32 s20, s14, s8
	s_addc_u32 s21, s15, s9
.LBB31_3:
	s_load_dwordx4 s[12:15], s[4:5], 0x0
	s_load_dword s8, s[4:5], 0x38
	s_mul_i32 s9, s16, s7
	s_mul_hi_u32 s18, s16, s6
	s_add_i32 s9, s18, s9
	s_waitcnt lgkmcnt(0)
	s_ashr_i32 s5, s14, 31
	s_mov_b32 s4, s14
	s_mul_i32 s14, s17, s6
	s_add_i32 s17, s9, s14
	s_mul_i32 s16, s16, s6
	s_lshl_b64 s[16:17], s[16:17], 3
	s_add_u32 s9, s12, s16
	s_addc_u32 s12, s13, s17
	s_lshl_b64 s[4:5], s[4:5], 3
	s_add_u32 s4, s9, s4
	s_addc_u32 s5, s12, s5
	s_add_i32 s9, s15, s15
	v_add_u32_e32 v3, s9, v0
	v_ashrrev_i32_e32 v4, 31, v3
	v_lshlrev_b64 v[1:2], 3, v[3:4]
	v_add_u32_e32 v5, s15, v3
	v_mov_b32_e32 v4, s5
	v_add_co_u32_e32 v1, vcc, s4, v1
	v_ashrrev_i32_e32 v6, 31, v5
	v_addc_co_u32_e32 v2, vcc, v4, v2, vcc
	v_lshlrev_b64 v[3:4], 3, v[5:6]
	v_add_u32_e32 v7, s15, v5
	v_mov_b32_e32 v6, s5
	v_add_co_u32_e32 v3, vcc, s4, v3
	v_ashrrev_i32_e32 v8, 31, v7
	v_addc_co_u32_e32 v4, vcc, v6, v4, vcc
	;; [unrolled: 6-line block ×8, first 2 shown]
	v_lshlrev_b64 v[17:18], 3, v[19:20]
	v_mov_b32_e32 v21, s5
	v_add_co_u32_e32 v17, vcc, s4, v17
	v_addc_co_u32_e32 v18, vcc, v21, v18, vcc
	v_add_u32_e32 v21, s15, v19
	v_ashrrev_i32_e32 v22, 31, v21
	v_lshlrev_b64 v[19:20], 3, v[21:22]
	v_mov_b32_e32 v23, s5
	v_add_co_u32_e32 v19, vcc, s4, v19
	v_addc_co_u32_e32 v20, vcc, v23, v20, vcc
	v_add_u32_e32 v23, s15, v21
	v_ashrrev_i32_e32 v24, 31, v23
	;; [unrolled: 6-line block ×15, first 2 shown]
	v_lshlrev_b32_e32 v67, 3, v0
	v_lshlrev_b64 v[47:48], 3, v[49:50]
	global_load_dwordx2 v[65:66], v67, s[4:5]
	global_load_dwordx2 v[70:71], v[1:2], off
	global_load_dwordx2 v[72:73], v[3:4], off
	;; [unrolled: 1-line block ×3, first 2 shown]
	v_mov_b32_e32 v50, s5
	v_add_co_u32_e32 v63, vcc, s4, v67
	s_ashr_i32 s13, s15, 31
	s_mov_b32 s12, s15
	v_addc_co_u32_e32 v64, vcc, 0, v50, vcc
	s_lshl_b64 s[12:13], s[12:13], 3
	v_mov_b32_e32 v50, s13
	v_add_co_u32_e32 v55, vcc, s12, v63
	v_addc_co_u32_e32 v56, vcc, v64, v50, vcc
	global_load_dwordx2 v[68:69], v[55:56], off
	v_mov_b32_e32 v51, s5
	v_add_co_u32_e32 v47, vcc, s4, v47
	v_addc_co_u32_e32 v48, vcc, v51, v48, vcc
	v_add_u32_e32 v51, s15, v49
	v_ashrrev_i32_e32 v52, 31, v51
	v_lshlrev_b64 v[49:50], 3, v[51:52]
	v_mov_b32_e32 v53, s5
	v_add_co_u32_e32 v49, vcc, s4, v49
	v_addc_co_u32_e32 v50, vcc, v53, v50, vcc
	v_add_u32_e32 v53, s15, v51
	v_ashrrev_i32_e32 v54, 31, v53
	v_lshlrev_b64 v[51:52], 3, v[53:54]
	;; [unrolled: 6-line block ×5, first 2 shown]
	v_mov_b32_e32 v100, s5
	v_add_co_u32_e32 v59, vcc, s4, v59
	global_load_dwordx2 v[76:77], v[7:8], off
	global_load_dwordx2 v[78:79], v[9:10], off
	;; [unrolled: 1-line block ×12, first 2 shown]
	v_addc_co_u32_e32 v60, vcc, v100, v60, vcc
	global_load_dwordx2 v[100:101], v[31:32], off
	global_load_dwordx2 v[102:103], v[33:34], off
	;; [unrolled: 1-line block ×8, first 2 shown]
	v_add_u32_e32 v61, s15, v61
	v_ashrrev_i32_e32 v62, 31, v61
	v_lshlrev_b64 v[61:62], 3, v[61:62]
	v_mov_b32_e32 v116, s5
	v_add_co_u32_e32 v61, vcc, s4, v61
	v_addc_co_u32_e32 v62, vcc, v116, v62, vcc
	global_load_dwordx2 v[116:117], v[47:48], off
	global_load_dwordx2 v[118:119], v[49:50], off
	;; [unrolled: 1-line block ×4, first 2 shown]
	s_bitcmp0_b32 s8, 0
	s_waitcnt vmcnt(28)
	buffer_store_dword v66, off, s[0:3], 0 offset:4
	buffer_store_dword v65, off, s[0:3], 0
	global_load_dwordx2 v[65:66], v[51:52], off
	s_mov_b64 s[8:9], -1
	s_waitcnt vmcnt(30)
	buffer_store_dword v71, off, s[0:3], 0 offset:20
	buffer_store_dword v70, off, s[0:3], 0 offset:16
	global_load_dwordx2 v[70:71], v[61:62], off
	s_waitcnt vmcnt(30)
	buffer_store_dword v69, off, s[0:3], 0 offset:12
	buffer_store_dword v68, off, s[0:3], 0 offset:8
	global_load_dwordx2 v[68:69], v[57:58], off
	s_nop 0
	buffer_store_dword v73, off, s[0:3], 0 offset:28
	buffer_store_dword v72, off, s[0:3], 0 offset:24
	;; [unrolled: 1-line block ×4, first 2 shown]
	s_waitcnt vmcnt(36)
	buffer_store_dword v77, off, s[0:3], 0 offset:44
	buffer_store_dword v76, off, s[0:3], 0 offset:40
	s_waitcnt vmcnt(37)
	buffer_store_dword v79, off, s[0:3], 0 offset:52
	buffer_store_dword v78, off, s[0:3], 0 offset:48
	;; [unrolled: 3-line block ×23, first 2 shown]
	buffer_store_dword v120, off, s[0:3], 0 offset:224
	buffer_store_dword v121, off, s[0:3], 0 offset:228
	s_waitcnt vmcnt(52)
	buffer_store_dword v68, off, s[0:3], 0 offset:232
	buffer_store_dword v69, off, s[0:3], 0 offset:236
	;; [unrolled: 1-line block ×6, first 2 shown]
	s_cbranch_scc1 .LBB31_134
; %bb.4:
	v_cmp_eq_u32_e64 s[4:5], 0, v0
	s_and_saveexec_b64 s[8:9], s[4:5]
; %bb.5:
	v_mov_b32_e32 v65, 0
	ds_write_b32 v65, v65 offset:512
; %bb.6:
	s_or_b64 exec, exec, s[8:9]
	v_mov_b32_e32 v65, 0
	v_lshl_add_u32 v65, v0, 3, v65
	s_waitcnt lgkmcnt(0)
	; wave barrier
	buffer_load_dword v68, v65, s[0:3], 0 offen
	buffer_load_dword v69, v65, s[0:3], 0 offen offset:4
	s_waitcnt vmcnt(0)
	v_cmp_eq_f64_e32 vcc, 0, v[68:69]
	s_and_saveexec_b64 s[12:13], vcc
	s_cbranch_execz .LBB31_10
; %bb.7:
	v_mov_b32_e32 v66, 0
	ds_read_b32 v69, v66 offset:512
	v_add_u32_e32 v68, 1, v0
	s_waitcnt lgkmcnt(0)
	v_readfirstlane_b32 s8, v69
	s_cmp_eq_u32 s8, 0
	s_cselect_b64 s[14:15], -1, 0
	v_cmp_gt_i32_e32 vcc, s8, v68
	s_or_b64 s[14:15], s[14:15], vcc
	s_and_b64 exec, exec, s[14:15]
	s_cbranch_execz .LBB31_10
; %bb.8:
	s_mov_b64 s[14:15], 0
	v_mov_b32_e32 v69, s8
.LBB31_9:                               ; =>This Inner Loop Header: Depth=1
	ds_cmpst_rtn_b32 v69, v66, v69, v68 offset:512
	s_waitcnt lgkmcnt(0)
	v_cmp_ne_u32_e32 vcc, 0, v69
	v_cmp_le_i32_e64 s[8:9], v69, v68
	s_and_b64 s[8:9], vcc, s[8:9]
	s_and_b64 s[8:9], exec, s[8:9]
	s_or_b64 s[14:15], s[8:9], s[14:15]
	s_andn2_b64 exec, exec, s[14:15]
	s_cbranch_execnz .LBB31_9
.LBB31_10:
	s_or_b64 exec, exec, s[12:13]
	v_mov_b32_e32 v68, 0
	; wave barrier
	ds_read_b32 v66, v68 offset:512
	s_and_saveexec_b64 s[8:9], s[4:5]
	s_cbranch_execz .LBB31_12
; %bb.11:
	s_lshl_b64 s[12:13], s[6:7], 2
	s_add_u32 s12, s10, s12
	s_addc_u32 s13, s11, s13
	s_waitcnt lgkmcnt(0)
	global_store_dword v68, v66, s[12:13]
.LBB31_12:
	s_or_b64 exec, exec, s[8:9]
	s_waitcnt lgkmcnt(0)
	v_cmp_ne_u32_e32 vcc, 0, v66
	s_mov_b64 s[8:9], 0
	s_cbranch_vccnz .LBB31_134
; %bb.13:
	buffer_load_dword v68, v65, s[0:3], 0 offen
	buffer_load_dword v69, v65, s[0:3], 0 offen offset:4
	s_waitcnt vmcnt(0)
	v_div_scale_f64 v[70:71], s[8:9], v[68:69], v[68:69], 1.0
	v_rcp_f64_e32 v[72:73], v[70:71]
	v_fma_f64 v[74:75], -v[70:71], v[72:73], 1.0
	v_fma_f64 v[72:73], v[72:73], v[74:75], v[72:73]
	v_div_scale_f64 v[74:75], vcc, 1.0, v[68:69], 1.0
	v_fma_f64 v[76:77], -v[70:71], v[72:73], 1.0
	v_fma_f64 v[72:73], v[72:73], v[76:77], v[72:73]
	v_mul_f64 v[76:77], v[74:75], v[72:73]
	v_fma_f64 v[70:71], -v[70:71], v[76:77], v[74:75]
	v_div_fmas_f64 v[70:71], v[70:71], v[72:73], v[76:77]
	v_div_fixup_f64 v[69:70], v[70:71], v[68:69], 1.0
	v_add_u32_e32 v68, 0x100, v67
	buffer_store_dword v70, v65, s[0:3], 0 offen offset:4
	buffer_store_dword v69, v65, s[0:3], 0 offen
	buffer_load_dword v72, off, s[0:3], 0 offset:12
	buffer_load_dword v71, off, s[0:3], 0 offset:8
	v_xor_b32_e32 v70, 0x80000000, v70
	s_waitcnt vmcnt(0)
	ds_write2_b64 v67, v[69:70], v[71:72] offset1:32
	s_waitcnt lgkmcnt(0)
	; wave barrier
	s_and_saveexec_b64 s[8:9], s[4:5]
	s_cbranch_execz .LBB31_15
; %bb.14:
	buffer_load_dword v69, v65, s[0:3], 0 offen
	buffer_load_dword v70, v65, s[0:3], 0 offen offset:4
	ds_read_b64 v[71:72], v68
	v_mov_b32_e32 v66, 0
	ds_read_b64 v[73:74], v66 offset:8
	s_waitcnt vmcnt(0) lgkmcnt(1)
	v_fma_f64 v[69:70], v[69:70], v[71:72], 0
	s_waitcnt lgkmcnt(0)
	v_mul_f64 v[69:70], v[69:70], v[73:74]
	buffer_store_dword v69, off, s[0:3], 0 offset:8
	buffer_store_dword v70, off, s[0:3], 0 offset:12
.LBB31_15:
	s_or_b64 exec, exec, s[8:9]
	; wave barrier
	buffer_load_dword v69, off, s[0:3], 0 offset:16
	buffer_load_dword v70, off, s[0:3], 0 offset:20
	v_cmp_gt_u32_e32 vcc, 2, v0
	s_waitcnt vmcnt(0)
	ds_write_b64 v68, v[69:70]
	s_waitcnt lgkmcnt(0)
	; wave barrier
	s_and_saveexec_b64 s[8:9], vcc
	s_cbranch_execz .LBB31_17
; %bb.16:
	buffer_load_dword v69, v65, s[0:3], 0 offen
	buffer_load_dword v70, v65, s[0:3], 0 offen offset:4
                                        ; kill: killed $vgpr65
	s_nop 0
	buffer_load_dword v65, off, s[0:3], 0 offset:8
	buffer_load_dword v66, off, s[0:3], 0 offset:12
	ds_read_b64 v[71:72], v68
	s_waitcnt vmcnt(2) lgkmcnt(0)
	v_fma_f64 v[73:74], v[69:70], v[71:72], 0
	v_mov_b32_e32 v69, 0
	ds_read2_b64 v[69:72], v69 offset0:2 offset1:33
	s_waitcnt vmcnt(0) lgkmcnt(0)
	v_fma_f64 v[65:66], v[65:66], v[71:72], v[73:74]
	v_cndmask_b32_e64 v66, v74, v66, s[4:5]
	v_cndmask_b32_e64 v65, v73, v65, s[4:5]
	v_mul_f64 v[65:66], v[65:66], v[69:70]
	buffer_store_dword v66, off, s[0:3], 0 offset:20
	buffer_store_dword v65, off, s[0:3], 0 offset:16
.LBB31_17:
	s_or_b64 exec, exec, s[8:9]
	; wave barrier
	buffer_load_dword v65, off, s[0:3], 0 offset:24
	buffer_load_dword v66, off, s[0:3], 0 offset:28
	v_cmp_gt_u32_e32 vcc, 3, v0
	v_add_u32_e32 v69, -1, v0
	s_waitcnt vmcnt(0)
	ds_write_b64 v68, v[65:66]
	s_waitcnt lgkmcnt(0)
	; wave barrier
	s_and_saveexec_b64 s[4:5], vcc
	s_cbranch_execz .LBB31_21
; %bb.18:
	v_mov_b32_e32 v65, 0
	v_add_u32_e32 v70, -1, v0
	v_add_u32_e32 v71, 0x100, v67
	v_mov_b32_e32 v72, v67
	v_mov_b32_e32 v66, 0
	s_mov_b64 s[8:9], 0
.LBB31_19:                              ; =>This Inner Loop Header: Depth=1
	buffer_load_dword v73, v72, s[0:3], 0 offen
	buffer_load_dword v74, v72, s[0:3], 0 offen offset:4
	ds_read_b64 v[75:76], v71
	v_add_u32_e32 v70, 1, v70
	v_cmp_lt_u32_e32 vcc, 1, v70
	v_add_u32_e32 v71, 8, v71
	s_or_b64 s[8:9], vcc, s[8:9]
	v_add_u32_e32 v72, 8, v72
	s_waitcnt vmcnt(0) lgkmcnt(0)
	v_fma_f64 v[65:66], v[73:74], v[75:76], v[65:66]
	s_andn2_b64 exec, exec, s[8:9]
	s_cbranch_execnz .LBB31_19
; %bb.20:
	s_or_b64 exec, exec, s[8:9]
	v_mov_b32_e32 v70, 0
	ds_read_b64 v[70:71], v70 offset:24
	s_waitcnt lgkmcnt(0)
	v_mul_f64 v[65:66], v[65:66], v[70:71]
	buffer_store_dword v66, off, s[0:3], 0 offset:28
	buffer_store_dword v65, off, s[0:3], 0 offset:24
.LBB31_21:
	s_or_b64 exec, exec, s[4:5]
	; wave barrier
	buffer_load_dword v65, off, s[0:3], 0 offset:32
	buffer_load_dword v66, off, s[0:3], 0 offset:36
	v_cmp_gt_u32_e32 vcc, 4, v0
	s_waitcnt vmcnt(0)
	ds_write_b64 v68, v[65:66]
	s_waitcnt lgkmcnt(0)
	; wave barrier
	s_and_saveexec_b64 s[4:5], vcc
	s_cbranch_execz .LBB31_25
; %bb.22:
	v_mov_b32_e32 v65, 0
	v_add_u32_e32 v70, -1, v0
	v_add_u32_e32 v71, 0x100, v67
	v_mov_b32_e32 v72, v67
	v_mov_b32_e32 v66, 0
	s_mov_b64 s[8:9], 0
.LBB31_23:                              ; =>This Inner Loop Header: Depth=1
	buffer_load_dword v73, v72, s[0:3], 0 offen
	buffer_load_dword v74, v72, s[0:3], 0 offen offset:4
	ds_read_b64 v[75:76], v71
	v_add_u32_e32 v70, 1, v70
	v_cmp_lt_u32_e32 vcc, 2, v70
	v_add_u32_e32 v71, 8, v71
	s_or_b64 s[8:9], vcc, s[8:9]
	v_add_u32_e32 v72, 8, v72
	s_waitcnt vmcnt(0) lgkmcnt(0)
	v_fma_f64 v[65:66], v[73:74], v[75:76], v[65:66]
	s_andn2_b64 exec, exec, s[8:9]
	s_cbranch_execnz .LBB31_23
; %bb.24:
	s_or_b64 exec, exec, s[8:9]
	v_mov_b32_e32 v70, 0
	ds_read_b64 v[70:71], v70 offset:32
	s_waitcnt lgkmcnt(0)
	v_mul_f64 v[65:66], v[65:66], v[70:71]
	buffer_store_dword v66, off, s[0:3], 0 offset:36
	buffer_store_dword v65, off, s[0:3], 0 offset:32
.LBB31_25:
	s_or_b64 exec, exec, s[4:5]
	; wave barrier
	buffer_load_dword v65, off, s[0:3], 0 offset:40
	buffer_load_dword v66, off, s[0:3], 0 offset:44
	v_cmp_gt_u32_e32 vcc, 5, v0
	;; [unrolled: 40-line block ×21, first 2 shown]
	s_waitcnt vmcnt(0)
	ds_write_b64 v68, v[65:66]
	s_waitcnt lgkmcnt(0)
	; wave barrier
	s_and_saveexec_b64 s[4:5], vcc
	s_cbranch_execz .LBB31_105
; %bb.102:
	v_mov_b32_e32 v65, 0
	v_add_u32_e32 v70, -1, v0
	v_add_u32_e32 v71, 0x100, v67
	v_mov_b32_e32 v72, v67
	v_mov_b32_e32 v66, 0
	s_mov_b64 s[8:9], 0
.LBB31_103:                             ; =>This Inner Loop Header: Depth=1
	buffer_load_dword v73, v72, s[0:3], 0 offen
	buffer_load_dword v74, v72, s[0:3], 0 offen offset:4
	ds_read_b64 v[75:76], v71
	v_add_u32_e32 v70, 1, v70
	v_cmp_lt_u32_e32 vcc, 22, v70
	v_add_u32_e32 v71, 8, v71
	s_or_b64 s[8:9], vcc, s[8:9]
	v_add_u32_e32 v72, 8, v72
	s_waitcnt vmcnt(0) lgkmcnt(0)
	v_fma_f64 v[65:66], v[73:74], v[75:76], v[65:66]
	s_andn2_b64 exec, exec, s[8:9]
	s_cbranch_execnz .LBB31_103
; %bb.104:
	s_or_b64 exec, exec, s[8:9]
	v_mov_b32_e32 v70, 0
	ds_read_b64 v[70:71], v70 offset:192
	s_waitcnt lgkmcnt(0)
	v_mul_f64 v[65:66], v[65:66], v[70:71]
	buffer_store_dword v66, off, s[0:3], 0 offset:196
	buffer_store_dword v65, off, s[0:3], 0 offset:192
.LBB31_105:
	s_or_b64 exec, exec, s[4:5]
	; wave barrier
	buffer_load_dword v65, off, s[0:3], 0 offset:200
	buffer_load_dword v66, off, s[0:3], 0 offset:204
	v_cmp_gt_u32_e32 vcc, 25, v0
	s_waitcnt vmcnt(0)
	ds_write_b64 v68, v[65:66]
	s_waitcnt lgkmcnt(0)
	; wave barrier
	s_and_saveexec_b64 s[4:5], vcc
	s_cbranch_execz .LBB31_109
; %bb.106:
	v_mov_b32_e32 v65, 0
	v_add_u32_e32 v70, -1, v0
	v_add_u32_e32 v71, 0x100, v67
	v_mov_b32_e32 v72, v67
	v_mov_b32_e32 v66, 0
	s_mov_b64 s[8:9], 0
.LBB31_107:                             ; =>This Inner Loop Header: Depth=1
	buffer_load_dword v73, v72, s[0:3], 0 offen
	buffer_load_dword v74, v72, s[0:3], 0 offen offset:4
	ds_read_b64 v[75:76], v71
	v_add_u32_e32 v70, 1, v70
	v_cmp_lt_u32_e32 vcc, 23, v70
	v_add_u32_e32 v71, 8, v71
	s_or_b64 s[8:9], vcc, s[8:9]
	v_add_u32_e32 v72, 8, v72
	s_waitcnt vmcnt(0) lgkmcnt(0)
	v_fma_f64 v[65:66], v[73:74], v[75:76], v[65:66]
	s_andn2_b64 exec, exec, s[8:9]
	s_cbranch_execnz .LBB31_107
; %bb.108:
	s_or_b64 exec, exec, s[8:9]
	v_mov_b32_e32 v70, 0
	ds_read_b64 v[70:71], v70 offset:200
	s_waitcnt lgkmcnt(0)
	v_mul_f64 v[65:66], v[65:66], v[70:71]
	buffer_store_dword v66, off, s[0:3], 0 offset:204
	buffer_store_dword v65, off, s[0:3], 0 offset:200
.LBB31_109:
	s_or_b64 exec, exec, s[4:5]
	; wave barrier
	buffer_load_dword v65, off, s[0:3], 0 offset:208
	buffer_load_dword v66, off, s[0:3], 0 offset:212
	v_cmp_gt_u32_e32 vcc, 26, v0
	;; [unrolled: 40-line block ×6, first 2 shown]
	s_waitcnt vmcnt(0)
	ds_write_b64 v68, v[65:66]
	s_waitcnt lgkmcnt(0)
	; wave barrier
	s_and_saveexec_b64 s[4:5], vcc
	s_cbranch_execz .LBB31_129
; %bb.126:
	v_mov_b32_e32 v65, 0
	v_add_u32_e32 v70, -1, v0
	v_add_u32_e32 v71, 0x100, v67
	v_mov_b32_e32 v72, v67
	v_mov_b32_e32 v66, 0
	s_mov_b64 s[8:9], 0
.LBB31_127:                             ; =>This Inner Loop Header: Depth=1
	buffer_load_dword v73, v72, s[0:3], 0 offen
	buffer_load_dword v74, v72, s[0:3], 0 offen offset:4
	ds_read_b64 v[75:76], v71
	v_add_u32_e32 v70, 1, v70
	v_cmp_lt_u32_e32 vcc, 28, v70
	v_add_u32_e32 v71, 8, v71
	s_or_b64 s[8:9], vcc, s[8:9]
	v_add_u32_e32 v72, 8, v72
	s_waitcnt vmcnt(0) lgkmcnt(0)
	v_fma_f64 v[65:66], v[73:74], v[75:76], v[65:66]
	s_andn2_b64 exec, exec, s[8:9]
	s_cbranch_execnz .LBB31_127
; %bb.128:
	s_or_b64 exec, exec, s[8:9]
	v_mov_b32_e32 v70, 0
	ds_read_b64 v[70:71], v70 offset:240
	s_waitcnt lgkmcnt(0)
	v_mul_f64 v[65:66], v[65:66], v[70:71]
	buffer_store_dword v66, off, s[0:3], 0 offset:244
	buffer_store_dword v65, off, s[0:3], 0 offset:240
.LBB31_129:
	s_or_b64 exec, exec, s[4:5]
	; wave barrier
	buffer_load_dword v65, off, s[0:3], 0 offset:248
	buffer_load_dword v66, off, s[0:3], 0 offset:252
	v_cmp_ne_u32_e32 vcc, 31, v0
	s_waitcnt vmcnt(0)
	ds_write_b64 v68, v[65:66]
	s_waitcnt lgkmcnt(0)
	; wave barrier
	s_and_saveexec_b64 s[4:5], vcc
	s_cbranch_execz .LBB31_133
; %bb.130:
	v_mov_b32_e32 v65, 0
	v_add_u32_e32 v68, 0x100, v67
	v_mov_b32_e32 v66, 0
	s_mov_b64 s[8:9], 0
.LBB31_131:                             ; =>This Inner Loop Header: Depth=1
	buffer_load_dword v70, v67, s[0:3], 0 offen
	buffer_load_dword v71, v67, s[0:3], 0 offen offset:4
	ds_read_b64 v[72:73], v68
	v_add_u32_e32 v69, 1, v69
	v_cmp_lt_u32_e32 vcc, 29, v69
	v_add_u32_e32 v68, 8, v68
	s_or_b64 s[8:9], vcc, s[8:9]
	v_add_u32_e32 v67, 8, v67
	s_waitcnt vmcnt(0) lgkmcnt(0)
	v_fma_f64 v[65:66], v[70:71], v[72:73], v[65:66]
	s_andn2_b64 exec, exec, s[8:9]
	s_cbranch_execnz .LBB31_131
; %bb.132:
	s_or_b64 exec, exec, s[8:9]
	v_mov_b32_e32 v67, 0
	ds_read_b64 v[67:68], v67 offset:248
	s_waitcnt lgkmcnt(0)
	v_mul_f64 v[65:66], v[65:66], v[67:68]
	buffer_store_dword v66, off, s[0:3], 0 offset:252
	buffer_store_dword v65, off, s[0:3], 0 offset:248
.LBB31_133:
	s_or_b64 exec, exec, s[4:5]
	s_mov_b64 s[8:9], -1
	; wave barrier
.LBB31_134:
	s_and_b64 vcc, exec, s[8:9]
	s_cbranch_vccz .LBB31_136
; %bb.135:
	s_lshl_b64 s[4:5], s[6:7], 2
	s_add_u32 s4, s10, s4
	s_addc_u32 s5, s11, s5
	v_mov_b32_e32 v65, 0
	global_load_dword v65, v65, s[4:5]
	s_waitcnt vmcnt(0)
	v_cmp_ne_u32_e32 vcc, 0, v65
	s_cbranch_vccz .LBB31_137
.LBB31_136:
	s_endpgm
.LBB31_137:
	v_mov_b32_e32 v65, 0x100
	v_lshl_add_u32 v65, v0, 3, v65
	v_cmp_eq_u32_e32 vcc, 31, v0
	s_and_saveexec_b64 s[4:5], vcc
	s_cbranch_execz .LBB31_139
; %bb.138:
	buffer_load_dword v66, off, s[0:3], 0 offset:240
	buffer_load_dword v67, off, s[0:3], 0 offset:244
	v_mov_b32_e32 v68, 0
	buffer_store_dword v68, off, s[0:3], 0 offset:240
	buffer_store_dword v68, off, s[0:3], 0 offset:244
	s_waitcnt vmcnt(2)
	ds_write_b64 v65, v[66:67]
.LBB31_139:
	s_or_b64 exec, exec, s[4:5]
	s_waitcnt lgkmcnt(0)
	; wave barrier
	buffer_load_dword v67, off, s[0:3], 0 offset:248
	buffer_load_dword v68, off, s[0:3], 0 offset:252
	;; [unrolled: 1-line block ×4, first 2 shown]
	v_mov_b32_e32 v66, 0
	ds_read_b64 v[71:72], v66 offset:504
	v_cmp_lt_u32_e32 vcc, 29, v0
	s_waitcnt vmcnt(2) lgkmcnt(0)
	v_fma_f64 v[67:68], v[67:68], v[71:72], 0
	s_waitcnt vmcnt(0)
	v_add_f64 v[67:68], v[69:70], -v[67:68]
	buffer_store_dword v67, off, s[0:3], 0 offset:240
	buffer_store_dword v68, off, s[0:3], 0 offset:244
	s_and_saveexec_b64 s[4:5], vcc
	s_cbranch_execz .LBB31_141
; %bb.140:
	buffer_load_dword v67, off, s[0:3], 0 offset:232
	buffer_load_dword v68, off, s[0:3], 0 offset:236
	s_waitcnt vmcnt(0)
	ds_write_b64 v65, v[67:68]
	buffer_store_dword v66, off, s[0:3], 0 offset:232
	buffer_store_dword v66, off, s[0:3], 0 offset:236
.LBB31_141:
	s_or_b64 exec, exec, s[4:5]
	s_waitcnt lgkmcnt(0)
	; wave barrier
	buffer_load_dword v70, off, s[0:3], 0 offset:240
	buffer_load_dword v71, off, s[0:3], 0 offset:244
	;; [unrolled: 1-line block ×6, first 2 shown]
	ds_read_b128 v[66:69], v66 offset:496
	v_cmp_lt_u32_e32 vcc, 28, v0
	s_waitcnt vmcnt(4) lgkmcnt(0)
	v_fma_f64 v[66:67], v[70:71], v[66:67], 0
	s_waitcnt vmcnt(2)
	v_fma_f64 v[66:67], v[72:73], v[68:69], v[66:67]
	s_waitcnt vmcnt(0)
	v_add_f64 v[66:67], v[74:75], -v[66:67]
	buffer_store_dword v66, off, s[0:3], 0 offset:232
	buffer_store_dword v67, off, s[0:3], 0 offset:236
	s_and_saveexec_b64 s[4:5], vcc
	s_cbranch_execz .LBB31_143
; %bb.142:
	buffer_load_dword v66, off, s[0:3], 0 offset:224
	buffer_load_dword v67, off, s[0:3], 0 offset:228
	v_mov_b32_e32 v68, 0
	buffer_store_dword v68, off, s[0:3], 0 offset:224
	buffer_store_dword v68, off, s[0:3], 0 offset:228
	s_waitcnt vmcnt(2)
	ds_write_b64 v65, v[66:67]
.LBB31_143:
	s_or_b64 exec, exec, s[4:5]
	s_waitcnt lgkmcnt(0)
	; wave barrier
	buffer_load_dword v71, off, s[0:3], 0 offset:232
	buffer_load_dword v72, off, s[0:3], 0 offset:236
	buffer_load_dword v73, off, s[0:3], 0 offset:240
	buffer_load_dword v74, off, s[0:3], 0 offset:244
	buffer_load_dword v75, off, s[0:3], 0 offset:248
	buffer_load_dword v76, off, s[0:3], 0 offset:252
	buffer_load_dword v77, off, s[0:3], 0 offset:224
	buffer_load_dword v78, off, s[0:3], 0 offset:228
	v_mov_b32_e32 v66, 0
	ds_read2_b64 v[67:70], v66 offset0:61 offset1:62
	ds_read_b64 v[79:80], v66 offset:504
	v_cmp_lt_u32_e32 vcc, 27, v0
	s_waitcnt vmcnt(6) lgkmcnt(1)
	v_fma_f64 v[67:68], v[71:72], v[67:68], 0
	s_waitcnt vmcnt(4)
	v_fma_f64 v[67:68], v[73:74], v[69:70], v[67:68]
	s_waitcnt vmcnt(2) lgkmcnt(0)
	v_fma_f64 v[67:68], v[75:76], v[79:80], v[67:68]
	s_waitcnt vmcnt(0)
	v_add_f64 v[67:68], v[77:78], -v[67:68]
	buffer_store_dword v67, off, s[0:3], 0 offset:224
	buffer_store_dword v68, off, s[0:3], 0 offset:228
	s_and_saveexec_b64 s[4:5], vcc
	s_cbranch_execz .LBB31_145
; %bb.144:
	buffer_load_dword v67, off, s[0:3], 0 offset:216
	buffer_load_dword v68, off, s[0:3], 0 offset:220
	s_waitcnt vmcnt(0)
	ds_write_b64 v65, v[67:68]
	buffer_store_dword v66, off, s[0:3], 0 offset:216
	buffer_store_dword v66, off, s[0:3], 0 offset:220
.LBB31_145:
	s_or_b64 exec, exec, s[4:5]
	s_waitcnt lgkmcnt(0)
	; wave barrier
	buffer_load_dword v71, off, s[0:3], 0 offset:224
	buffer_load_dword v72, off, s[0:3], 0 offset:228
	;; [unrolled: 1-line block ×10, first 2 shown]
	ds_read_b128 v[67:70], v66 offset:480
	v_cmp_lt_u32_e32 vcc, 26, v0
	s_waitcnt vmcnt(8) lgkmcnt(0)
	v_fma_f64 v[67:68], v[71:72], v[67:68], 0
	s_waitcnt vmcnt(6)
	v_fma_f64 v[70:71], v[73:74], v[69:70], v[67:68]
	ds_read_b128 v[66:69], v66 offset:496
	s_waitcnt vmcnt(4) lgkmcnt(0)
	v_fma_f64 v[66:67], v[75:76], v[66:67], v[70:71]
	s_waitcnt vmcnt(2)
	v_fma_f64 v[66:67], v[77:78], v[68:69], v[66:67]
	s_waitcnt vmcnt(0)
	v_add_f64 v[66:67], v[79:80], -v[66:67]
	buffer_store_dword v66, off, s[0:3], 0 offset:216
	buffer_store_dword v67, off, s[0:3], 0 offset:220
	s_and_saveexec_b64 s[4:5], vcc
	s_cbranch_execz .LBB31_147
; %bb.146:
	buffer_load_dword v66, off, s[0:3], 0 offset:208
	buffer_load_dword v67, off, s[0:3], 0 offset:212
	v_mov_b32_e32 v68, 0
	buffer_store_dword v68, off, s[0:3], 0 offset:208
	buffer_store_dword v68, off, s[0:3], 0 offset:212
	s_waitcnt vmcnt(2)
	ds_write_b64 v65, v[66:67]
.LBB31_147:
	s_or_b64 exec, exec, s[4:5]
	s_waitcnt lgkmcnt(0)
	; wave barrier
	buffer_load_dword v71, off, s[0:3], 0 offset:216
	buffer_load_dword v72, off, s[0:3], 0 offset:220
	;; [unrolled: 1-line block ×12, first 2 shown]
	v_mov_b32_e32 v66, 0
	ds_read2_b64 v[67:70], v66 offset0:59 offset1:60
	v_cmp_lt_u32_e32 vcc, 25, v0
	s_waitcnt vmcnt(10) lgkmcnt(0)
	v_fma_f64 v[67:68], v[71:72], v[67:68], 0
	s_waitcnt vmcnt(8)
	v_fma_f64 v[71:72], v[73:74], v[69:70], v[67:68]
	ds_read2_b64 v[67:70], v66 offset0:61 offset1:62
	s_waitcnt vmcnt(6) lgkmcnt(0)
	v_fma_f64 v[67:68], v[75:76], v[67:68], v[71:72]
	s_waitcnt vmcnt(4)
	v_fma_f64 v[67:68], v[77:78], v[69:70], v[67:68]
	ds_read_b64 v[69:70], v66 offset:504
	s_waitcnt vmcnt(2) lgkmcnt(0)
	v_fma_f64 v[67:68], v[79:80], v[69:70], v[67:68]
	s_waitcnt vmcnt(0)
	v_add_f64 v[67:68], v[81:82], -v[67:68]
	buffer_store_dword v67, off, s[0:3], 0 offset:208
	buffer_store_dword v68, off, s[0:3], 0 offset:212
	s_and_saveexec_b64 s[4:5], vcc
	s_cbranch_execz .LBB31_149
; %bb.148:
	buffer_load_dword v67, off, s[0:3], 0 offset:200
	buffer_load_dword v68, off, s[0:3], 0 offset:204
	s_waitcnt vmcnt(0)
	ds_write_b64 v65, v[67:68]
	buffer_store_dword v66, off, s[0:3], 0 offset:200
	buffer_store_dword v66, off, s[0:3], 0 offset:204
.LBB31_149:
	s_or_b64 exec, exec, s[4:5]
	s_waitcnt lgkmcnt(0)
	; wave barrier
	buffer_load_dword v75, off, s[0:3], 0 offset:208
	buffer_load_dword v76, off, s[0:3], 0 offset:212
	;; [unrolled: 1-line block ×14, first 2 shown]
	ds_read_b128 v[67:70], v66 offset:464
	ds_read_b128 v[71:74], v66 offset:480
	v_cmp_lt_u32_e32 vcc, 24, v0
	s_waitcnt vmcnt(12) lgkmcnt(1)
	v_fma_f64 v[67:68], v[75:76], v[67:68], 0
	s_waitcnt vmcnt(10)
	v_fma_f64 v[67:68], v[77:78], v[69:70], v[67:68]
	s_waitcnt vmcnt(8) lgkmcnt(0)
	v_fma_f64 v[67:68], v[79:80], v[71:72], v[67:68]
	s_waitcnt vmcnt(6)
	v_fma_f64 v[70:71], v[81:82], v[73:74], v[67:68]
	ds_read_b128 v[66:69], v66 offset:496
	s_waitcnt vmcnt(4) lgkmcnt(0)
	v_fma_f64 v[66:67], v[83:84], v[66:67], v[70:71]
	s_waitcnt vmcnt(2)
	v_fma_f64 v[66:67], v[85:86], v[68:69], v[66:67]
	s_waitcnt vmcnt(0)
	v_add_f64 v[66:67], v[87:88], -v[66:67]
	buffer_store_dword v66, off, s[0:3], 0 offset:200
	buffer_store_dword v67, off, s[0:3], 0 offset:204
	s_and_saveexec_b64 s[4:5], vcc
	s_cbranch_execz .LBB31_151
; %bb.150:
	buffer_load_dword v66, off, s[0:3], 0 offset:192
	buffer_load_dword v67, off, s[0:3], 0 offset:196
	v_mov_b32_e32 v68, 0
	buffer_store_dword v68, off, s[0:3], 0 offset:192
	buffer_store_dword v68, off, s[0:3], 0 offset:196
	s_waitcnt vmcnt(2)
	ds_write_b64 v65, v[66:67]
.LBB31_151:
	s_or_b64 exec, exec, s[4:5]
	s_waitcnt lgkmcnt(0)
	; wave barrier
	buffer_load_dword v75, off, s[0:3], 0 offset:200
	buffer_load_dword v76, off, s[0:3], 0 offset:204
	;; [unrolled: 1-line block ×16, first 2 shown]
	v_mov_b32_e32 v66, 0
	ds_read2_b64 v[67:70], v66 offset0:57 offset1:58
	ds_read2_b64 v[71:74], v66 offset0:59 offset1:60
	v_cmp_lt_u32_e32 vcc, 23, v0
	s_waitcnt vmcnt(14) lgkmcnt(1)
	v_fma_f64 v[67:68], v[75:76], v[67:68], 0
	s_waitcnt vmcnt(12)
	v_fma_f64 v[67:68], v[77:78], v[69:70], v[67:68]
	s_waitcnt vmcnt(10) lgkmcnt(0)
	v_fma_f64 v[67:68], v[79:80], v[71:72], v[67:68]
	s_waitcnt vmcnt(8)
	v_fma_f64 v[71:72], v[81:82], v[73:74], v[67:68]
	ds_read2_b64 v[67:70], v66 offset0:61 offset1:62
	ds_read_b64 v[73:74], v66 offset:504
	s_waitcnt vmcnt(6) lgkmcnt(1)
	v_fma_f64 v[67:68], v[83:84], v[67:68], v[71:72]
	s_waitcnt vmcnt(4)
	v_fma_f64 v[67:68], v[85:86], v[69:70], v[67:68]
	s_waitcnt vmcnt(2) lgkmcnt(0)
	v_fma_f64 v[67:68], v[87:88], v[73:74], v[67:68]
	s_waitcnt vmcnt(0)
	v_add_f64 v[67:68], v[89:90], -v[67:68]
	buffer_store_dword v67, off, s[0:3], 0 offset:192
	buffer_store_dword v68, off, s[0:3], 0 offset:196
	s_and_saveexec_b64 s[4:5], vcc
	s_cbranch_execz .LBB31_153
; %bb.152:
	buffer_load_dword v67, off, s[0:3], 0 offset:184
	buffer_load_dword v68, off, s[0:3], 0 offset:188
	s_waitcnt vmcnt(0)
	ds_write_b64 v65, v[67:68]
	buffer_store_dword v66, off, s[0:3], 0 offset:184
	buffer_store_dword v66, off, s[0:3], 0 offset:188
.LBB31_153:
	s_or_b64 exec, exec, s[4:5]
	s_waitcnt lgkmcnt(0)
	; wave barrier
	buffer_load_dword v75, off, s[0:3], 0 offset:192
	buffer_load_dword v76, off, s[0:3], 0 offset:196
	;; [unrolled: 1-line block ×18, first 2 shown]
	ds_read_b128 v[67:70], v66 offset:448
	ds_read_b128 v[71:74], v66 offset:464
	v_cmp_lt_u32_e32 vcc, 22, v0
	s_waitcnt vmcnt(16) lgkmcnt(1)
	v_fma_f64 v[67:68], v[75:76], v[67:68], 0
	s_waitcnt vmcnt(14)
	v_fma_f64 v[67:68], v[77:78], v[69:70], v[67:68]
	s_waitcnt vmcnt(12) lgkmcnt(0)
	v_fma_f64 v[67:68], v[79:80], v[71:72], v[67:68]
	s_waitcnt vmcnt(10)
	v_fma_f64 v[75:76], v[81:82], v[73:74], v[67:68]
	ds_read_b128 v[67:70], v66 offset:480
	ds_read_b128 v[71:74], v66 offset:496
	s_waitcnt vmcnt(8) lgkmcnt(1)
	v_fma_f64 v[66:67], v[83:84], v[67:68], v[75:76]
	s_waitcnt vmcnt(6)
	v_fma_f64 v[66:67], v[85:86], v[69:70], v[66:67]
	s_waitcnt vmcnt(4) lgkmcnt(0)
	v_fma_f64 v[66:67], v[87:88], v[71:72], v[66:67]
	s_waitcnt vmcnt(2)
	v_fma_f64 v[66:67], v[89:90], v[73:74], v[66:67]
	s_waitcnt vmcnt(0)
	v_add_f64 v[66:67], v[91:92], -v[66:67]
	buffer_store_dword v66, off, s[0:3], 0 offset:184
	buffer_store_dword v67, off, s[0:3], 0 offset:188
	s_and_saveexec_b64 s[4:5], vcc
	s_cbranch_execz .LBB31_155
; %bb.154:
	buffer_load_dword v66, off, s[0:3], 0 offset:176
	buffer_load_dword v67, off, s[0:3], 0 offset:180
	v_mov_b32_e32 v68, 0
	buffer_store_dword v68, off, s[0:3], 0 offset:176
	buffer_store_dword v68, off, s[0:3], 0 offset:180
	s_waitcnt vmcnt(2)
	ds_write_b64 v65, v[66:67]
.LBB31_155:
	s_or_b64 exec, exec, s[4:5]
	s_waitcnt lgkmcnt(0)
	; wave barrier
	buffer_load_dword v75, off, s[0:3], 0 offset:184
	buffer_load_dword v76, off, s[0:3], 0 offset:188
	;; [unrolled: 1-line block ×20, first 2 shown]
	v_mov_b32_e32 v66, 0
	ds_read2_b64 v[67:70], v66 offset0:55 offset1:56
	ds_read2_b64 v[71:74], v66 offset0:57 offset1:58
	v_cmp_lt_u32_e32 vcc, 21, v0
	s_waitcnt vmcnt(18) lgkmcnt(1)
	v_fma_f64 v[67:68], v[75:76], v[67:68], 0
	s_waitcnt vmcnt(16)
	v_fma_f64 v[67:68], v[77:78], v[69:70], v[67:68]
	s_waitcnt vmcnt(14) lgkmcnt(0)
	v_fma_f64 v[67:68], v[79:80], v[71:72], v[67:68]
	s_waitcnt vmcnt(12)
	v_fma_f64 v[75:76], v[81:82], v[73:74], v[67:68]
	ds_read2_b64 v[67:70], v66 offset0:59 offset1:60
	ds_read2_b64 v[71:74], v66 offset0:61 offset1:62
	s_waitcnt vmcnt(10) lgkmcnt(1)
	v_fma_f64 v[67:68], v[83:84], v[67:68], v[75:76]
	s_waitcnt vmcnt(8)
	v_fma_f64 v[67:68], v[85:86], v[69:70], v[67:68]
	ds_read_b64 v[69:70], v66 offset:504
	s_waitcnt vmcnt(6) lgkmcnt(1)
	v_fma_f64 v[67:68], v[87:88], v[71:72], v[67:68]
	s_waitcnt vmcnt(3)
	v_fma_f64 v[67:68], v[89:90], v[73:74], v[67:68]
	s_waitcnt vmcnt(2) lgkmcnt(0)
	v_fma_f64 v[67:68], v[91:92], v[69:70], v[67:68]
	s_waitcnt vmcnt(0)
	v_add_f64 v[67:68], v[93:94], -v[67:68]
	buffer_store_dword v67, off, s[0:3], 0 offset:176
	buffer_store_dword v68, off, s[0:3], 0 offset:180
	s_and_saveexec_b64 s[4:5], vcc
	s_cbranch_execz .LBB31_157
; %bb.156:
	buffer_load_dword v67, off, s[0:3], 0 offset:168
	buffer_load_dword v68, off, s[0:3], 0 offset:172
	s_waitcnt vmcnt(0)
	ds_write_b64 v65, v[67:68]
	buffer_store_dword v66, off, s[0:3], 0 offset:168
	buffer_store_dword v66, off, s[0:3], 0 offset:172
.LBB31_157:
	s_or_b64 exec, exec, s[4:5]
	s_waitcnt lgkmcnt(0)
	; wave barrier
	buffer_load_dword v75, off, s[0:3], 0 offset:176
	buffer_load_dword v76, off, s[0:3], 0 offset:180
	;; [unrolled: 1-line block ×20, first 2 shown]
	ds_read_b128 v[67:70], v66 offset:432
	buffer_load_dword v95, off, s[0:3], 0 offset:168
	buffer_load_dword v96, off, s[0:3], 0 offset:172
	ds_read_b128 v[71:74], v66 offset:448
	v_cmp_lt_u32_e32 vcc, 20, v0
	s_waitcnt vmcnt(20) lgkmcnt(1)
	v_fma_f64 v[67:68], v[75:76], v[67:68], 0
	s_waitcnt vmcnt(18)
	v_fma_f64 v[67:68], v[77:78], v[69:70], v[67:68]
	s_waitcnt vmcnt(16) lgkmcnt(0)
	v_fma_f64 v[67:68], v[79:80], v[71:72], v[67:68]
	s_waitcnt vmcnt(14)
	v_fma_f64 v[75:76], v[81:82], v[73:74], v[67:68]
	ds_read_b128 v[67:70], v66 offset:464
	ds_read_b128 v[71:74], v66 offset:480
	s_waitcnt vmcnt(12) lgkmcnt(1)
	v_fma_f64 v[67:68], v[83:84], v[67:68], v[75:76]
	s_waitcnt vmcnt(10)
	v_fma_f64 v[67:68], v[85:86], v[69:70], v[67:68]
	s_waitcnt vmcnt(8) lgkmcnt(0)
	v_fma_f64 v[67:68], v[87:88], v[71:72], v[67:68]
	s_waitcnt vmcnt(4)
	v_fma_f64 v[70:71], v[89:90], v[73:74], v[67:68]
	ds_read_b128 v[66:69], v66 offset:496
	s_waitcnt vmcnt(3) lgkmcnt(0)
	v_fma_f64 v[66:67], v[93:94], v[66:67], v[70:71]
	s_waitcnt vmcnt(2)
	v_fma_f64 v[66:67], v[91:92], v[68:69], v[66:67]
	s_waitcnt vmcnt(0)
	v_add_f64 v[66:67], v[95:96], -v[66:67]
	buffer_store_dword v66, off, s[0:3], 0 offset:168
	buffer_store_dword v67, off, s[0:3], 0 offset:172
	s_and_saveexec_b64 s[4:5], vcc
	s_cbranch_execz .LBB31_159
; %bb.158:
	buffer_load_dword v66, off, s[0:3], 0 offset:160
	buffer_load_dword v67, off, s[0:3], 0 offset:164
	v_mov_b32_e32 v68, 0
	buffer_store_dword v68, off, s[0:3], 0 offset:160
	buffer_store_dword v68, off, s[0:3], 0 offset:164
	s_waitcnt vmcnt(2)
	ds_write_b64 v65, v[66:67]
.LBB31_159:
	s_or_b64 exec, exec, s[4:5]
	s_waitcnt lgkmcnt(0)
	; wave barrier
	buffer_load_dword v75, off, s[0:3], 0 offset:168
	buffer_load_dword v76, off, s[0:3], 0 offset:172
	;; [unrolled: 1-line block ×21, first 2 shown]
	v_mov_b32_e32 v66, 0
	ds_read2_b64 v[67:70], v66 offset0:53 offset1:54
	ds_read2_b64 v[71:74], v66 offset0:55 offset1:56
	buffer_load_dword v92, off, s[0:3], 0 offset:252
	v_cmp_lt_u32_e32 vcc, 19, v0
	s_waitcnt vmcnt(20) lgkmcnt(1)
	v_fma_f64 v[67:68], v[75:76], v[67:68], 0
	buffer_load_dword v75, off, s[0:3], 0 offset:160
	buffer_load_dword v76, off, s[0:3], 0 offset:164
	s_waitcnt vmcnt(20)
	v_fma_f64 v[67:68], v[77:78], v[69:70], v[67:68]
	s_waitcnt vmcnt(18) lgkmcnt(0)
	v_fma_f64 v[67:68], v[79:80], v[71:72], v[67:68]
	s_waitcnt vmcnt(16)
	v_fma_f64 v[77:78], v[81:82], v[73:74], v[67:68]
	ds_read2_b64 v[67:70], v66 offset0:57 offset1:58
	ds_read2_b64 v[71:74], v66 offset0:59 offset1:60
	s_waitcnt vmcnt(14) lgkmcnt(1)
	v_fma_f64 v[67:68], v[83:84], v[67:68], v[77:78]
	s_waitcnt vmcnt(12)
	v_fma_f64 v[67:68], v[85:86], v[69:70], v[67:68]
	s_waitcnt vmcnt(10) lgkmcnt(0)
	v_fma_f64 v[67:68], v[87:88], v[71:72], v[67:68]
	s_waitcnt vmcnt(5)
	v_fma_f64 v[71:72], v[89:90], v[73:74], v[67:68]
	ds_read2_b64 v[67:70], v66 offset0:61 offset1:62
	ds_read_b64 v[73:74], v66 offset:504
	s_waitcnt vmcnt(4) lgkmcnt(1)
	v_fma_f64 v[67:68], v[95:96], v[67:68], v[71:72]
	s_waitcnt vmcnt(3)
	v_fma_f64 v[67:68], v[93:94], v[69:70], v[67:68]
	s_waitcnt vmcnt(2) lgkmcnt(0)
	v_fma_f64 v[67:68], v[91:92], v[73:74], v[67:68]
	s_waitcnt vmcnt(0)
	v_add_f64 v[67:68], v[75:76], -v[67:68]
	buffer_store_dword v68, off, s[0:3], 0 offset:164
	buffer_store_dword v67, off, s[0:3], 0 offset:160
	s_and_saveexec_b64 s[4:5], vcc
	s_cbranch_execz .LBB31_161
; %bb.160:
	buffer_load_dword v67, off, s[0:3], 0 offset:152
	buffer_load_dword v68, off, s[0:3], 0 offset:156
	s_waitcnt vmcnt(0)
	ds_write_b64 v65, v[67:68]
	buffer_store_dword v66, off, s[0:3], 0 offset:152
	buffer_store_dword v66, off, s[0:3], 0 offset:156
.LBB31_161:
	s_or_b64 exec, exec, s[4:5]
	s_waitcnt lgkmcnt(0)
	; wave barrier
	buffer_load_dword v75, off, s[0:3], 0 offset:160
	buffer_load_dword v76, off, s[0:3], 0 offset:164
	;; [unrolled: 1-line block ×21, first 2 shown]
	ds_read_b128 v[67:70], v66 offset:416
	ds_read_b128 v[71:74], v66 offset:432
	buffer_load_dword v92, off, s[0:3], 0 offset:244
	v_cmp_lt_u32_e32 vcc, 18, v0
	s_waitcnt vmcnt(20) lgkmcnt(1)
	v_fma_f64 v[67:68], v[75:76], v[67:68], 0
	buffer_load_dword v76, off, s[0:3], 0 offset:252
	buffer_load_dword v75, off, s[0:3], 0 offset:248
	s_waitcnt vmcnt(20)
	v_fma_f64 v[67:68], v[77:78], v[69:70], v[67:68]
	buffer_load_dword v77, off, s[0:3], 0 offset:152
	buffer_load_dword v78, off, s[0:3], 0 offset:156
	s_waitcnt vmcnt(20) lgkmcnt(0)
	v_fma_f64 v[67:68], v[79:80], v[71:72], v[67:68]
	s_waitcnt vmcnt(18)
	v_fma_f64 v[79:80], v[81:82], v[73:74], v[67:68]
	ds_read_b128 v[67:70], v66 offset:448
	ds_read_b128 v[71:74], v66 offset:464
	s_waitcnt vmcnt(16) lgkmcnt(1)
	v_fma_f64 v[67:68], v[83:84], v[67:68], v[79:80]
	s_waitcnt vmcnt(14)
	v_fma_f64 v[67:68], v[85:86], v[69:70], v[67:68]
	s_waitcnt vmcnt(12) lgkmcnt(0)
	v_fma_f64 v[67:68], v[87:88], v[71:72], v[67:68]
	s_waitcnt vmcnt(7)
	v_fma_f64 v[79:80], v[89:90], v[73:74], v[67:68]
	ds_read_b128 v[67:70], v66 offset:480
	ds_read_b128 v[71:74], v66 offset:496
	s_waitcnt vmcnt(6) lgkmcnt(1)
	v_fma_f64 v[66:67], v[95:96], v[67:68], v[79:80]
	s_waitcnt vmcnt(5)
	v_fma_f64 v[66:67], v[93:94], v[69:70], v[66:67]
	s_waitcnt vmcnt(4) lgkmcnt(0)
	v_fma_f64 v[66:67], v[91:92], v[71:72], v[66:67]
	s_waitcnt vmcnt(2)
	v_fma_f64 v[66:67], v[75:76], v[73:74], v[66:67]
	s_waitcnt vmcnt(0)
	v_add_f64 v[66:67], v[77:78], -v[66:67]
	buffer_store_dword v67, off, s[0:3], 0 offset:156
	buffer_store_dword v66, off, s[0:3], 0 offset:152
	s_and_saveexec_b64 s[4:5], vcc
	s_cbranch_execz .LBB31_163
; %bb.162:
	buffer_load_dword v66, off, s[0:3], 0 offset:144
	buffer_load_dword v67, off, s[0:3], 0 offset:148
	v_mov_b32_e32 v68, 0
	buffer_store_dword v68, off, s[0:3], 0 offset:144
	buffer_store_dword v68, off, s[0:3], 0 offset:148
	s_waitcnt vmcnt(2)
	ds_write_b64 v65, v[66:67]
.LBB31_163:
	s_or_b64 exec, exec, s[4:5]
	s_waitcnt lgkmcnt(0)
	; wave barrier
	buffer_load_dword v75, off, s[0:3], 0 offset:152
	buffer_load_dword v76, off, s[0:3], 0 offset:156
	;; [unrolled: 1-line block ×21, first 2 shown]
	v_mov_b32_e32 v66, 0
	ds_read2_b64 v[67:70], v66 offset0:51 offset1:52
	ds_read2_b64 v[71:74], v66 offset0:53 offset1:54
	buffer_load_dword v92, off, s[0:3], 0 offset:236
	v_cmp_lt_u32_e32 vcc, 17, v0
	s_waitcnt vmcnt(20) lgkmcnt(1)
	v_fma_f64 v[67:68], v[75:76], v[67:68], 0
	s_waitcnt vmcnt(18)
	v_fma_f64 v[67:68], v[77:78], v[69:70], v[67:68]
	buffer_load_dword v76, off, s[0:3], 0 offset:244
	buffer_load_dword v77, off, s[0:3], 0 offset:248
	;; [unrolled: 1-line block ×4, first 2 shown]
	s_waitcnt vmcnt(20) lgkmcnt(0)
	v_fma_f64 v[67:68], v[79:80], v[71:72], v[67:68]
	buffer_load_dword v79, off, s[0:3], 0 offset:144
	buffer_load_dword v80, off, s[0:3], 0 offset:148
	s_waitcnt vmcnt(20)
	v_fma_f64 v[81:82], v[81:82], v[73:74], v[67:68]
	ds_read2_b64 v[67:70], v66 offset0:55 offset1:56
	ds_read2_b64 v[71:74], v66 offset0:57 offset1:58
	s_waitcnt vmcnt(18) lgkmcnt(1)
	v_fma_f64 v[67:68], v[83:84], v[67:68], v[81:82]
	s_waitcnt vmcnt(16)
	v_fma_f64 v[67:68], v[85:86], v[69:70], v[67:68]
	s_waitcnt vmcnt(14) lgkmcnt(0)
	v_fma_f64 v[67:68], v[87:88], v[71:72], v[67:68]
	s_waitcnt vmcnt(9)
	v_fma_f64 v[81:82], v[89:90], v[73:74], v[67:68]
	ds_read2_b64 v[67:70], v66 offset0:59 offset1:60
	ds_read2_b64 v[71:74], v66 offset0:61 offset1:62
	s_waitcnt vmcnt(8) lgkmcnt(1)
	v_fma_f64 v[67:68], v[95:96], v[67:68], v[81:82]
	s_waitcnt vmcnt(7)
	v_fma_f64 v[67:68], v[93:94], v[69:70], v[67:68]
	ds_read_b64 v[69:70], v66 offset:504
	s_waitcnt vmcnt(6) lgkmcnt(1)
	v_fma_f64 v[67:68], v[91:92], v[71:72], v[67:68]
	s_waitcnt vmcnt(3)
	v_fma_f64 v[67:68], v[75:76], v[73:74], v[67:68]
	s_waitcnt vmcnt(2) lgkmcnt(0)
	v_fma_f64 v[67:68], v[77:78], v[69:70], v[67:68]
	s_waitcnt vmcnt(0)
	v_add_f64 v[67:68], v[79:80], -v[67:68]
	buffer_store_dword v68, off, s[0:3], 0 offset:148
	buffer_store_dword v67, off, s[0:3], 0 offset:144
	s_and_saveexec_b64 s[4:5], vcc
	s_cbranch_execz .LBB31_165
; %bb.164:
	buffer_load_dword v67, off, s[0:3], 0 offset:136
	buffer_load_dword v68, off, s[0:3], 0 offset:140
	s_waitcnt vmcnt(0)
	ds_write_b64 v65, v[67:68]
	buffer_store_dword v66, off, s[0:3], 0 offset:136
	buffer_store_dword v66, off, s[0:3], 0 offset:140
.LBB31_165:
	s_or_b64 exec, exec, s[4:5]
	s_waitcnt lgkmcnt(0)
	; wave barrier
	buffer_load_dword v75, off, s[0:3], 0 offset:144
	buffer_load_dword v76, off, s[0:3], 0 offset:148
	;; [unrolled: 1-line block ×22, first 2 shown]
	ds_read_b128 v[67:70], v66 offset:400
	ds_read_b128 v[71:74], v66 offset:416
	v_cmp_lt_u32_e32 vcc, 16, v0
	s_waitcnt vmcnt(20) lgkmcnt(1)
	v_fma_f64 v[67:68], v[75:76], v[67:68], 0
	s_waitcnt vmcnt(18)
	v_fma_f64 v[67:68], v[77:78], v[69:70], v[67:68]
	buffer_load_dword v76, off, s[0:3], 0 offset:236
	buffer_load_dword v77, off, s[0:3], 0 offset:248
	;; [unrolled: 1-line block ×6, first 2 shown]
	s_waitcnt vmcnt(22) lgkmcnt(0)
	v_fma_f64 v[67:68], v[79:80], v[71:72], v[67:68]
	s_waitcnt vmcnt(20)
	v_fma_f64 v[79:80], v[81:82], v[73:74], v[67:68]
	ds_read_b128 v[67:70], v66 offset:432
	buffer_load_dword v81, off, s[0:3], 0 offset:136
	buffer_load_dword v82, off, s[0:3], 0 offset:140
	ds_read_b128 v[71:74], v66 offset:448
	s_waitcnt vmcnt(20) lgkmcnt(1)
	v_fma_f64 v[67:68], v[83:84], v[67:68], v[79:80]
	s_waitcnt vmcnt(18)
	v_fma_f64 v[67:68], v[85:86], v[69:70], v[67:68]
	s_waitcnt vmcnt(16) lgkmcnt(0)
	v_fma_f64 v[67:68], v[87:88], v[71:72], v[67:68]
	s_waitcnt vmcnt(11)
	v_fma_f64 v[79:80], v[89:90], v[73:74], v[67:68]
	ds_read_b128 v[67:70], v66 offset:464
	ds_read_b128 v[71:74], v66 offset:480
	s_waitcnt vmcnt(10) lgkmcnt(1)
	v_fma_f64 v[67:68], v[95:96], v[67:68], v[79:80]
	s_waitcnt vmcnt(9)
	v_fma_f64 v[67:68], v[93:94], v[69:70], v[67:68]
	s_waitcnt vmcnt(8) lgkmcnt(0)
	v_fma_f64 v[67:68], v[91:92], v[71:72], v[67:68]
	s_waitcnt vmcnt(4)
	v_fma_f64 v[70:71], v[75:76], v[73:74], v[67:68]
	ds_read_b128 v[66:69], v66 offset:496
	s_waitcnt vmcnt(3) lgkmcnt(0)
	v_fma_f64 v[66:67], v[97:98], v[66:67], v[70:71]
	s_waitcnt vmcnt(2)
	v_fma_f64 v[66:67], v[77:78], v[68:69], v[66:67]
	s_waitcnt vmcnt(0)
	v_add_f64 v[66:67], v[81:82], -v[66:67]
	buffer_store_dword v67, off, s[0:3], 0 offset:140
	buffer_store_dword v66, off, s[0:3], 0 offset:136
	s_and_saveexec_b64 s[4:5], vcc
	s_cbranch_execz .LBB31_167
; %bb.166:
	buffer_load_dword v66, off, s[0:3], 0 offset:128
	buffer_load_dword v67, off, s[0:3], 0 offset:132
	v_mov_b32_e32 v68, 0
	buffer_store_dword v68, off, s[0:3], 0 offset:128
	buffer_store_dword v68, off, s[0:3], 0 offset:132
	s_waitcnt vmcnt(2)
	ds_write_b64 v65, v[66:67]
.LBB31_167:
	s_or_b64 exec, exec, s[4:5]
	s_waitcnt lgkmcnt(0)
	; wave barrier
	buffer_load_dword v75, off, s[0:3], 0 offset:136
	buffer_load_dword v76, off, s[0:3], 0 offset:140
	;; [unrolled: 1-line block ×22, first 2 shown]
	v_mov_b32_e32 v66, 0
	ds_read2_b64 v[67:70], v66 offset0:49 offset1:50
	ds_read2_b64 v[71:74], v66 offset0:51 offset1:52
	v_cmp_lt_u32_e32 vcc, 15, v0
	s_waitcnt vmcnt(20) lgkmcnt(1)
	v_fma_f64 v[67:68], v[75:76], v[67:68], 0
	s_waitcnt vmcnt(18)
	v_fma_f64 v[67:68], v[77:78], v[69:70], v[67:68]
	buffer_load_dword v76, off, s[0:3], 0 offset:228
	buffer_load_dword v77, off, s[0:3], 0 offset:248
	buffer_load_dword v97, off, s[0:3], 0 offset:240
	buffer_load_dword v99, off, s[0:3], 0 offset:232
	buffer_load_dword v75, off, s[0:3], 0 offset:224
	buffer_load_dword v100, off, s[0:3], 0 offset:236
	buffer_load_dword v98, off, s[0:3], 0 offset:244
	buffer_load_dword v78, off, s[0:3], 0 offset:252
	s_waitcnt vmcnt(24) lgkmcnt(0)
	v_fma_f64 v[67:68], v[79:80], v[71:72], v[67:68]
	s_waitcnt vmcnt(22)
	v_fma_f64 v[79:80], v[81:82], v[73:74], v[67:68]
	ds_read2_b64 v[67:70], v66 offset0:53 offset1:54
	ds_read2_b64 v[71:74], v66 offset0:55 offset1:56
	s_waitcnt vmcnt(20) lgkmcnt(1)
	v_fma_f64 v[67:68], v[83:84], v[67:68], v[79:80]
	buffer_load_dword v79, off, s[0:3], 0 offset:128
	buffer_load_dword v80, off, s[0:3], 0 offset:132
	s_waitcnt vmcnt(20)
	v_fma_f64 v[67:68], v[85:86], v[69:70], v[67:68]
	s_waitcnt vmcnt(18) lgkmcnt(0)
	v_fma_f64 v[67:68], v[87:88], v[71:72], v[67:68]
	s_waitcnt vmcnt(13)
	v_fma_f64 v[81:82], v[89:90], v[73:74], v[67:68]
	ds_read2_b64 v[67:70], v66 offset0:57 offset1:58
	ds_read2_b64 v[71:74], v66 offset0:59 offset1:60
	s_waitcnt vmcnt(12) lgkmcnt(1)
	v_fma_f64 v[67:68], v[95:96], v[67:68], v[81:82]
	s_waitcnt vmcnt(11)
	v_fma_f64 v[67:68], v[93:94], v[69:70], v[67:68]
	s_waitcnt vmcnt(10) lgkmcnt(0)
	v_fma_f64 v[67:68], v[91:92], v[71:72], v[67:68]
	s_waitcnt vmcnt(5)
	v_fma_f64 v[71:72], v[75:76], v[73:74], v[67:68]
	ds_read2_b64 v[67:70], v66 offset0:61 offset1:62
	ds_read_b64 v[73:74], v66 offset:504
	s_waitcnt vmcnt(4) lgkmcnt(1)
	v_fma_f64 v[67:68], v[99:100], v[67:68], v[71:72]
	s_waitcnt vmcnt(3)
	v_fma_f64 v[67:68], v[97:98], v[69:70], v[67:68]
	s_waitcnt vmcnt(2) lgkmcnt(0)
	v_fma_f64 v[67:68], v[77:78], v[73:74], v[67:68]
	s_waitcnt vmcnt(0)
	v_add_f64 v[67:68], v[79:80], -v[67:68]
	buffer_store_dword v68, off, s[0:3], 0 offset:132
	buffer_store_dword v67, off, s[0:3], 0 offset:128
	s_and_saveexec_b64 s[4:5], vcc
	s_cbranch_execz .LBB31_169
; %bb.168:
	buffer_load_dword v67, off, s[0:3], 0 offset:120
	buffer_load_dword v68, off, s[0:3], 0 offset:124
	s_waitcnt vmcnt(0)
	ds_write_b64 v65, v[67:68]
	buffer_store_dword v66, off, s[0:3], 0 offset:120
	buffer_store_dword v66, off, s[0:3], 0 offset:124
.LBB31_169:
	s_or_b64 exec, exec, s[4:5]
	s_waitcnt lgkmcnt(0)
	; wave barrier
	buffer_load_dword v75, off, s[0:3], 0 offset:128
	buffer_load_dword v76, off, s[0:3], 0 offset:132
	;; [unrolled: 1-line block ×22, first 2 shown]
	ds_read_b128 v[67:70], v66 offset:384
	ds_read_b128 v[71:74], v66 offset:400
	v_cmp_lt_u32_e32 vcc, 14, v0
	s_waitcnt vmcnt(20) lgkmcnt(1)
	v_fma_f64 v[67:68], v[75:76], v[67:68], 0
	s_waitcnt vmcnt(18)
	v_fma_f64 v[67:68], v[77:78], v[69:70], v[67:68]
	buffer_load_dword v76, off, s[0:3], 0 offset:220
	buffer_load_dword v77, off, s[0:3], 0 offset:240
	;; [unrolled: 1-line block ×8, first 2 shown]
	s_waitcnt vmcnt(24) lgkmcnt(0)
	v_fma_f64 v[67:68], v[79:80], v[71:72], v[67:68]
	s_waitcnt vmcnt(22)
	v_fma_f64 v[79:80], v[81:82], v[73:74], v[67:68]
	ds_read_b128 v[67:70], v66 offset:416
	ds_read_b128 v[71:74], v66 offset:432
	s_waitcnt vmcnt(20) lgkmcnt(1)
	v_fma_f64 v[67:68], v[83:84], v[67:68], v[79:80]
	buffer_load_dword v80, off, s[0:3], 0 offset:252
	buffer_load_dword v79, off, s[0:3], 0 offset:248
	;; [unrolled: 1-line block ×4, first 2 shown]
	s_waitcnt vmcnt(22)
	v_fma_f64 v[67:68], v[85:86], v[69:70], v[67:68]
	s_waitcnt vmcnt(20) lgkmcnt(0)
	v_fma_f64 v[67:68], v[87:88], v[71:72], v[67:68]
	s_waitcnt vmcnt(15)
	v_fma_f64 v[83:84], v[89:90], v[73:74], v[67:68]
	ds_read_b128 v[67:70], v66 offset:448
	ds_read_b128 v[71:74], v66 offset:464
	s_waitcnt vmcnt(14) lgkmcnt(1)
	v_fma_f64 v[67:68], v[95:96], v[67:68], v[83:84]
	s_waitcnt vmcnt(13)
	v_fma_f64 v[67:68], v[93:94], v[69:70], v[67:68]
	s_waitcnt vmcnt(12) lgkmcnt(0)
	v_fma_f64 v[67:68], v[91:92], v[71:72], v[67:68]
	s_waitcnt vmcnt(7)
	v_fma_f64 v[75:76], v[75:76], v[73:74], v[67:68]
	ds_read_b128 v[67:70], v66 offset:480
	ds_read_b128 v[71:74], v66 offset:496
	s_waitcnt vmcnt(6) lgkmcnt(1)
	v_fma_f64 v[66:67], v[99:100], v[67:68], v[75:76]
	s_waitcnt vmcnt(5)
	v_fma_f64 v[66:67], v[97:98], v[69:70], v[66:67]
	s_waitcnt vmcnt(4) lgkmcnt(0)
	v_fma_f64 v[66:67], v[77:78], v[71:72], v[66:67]
	s_waitcnt vmcnt(2)
	v_fma_f64 v[66:67], v[79:80], v[73:74], v[66:67]
	s_waitcnt vmcnt(0)
	v_add_f64 v[66:67], v[81:82], -v[66:67]
	buffer_store_dword v67, off, s[0:3], 0 offset:124
	buffer_store_dword v66, off, s[0:3], 0 offset:120
	s_and_saveexec_b64 s[4:5], vcc
	s_cbranch_execz .LBB31_171
; %bb.170:
	buffer_load_dword v66, off, s[0:3], 0 offset:112
	buffer_load_dword v67, off, s[0:3], 0 offset:116
	v_mov_b32_e32 v68, 0
	buffer_store_dword v68, off, s[0:3], 0 offset:112
	buffer_store_dword v68, off, s[0:3], 0 offset:116
	s_waitcnt vmcnt(2)
	ds_write_b64 v65, v[66:67]
.LBB31_171:
	s_or_b64 exec, exec, s[4:5]
	s_waitcnt lgkmcnt(0)
	; wave barrier
	buffer_load_dword v75, off, s[0:3], 0 offset:120
	buffer_load_dword v76, off, s[0:3], 0 offset:124
	;; [unrolled: 1-line block ×22, first 2 shown]
	v_mov_b32_e32 v66, 0
	ds_read2_b64 v[67:70], v66 offset0:47 offset1:48
	ds_read2_b64 v[71:74], v66 offset0:49 offset1:50
	v_cmp_lt_u32_e32 vcc, 13, v0
	s_waitcnt vmcnt(20) lgkmcnt(1)
	v_fma_f64 v[67:68], v[75:76], v[67:68], 0
	s_waitcnt vmcnt(18)
	v_fma_f64 v[67:68], v[77:78], v[69:70], v[67:68]
	buffer_load_dword v76, off, s[0:3], 0 offset:212
	buffer_load_dword v77, off, s[0:3], 0 offset:232
	;; [unrolled: 1-line block ×7, first 2 shown]
	s_waitcnt vmcnt(23) lgkmcnt(0)
	v_fma_f64 v[67:68], v[79:80], v[71:72], v[67:68]
	s_waitcnt vmcnt(21)
	v_fma_f64 v[78:79], v[81:82], v[73:74], v[67:68]
	ds_read2_b64 v[67:70], v66 offset0:51 offset1:52
	ds_read2_b64 v[71:74], v66 offset0:53 offset1:54
	s_waitcnt vmcnt(19) lgkmcnt(1)
	v_fma_f64 v[67:68], v[83:84], v[67:68], v[78:79]
	buffer_load_dword v78, off, s[0:3], 0 offset:236
	buffer_load_dword v80, off, s[0:3], 0 offset:244
	;; [unrolled: 1-line block ×7, first 2 shown]
	s_waitcnt vmcnt(24)
	v_fma_f64 v[67:68], v[85:86], v[69:70], v[67:68]
	s_waitcnt vmcnt(22) lgkmcnt(0)
	v_fma_f64 v[67:68], v[87:88], v[71:72], v[67:68]
	s_waitcnt vmcnt(17)
	v_fma_f64 v[85:86], v[89:90], v[73:74], v[67:68]
	ds_read2_b64 v[67:70], v66 offset0:55 offset1:56
	ds_read2_b64 v[71:74], v66 offset0:57 offset1:58
	s_waitcnt vmcnt(16) lgkmcnt(1)
	v_fma_f64 v[67:68], v[95:96], v[67:68], v[85:86]
	s_waitcnt vmcnt(15)
	v_fma_f64 v[67:68], v[93:94], v[69:70], v[67:68]
	s_waitcnt vmcnt(14) lgkmcnt(0)
	v_fma_f64 v[67:68], v[91:92], v[71:72], v[67:68]
	s_waitcnt vmcnt(9)
	v_fma_f64 v[75:76], v[75:76], v[73:74], v[67:68]
	ds_read2_b64 v[67:70], v66 offset0:59 offset1:60
	ds_read2_b64 v[71:74], v66 offset0:61 offset1:62
	s_waitcnt vmcnt(8) lgkmcnt(1)
	v_fma_f64 v[67:68], v[99:100], v[67:68], v[75:76]
	s_waitcnt vmcnt(7)
	v_fma_f64 v[67:68], v[97:98], v[69:70], v[67:68]
	ds_read_b64 v[69:70], v66 offset:504
	s_waitcnt vmcnt(6) lgkmcnt(1)
	v_fma_f64 v[67:68], v[77:78], v[71:72], v[67:68]
	s_waitcnt vmcnt(3)
	v_fma_f64 v[67:68], v[79:80], v[73:74], v[67:68]
	s_waitcnt vmcnt(2) lgkmcnt(0)
	v_fma_f64 v[67:68], v[81:82], v[69:70], v[67:68]
	s_waitcnt vmcnt(0)
	v_add_f64 v[67:68], v[83:84], -v[67:68]
	buffer_store_dword v68, off, s[0:3], 0 offset:116
	buffer_store_dword v67, off, s[0:3], 0 offset:112
	s_and_saveexec_b64 s[4:5], vcc
	s_cbranch_execz .LBB31_173
; %bb.172:
	buffer_load_dword v67, off, s[0:3], 0 offset:104
	buffer_load_dword v68, off, s[0:3], 0 offset:108
	s_waitcnt vmcnt(0)
	ds_write_b64 v65, v[67:68]
	buffer_store_dword v66, off, s[0:3], 0 offset:104
	buffer_store_dword v66, off, s[0:3], 0 offset:108
.LBB31_173:
	s_or_b64 exec, exec, s[4:5]
	s_waitcnt lgkmcnt(0)
	; wave barrier
	buffer_load_dword v75, off, s[0:3], 0 offset:112
	buffer_load_dword v76, off, s[0:3], 0 offset:116
	;; [unrolled: 1-line block ×22, first 2 shown]
	ds_read_b128 v[67:70], v66 offset:368
	ds_read_b128 v[71:74], v66 offset:384
	v_cmp_lt_u32_e32 vcc, 12, v0
	s_waitcnt vmcnt(20) lgkmcnt(1)
	v_fma_f64 v[67:68], v[75:76], v[67:68], 0
	s_waitcnt vmcnt(18)
	v_fma_f64 v[67:68], v[77:78], v[69:70], v[67:68]
	buffer_load_dword v76, off, s[0:3], 0 offset:204
	buffer_load_dword v77, off, s[0:3], 0 offset:224
	;; [unrolled: 1-line block ×7, first 2 shown]
	s_waitcnt vmcnt(23) lgkmcnt(0)
	v_fma_f64 v[67:68], v[79:80], v[71:72], v[67:68]
	s_waitcnt vmcnt(21)
	v_fma_f64 v[78:79], v[81:82], v[73:74], v[67:68]
	ds_read_b128 v[67:70], v66 offset:400
	ds_read_b128 v[71:74], v66 offset:416
	s_waitcnt vmcnt(19) lgkmcnt(1)
	v_fma_f64 v[67:68], v[83:84], v[67:68], v[78:79]
	buffer_load_dword v78, off, s[0:3], 0 offset:228
	buffer_load_dword v80, off, s[0:3], 0 offset:236
	;; [unrolled: 1-line block ×7, first 2 shown]
	s_waitcnt vmcnt(24)
	v_fma_f64 v[67:68], v[85:86], v[69:70], v[67:68]
	s_waitcnt vmcnt(22) lgkmcnt(0)
	v_fma_f64 v[67:68], v[87:88], v[71:72], v[67:68]
	s_waitcnt vmcnt(17)
	v_fma_f64 v[85:86], v[89:90], v[73:74], v[67:68]
	ds_read_b128 v[67:70], v66 offset:432
	buffer_load_dword v87, off, s[0:3], 0 offset:104
	buffer_load_dword v88, off, s[0:3], 0 offset:108
	ds_read_b128 v[71:74], v66 offset:448
	s_waitcnt vmcnt(18) lgkmcnt(1)
	v_fma_f64 v[67:68], v[95:96], v[67:68], v[85:86]
	s_waitcnt vmcnt(17)
	v_fma_f64 v[67:68], v[93:94], v[69:70], v[67:68]
	s_waitcnt vmcnt(16) lgkmcnt(0)
	v_fma_f64 v[67:68], v[91:92], v[71:72], v[67:68]
	s_waitcnt vmcnt(11)
	v_fma_f64 v[75:76], v[75:76], v[73:74], v[67:68]
	ds_read_b128 v[67:70], v66 offset:464
	ds_read_b128 v[71:74], v66 offset:480
	s_waitcnt vmcnt(10) lgkmcnt(1)
	v_fma_f64 v[67:68], v[99:100], v[67:68], v[75:76]
	s_waitcnt vmcnt(9)
	v_fma_f64 v[67:68], v[97:98], v[69:70], v[67:68]
	s_waitcnt vmcnt(8) lgkmcnt(0)
	v_fma_f64 v[67:68], v[77:78], v[71:72], v[67:68]
	s_waitcnt vmcnt(4)
	v_fma_f64 v[70:71], v[79:80], v[73:74], v[67:68]
	ds_read_b128 v[66:69], v66 offset:496
	s_waitcnt vmcnt(3) lgkmcnt(0)
	v_fma_f64 v[66:67], v[83:84], v[66:67], v[70:71]
	s_waitcnt vmcnt(2)
	v_fma_f64 v[66:67], v[81:82], v[68:69], v[66:67]
	s_waitcnt vmcnt(0)
	v_add_f64 v[66:67], v[87:88], -v[66:67]
	buffer_store_dword v67, off, s[0:3], 0 offset:108
	buffer_store_dword v66, off, s[0:3], 0 offset:104
	s_and_saveexec_b64 s[4:5], vcc
	s_cbranch_execz .LBB31_175
; %bb.174:
	buffer_load_dword v66, off, s[0:3], 0 offset:96
	buffer_load_dword v67, off, s[0:3], 0 offset:100
	v_mov_b32_e32 v68, 0
	buffer_store_dword v68, off, s[0:3], 0 offset:96
	buffer_store_dword v68, off, s[0:3], 0 offset:100
	s_waitcnt vmcnt(2)
	ds_write_b64 v65, v[66:67]
.LBB31_175:
	s_or_b64 exec, exec, s[4:5]
	s_waitcnt lgkmcnt(0)
	; wave barrier
	buffer_load_dword v75, off, s[0:3], 0 offset:104
	buffer_load_dword v76, off, s[0:3], 0 offset:108
	;; [unrolled: 1-line block ×22, first 2 shown]
	v_mov_b32_e32 v66, 0
	ds_read2_b64 v[67:70], v66 offset0:45 offset1:46
	ds_read2_b64 v[71:74], v66 offset0:47 offset1:48
	v_cmp_lt_u32_e32 vcc, 11, v0
	s_waitcnt vmcnt(20) lgkmcnt(1)
	v_fma_f64 v[67:68], v[75:76], v[67:68], 0
	s_waitcnt vmcnt(18)
	v_fma_f64 v[67:68], v[77:78], v[69:70], v[67:68]
	buffer_load_dword v76, off, s[0:3], 0 offset:196
	buffer_load_dword v77, off, s[0:3], 0 offset:216
	buffer_load_dword v97, off, s[0:3], 0 offset:208
	buffer_load_dword v99, off, s[0:3], 0 offset:200
	buffer_load_dword v75, off, s[0:3], 0 offset:192
	buffer_load_dword v100, off, s[0:3], 0 offset:204
	buffer_load_dword v98, off, s[0:3], 0 offset:212
	s_waitcnt vmcnt(23) lgkmcnt(0)
	v_fma_f64 v[67:68], v[79:80], v[71:72], v[67:68]
	s_waitcnt vmcnt(21)
	v_fma_f64 v[78:79], v[81:82], v[73:74], v[67:68]
	ds_read2_b64 v[67:70], v66 offset0:49 offset1:50
	ds_read2_b64 v[71:74], v66 offset0:51 offset1:52
	s_waitcnt vmcnt(19) lgkmcnt(1)
	v_fma_f64 v[67:68], v[83:84], v[67:68], v[78:79]
	buffer_load_dword v78, off, s[0:3], 0 offset:220
	s_waitcnt vmcnt(18)
	v_fma_f64 v[67:68], v[85:86], v[69:70], v[67:68]
	buffer_load_dword v80, off, s[0:3], 0 offset:228
	buffer_load_dword v81, off, s[0:3], 0 offset:248
	;; [unrolled: 1-line block ×8, first 2 shown]
	s_waitcnt vmcnt(24) lgkmcnt(0)
	v_fma_f64 v[67:68], v[87:88], v[71:72], v[67:68]
	s_waitcnt vmcnt(19)
	v_fma_f64 v[87:88], v[89:90], v[73:74], v[67:68]
	ds_read2_b64 v[67:70], v66 offset0:53 offset1:54
	ds_read2_b64 v[71:74], v66 offset0:55 offset1:56
	s_waitcnt vmcnt(18) lgkmcnt(1)
	v_fma_f64 v[67:68], v[95:96], v[67:68], v[87:88]
	buffer_load_dword v87, off, s[0:3], 0 offset:96
	buffer_load_dword v88, off, s[0:3], 0 offset:100
	s_waitcnt vmcnt(19)
	v_fma_f64 v[67:68], v[93:94], v[69:70], v[67:68]
	s_waitcnt vmcnt(18) lgkmcnt(0)
	v_fma_f64 v[67:68], v[91:92], v[71:72], v[67:68]
	s_waitcnt vmcnt(13)
	v_fma_f64 v[75:76], v[75:76], v[73:74], v[67:68]
	ds_read2_b64 v[67:70], v66 offset0:57 offset1:58
	ds_read2_b64 v[71:74], v66 offset0:59 offset1:60
	s_waitcnt vmcnt(12) lgkmcnt(1)
	v_fma_f64 v[67:68], v[99:100], v[67:68], v[75:76]
	s_waitcnt vmcnt(11)
	v_fma_f64 v[67:68], v[97:98], v[69:70], v[67:68]
	s_waitcnt vmcnt(10) lgkmcnt(0)
	v_fma_f64 v[67:68], v[77:78], v[71:72], v[67:68]
	s_waitcnt vmcnt(5)
	v_fma_f64 v[71:72], v[79:80], v[73:74], v[67:68]
	ds_read2_b64 v[67:70], v66 offset0:61 offset1:62
	ds_read_b64 v[73:74], v66 offset:504
	s_waitcnt vmcnt(4) lgkmcnt(1)
	v_fma_f64 v[67:68], v[85:86], v[67:68], v[71:72]
	s_waitcnt vmcnt(3)
	v_fma_f64 v[67:68], v[83:84], v[69:70], v[67:68]
	s_waitcnt vmcnt(2) lgkmcnt(0)
	v_fma_f64 v[67:68], v[81:82], v[73:74], v[67:68]
	s_waitcnt vmcnt(0)
	v_add_f64 v[67:68], v[87:88], -v[67:68]
	buffer_store_dword v68, off, s[0:3], 0 offset:100
	buffer_store_dword v67, off, s[0:3], 0 offset:96
	s_and_saveexec_b64 s[4:5], vcc
	s_cbranch_execz .LBB31_177
; %bb.176:
	buffer_load_dword v67, off, s[0:3], 0 offset:88
	buffer_load_dword v68, off, s[0:3], 0 offset:92
	s_waitcnt vmcnt(0)
	ds_write_b64 v65, v[67:68]
	buffer_store_dword v66, off, s[0:3], 0 offset:88
	buffer_store_dword v66, off, s[0:3], 0 offset:92
.LBB31_177:
	s_or_b64 exec, exec, s[4:5]
	s_waitcnt lgkmcnt(0)
	; wave barrier
	buffer_load_dword v75, off, s[0:3], 0 offset:96
	buffer_load_dword v76, off, s[0:3], 0 offset:100
	;; [unrolled: 1-line block ×22, first 2 shown]
	ds_read_b128 v[67:70], v66 offset:352
	ds_read_b128 v[71:74], v66 offset:368
	v_cmp_lt_u32_e32 vcc, 10, v0
	s_waitcnt vmcnt(20) lgkmcnt(1)
	v_fma_f64 v[67:68], v[75:76], v[67:68], 0
	s_waitcnt vmcnt(18)
	v_fma_f64 v[67:68], v[77:78], v[69:70], v[67:68]
	buffer_load_dword v76, off, s[0:3], 0 offset:188
	buffer_load_dword v77, off, s[0:3], 0 offset:208
	;; [unrolled: 1-line block ×7, first 2 shown]
	s_waitcnt vmcnt(23) lgkmcnt(0)
	v_fma_f64 v[67:68], v[79:80], v[71:72], v[67:68]
	s_waitcnt vmcnt(21)
	v_fma_f64 v[78:79], v[81:82], v[73:74], v[67:68]
	ds_read_b128 v[67:70], v66 offset:384
	ds_read_b128 v[71:74], v66 offset:400
	s_waitcnt vmcnt(19) lgkmcnt(1)
	v_fma_f64 v[67:68], v[83:84], v[67:68], v[78:79]
	buffer_load_dword v78, off, s[0:3], 0 offset:212
	s_waitcnt vmcnt(18)
	v_fma_f64 v[67:68], v[85:86], v[69:70], v[67:68]
	buffer_load_dword v80, off, s[0:3], 0 offset:220
	buffer_load_dword v81, off, s[0:3], 0 offset:240
	;; [unrolled: 1-line block ×8, first 2 shown]
	s_waitcnt vmcnt(24) lgkmcnt(0)
	v_fma_f64 v[67:68], v[87:88], v[71:72], v[67:68]
	s_waitcnt vmcnt(19)
	v_fma_f64 v[87:88], v[89:90], v[73:74], v[67:68]
	ds_read_b128 v[67:70], v66 offset:416
	ds_read_b128 v[71:74], v66 offset:432
	s_waitcnt vmcnt(18) lgkmcnt(1)
	v_fma_f64 v[67:68], v[95:96], v[67:68], v[87:88]
	buffer_load_dword v88, off, s[0:3], 0 offset:252
	buffer_load_dword v87, off, s[0:3], 0 offset:248
	;; [unrolled: 1-line block ×4, first 2 shown]
	s_waitcnt vmcnt(21)
	v_fma_f64 v[67:68], v[93:94], v[69:70], v[67:68]
	s_waitcnt vmcnt(20) lgkmcnt(0)
	v_fma_f64 v[67:68], v[91:92], v[71:72], v[67:68]
	s_waitcnt vmcnt(15)
	v_fma_f64 v[75:76], v[75:76], v[73:74], v[67:68]
	ds_read_b128 v[67:70], v66 offset:448
	ds_read_b128 v[71:74], v66 offset:464
	s_waitcnt vmcnt(14) lgkmcnt(1)
	v_fma_f64 v[67:68], v[99:100], v[67:68], v[75:76]
	s_waitcnt vmcnt(13)
	v_fma_f64 v[67:68], v[97:98], v[69:70], v[67:68]
	s_waitcnt vmcnt(12) lgkmcnt(0)
	v_fma_f64 v[67:68], v[77:78], v[71:72], v[67:68]
	s_waitcnt vmcnt(7)
	v_fma_f64 v[75:76], v[79:80], v[73:74], v[67:68]
	ds_read_b128 v[67:70], v66 offset:480
	ds_read_b128 v[71:74], v66 offset:496
	s_waitcnt vmcnt(6) lgkmcnt(1)
	v_fma_f64 v[66:67], v[85:86], v[67:68], v[75:76]
	s_waitcnt vmcnt(5)
	v_fma_f64 v[66:67], v[83:84], v[69:70], v[66:67]
	s_waitcnt vmcnt(4) lgkmcnt(0)
	v_fma_f64 v[66:67], v[81:82], v[71:72], v[66:67]
	s_waitcnt vmcnt(2)
	v_fma_f64 v[66:67], v[87:88], v[73:74], v[66:67]
	s_waitcnt vmcnt(0)
	v_add_f64 v[66:67], v[89:90], -v[66:67]
	buffer_store_dword v67, off, s[0:3], 0 offset:92
	buffer_store_dword v66, off, s[0:3], 0 offset:88
	s_and_saveexec_b64 s[4:5], vcc
	s_cbranch_execz .LBB31_179
; %bb.178:
	buffer_load_dword v66, off, s[0:3], 0 offset:80
	buffer_load_dword v67, off, s[0:3], 0 offset:84
	v_mov_b32_e32 v68, 0
	buffer_store_dword v68, off, s[0:3], 0 offset:80
	buffer_store_dword v68, off, s[0:3], 0 offset:84
	s_waitcnt vmcnt(2)
	ds_write_b64 v65, v[66:67]
.LBB31_179:
	s_or_b64 exec, exec, s[4:5]
	s_waitcnt lgkmcnt(0)
	; wave barrier
	buffer_load_dword v75, off, s[0:3], 0 offset:88
	buffer_load_dword v76, off, s[0:3], 0 offset:92
	buffer_load_dword v77, off, s[0:3], 0 offset:96
	buffer_load_dword v78, off, s[0:3], 0 offset:100
	buffer_load_dword v79, off, s[0:3], 0 offset:104
	buffer_load_dword v80, off, s[0:3], 0 offset:108
	buffer_load_dword v81, off, s[0:3], 0 offset:112
	buffer_load_dword v82, off, s[0:3], 0 offset:116
	buffer_load_dword v83, off, s[0:3], 0 offset:120
	buffer_load_dword v84, off, s[0:3], 0 offset:124
	buffer_load_dword v85, off, s[0:3], 0 offset:128
	buffer_load_dword v86, off, s[0:3], 0 offset:132
	buffer_load_dword v87, off, s[0:3], 0 offset:136
	buffer_load_dword v88, off, s[0:3], 0 offset:140
	buffer_load_dword v90, off, s[0:3], 0 offset:148
	buffer_load_dword v91, off, s[0:3], 0 offset:168
	buffer_load_dword v93, off, s[0:3], 0 offset:160
	buffer_load_dword v95, off, s[0:3], 0 offset:152
	buffer_load_dword v89, off, s[0:3], 0 offset:144
	buffer_load_dword v96, off, s[0:3], 0 offset:156
	buffer_load_dword v94, off, s[0:3], 0 offset:164
	v_mov_b32_e32 v66, 0
	ds_read2_b64 v[67:70], v66 offset0:43 offset1:44
	ds_read2_b64 v[71:74], v66 offset0:45 offset1:46
	buffer_load_dword v92, off, s[0:3], 0 offset:172
	v_cmp_lt_u32_e32 vcc, 9, v0
	s_waitcnt vmcnt(20) lgkmcnt(1)
	v_fma_f64 v[67:68], v[75:76], v[67:68], 0
	s_waitcnt vmcnt(18)
	v_fma_f64 v[67:68], v[77:78], v[69:70], v[67:68]
	buffer_load_dword v76, off, s[0:3], 0 offset:180
	buffer_load_dword v77, off, s[0:3], 0 offset:200
	;; [unrolled: 1-line block ×7, first 2 shown]
	s_waitcnt vmcnt(23) lgkmcnt(0)
	v_fma_f64 v[67:68], v[79:80], v[71:72], v[67:68]
	s_waitcnt vmcnt(21)
	v_fma_f64 v[78:79], v[81:82], v[73:74], v[67:68]
	ds_read2_b64 v[67:70], v66 offset0:47 offset1:48
	ds_read2_b64 v[71:74], v66 offset0:49 offset1:50
	s_waitcnt vmcnt(19) lgkmcnt(1)
	v_fma_f64 v[67:68], v[83:84], v[67:68], v[78:79]
	buffer_load_dword v78, off, s[0:3], 0 offset:204
	s_waitcnt vmcnt(18)
	v_fma_f64 v[67:68], v[85:86], v[69:70], v[67:68]
	buffer_load_dword v80, off, s[0:3], 0 offset:212
	buffer_load_dword v81, off, s[0:3], 0 offset:232
	;; [unrolled: 1-line block ×7, first 2 shown]
	s_waitcnt vmcnt(23) lgkmcnt(0)
	v_fma_f64 v[67:68], v[87:88], v[71:72], v[67:68]
	s_waitcnt vmcnt(18)
	v_fma_f64 v[87:88], v[89:90], v[73:74], v[67:68]
	ds_read2_b64 v[67:70], v66 offset0:51 offset1:52
	ds_read2_b64 v[71:74], v66 offset0:53 offset1:54
	buffer_load_dword v82, off, s[0:3], 0 offset:236
	s_waitcnt vmcnt(18) lgkmcnt(1)
	v_fma_f64 v[67:68], v[95:96], v[67:68], v[87:88]
	buffer_load_dword v88, off, s[0:3], 0 offset:244
	buffer_load_dword v89, off, s[0:3], 0 offset:248
	;; [unrolled: 1-line block ×4, first 2 shown]
	s_waitcnt vmcnt(21)
	v_fma_f64 v[67:68], v[93:94], v[69:70], v[67:68]
	s_waitcnt vmcnt(20) lgkmcnt(0)
	v_fma_f64 v[67:68], v[91:92], v[71:72], v[67:68]
	buffer_load_dword v91, off, s[0:3], 0 offset:80
	buffer_load_dword v92, off, s[0:3], 0 offset:84
	s_waitcnt vmcnt(17)
	v_fma_f64 v[75:76], v[75:76], v[73:74], v[67:68]
	ds_read2_b64 v[67:70], v66 offset0:55 offset1:56
	ds_read2_b64 v[71:74], v66 offset0:57 offset1:58
	s_waitcnt vmcnt(16) lgkmcnt(1)
	v_fma_f64 v[67:68], v[99:100], v[67:68], v[75:76]
	s_waitcnt vmcnt(15)
	v_fma_f64 v[67:68], v[97:98], v[69:70], v[67:68]
	s_waitcnt vmcnt(14) lgkmcnt(0)
	v_fma_f64 v[67:68], v[77:78], v[71:72], v[67:68]
	s_waitcnt vmcnt(9)
	v_fma_f64 v[75:76], v[79:80], v[73:74], v[67:68]
	ds_read2_b64 v[67:70], v66 offset0:59 offset1:60
	ds_read2_b64 v[71:74], v66 offset0:61 offset1:62
	s_waitcnt vmcnt(8) lgkmcnt(1)
	v_fma_f64 v[67:68], v[85:86], v[67:68], v[75:76]
	s_waitcnt vmcnt(7)
	v_fma_f64 v[67:68], v[83:84], v[69:70], v[67:68]
	ds_read_b64 v[69:70], v66 offset:504
	s_waitcnt vmcnt(6) lgkmcnt(1)
	v_fma_f64 v[67:68], v[81:82], v[71:72], v[67:68]
	s_waitcnt vmcnt(3)
	v_fma_f64 v[67:68], v[87:88], v[73:74], v[67:68]
	s_waitcnt vmcnt(2) lgkmcnt(0)
	v_fma_f64 v[67:68], v[89:90], v[69:70], v[67:68]
	s_waitcnt vmcnt(0)
	v_add_f64 v[67:68], v[91:92], -v[67:68]
	buffer_store_dword v68, off, s[0:3], 0 offset:84
	buffer_store_dword v67, off, s[0:3], 0 offset:80
	s_and_saveexec_b64 s[4:5], vcc
	s_cbranch_execz .LBB31_181
; %bb.180:
	buffer_load_dword v67, off, s[0:3], 0 offset:72
	buffer_load_dword v68, off, s[0:3], 0 offset:76
	s_waitcnt vmcnt(0)
	ds_write_b64 v65, v[67:68]
	buffer_store_dword v66, off, s[0:3], 0 offset:72
	buffer_store_dword v66, off, s[0:3], 0 offset:76
.LBB31_181:
	s_or_b64 exec, exec, s[4:5]
	s_waitcnt lgkmcnt(0)
	; wave barrier
	buffer_load_dword v75, off, s[0:3], 0 offset:80
	buffer_load_dword v76, off, s[0:3], 0 offset:84
	buffer_load_dword v77, off, s[0:3], 0 offset:88
	buffer_load_dword v78, off, s[0:3], 0 offset:92
	buffer_load_dword v79, off, s[0:3], 0 offset:96
	buffer_load_dword v80, off, s[0:3], 0 offset:100
	buffer_load_dword v81, off, s[0:3], 0 offset:104
	buffer_load_dword v82, off, s[0:3], 0 offset:108
	buffer_load_dword v83, off, s[0:3], 0 offset:112
	buffer_load_dword v84, off, s[0:3], 0 offset:116
	buffer_load_dword v85, off, s[0:3], 0 offset:120
	buffer_load_dword v86, off, s[0:3], 0 offset:124
	buffer_load_dword v87, off, s[0:3], 0 offset:128
	buffer_load_dword v88, off, s[0:3], 0 offset:132
	buffer_load_dword v90, off, s[0:3], 0 offset:140
	buffer_load_dword v91, off, s[0:3], 0 offset:160
	buffer_load_dword v93, off, s[0:3], 0 offset:152
	buffer_load_dword v95, off, s[0:3], 0 offset:144
	buffer_load_dword v89, off, s[0:3], 0 offset:136
	buffer_load_dword v96, off, s[0:3], 0 offset:148
	buffer_load_dword v94, off, s[0:3], 0 offset:156
	ds_read_b128 v[67:70], v66 offset:336
	ds_read_b128 v[71:74], v66 offset:352
	buffer_load_dword v92, off, s[0:3], 0 offset:164
	v_cmp_lt_u32_e32 vcc, 8, v0
	s_waitcnt vmcnt(20) lgkmcnt(1)
	v_fma_f64 v[67:68], v[75:76], v[67:68], 0
	s_waitcnt vmcnt(18)
	v_fma_f64 v[67:68], v[77:78], v[69:70], v[67:68]
	buffer_load_dword v76, off, s[0:3], 0 offset:172
	buffer_load_dword v77, off, s[0:3], 0 offset:192
	;; [unrolled: 1-line block ×7, first 2 shown]
	s_waitcnt vmcnt(23) lgkmcnt(0)
	v_fma_f64 v[67:68], v[79:80], v[71:72], v[67:68]
	s_waitcnt vmcnt(21)
	v_fma_f64 v[78:79], v[81:82], v[73:74], v[67:68]
	ds_read_b128 v[67:70], v66 offset:368
	ds_read_b128 v[71:74], v66 offset:384
	s_waitcnt vmcnt(19) lgkmcnt(1)
	v_fma_f64 v[67:68], v[83:84], v[67:68], v[78:79]
	buffer_load_dword v78, off, s[0:3], 0 offset:196
	s_waitcnt vmcnt(18)
	v_fma_f64 v[67:68], v[85:86], v[69:70], v[67:68]
	buffer_load_dword v80, off, s[0:3], 0 offset:204
	buffer_load_dword v81, off, s[0:3], 0 offset:224
	;; [unrolled: 1-line block ×8, first 2 shown]
	s_waitcnt vmcnt(24) lgkmcnt(0)
	v_fma_f64 v[67:68], v[87:88], v[71:72], v[67:68]
	s_waitcnt vmcnt(19)
	v_fma_f64 v[87:88], v[89:90], v[73:74], v[67:68]
	ds_read_b128 v[67:70], v66 offset:400
	ds_read_b128 v[71:74], v66 offset:416
	s_waitcnt vmcnt(18) lgkmcnt(1)
	v_fma_f64 v[67:68], v[95:96], v[67:68], v[87:88]
	s_waitcnt vmcnt(17)
	v_fma_f64 v[67:68], v[93:94], v[69:70], v[67:68]
	buffer_load_dword v88, off, s[0:3], 0 offset:236
	buffer_load_dword v89, off, s[0:3], 0 offset:248
	;; [unrolled: 1-line block ×6, first 2 shown]
	s_waitcnt vmcnt(22) lgkmcnt(0)
	v_fma_f64 v[67:68], v[91:92], v[71:72], v[67:68]
	s_waitcnt vmcnt(17)
	v_fma_f64 v[75:76], v[75:76], v[73:74], v[67:68]
	ds_read_b128 v[67:70], v66 offset:432
	buffer_load_dword v91, off, s[0:3], 0 offset:72
	buffer_load_dword v92, off, s[0:3], 0 offset:76
	ds_read_b128 v[71:74], v66 offset:448
	s_waitcnt vmcnt(18) lgkmcnt(1)
	v_fma_f64 v[67:68], v[99:100], v[67:68], v[75:76]
	s_waitcnt vmcnt(17)
	v_fma_f64 v[67:68], v[97:98], v[69:70], v[67:68]
	s_waitcnt vmcnt(16) lgkmcnt(0)
	v_fma_f64 v[67:68], v[77:78], v[71:72], v[67:68]
	s_waitcnt vmcnt(11)
	v_fma_f64 v[75:76], v[79:80], v[73:74], v[67:68]
	ds_read_b128 v[67:70], v66 offset:464
	ds_read_b128 v[71:74], v66 offset:480
	s_waitcnt vmcnt(10) lgkmcnt(1)
	v_fma_f64 v[67:68], v[85:86], v[67:68], v[75:76]
	s_waitcnt vmcnt(9)
	v_fma_f64 v[67:68], v[83:84], v[69:70], v[67:68]
	s_waitcnt vmcnt(8) lgkmcnt(0)
	v_fma_f64 v[67:68], v[81:82], v[71:72], v[67:68]
	s_waitcnt vmcnt(4)
	v_fma_f64 v[70:71], v[87:88], v[73:74], v[67:68]
	ds_read_b128 v[66:69], v66 offset:496
	s_waitcnt vmcnt(3) lgkmcnt(0)
	v_fma_f64 v[66:67], v[93:94], v[66:67], v[70:71]
	s_waitcnt vmcnt(2)
	v_fma_f64 v[66:67], v[89:90], v[68:69], v[66:67]
	s_waitcnt vmcnt(0)
	v_add_f64 v[66:67], v[91:92], -v[66:67]
	buffer_store_dword v67, off, s[0:3], 0 offset:76
	buffer_store_dword v66, off, s[0:3], 0 offset:72
	s_and_saveexec_b64 s[4:5], vcc
	s_cbranch_execz .LBB31_183
; %bb.182:
	buffer_load_dword v66, off, s[0:3], 0 offset:64
	buffer_load_dword v67, off, s[0:3], 0 offset:68
	v_mov_b32_e32 v68, 0
	buffer_store_dword v68, off, s[0:3], 0 offset:64
	buffer_store_dword v68, off, s[0:3], 0 offset:68
	s_waitcnt vmcnt(2)
	ds_write_b64 v65, v[66:67]
.LBB31_183:
	s_or_b64 exec, exec, s[4:5]
	s_waitcnt lgkmcnt(0)
	; wave barrier
	buffer_load_dword v75, off, s[0:3], 0 offset:72
	buffer_load_dword v76, off, s[0:3], 0 offset:76
	;; [unrolled: 1-line block ×21, first 2 shown]
	v_mov_b32_e32 v66, 0
	ds_read2_b64 v[67:70], v66 offset0:41 offset1:42
	ds_read2_b64 v[71:74], v66 offset0:43 offset1:44
	buffer_load_dword v92, off, s[0:3], 0 offset:156
	v_cmp_lt_u32_e32 vcc, 7, v0
	s_waitcnt vmcnt(20) lgkmcnt(1)
	v_fma_f64 v[67:68], v[75:76], v[67:68], 0
	s_waitcnt vmcnt(18)
	v_fma_f64 v[67:68], v[77:78], v[69:70], v[67:68]
	buffer_load_dword v76, off, s[0:3], 0 offset:164
	buffer_load_dword v77, off, s[0:3], 0 offset:184
	;; [unrolled: 1-line block ×7, first 2 shown]
	s_waitcnt vmcnt(23) lgkmcnt(0)
	v_fma_f64 v[67:68], v[79:80], v[71:72], v[67:68]
	s_waitcnt vmcnt(21)
	v_fma_f64 v[78:79], v[81:82], v[73:74], v[67:68]
	ds_read2_b64 v[67:70], v66 offset0:45 offset1:46
	ds_read2_b64 v[71:74], v66 offset0:47 offset1:48
	s_waitcnt vmcnt(19) lgkmcnt(1)
	v_fma_f64 v[67:68], v[83:84], v[67:68], v[78:79]
	buffer_load_dword v78, off, s[0:3], 0 offset:188
	s_waitcnt vmcnt(18)
	v_fma_f64 v[67:68], v[85:86], v[69:70], v[67:68]
	buffer_load_dword v80, off, s[0:3], 0 offset:196
	buffer_load_dword v81, off, s[0:3], 0 offset:216
	;; [unrolled: 1-line block ×8, first 2 shown]
	s_waitcnt vmcnt(24) lgkmcnt(0)
	v_fma_f64 v[67:68], v[87:88], v[71:72], v[67:68]
	s_waitcnt vmcnt(19)
	v_fma_f64 v[87:88], v[89:90], v[73:74], v[67:68]
	ds_read2_b64 v[67:70], v66 offset0:49 offset1:50
	ds_read2_b64 v[71:74], v66 offset0:51 offset1:52
	s_waitcnt vmcnt(18) lgkmcnt(1)
	v_fma_f64 v[67:68], v[95:96], v[67:68], v[87:88]
	s_waitcnt vmcnt(17)
	v_fma_f64 v[67:68], v[93:94], v[69:70], v[67:68]
	buffer_load_dword v88, off, s[0:3], 0 offset:228
	buffer_load_dword v89, off, s[0:3], 0 offset:248
	;; [unrolled: 1-line block ×8, first 2 shown]
	s_waitcnt vmcnt(24) lgkmcnt(0)
	v_fma_f64 v[67:68], v[91:92], v[71:72], v[67:68]
	s_waitcnt vmcnt(19)
	v_fma_f64 v[75:76], v[75:76], v[73:74], v[67:68]
	ds_read2_b64 v[67:70], v66 offset0:53 offset1:54
	ds_read2_b64 v[71:74], v66 offset0:55 offset1:56
	s_waitcnt vmcnt(18) lgkmcnt(1)
	v_fma_f64 v[67:68], v[99:100], v[67:68], v[75:76]
	buffer_load_dword v75, off, s[0:3], 0 offset:64
	buffer_load_dword v76, off, s[0:3], 0 offset:68
	s_waitcnt vmcnt(19)
	v_fma_f64 v[67:68], v[97:98], v[69:70], v[67:68]
	s_waitcnt vmcnt(18) lgkmcnt(0)
	v_fma_f64 v[67:68], v[77:78], v[71:72], v[67:68]
	s_waitcnt vmcnt(13)
	v_fma_f64 v[77:78], v[79:80], v[73:74], v[67:68]
	ds_read2_b64 v[67:70], v66 offset0:57 offset1:58
	ds_read2_b64 v[71:74], v66 offset0:59 offset1:60
	s_waitcnt vmcnt(12) lgkmcnt(1)
	v_fma_f64 v[67:68], v[85:86], v[67:68], v[77:78]
	s_waitcnt vmcnt(11)
	v_fma_f64 v[67:68], v[83:84], v[69:70], v[67:68]
	s_waitcnt vmcnt(10) lgkmcnt(0)
	v_fma_f64 v[67:68], v[81:82], v[71:72], v[67:68]
	s_waitcnt vmcnt(5)
	v_fma_f64 v[71:72], v[87:88], v[73:74], v[67:68]
	ds_read2_b64 v[67:70], v66 offset0:61 offset1:62
	ds_read_b64 v[73:74], v66 offset:504
	s_waitcnt vmcnt(4) lgkmcnt(1)
	v_fma_f64 v[67:68], v[95:96], v[67:68], v[71:72]
	s_waitcnt vmcnt(3)
	v_fma_f64 v[67:68], v[93:94], v[69:70], v[67:68]
	s_waitcnt vmcnt(2) lgkmcnt(0)
	v_fma_f64 v[67:68], v[89:90], v[73:74], v[67:68]
	s_waitcnt vmcnt(0)
	v_add_f64 v[67:68], v[75:76], -v[67:68]
	buffer_store_dword v68, off, s[0:3], 0 offset:68
	buffer_store_dword v67, off, s[0:3], 0 offset:64
	s_and_saveexec_b64 s[4:5], vcc
	s_cbranch_execz .LBB31_185
; %bb.184:
	buffer_load_dword v67, off, s[0:3], 0 offset:56
	buffer_load_dword v68, off, s[0:3], 0 offset:60
	s_waitcnt vmcnt(0)
	ds_write_b64 v65, v[67:68]
	buffer_store_dword v66, off, s[0:3], 0 offset:56
	buffer_store_dword v66, off, s[0:3], 0 offset:60
.LBB31_185:
	s_or_b64 exec, exec, s[4:5]
	s_waitcnt lgkmcnt(0)
	; wave barrier
	buffer_load_dword v75, off, s[0:3], 0 offset:64
	buffer_load_dword v76, off, s[0:3], 0 offset:68
	;; [unrolled: 1-line block ×21, first 2 shown]
	ds_read_b128 v[67:70], v66 offset:320
	ds_read_b128 v[71:74], v66 offset:336
	buffer_load_dword v92, off, s[0:3], 0 offset:148
	v_cmp_lt_u32_e32 vcc, 6, v0
	s_waitcnt vmcnt(20) lgkmcnt(1)
	v_fma_f64 v[67:68], v[75:76], v[67:68], 0
	s_waitcnt vmcnt(18)
	v_fma_f64 v[67:68], v[77:78], v[69:70], v[67:68]
	buffer_load_dword v76, off, s[0:3], 0 offset:156
	buffer_load_dword v77, off, s[0:3], 0 offset:176
	;; [unrolled: 1-line block ×7, first 2 shown]
	s_waitcnt vmcnt(23) lgkmcnt(0)
	v_fma_f64 v[67:68], v[79:80], v[71:72], v[67:68]
	s_waitcnt vmcnt(21)
	v_fma_f64 v[78:79], v[81:82], v[73:74], v[67:68]
	ds_read_b128 v[67:70], v66 offset:352
	ds_read_b128 v[71:74], v66 offset:368
	s_waitcnt vmcnt(19) lgkmcnt(1)
	v_fma_f64 v[67:68], v[83:84], v[67:68], v[78:79]
	buffer_load_dword v78, off, s[0:3], 0 offset:180
	s_waitcnt vmcnt(18)
	v_fma_f64 v[67:68], v[85:86], v[69:70], v[67:68]
	buffer_load_dword v80, off, s[0:3], 0 offset:188
	buffer_load_dword v81, off, s[0:3], 0 offset:208
	;; [unrolled: 1-line block ×8, first 2 shown]
	s_waitcnt vmcnt(24) lgkmcnt(0)
	v_fma_f64 v[67:68], v[87:88], v[71:72], v[67:68]
	s_waitcnt vmcnt(19)
	v_fma_f64 v[87:88], v[89:90], v[73:74], v[67:68]
	ds_read_b128 v[67:70], v66 offset:384
	ds_read_b128 v[71:74], v66 offset:400
	s_waitcnt vmcnt(18) lgkmcnt(1)
	v_fma_f64 v[67:68], v[95:96], v[67:68], v[87:88]
	s_waitcnt vmcnt(17)
	v_fma_f64 v[67:68], v[93:94], v[69:70], v[67:68]
	buffer_load_dword v88, off, s[0:3], 0 offset:220
	buffer_load_dword v89, off, s[0:3], 0 offset:240
	;; [unrolled: 1-line block ×8, first 2 shown]
	s_waitcnt vmcnt(24) lgkmcnt(0)
	v_fma_f64 v[67:68], v[91:92], v[71:72], v[67:68]
	s_waitcnt vmcnt(19)
	v_fma_f64 v[75:76], v[75:76], v[73:74], v[67:68]
	ds_read_b128 v[67:70], v66 offset:416
	ds_read_b128 v[71:74], v66 offset:432
	s_waitcnt vmcnt(18) lgkmcnt(1)
	v_fma_f64 v[67:68], v[99:100], v[67:68], v[75:76]
	buffer_load_dword v76, off, s[0:3], 0 offset:252
	buffer_load_dword v75, off, s[0:3], 0 offset:248
	;; [unrolled: 1-line block ×4, first 2 shown]
	s_waitcnt vmcnt(21)
	v_fma_f64 v[67:68], v[97:98], v[69:70], v[67:68]
	s_waitcnt vmcnt(20) lgkmcnt(0)
	v_fma_f64 v[67:68], v[77:78], v[71:72], v[67:68]
	s_waitcnt vmcnt(15)
	v_fma_f64 v[77:78], v[79:80], v[73:74], v[67:68]
	ds_read_b128 v[67:70], v66 offset:448
	ds_read_b128 v[71:74], v66 offset:464
	s_waitcnt vmcnt(14) lgkmcnt(1)
	v_fma_f64 v[67:68], v[85:86], v[67:68], v[77:78]
	s_waitcnt vmcnt(13)
	v_fma_f64 v[67:68], v[83:84], v[69:70], v[67:68]
	s_waitcnt vmcnt(12) lgkmcnt(0)
	v_fma_f64 v[67:68], v[81:82], v[71:72], v[67:68]
	s_waitcnt vmcnt(7)
	v_fma_f64 v[77:78], v[87:88], v[73:74], v[67:68]
	ds_read_b128 v[67:70], v66 offset:480
	ds_read_b128 v[71:74], v66 offset:496
	s_waitcnt vmcnt(6) lgkmcnt(1)
	v_fma_f64 v[66:67], v[95:96], v[67:68], v[77:78]
	s_waitcnt vmcnt(5)
	v_fma_f64 v[66:67], v[93:94], v[69:70], v[66:67]
	s_waitcnt vmcnt(4) lgkmcnt(0)
	v_fma_f64 v[66:67], v[89:90], v[71:72], v[66:67]
	s_waitcnt vmcnt(2)
	v_fma_f64 v[66:67], v[75:76], v[73:74], v[66:67]
	s_waitcnt vmcnt(0)
	v_add_f64 v[66:67], v[91:92], -v[66:67]
	buffer_store_dword v67, off, s[0:3], 0 offset:60
	buffer_store_dword v66, off, s[0:3], 0 offset:56
	s_and_saveexec_b64 s[4:5], vcc
	s_cbranch_execz .LBB31_187
; %bb.186:
	buffer_load_dword v66, off, s[0:3], 0 offset:48
	buffer_load_dword v67, off, s[0:3], 0 offset:52
	v_mov_b32_e32 v68, 0
	buffer_store_dword v68, off, s[0:3], 0 offset:48
	buffer_store_dword v68, off, s[0:3], 0 offset:52
	s_waitcnt vmcnt(2)
	ds_write_b64 v65, v[66:67]
.LBB31_187:
	s_or_b64 exec, exec, s[4:5]
	s_waitcnt lgkmcnt(0)
	; wave barrier
	buffer_load_dword v75, off, s[0:3], 0 offset:56
	buffer_load_dword v76, off, s[0:3], 0 offset:60
	;; [unrolled: 1-line block ×21, first 2 shown]
	v_mov_b32_e32 v66, 0
	ds_read2_b64 v[67:70], v66 offset0:39 offset1:40
	ds_read2_b64 v[71:74], v66 offset0:41 offset1:42
	buffer_load_dword v92, off, s[0:3], 0 offset:140
	v_cmp_lt_u32_e32 vcc, 5, v0
	s_waitcnt vmcnt(20) lgkmcnt(1)
	v_fma_f64 v[67:68], v[75:76], v[67:68], 0
	s_waitcnt vmcnt(18)
	v_fma_f64 v[67:68], v[77:78], v[69:70], v[67:68]
	buffer_load_dword v76, off, s[0:3], 0 offset:148
	buffer_load_dword v77, off, s[0:3], 0 offset:168
	;; [unrolled: 1-line block ×7, first 2 shown]
	s_waitcnt vmcnt(23) lgkmcnt(0)
	v_fma_f64 v[67:68], v[79:80], v[71:72], v[67:68]
	s_waitcnt vmcnt(21)
	v_fma_f64 v[78:79], v[81:82], v[73:74], v[67:68]
	ds_read2_b64 v[67:70], v66 offset0:43 offset1:44
	ds_read2_b64 v[71:74], v66 offset0:45 offset1:46
	s_waitcnt vmcnt(19) lgkmcnt(1)
	v_fma_f64 v[67:68], v[83:84], v[67:68], v[78:79]
	buffer_load_dword v78, off, s[0:3], 0 offset:172
	s_waitcnt vmcnt(18)
	v_fma_f64 v[67:68], v[85:86], v[69:70], v[67:68]
	buffer_load_dword v80, off, s[0:3], 0 offset:180
	buffer_load_dword v81, off, s[0:3], 0 offset:200
	;; [unrolled: 1-line block ×8, first 2 shown]
	s_waitcnt vmcnt(24) lgkmcnt(0)
	v_fma_f64 v[67:68], v[87:88], v[71:72], v[67:68]
	s_waitcnt vmcnt(19)
	v_fma_f64 v[87:88], v[89:90], v[73:74], v[67:68]
	ds_read2_b64 v[67:70], v66 offset0:47 offset1:48
	ds_read2_b64 v[71:74], v66 offset0:49 offset1:50
	s_waitcnt vmcnt(18) lgkmcnt(1)
	v_fma_f64 v[67:68], v[95:96], v[67:68], v[87:88]
	s_waitcnt vmcnt(17)
	v_fma_f64 v[67:68], v[93:94], v[69:70], v[67:68]
	buffer_load_dword v88, off, s[0:3], 0 offset:212
	buffer_load_dword v89, off, s[0:3], 0 offset:232
	;; [unrolled: 1-line block ×7, first 2 shown]
	s_waitcnt vmcnt(23) lgkmcnt(0)
	v_fma_f64 v[67:68], v[91:92], v[71:72], v[67:68]
	s_waitcnt vmcnt(18)
	v_fma_f64 v[75:76], v[75:76], v[73:74], v[67:68]
	ds_read2_b64 v[67:70], v66 offset0:51 offset1:52
	ds_read2_b64 v[71:74], v66 offset0:53 offset1:54
	buffer_load_dword v90, off, s[0:3], 0 offset:236
	s_waitcnt vmcnt(18) lgkmcnt(1)
	v_fma_f64 v[67:68], v[99:100], v[67:68], v[75:76]
	buffer_load_dword v76, off, s[0:3], 0 offset:244
	buffer_load_dword v91, off, s[0:3], 0 offset:248
	;; [unrolled: 1-line block ×4, first 2 shown]
	s_waitcnt vmcnt(21)
	v_fma_f64 v[67:68], v[97:98], v[69:70], v[67:68]
	s_waitcnt vmcnt(20) lgkmcnt(0)
	v_fma_f64 v[67:68], v[77:78], v[71:72], v[67:68]
	buffer_load_dword v77, off, s[0:3], 0 offset:48
	buffer_load_dword v78, off, s[0:3], 0 offset:52
	s_waitcnt vmcnt(17)
	v_fma_f64 v[79:80], v[79:80], v[73:74], v[67:68]
	ds_read2_b64 v[67:70], v66 offset0:55 offset1:56
	ds_read2_b64 v[71:74], v66 offset0:57 offset1:58
	s_waitcnt vmcnt(16) lgkmcnt(1)
	v_fma_f64 v[67:68], v[85:86], v[67:68], v[79:80]
	s_waitcnt vmcnt(15)
	v_fma_f64 v[67:68], v[83:84], v[69:70], v[67:68]
	s_waitcnt vmcnt(14) lgkmcnt(0)
	v_fma_f64 v[67:68], v[81:82], v[71:72], v[67:68]
	s_waitcnt vmcnt(9)
	v_fma_f64 v[79:80], v[87:88], v[73:74], v[67:68]
	ds_read2_b64 v[67:70], v66 offset0:59 offset1:60
	ds_read2_b64 v[71:74], v66 offset0:61 offset1:62
	s_waitcnt vmcnt(8) lgkmcnt(1)
	v_fma_f64 v[67:68], v[95:96], v[67:68], v[79:80]
	s_waitcnt vmcnt(7)
	v_fma_f64 v[67:68], v[93:94], v[69:70], v[67:68]
	ds_read_b64 v[69:70], v66 offset:504
	s_waitcnt vmcnt(6) lgkmcnt(1)
	v_fma_f64 v[67:68], v[89:90], v[71:72], v[67:68]
	s_waitcnt vmcnt(3)
	v_fma_f64 v[67:68], v[75:76], v[73:74], v[67:68]
	s_waitcnt vmcnt(2) lgkmcnt(0)
	v_fma_f64 v[67:68], v[91:92], v[69:70], v[67:68]
	s_waitcnt vmcnt(0)
	v_add_f64 v[67:68], v[77:78], -v[67:68]
	buffer_store_dword v68, off, s[0:3], 0 offset:52
	buffer_store_dword v67, off, s[0:3], 0 offset:48
	s_and_saveexec_b64 s[4:5], vcc
	s_cbranch_execz .LBB31_189
; %bb.188:
	buffer_load_dword v67, off, s[0:3], 0 offset:40
	buffer_load_dword v68, off, s[0:3], 0 offset:44
	s_waitcnt vmcnt(0)
	ds_write_b64 v65, v[67:68]
	buffer_store_dword v66, off, s[0:3], 0 offset:40
	buffer_store_dword v66, off, s[0:3], 0 offset:44
.LBB31_189:
	s_or_b64 exec, exec, s[4:5]
	s_waitcnt lgkmcnt(0)
	; wave barrier
	buffer_load_dword v75, off, s[0:3], 0 offset:48
	buffer_load_dword v76, off, s[0:3], 0 offset:52
	buffer_load_dword v77, off, s[0:3], 0 offset:56
	buffer_load_dword v78, off, s[0:3], 0 offset:60
	buffer_load_dword v79, off, s[0:3], 0 offset:64
	buffer_load_dword v80, off, s[0:3], 0 offset:68
	buffer_load_dword v81, off, s[0:3], 0 offset:72
	buffer_load_dword v82, off, s[0:3], 0 offset:76
	buffer_load_dword v83, off, s[0:3], 0 offset:80
	buffer_load_dword v84, off, s[0:3], 0 offset:84
	buffer_load_dword v85, off, s[0:3], 0 offset:88
	buffer_load_dword v86, off, s[0:3], 0 offset:92
	buffer_load_dword v87, off, s[0:3], 0 offset:96
	buffer_load_dword v88, off, s[0:3], 0 offset:100
	buffer_load_dword v90, off, s[0:3], 0 offset:108
	buffer_load_dword v91, off, s[0:3], 0 offset:128
	buffer_load_dword v93, off, s[0:3], 0 offset:120
	buffer_load_dword v95, off, s[0:3], 0 offset:112
	buffer_load_dword v89, off, s[0:3], 0 offset:104
	buffer_load_dword v96, off, s[0:3], 0 offset:116
	buffer_load_dword v94, off, s[0:3], 0 offset:124
	buffer_load_dword v92, off, s[0:3], 0 offset:132
	ds_read_b128 v[67:70], v66 offset:304
	ds_read_b128 v[71:74], v66 offset:320
	v_cmp_lt_u32_e32 vcc, 4, v0
	s_waitcnt vmcnt(20) lgkmcnt(1)
	v_fma_f64 v[67:68], v[75:76], v[67:68], 0
	s_waitcnt vmcnt(18)
	v_fma_f64 v[67:68], v[77:78], v[69:70], v[67:68]
	buffer_load_dword v76, off, s[0:3], 0 offset:140
	buffer_load_dword v77, off, s[0:3], 0 offset:160
	;; [unrolled: 1-line block ×7, first 2 shown]
	s_waitcnt vmcnt(23) lgkmcnt(0)
	v_fma_f64 v[67:68], v[79:80], v[71:72], v[67:68]
	s_waitcnt vmcnt(21)
	v_fma_f64 v[78:79], v[81:82], v[73:74], v[67:68]
	ds_read_b128 v[67:70], v66 offset:336
	ds_read_b128 v[71:74], v66 offset:352
	s_waitcnt vmcnt(19) lgkmcnt(1)
	v_fma_f64 v[67:68], v[83:84], v[67:68], v[78:79]
	buffer_load_dword v78, off, s[0:3], 0 offset:164
	s_waitcnt vmcnt(18)
	v_fma_f64 v[67:68], v[85:86], v[69:70], v[67:68]
	buffer_load_dword v80, off, s[0:3], 0 offset:172
	buffer_load_dword v81, off, s[0:3], 0 offset:192
	;; [unrolled: 1-line block ×8, first 2 shown]
	s_waitcnt vmcnt(24) lgkmcnt(0)
	v_fma_f64 v[67:68], v[87:88], v[71:72], v[67:68]
	s_waitcnt vmcnt(19)
	v_fma_f64 v[87:88], v[89:90], v[73:74], v[67:68]
	ds_read_b128 v[67:70], v66 offset:368
	ds_read_b128 v[71:74], v66 offset:384
	s_waitcnt vmcnt(18) lgkmcnt(1)
	v_fma_f64 v[67:68], v[95:96], v[67:68], v[87:88]
	s_waitcnt vmcnt(17)
	v_fma_f64 v[67:68], v[93:94], v[69:70], v[67:68]
	buffer_load_dword v88, off, s[0:3], 0 offset:204
	buffer_load_dword v89, off, s[0:3], 0 offset:224
	buffer_load_dword v93, off, s[0:3], 0 offset:216
	buffer_load_dword v95, off, s[0:3], 0 offset:208
	buffer_load_dword v87, off, s[0:3], 0 offset:200
	buffer_load_dword v96, off, s[0:3], 0 offset:212
	buffer_load_dword v94, off, s[0:3], 0 offset:220
	buffer_load_dword v90, off, s[0:3], 0 offset:228
	s_waitcnt vmcnt(24) lgkmcnt(0)
	v_fma_f64 v[67:68], v[91:92], v[71:72], v[67:68]
	s_waitcnt vmcnt(19)
	v_fma_f64 v[75:76], v[75:76], v[73:74], v[67:68]
	ds_read_b128 v[67:70], v66 offset:400
	ds_read_b128 v[71:74], v66 offset:416
	s_waitcnt vmcnt(18) lgkmcnt(1)
	v_fma_f64 v[67:68], v[99:100], v[67:68], v[75:76]
	s_waitcnt vmcnt(17)
	v_fma_f64 v[67:68], v[97:98], v[69:70], v[67:68]
	buffer_load_dword v76, off, s[0:3], 0 offset:236
	buffer_load_dword v91, off, s[0:3], 0 offset:248
	;; [unrolled: 1-line block ×6, first 2 shown]
	s_waitcnt vmcnt(22) lgkmcnt(0)
	v_fma_f64 v[67:68], v[77:78], v[71:72], v[67:68]
	s_waitcnt vmcnt(17)
	v_fma_f64 v[77:78], v[79:80], v[73:74], v[67:68]
	ds_read_b128 v[67:70], v66 offset:432
	buffer_load_dword v79, off, s[0:3], 0 offset:40
	buffer_load_dword v80, off, s[0:3], 0 offset:44
	ds_read_b128 v[71:74], v66 offset:448
	s_waitcnt vmcnt(18) lgkmcnt(1)
	v_fma_f64 v[67:68], v[85:86], v[67:68], v[77:78]
	s_waitcnt vmcnt(17)
	v_fma_f64 v[67:68], v[83:84], v[69:70], v[67:68]
	s_waitcnt vmcnt(16) lgkmcnt(0)
	v_fma_f64 v[67:68], v[81:82], v[71:72], v[67:68]
	s_waitcnt vmcnt(11)
	v_fma_f64 v[77:78], v[87:88], v[73:74], v[67:68]
	ds_read_b128 v[67:70], v66 offset:464
	ds_read_b128 v[71:74], v66 offset:480
	s_waitcnt vmcnt(10) lgkmcnt(1)
	v_fma_f64 v[67:68], v[95:96], v[67:68], v[77:78]
	s_waitcnt vmcnt(9)
	v_fma_f64 v[67:68], v[93:94], v[69:70], v[67:68]
	s_waitcnt vmcnt(8) lgkmcnt(0)
	v_fma_f64 v[67:68], v[89:90], v[71:72], v[67:68]
	s_waitcnt vmcnt(4)
	v_fma_f64 v[70:71], v[75:76], v[73:74], v[67:68]
	ds_read_b128 v[66:69], v66 offset:496
	s_waitcnt vmcnt(3) lgkmcnt(0)
	v_fma_f64 v[66:67], v[97:98], v[66:67], v[70:71]
	s_waitcnt vmcnt(2)
	v_fma_f64 v[66:67], v[91:92], v[68:69], v[66:67]
	s_waitcnt vmcnt(0)
	v_add_f64 v[66:67], v[79:80], -v[66:67]
	buffer_store_dword v67, off, s[0:3], 0 offset:44
	buffer_store_dword v66, off, s[0:3], 0 offset:40
	s_and_saveexec_b64 s[4:5], vcc
	s_cbranch_execz .LBB31_191
; %bb.190:
	buffer_load_dword v66, off, s[0:3], 0 offset:32
	buffer_load_dword v67, off, s[0:3], 0 offset:36
	v_mov_b32_e32 v68, 0
	buffer_store_dword v68, off, s[0:3], 0 offset:32
	buffer_store_dword v68, off, s[0:3], 0 offset:36
	s_waitcnt vmcnt(2)
	ds_write_b64 v65, v[66:67]
.LBB31_191:
	s_or_b64 exec, exec, s[4:5]
	s_waitcnt lgkmcnt(0)
	; wave barrier
	buffer_load_dword v75, off, s[0:3], 0 offset:40
	buffer_load_dword v76, off, s[0:3], 0 offset:44
	;; [unrolled: 1-line block ×22, first 2 shown]
	v_mov_b32_e32 v66, 0
	ds_read2_b64 v[67:70], v66 offset0:37 offset1:38
	ds_read2_b64 v[71:74], v66 offset0:39 offset1:40
	v_cmp_lt_u32_e32 vcc, 3, v0
	s_waitcnt vmcnt(20) lgkmcnt(1)
	v_fma_f64 v[67:68], v[75:76], v[67:68], 0
	s_waitcnt vmcnt(18)
	v_fma_f64 v[67:68], v[77:78], v[69:70], v[67:68]
	buffer_load_dword v76, off, s[0:3], 0 offset:132
	buffer_load_dword v77, off, s[0:3], 0 offset:152
	;; [unrolled: 1-line block ×7, first 2 shown]
	s_waitcnt vmcnt(23) lgkmcnt(0)
	v_fma_f64 v[67:68], v[79:80], v[71:72], v[67:68]
	s_waitcnt vmcnt(21)
	v_fma_f64 v[78:79], v[81:82], v[73:74], v[67:68]
	ds_read2_b64 v[67:70], v66 offset0:41 offset1:42
	ds_read2_b64 v[71:74], v66 offset0:43 offset1:44
	s_waitcnt vmcnt(19) lgkmcnt(1)
	v_fma_f64 v[67:68], v[83:84], v[67:68], v[78:79]
	buffer_load_dword v78, off, s[0:3], 0 offset:156
	s_waitcnt vmcnt(18)
	v_fma_f64 v[67:68], v[85:86], v[69:70], v[67:68]
	buffer_load_dword v80, off, s[0:3], 0 offset:164
	buffer_load_dword v81, off, s[0:3], 0 offset:184
	buffer_load_dword v83, off, s[0:3], 0 offset:176
	buffer_load_dword v85, off, s[0:3], 0 offset:168
	buffer_load_dword v79, off, s[0:3], 0 offset:160
	buffer_load_dword v86, off, s[0:3], 0 offset:172
	buffer_load_dword v84, off, s[0:3], 0 offset:180
	buffer_load_dword v82, off, s[0:3], 0 offset:188
	s_waitcnt vmcnt(24) lgkmcnt(0)
	v_fma_f64 v[67:68], v[87:88], v[71:72], v[67:68]
	s_waitcnt vmcnt(19)
	v_fma_f64 v[87:88], v[89:90], v[73:74], v[67:68]
	ds_read2_b64 v[67:70], v66 offset0:45 offset1:46
	ds_read2_b64 v[71:74], v66 offset0:47 offset1:48
	s_waitcnt vmcnt(18) lgkmcnt(1)
	v_fma_f64 v[67:68], v[95:96], v[67:68], v[87:88]
	s_waitcnt vmcnt(17)
	v_fma_f64 v[67:68], v[93:94], v[69:70], v[67:68]
	buffer_load_dword v88, off, s[0:3], 0 offset:196
	buffer_load_dword v89, off, s[0:3], 0 offset:216
	buffer_load_dword v93, off, s[0:3], 0 offset:208
	buffer_load_dword v95, off, s[0:3], 0 offset:200
	buffer_load_dword v87, off, s[0:3], 0 offset:192
	buffer_load_dword v96, off, s[0:3], 0 offset:204
	buffer_load_dword v94, off, s[0:3], 0 offset:212
	buffer_load_dword v90, off, s[0:3], 0 offset:220
	s_waitcnt vmcnt(24) lgkmcnt(0)
	v_fma_f64 v[67:68], v[91:92], v[71:72], v[67:68]
	s_waitcnt vmcnt(19)
	v_fma_f64 v[75:76], v[75:76], v[73:74], v[67:68]
	ds_read2_b64 v[67:70], v66 offset0:49 offset1:50
	ds_read2_b64 v[71:74], v66 offset0:51 offset1:52
	s_waitcnt vmcnt(18) lgkmcnt(1)
	v_fma_f64 v[67:68], v[99:100], v[67:68], v[75:76]
	;; [unrolled: 18-line block ×3, first 2 shown]
	buffer_load_dword v77, off, s[0:3], 0 offset:32
	buffer_load_dword v78, off, s[0:3], 0 offset:36
	s_waitcnt vmcnt(19)
	v_fma_f64 v[67:68], v[83:84], v[69:70], v[67:68]
	s_waitcnt vmcnt(18) lgkmcnt(0)
	v_fma_f64 v[67:68], v[81:82], v[71:72], v[67:68]
	s_waitcnt vmcnt(13)
	v_fma_f64 v[79:80], v[87:88], v[73:74], v[67:68]
	ds_read2_b64 v[67:70], v66 offset0:57 offset1:58
	ds_read2_b64 v[71:74], v66 offset0:59 offset1:60
	s_waitcnt vmcnt(12) lgkmcnt(1)
	v_fma_f64 v[67:68], v[95:96], v[67:68], v[79:80]
	s_waitcnt vmcnt(11)
	v_fma_f64 v[67:68], v[93:94], v[69:70], v[67:68]
	s_waitcnt vmcnt(10) lgkmcnt(0)
	v_fma_f64 v[67:68], v[89:90], v[71:72], v[67:68]
	s_waitcnt vmcnt(5)
	v_fma_f64 v[71:72], v[75:76], v[73:74], v[67:68]
	ds_read2_b64 v[67:70], v66 offset0:61 offset1:62
	ds_read_b64 v[73:74], v66 offset:504
	s_waitcnt vmcnt(4) lgkmcnt(1)
	v_fma_f64 v[67:68], v[99:100], v[67:68], v[71:72]
	s_waitcnt vmcnt(3)
	v_fma_f64 v[67:68], v[97:98], v[69:70], v[67:68]
	s_waitcnt vmcnt(2) lgkmcnt(0)
	v_fma_f64 v[67:68], v[91:92], v[73:74], v[67:68]
	s_waitcnt vmcnt(0)
	v_add_f64 v[67:68], v[77:78], -v[67:68]
	buffer_store_dword v68, off, s[0:3], 0 offset:36
	buffer_store_dword v67, off, s[0:3], 0 offset:32
	s_and_saveexec_b64 s[4:5], vcc
	s_cbranch_execz .LBB31_193
; %bb.192:
	buffer_load_dword v67, off, s[0:3], 0 offset:24
	buffer_load_dword v68, off, s[0:3], 0 offset:28
	s_waitcnt vmcnt(0)
	ds_write_b64 v65, v[67:68]
	buffer_store_dword v66, off, s[0:3], 0 offset:24
	buffer_store_dword v66, off, s[0:3], 0 offset:28
.LBB31_193:
	s_or_b64 exec, exec, s[4:5]
	s_waitcnt lgkmcnt(0)
	; wave barrier
	buffer_load_dword v75, off, s[0:3], 0 offset:32
	buffer_load_dword v76, off, s[0:3], 0 offset:36
	;; [unrolled: 1-line block ×22, first 2 shown]
	ds_read_b128 v[67:70], v66 offset:288
	ds_read_b128 v[71:74], v66 offset:304
	v_cmp_lt_u32_e32 vcc, 2, v0
	s_waitcnt vmcnt(20) lgkmcnt(1)
	v_fma_f64 v[67:68], v[75:76], v[67:68], 0
	s_waitcnt vmcnt(18)
	v_fma_f64 v[67:68], v[77:78], v[69:70], v[67:68]
	buffer_load_dword v76, off, s[0:3], 0 offset:124
	buffer_load_dword v77, off, s[0:3], 0 offset:144
	;; [unrolled: 1-line block ×7, first 2 shown]
	s_waitcnt vmcnt(23) lgkmcnt(0)
	v_fma_f64 v[67:68], v[79:80], v[71:72], v[67:68]
	s_waitcnt vmcnt(21)
	v_fma_f64 v[78:79], v[81:82], v[73:74], v[67:68]
	ds_read_b128 v[67:70], v66 offset:320
	ds_read_b128 v[71:74], v66 offset:336
	s_waitcnt vmcnt(19) lgkmcnt(1)
	v_fma_f64 v[67:68], v[83:84], v[67:68], v[78:79]
	buffer_load_dword v78, off, s[0:3], 0 offset:148
	s_waitcnt vmcnt(18)
	v_fma_f64 v[67:68], v[85:86], v[69:70], v[67:68]
	buffer_load_dword v80, off, s[0:3], 0 offset:156
	buffer_load_dword v81, off, s[0:3], 0 offset:176
	buffer_load_dword v83, off, s[0:3], 0 offset:168
	buffer_load_dword v85, off, s[0:3], 0 offset:160
	buffer_load_dword v79, off, s[0:3], 0 offset:152
	buffer_load_dword v86, off, s[0:3], 0 offset:164
	buffer_load_dword v84, off, s[0:3], 0 offset:172
	buffer_load_dword v82, off, s[0:3], 0 offset:180
	s_waitcnt vmcnt(24) lgkmcnt(0)
	v_fma_f64 v[67:68], v[87:88], v[71:72], v[67:68]
	s_waitcnt vmcnt(19)
	v_fma_f64 v[87:88], v[89:90], v[73:74], v[67:68]
	ds_read_b128 v[67:70], v66 offset:352
	ds_read_b128 v[71:74], v66 offset:368
	s_waitcnt vmcnt(18) lgkmcnt(1)
	v_fma_f64 v[67:68], v[95:96], v[67:68], v[87:88]
	s_waitcnt vmcnt(17)
	v_fma_f64 v[67:68], v[93:94], v[69:70], v[67:68]
	buffer_load_dword v88, off, s[0:3], 0 offset:188
	buffer_load_dword v89, off, s[0:3], 0 offset:208
	buffer_load_dword v93, off, s[0:3], 0 offset:200
	buffer_load_dword v95, off, s[0:3], 0 offset:192
	buffer_load_dword v87, off, s[0:3], 0 offset:184
	buffer_load_dword v96, off, s[0:3], 0 offset:196
	buffer_load_dword v94, off, s[0:3], 0 offset:204
	buffer_load_dword v90, off, s[0:3], 0 offset:212
	s_waitcnt vmcnt(24) lgkmcnt(0)
	v_fma_f64 v[67:68], v[91:92], v[71:72], v[67:68]
	s_waitcnt vmcnt(19)
	v_fma_f64 v[75:76], v[75:76], v[73:74], v[67:68]
	ds_read_b128 v[67:70], v66 offset:384
	ds_read_b128 v[71:74], v66 offset:400
	s_waitcnt vmcnt(18) lgkmcnt(1)
	v_fma_f64 v[67:68], v[99:100], v[67:68], v[75:76]
	;; [unrolled: 18-line block ×3, first 2 shown]
	buffer_load_dword v78, off, s[0:3], 0 offset:252
	buffer_load_dword v77, off, s[0:3], 0 offset:248
	;; [unrolled: 1-line block ×4, first 2 shown]
	s_waitcnt vmcnt(21)
	v_fma_f64 v[67:68], v[83:84], v[69:70], v[67:68]
	s_waitcnt vmcnt(20) lgkmcnt(0)
	v_fma_f64 v[67:68], v[81:82], v[71:72], v[67:68]
	s_waitcnt vmcnt(15)
	v_fma_f64 v[81:82], v[87:88], v[73:74], v[67:68]
	ds_read_b128 v[67:70], v66 offset:448
	ds_read_b128 v[71:74], v66 offset:464
	s_waitcnt vmcnt(14) lgkmcnt(1)
	v_fma_f64 v[67:68], v[95:96], v[67:68], v[81:82]
	s_waitcnt vmcnt(13)
	v_fma_f64 v[67:68], v[93:94], v[69:70], v[67:68]
	s_waitcnt vmcnt(12) lgkmcnt(0)
	v_fma_f64 v[67:68], v[89:90], v[71:72], v[67:68]
	s_waitcnt vmcnt(7)
	v_fma_f64 v[75:76], v[75:76], v[73:74], v[67:68]
	ds_read_b128 v[67:70], v66 offset:480
	ds_read_b128 v[71:74], v66 offset:496
	s_waitcnt vmcnt(6) lgkmcnt(1)
	v_fma_f64 v[66:67], v[99:100], v[67:68], v[75:76]
	s_waitcnt vmcnt(5)
	v_fma_f64 v[66:67], v[97:98], v[69:70], v[66:67]
	s_waitcnt vmcnt(4) lgkmcnt(0)
	v_fma_f64 v[66:67], v[91:92], v[71:72], v[66:67]
	s_waitcnt vmcnt(2)
	v_fma_f64 v[66:67], v[77:78], v[73:74], v[66:67]
	s_waitcnt vmcnt(0)
	v_add_f64 v[66:67], v[79:80], -v[66:67]
	buffer_store_dword v67, off, s[0:3], 0 offset:28
	buffer_store_dword v66, off, s[0:3], 0 offset:24
	s_and_saveexec_b64 s[4:5], vcc
	s_cbranch_execz .LBB31_195
; %bb.194:
	buffer_load_dword v66, off, s[0:3], 0 offset:16
	buffer_load_dword v67, off, s[0:3], 0 offset:20
	v_mov_b32_e32 v68, 0
	buffer_store_dword v68, off, s[0:3], 0 offset:16
	buffer_store_dword v68, off, s[0:3], 0 offset:20
	s_waitcnt vmcnt(2)
	ds_write_b64 v65, v[66:67]
.LBB31_195:
	s_or_b64 exec, exec, s[4:5]
	s_waitcnt lgkmcnt(0)
	; wave barrier
	buffer_load_dword v75, off, s[0:3], 0 offset:24
	buffer_load_dword v76, off, s[0:3], 0 offset:28
	buffer_load_dword v77, off, s[0:3], 0 offset:32
	buffer_load_dword v78, off, s[0:3], 0 offset:36
	buffer_load_dword v79, off, s[0:3], 0 offset:40
	buffer_load_dword v80, off, s[0:3], 0 offset:44
	buffer_load_dword v81, off, s[0:3], 0 offset:48
	buffer_load_dword v82, off, s[0:3], 0 offset:52
	buffer_load_dword v83, off, s[0:3], 0 offset:56
	buffer_load_dword v84, off, s[0:3], 0 offset:60
	buffer_load_dword v85, off, s[0:3], 0 offset:64
	buffer_load_dword v86, off, s[0:3], 0 offset:68
	buffer_load_dword v87, off, s[0:3], 0 offset:72
	buffer_load_dword v88, off, s[0:3], 0 offset:76
	buffer_load_dword v90, off, s[0:3], 0 offset:84
	buffer_load_dword v91, off, s[0:3], 0 offset:104
	buffer_load_dword v93, off, s[0:3], 0 offset:96
	buffer_load_dword v95, off, s[0:3], 0 offset:88
	buffer_load_dword v89, off, s[0:3], 0 offset:80
	buffer_load_dword v96, off, s[0:3], 0 offset:92
	buffer_load_dword v94, off, s[0:3], 0 offset:100
	buffer_load_dword v92, off, s[0:3], 0 offset:108
	v_mov_b32_e32 v66, 0
	ds_read2_b64 v[67:70], v66 offset0:35 offset1:36
	ds_read2_b64 v[71:74], v66 offset0:37 offset1:38
	v_cmp_lt_u32_e32 vcc, 1, v0
	s_waitcnt vmcnt(20) lgkmcnt(1)
	v_fma_f64 v[67:68], v[75:76], v[67:68], 0
	s_waitcnt vmcnt(18)
	v_fma_f64 v[67:68], v[77:78], v[69:70], v[67:68]
	buffer_load_dword v76, off, s[0:3], 0 offset:116
	buffer_load_dword v77, off, s[0:3], 0 offset:136
	;; [unrolled: 1-line block ×7, first 2 shown]
	s_waitcnt vmcnt(23) lgkmcnt(0)
	v_fma_f64 v[67:68], v[79:80], v[71:72], v[67:68]
	s_waitcnt vmcnt(21)
	v_fma_f64 v[78:79], v[81:82], v[73:74], v[67:68]
	ds_read2_b64 v[67:70], v66 offset0:39 offset1:40
	ds_read2_b64 v[71:74], v66 offset0:41 offset1:42
	s_waitcnt vmcnt(19) lgkmcnt(1)
	v_fma_f64 v[67:68], v[83:84], v[67:68], v[78:79]
	buffer_load_dword v78, off, s[0:3], 0 offset:140
	s_waitcnt vmcnt(18)
	v_fma_f64 v[67:68], v[85:86], v[69:70], v[67:68]
	buffer_load_dword v80, off, s[0:3], 0 offset:148
	buffer_load_dword v81, off, s[0:3], 0 offset:168
	;; [unrolled: 1-line block ×7, first 2 shown]
	s_waitcnt vmcnt(23) lgkmcnt(0)
	v_fma_f64 v[67:68], v[87:88], v[71:72], v[67:68]
	s_waitcnt vmcnt(18)
	v_fma_f64 v[87:88], v[89:90], v[73:74], v[67:68]
	ds_read2_b64 v[67:70], v66 offset0:43 offset1:44
	ds_read2_b64 v[71:74], v66 offset0:45 offset1:46
	buffer_load_dword v82, off, s[0:3], 0 offset:172
	s_waitcnt vmcnt(18) lgkmcnt(1)
	v_fma_f64 v[67:68], v[95:96], v[67:68], v[87:88]
	s_waitcnt vmcnt(17)
	v_fma_f64 v[67:68], v[93:94], v[69:70], v[67:68]
	buffer_load_dword v88, off, s[0:3], 0 offset:180
	buffer_load_dword v89, off, s[0:3], 0 offset:200
	;; [unrolled: 1-line block ×8, first 2 shown]
	s_waitcnt vmcnt(24) lgkmcnt(0)
	v_fma_f64 v[67:68], v[91:92], v[71:72], v[67:68]
	s_waitcnt vmcnt(19)
	v_fma_f64 v[75:76], v[75:76], v[73:74], v[67:68]
	ds_read2_b64 v[67:70], v66 offset0:47 offset1:48
	ds_read2_b64 v[71:74], v66 offset0:49 offset1:50
	s_waitcnt vmcnt(18) lgkmcnt(1)
	v_fma_f64 v[67:68], v[99:100], v[67:68], v[75:76]
	s_waitcnt vmcnt(17)
	v_fma_f64 v[67:68], v[97:98], v[69:70], v[67:68]
	buffer_load_dword v76, off, s[0:3], 0 offset:212
	buffer_load_dword v91, off, s[0:3], 0 offset:232
	;; [unrolled: 1-line block ×7, first 2 shown]
	s_waitcnt vmcnt(23) lgkmcnt(0)
	v_fma_f64 v[67:68], v[77:78], v[71:72], v[67:68]
	s_waitcnt vmcnt(18)
	v_fma_f64 v[77:78], v[79:80], v[73:74], v[67:68]
	ds_read2_b64 v[67:70], v66 offset0:51 offset1:52
	ds_read2_b64 v[71:74], v66 offset0:53 offset1:54
	buffer_load_dword v92, off, s[0:3], 0 offset:236
	s_waitcnt vmcnt(18) lgkmcnt(1)
	v_fma_f64 v[67:68], v[85:86], v[67:68], v[77:78]
	buffer_load_dword v78, off, s[0:3], 0 offset:244
	buffer_load_dword v79, off, s[0:3], 0 offset:248
	;; [unrolled: 1-line block ×4, first 2 shown]
	s_waitcnt vmcnt(21)
	v_fma_f64 v[67:68], v[83:84], v[69:70], v[67:68]
	s_waitcnt vmcnt(20) lgkmcnt(0)
	v_fma_f64 v[67:68], v[81:82], v[71:72], v[67:68]
	buffer_load_dword v81, off, s[0:3], 0 offset:16
	buffer_load_dword v82, off, s[0:3], 0 offset:20
	s_waitcnt vmcnt(17)
	v_fma_f64 v[83:84], v[87:88], v[73:74], v[67:68]
	ds_read2_b64 v[67:70], v66 offset0:55 offset1:56
	ds_read2_b64 v[71:74], v66 offset0:57 offset1:58
	s_waitcnt vmcnt(16) lgkmcnt(1)
	v_fma_f64 v[67:68], v[95:96], v[67:68], v[83:84]
	s_waitcnt vmcnt(15)
	v_fma_f64 v[67:68], v[93:94], v[69:70], v[67:68]
	s_waitcnt vmcnt(14) lgkmcnt(0)
	v_fma_f64 v[67:68], v[89:90], v[71:72], v[67:68]
	s_waitcnt vmcnt(9)
	v_fma_f64 v[75:76], v[75:76], v[73:74], v[67:68]
	ds_read2_b64 v[67:70], v66 offset0:59 offset1:60
	ds_read2_b64 v[71:74], v66 offset0:61 offset1:62
	s_waitcnt vmcnt(8) lgkmcnt(1)
	v_fma_f64 v[67:68], v[99:100], v[67:68], v[75:76]
	s_waitcnt vmcnt(7)
	v_fma_f64 v[67:68], v[97:98], v[69:70], v[67:68]
	ds_read_b64 v[69:70], v66 offset:504
	s_waitcnt vmcnt(6) lgkmcnt(1)
	v_fma_f64 v[67:68], v[91:92], v[71:72], v[67:68]
	s_waitcnt vmcnt(3)
	v_fma_f64 v[67:68], v[77:78], v[73:74], v[67:68]
	s_waitcnt vmcnt(2) lgkmcnt(0)
	v_fma_f64 v[67:68], v[79:80], v[69:70], v[67:68]
	s_waitcnt vmcnt(0)
	v_add_f64 v[67:68], v[81:82], -v[67:68]
	buffer_store_dword v68, off, s[0:3], 0 offset:20
	buffer_store_dword v67, off, s[0:3], 0 offset:16
	s_and_saveexec_b64 s[4:5], vcc
	s_cbranch_execz .LBB31_197
; %bb.196:
	buffer_load_dword v67, off, s[0:3], 0 offset:8
	buffer_load_dword v68, off, s[0:3], 0 offset:12
	s_waitcnt vmcnt(0)
	ds_write_b64 v65, v[67:68]
	buffer_store_dword v66, off, s[0:3], 0 offset:8
	buffer_store_dword v66, off, s[0:3], 0 offset:12
.LBB31_197:
	s_or_b64 exec, exec, s[4:5]
	s_waitcnt lgkmcnt(0)
	; wave barrier
	buffer_load_dword v75, off, s[0:3], 0 offset:16
	buffer_load_dword v76, off, s[0:3], 0 offset:20
	;; [unrolled: 1-line block ×22, first 2 shown]
	ds_read_b128 v[67:70], v66 offset:272
	ds_read_b128 v[71:74], v66 offset:288
	v_cmp_ne_u32_e32 vcc, 0, v0
	s_waitcnt vmcnt(20) lgkmcnt(1)
	v_fma_f64 v[67:68], v[75:76], v[67:68], 0
	s_waitcnt vmcnt(18)
	v_fma_f64 v[67:68], v[77:78], v[69:70], v[67:68]
	buffer_load_dword v76, off, s[0:3], 0 offset:108
	buffer_load_dword v77, off, s[0:3], 0 offset:128
	;; [unrolled: 1-line block ×7, first 2 shown]
	s_waitcnt vmcnt(23) lgkmcnt(0)
	v_fma_f64 v[67:68], v[79:80], v[71:72], v[67:68]
	s_waitcnt vmcnt(21)
	v_fma_f64 v[78:79], v[81:82], v[73:74], v[67:68]
	ds_read_b128 v[67:70], v66 offset:304
	ds_read_b128 v[71:74], v66 offset:320
	s_waitcnt vmcnt(19) lgkmcnt(1)
	v_fma_f64 v[67:68], v[83:84], v[67:68], v[78:79]
	buffer_load_dword v78, off, s[0:3], 0 offset:132
	s_waitcnt vmcnt(18)
	v_fma_f64 v[67:68], v[85:86], v[69:70], v[67:68]
	buffer_load_dword v80, off, s[0:3], 0 offset:140
	buffer_load_dword v81, off, s[0:3], 0 offset:160
	;; [unrolled: 1-line block ×7, first 2 shown]
	s_waitcnt vmcnt(23) lgkmcnt(0)
	v_fma_f64 v[67:68], v[87:88], v[71:72], v[67:68]
	s_waitcnt vmcnt(18)
	v_fma_f64 v[87:88], v[89:90], v[73:74], v[67:68]
	ds_read_b128 v[67:70], v66 offset:336
	ds_read_b128 v[71:74], v66 offset:352
	buffer_load_dword v82, off, s[0:3], 0 offset:164
	s_waitcnt vmcnt(18) lgkmcnt(1)
	v_fma_f64 v[67:68], v[95:96], v[67:68], v[87:88]
	s_waitcnt vmcnt(17)
	v_fma_f64 v[67:68], v[93:94], v[69:70], v[67:68]
	buffer_load_dword v88, off, s[0:3], 0 offset:172
	buffer_load_dword v89, off, s[0:3], 0 offset:192
	;; [unrolled: 1-line block ×8, first 2 shown]
	s_waitcnt vmcnt(24) lgkmcnt(0)
	v_fma_f64 v[67:68], v[91:92], v[71:72], v[67:68]
	s_waitcnt vmcnt(19)
	v_fma_f64 v[75:76], v[75:76], v[73:74], v[67:68]
	ds_read_b128 v[67:70], v66 offset:368
	ds_read_b128 v[71:74], v66 offset:384
	s_waitcnt vmcnt(18) lgkmcnt(1)
	v_fma_f64 v[67:68], v[99:100], v[67:68], v[75:76]
	s_waitcnt vmcnt(17)
	v_fma_f64 v[67:68], v[97:98], v[69:70], v[67:68]
	buffer_load_dword v76, off, s[0:3], 0 offset:204
	buffer_load_dword v91, off, s[0:3], 0 offset:224
	;; [unrolled: 1-line block ×8, first 2 shown]
	s_waitcnt vmcnt(24) lgkmcnt(0)
	v_fma_f64 v[67:68], v[77:78], v[71:72], v[67:68]
	s_waitcnt vmcnt(19)
	v_fma_f64 v[77:78], v[79:80], v[73:74], v[67:68]
	ds_read_b128 v[67:70], v66 offset:400
	ds_read_b128 v[71:74], v66 offset:416
	s_waitcnt vmcnt(18) lgkmcnt(1)
	v_fma_f64 v[67:68], v[85:86], v[67:68], v[77:78]
	s_waitcnt vmcnt(17)
	v_fma_f64 v[67:68], v[83:84], v[69:70], v[67:68]
	buffer_load_dword v78, off, s[0:3], 0 offset:236
	buffer_load_dword v79, off, s[0:3], 0 offset:248
	;; [unrolled: 1-line block ×6, first 2 shown]
	s_waitcnt vmcnt(22) lgkmcnt(0)
	v_fma_f64 v[67:68], v[81:82], v[71:72], v[67:68]
	s_waitcnt vmcnt(17)
	v_fma_f64 v[81:82], v[87:88], v[73:74], v[67:68]
	ds_read_b128 v[67:70], v66 offset:432
	buffer_load_dword v85, off, s[0:3], 0 offset:8
	buffer_load_dword v86, off, s[0:3], 0 offset:12
	ds_read_b128 v[71:74], v66 offset:448
	s_waitcnt vmcnt(18) lgkmcnt(1)
	v_fma_f64 v[67:68], v[95:96], v[67:68], v[81:82]
	s_waitcnt vmcnt(17)
	v_fma_f64 v[67:68], v[93:94], v[69:70], v[67:68]
	s_waitcnt vmcnt(16) lgkmcnt(0)
	v_fma_f64 v[67:68], v[89:90], v[71:72], v[67:68]
	s_waitcnt vmcnt(11)
	v_fma_f64 v[75:76], v[75:76], v[73:74], v[67:68]
	ds_read_b128 v[67:70], v66 offset:464
	ds_read_b128 v[71:74], v66 offset:480
	s_waitcnt vmcnt(10) lgkmcnt(1)
	v_fma_f64 v[67:68], v[99:100], v[67:68], v[75:76]
	s_waitcnt vmcnt(9)
	v_fma_f64 v[67:68], v[97:98], v[69:70], v[67:68]
	s_waitcnt vmcnt(8) lgkmcnt(0)
	v_fma_f64 v[67:68], v[91:92], v[71:72], v[67:68]
	s_waitcnt vmcnt(4)
	v_fma_f64 v[70:71], v[77:78], v[73:74], v[67:68]
	ds_read_b128 v[66:69], v66 offset:496
	s_waitcnt vmcnt(3) lgkmcnt(0)
	v_fma_f64 v[66:67], v[83:84], v[66:67], v[70:71]
	s_waitcnt vmcnt(2)
	v_fma_f64 v[66:67], v[79:80], v[68:69], v[66:67]
	s_waitcnt vmcnt(0)
	v_add_f64 v[66:67], v[85:86], -v[66:67]
	buffer_store_dword v67, off, s[0:3], 0 offset:12
	buffer_store_dword v66, off, s[0:3], 0 offset:8
	s_and_saveexec_b64 s[4:5], vcc
	s_cbranch_execz .LBB31_199
; %bb.198:
	buffer_load_dword v66, off, s[0:3], 0
	buffer_load_dword v67, off, s[0:3], 0 offset:4
	v_mov_b32_e32 v0, 0
	buffer_store_dword v0, off, s[0:3], 0
	buffer_store_dword v0, off, s[0:3], 0 offset:4
	s_waitcnt vmcnt(2)
	ds_write_b64 v65, v[66:67]
.LBB31_199:
	s_or_b64 exec, exec, s[4:5]
	s_waitcnt lgkmcnt(0)
	; wave barrier
	buffer_load_dword v73, off, s[0:3], 0 offset:8
	buffer_load_dword v74, off, s[0:3], 0 offset:12
	buffer_load_dword v75, off, s[0:3], 0 offset:16
	buffer_load_dword v76, off, s[0:3], 0 offset:20
	buffer_load_dword v77, off, s[0:3], 0 offset:24
	buffer_load_dword v78, off, s[0:3], 0 offset:28
	buffer_load_dword v79, off, s[0:3], 0 offset:32
	buffer_load_dword v80, off, s[0:3], 0 offset:36
	buffer_load_dword v81, off, s[0:3], 0 offset:40
	buffer_load_dword v82, off, s[0:3], 0 offset:44
	buffer_load_dword v83, off, s[0:3], 0 offset:48
	buffer_load_dword v84, off, s[0:3], 0 offset:52
	buffer_load_dword v85, off, s[0:3], 0 offset:56
	buffer_load_dword v86, off, s[0:3], 0 offset:60
	buffer_load_dword v88, off, s[0:3], 0 offset:68
	buffer_load_dword v89, off, s[0:3], 0 offset:88
	buffer_load_dword v91, off, s[0:3], 0 offset:80
	buffer_load_dword v93, off, s[0:3], 0 offset:72
	buffer_load_dword v87, off, s[0:3], 0 offset:64
	buffer_load_dword v94, off, s[0:3], 0 offset:76
	buffer_load_dword v92, off, s[0:3], 0 offset:84
	buffer_load_dword v90, off, s[0:3], 0 offset:92
	v_mov_b32_e32 v0, 0
	ds_read2_b64 v[65:68], v0 offset0:33 offset1:34
	ds_read2_b64 v[69:72], v0 offset0:35 offset1:36
	s_and_b64 vcc, exec, s[22:23]
	s_waitcnt vmcnt(20) lgkmcnt(1)
	v_fma_f64 v[65:66], v[73:74], v[65:66], 0
	s_waitcnt vmcnt(18)
	v_fma_f64 v[65:66], v[75:76], v[67:68], v[65:66]
	buffer_load_dword v74, off, s[0:3], 0 offset:100
	buffer_load_dword v75, off, s[0:3], 0 offset:120
	;; [unrolled: 1-line block ×7, first 2 shown]
	s_waitcnt vmcnt(23) lgkmcnt(0)
	v_fma_f64 v[65:66], v[77:78], v[69:70], v[65:66]
	s_waitcnt vmcnt(21)
	v_fma_f64 v[76:77], v[79:80], v[71:72], v[65:66]
	ds_read2_b64 v[65:68], v0 offset0:37 offset1:38
	ds_read2_b64 v[69:72], v0 offset0:39 offset1:40
	s_waitcnt vmcnt(19) lgkmcnt(1)
	v_fma_f64 v[65:66], v[81:82], v[65:66], v[76:77]
	buffer_load_dword v76, off, s[0:3], 0 offset:124
	s_waitcnt vmcnt(18)
	v_fma_f64 v[65:66], v[83:84], v[67:68], v[65:66]
	buffer_load_dword v78, off, s[0:3], 0 offset:132
	buffer_load_dword v79, off, s[0:3], 0 offset:152
	;; [unrolled: 1-line block ×7, first 2 shown]
	s_waitcnt vmcnt(23) lgkmcnt(0)
	v_fma_f64 v[65:66], v[85:86], v[69:70], v[65:66]
	s_waitcnt vmcnt(18)
	v_fma_f64 v[85:86], v[87:88], v[71:72], v[65:66]
	ds_read2_b64 v[65:68], v0 offset0:41 offset1:42
	ds_read2_b64 v[69:72], v0 offset0:43 offset1:44
	buffer_load_dword v80, off, s[0:3], 0 offset:156
	s_waitcnt vmcnt(18) lgkmcnt(1)
	v_fma_f64 v[65:66], v[93:94], v[65:66], v[85:86]
	s_waitcnt vmcnt(17)
	v_fma_f64 v[65:66], v[91:92], v[67:68], v[65:66]
	buffer_load_dword v86, off, s[0:3], 0 offset:164
	buffer_load_dword v87, off, s[0:3], 0 offset:184
	;; [unrolled: 1-line block ×8, first 2 shown]
	s_waitcnt vmcnt(24) lgkmcnt(0)
	v_fma_f64 v[65:66], v[89:90], v[69:70], v[65:66]
	s_waitcnt vmcnt(19)
	v_fma_f64 v[73:74], v[73:74], v[71:72], v[65:66]
	ds_read2_b64 v[65:68], v0 offset0:45 offset1:46
	ds_read2_b64 v[69:72], v0 offset0:47 offset1:48
	s_waitcnt vmcnt(18) lgkmcnt(1)
	v_fma_f64 v[65:66], v[97:98], v[65:66], v[73:74]
	s_waitcnt vmcnt(17)
	v_fma_f64 v[65:66], v[95:96], v[67:68], v[65:66]
	buffer_load_dword v90, off, s[0:3], 0 offset:196
	buffer_load_dword v95, off, s[0:3], 0 offset:216
	;; [unrolled: 1-line block ×8, first 2 shown]
	s_waitcnt vmcnt(24) lgkmcnt(0)
	v_fma_f64 v[65:66], v[75:76], v[69:70], v[65:66]
	s_waitcnt vmcnt(19)
	v_fma_f64 v[73:74], v[77:78], v[71:72], v[65:66]
	ds_read2_b64 v[65:68], v0 offset0:49 offset1:50
	ds_read2_b64 v[69:72], v0 offset0:51 offset1:52
	s_waitcnt vmcnt(18) lgkmcnt(1)
	v_fma_f64 v[65:66], v[83:84], v[65:66], v[73:74]
	s_waitcnt vmcnt(17)
	v_fma_f64 v[66:67], v[81:82], v[67:68], v[65:66]
	buffer_load_dword v76, off, s[0:3], 0 offset:228
	buffer_load_dword v77, off, s[0:3], 0 offset:248
	;; [unrolled: 1-line block ×5, first 2 shown]
	s_waitcnt vmcnt(21) lgkmcnt(0)
	v_fma_f64 v[67:68], v[79:80], v[69:70], v[66:67]
	buffer_load_dword v82, off, s[0:3], 0 offset:236
	buffer_load_dword v66, off, s[0:3], 0 offset:244
	;; [unrolled: 1-line block ×3, first 2 shown]
	s_waitcnt vmcnt(19)
	v_fma_f64 v[79:80], v[85:86], v[71:72], v[67:68]
	ds_read2_b64 v[67:70], v0 offset0:53 offset1:54
	ds_read2_b64 v[71:74], v0 offset0:55 offset1:56
	s_waitcnt vmcnt(18) lgkmcnt(1)
	v_fma_f64 v[67:68], v[93:94], v[67:68], v[79:80]
	buffer_load_dword v79, off, s[0:3], 0
	buffer_load_dword v80, off, s[0:3], 0 offset:4
	s_waitcnt vmcnt(19)
	v_fma_f64 v[67:68], v[91:92], v[69:70], v[67:68]
	s_waitcnt vmcnt(18) lgkmcnt(0)
	v_fma_f64 v[67:68], v[87:88], v[71:72], v[67:68]
	s_waitcnt vmcnt(13)
	v_fma_f64 v[83:84], v[89:90], v[73:74], v[67:68]
	ds_read2_b64 v[67:70], v0 offset0:57 offset1:58
	ds_read2_b64 v[71:74], v0 offset0:59 offset1:60
	s_waitcnt vmcnt(12) lgkmcnt(1)
	v_fma_f64 v[67:68], v[99:100], v[67:68], v[83:84]
	s_waitcnt vmcnt(11)
	v_fma_f64 v[67:68], v[97:98], v[69:70], v[67:68]
	s_waitcnt vmcnt(10) lgkmcnt(0)
	v_fma_f64 v[67:68], v[95:96], v[71:72], v[67:68]
	s_waitcnt vmcnt(5)
	v_fma_f64 v[71:72], v[75:76], v[73:74], v[67:68]
	ds_read2_b64 v[67:70], v0 offset0:61 offset1:62
	ds_read_b64 v[73:74], v0 offset:504
	s_waitcnt vmcnt(4) lgkmcnt(1)
	v_fma_f64 v[67:68], v[81:82], v[67:68], v[71:72]
	s_waitcnt vmcnt(3)
	v_fma_f64 v[67:68], v[65:66], v[69:70], v[67:68]
	s_waitcnt vmcnt(2) lgkmcnt(0)
	v_fma_f64 v[67:68], v[77:78], v[73:74], v[67:68]
	s_waitcnt vmcnt(0)
	v_add_f64 v[67:68], v[79:80], -v[67:68]
	buffer_store_dword v68, off, s[0:3], 0 offset:4
	buffer_store_dword v67, off, s[0:3], 0
	s_cbranch_vccz .LBB31_262
; %bb.200:
	global_load_dword v0, v0, s[20:21] offset:120
	s_waitcnt vmcnt(0)
	v_add_u32_e32 v0, -1, v0
	v_cmp_ne_u32_e32 vcc, 30, v0
	s_cbranch_vccz .LBB31_202
; %bb.201:
	v_lshlrev_b32_e32 v0, 3, v0
	buffer_load_dword v67, v0, s[0:3], 0 offen offset:4
	buffer_load_dword v68, v0, s[0:3], 0 offen
	s_waitcnt vmcnt(1)
	buffer_store_dword v67, off, s[0:3], 0 offset:244
	s_waitcnt vmcnt(1)
	buffer_store_dword v68, off, s[0:3], 0 offset:240
	buffer_store_dword v66, v0, s[0:3], 0 offen offset:4
	buffer_store_dword v65, v0, s[0:3], 0 offen
.LBB31_202:
	v_mov_b32_e32 v0, 0
	global_load_dword v65, v0, s[20:21] offset:116
	s_waitcnt vmcnt(0)
	v_add_u32_e32 v65, -1, v65
	v_cmp_eq_u32_e32 vcc, 29, v65
	s_cbranch_vccnz .LBB31_204
; %bb.203:
	v_lshlrev_b32_e32 v65, 3, v65
	buffer_load_dword v66, v65, s[0:3], 0 offen
	buffer_load_dword v67, v65, s[0:3], 0 offen offset:4
	buffer_load_dword v68, off, s[0:3], 0 offset:232
	buffer_load_dword v69, off, s[0:3], 0 offset:236
	s_waitcnt vmcnt(3)
	buffer_store_dword v66, off, s[0:3], 0 offset:232
	s_waitcnt vmcnt(3)
	buffer_store_dword v67, off, s[0:3], 0 offset:236
	s_waitcnt vmcnt(3)
	buffer_store_dword v68, v65, s[0:3], 0 offen
	s_waitcnt vmcnt(3)
	buffer_store_dword v69, v65, s[0:3], 0 offen offset:4
.LBB31_204:
	global_load_dword v0, v0, s[20:21] offset:112
	s_waitcnt vmcnt(0)
	v_add_u32_e32 v0, -1, v0
	v_cmp_eq_u32_e32 vcc, 28, v0
	s_cbranch_vccnz .LBB31_206
; %bb.205:
	v_lshlrev_b32_e32 v0, 3, v0
	buffer_load_dword v65, v0, s[0:3], 0 offen
	buffer_load_dword v66, v0, s[0:3], 0 offen offset:4
	buffer_load_dword v67, off, s[0:3], 0 offset:228
	buffer_load_dword v68, off, s[0:3], 0 offset:224
	s_waitcnt vmcnt(3)
	buffer_store_dword v65, off, s[0:3], 0 offset:224
	s_waitcnt vmcnt(3)
	buffer_store_dword v66, off, s[0:3], 0 offset:228
	s_waitcnt vmcnt(3)
	buffer_store_dword v67, v0, s[0:3], 0 offen offset:4
	s_waitcnt vmcnt(3)
	buffer_store_dword v68, v0, s[0:3], 0 offen
.LBB31_206:
	v_mov_b32_e32 v0, 0
	global_load_dword v65, v0, s[20:21] offset:108
	s_waitcnt vmcnt(0)
	v_add_u32_e32 v65, -1, v65
	v_cmp_eq_u32_e32 vcc, 27, v65
	s_cbranch_vccnz .LBB31_208
; %bb.207:
	v_lshlrev_b32_e32 v65, 3, v65
	buffer_load_dword v66, v65, s[0:3], 0 offen
	buffer_load_dword v67, v65, s[0:3], 0 offen offset:4
	buffer_load_dword v68, off, s[0:3], 0 offset:216
	buffer_load_dword v69, off, s[0:3], 0 offset:220
	s_waitcnt vmcnt(3)
	buffer_store_dword v66, off, s[0:3], 0 offset:216
	s_waitcnt vmcnt(3)
	buffer_store_dword v67, off, s[0:3], 0 offset:220
	s_waitcnt vmcnt(3)
	buffer_store_dword v68, v65, s[0:3], 0 offen
	s_waitcnt vmcnt(3)
	buffer_store_dword v69, v65, s[0:3], 0 offen offset:4
.LBB31_208:
	global_load_dword v0, v0, s[20:21] offset:104
	s_waitcnt vmcnt(0)
	v_add_u32_e32 v0, -1, v0
	v_cmp_eq_u32_e32 vcc, 26, v0
	s_cbranch_vccnz .LBB31_210
; %bb.209:
	v_lshlrev_b32_e32 v0, 3, v0
	buffer_load_dword v65, v0, s[0:3], 0 offen
	buffer_load_dword v66, v0, s[0:3], 0 offen offset:4
	buffer_load_dword v67, off, s[0:3], 0 offset:212
	buffer_load_dword v68, off, s[0:3], 0 offset:208
	s_waitcnt vmcnt(3)
	buffer_store_dword v65, off, s[0:3], 0 offset:208
	s_waitcnt vmcnt(3)
	buffer_store_dword v66, off, s[0:3], 0 offset:212
	s_waitcnt vmcnt(3)
	buffer_store_dword v67, v0, s[0:3], 0 offen offset:4
	s_waitcnt vmcnt(3)
	buffer_store_dword v68, v0, s[0:3], 0 offen
.LBB31_210:
	;; [unrolled: 41-line block ×14, first 2 shown]
	v_mov_b32_e32 v0, 0
	global_load_dword v65, v0, s[20:21] offset:4
	s_waitcnt vmcnt(0)
	v_add_u32_e32 v65, -1, v65
	v_cmp_eq_u32_e32 vcc, 1, v65
	s_cbranch_vccnz .LBB31_260
; %bb.259:
	v_lshlrev_b32_e32 v65, 3, v65
	buffer_load_dword v66, v65, s[0:3], 0 offen
	buffer_load_dword v67, v65, s[0:3], 0 offen offset:4
	buffer_load_dword v68, off, s[0:3], 0 offset:8
	buffer_load_dword v69, off, s[0:3], 0 offset:12
	s_waitcnt vmcnt(3)
	buffer_store_dword v66, off, s[0:3], 0 offset:8
	s_waitcnt vmcnt(3)
	buffer_store_dword v67, off, s[0:3], 0 offset:12
	s_waitcnt vmcnt(3)
	buffer_store_dword v68, v65, s[0:3], 0 offen
	s_waitcnt vmcnt(3)
	buffer_store_dword v69, v65, s[0:3], 0 offen offset:4
.LBB31_260:
	global_load_dword v0, v0, s[20:21]
	s_nop 0
	buffer_load_dword v67, off, s[0:3], 0
	buffer_load_dword v68, off, s[0:3], 0 offset:4
	s_waitcnt vmcnt(2)
	v_add_u32_e32 v0, -1, v0
	v_cmp_eq_u32_e32 vcc, 0, v0
	s_cbranch_vccnz .LBB31_262
; %bb.261:
	v_lshlrev_b32_e32 v0, 3, v0
	buffer_load_dword v65, v0, s[0:3], 0 offen offset:4
	buffer_load_dword v66, v0, s[0:3], 0 offen
	s_waitcnt vmcnt(1)
	buffer_store_dword v65, off, s[0:3], 0 offset:4
	s_waitcnt vmcnt(1)
	buffer_store_dword v66, off, s[0:3], 0
	buffer_store_dword v68, v0, s[0:3], 0 offen offset:4
	buffer_store_dword v67, v0, s[0:3], 0 offen
	buffer_load_dword v67, off, s[0:3], 0
	s_nop 0
	buffer_load_dword v68, off, s[0:3], 0 offset:4
.LBB31_262:
	s_waitcnt vmcnt(0)
	global_store_dwordx2 v[63:64], v[67:68], off
	buffer_load_dword v63, off, s[0:3], 0 offset:8
	s_nop 0
	buffer_load_dword v64, off, s[0:3], 0 offset:12
	buffer_load_dword v65, off, s[0:3], 0 offset:16
	;; [unrolled: 1-line block ×61, first 2 shown]
	s_waitcnt vmcnt(60)
	global_store_dwordx2 v[55:56], v[63:64], off
	s_waitcnt vmcnt(59)
	global_store_dwordx2 v[1:2], v[65:66], off
	s_waitcnt vmcnt(58)
	global_store_dwordx2 v[3:4], v[67:68], off
	s_waitcnt vmcnt(57)
	global_store_dwordx2 v[5:6], v[69:70], off
	s_waitcnt vmcnt(56)
	global_store_dwordx2 v[7:8], v[71:72], off
	s_waitcnt vmcnt(55)
	global_store_dwordx2 v[9:10], v[73:74], off
	s_waitcnt vmcnt(54)
	global_store_dwordx2 v[11:12], v[75:76], off
	s_waitcnt vmcnt(53)
	global_store_dwordx2 v[13:14], v[77:78], off
	s_waitcnt vmcnt(52)
	global_store_dwordx2 v[15:16], v[79:80], off
	s_waitcnt vmcnt(51)
	global_store_dwordx2 v[17:18], v[81:82], off
	s_waitcnt vmcnt(50)
	global_store_dwordx2 v[19:20], v[83:84], off
	s_waitcnt vmcnt(49)
	global_store_dwordx2 v[21:22], v[85:86], off
	s_waitcnt vmcnt(48)
	global_store_dwordx2 v[23:24], v[87:88], off
	s_waitcnt vmcnt(47)
	global_store_dwordx2 v[25:26], v[89:90], off
	s_waitcnt vmcnt(46)
	global_store_dwordx2 v[27:28], v[91:92], off
	s_waitcnt vmcnt(45)
	global_store_dwordx2 v[29:30], v[93:94], off
	s_waitcnt vmcnt(44)
	global_store_dwordx2 v[31:32], v[95:96], off
	s_waitcnt vmcnt(43)
	global_store_dwordx2 v[33:34], v[97:98], off
	s_waitcnt vmcnt(42)
	global_store_dwordx2 v[35:36], v[99:100], off
	s_waitcnt vmcnt(41)
	global_store_dwordx2 v[37:38], v[101:102], off
	s_waitcnt vmcnt(40)
	global_store_dwordx2 v[39:40], v[103:104], off
	s_waitcnt vmcnt(39)
	global_store_dwordx2 v[41:42], v[105:106], off
	s_waitcnt vmcnt(38)
	global_store_dwordx2 v[43:44], v[107:108], off
	s_waitcnt vmcnt(37)
	global_store_dwordx2 v[45:46], v[109:110], off
	s_waitcnt vmcnt(36)
	global_store_dwordx2 v[47:48], v[111:112], off
	s_waitcnt vmcnt(35)
	global_store_dwordx2 v[49:50], v[113:114], off
	s_waitcnt vmcnt(34)
	global_store_dwordx2 v[51:52], v[115:116], off
	s_waitcnt vmcnt(33)
	global_store_dwordx2 v[53:54], v[117:118], off
	s_waitcnt vmcnt(32)
	global_store_dwordx2 v[57:58], v[119:120], off
	s_waitcnt vmcnt(31)
	global_store_dwordx2 v[59:60], v[121:122], off
	s_waitcnt vmcnt(30)
	global_store_dwordx2 v[61:62], v[123:124], off
	s_endpgm
	.section	.rodata,"a",@progbits
	.p2align	6, 0x0
	.amdhsa_kernel _ZN9rocsolver6v33100L18getri_kernel_smallILi32EdPdEEvT1_iilPiilS4_bb
		.amdhsa_group_segment_fixed_size 520
		.amdhsa_private_segment_fixed_size 272
		.amdhsa_kernarg_size 60
		.amdhsa_user_sgpr_count 6
		.amdhsa_user_sgpr_private_segment_buffer 1
		.amdhsa_user_sgpr_dispatch_ptr 0
		.amdhsa_user_sgpr_queue_ptr 0
		.amdhsa_user_sgpr_kernarg_segment_ptr 1
		.amdhsa_user_sgpr_dispatch_id 0
		.amdhsa_user_sgpr_flat_scratch_init 0
		.amdhsa_user_sgpr_private_segment_size 0
		.amdhsa_uses_dynamic_stack 0
		.amdhsa_system_sgpr_private_segment_wavefront_offset 1
		.amdhsa_system_sgpr_workgroup_id_x 1
		.amdhsa_system_sgpr_workgroup_id_y 0
		.amdhsa_system_sgpr_workgroup_id_z 0
		.amdhsa_system_sgpr_workgroup_info 0
		.amdhsa_system_vgpr_workitem_id 0
		.amdhsa_next_free_vgpr 125
		.amdhsa_next_free_sgpr 24
		.amdhsa_reserve_vcc 1
		.amdhsa_reserve_flat_scratch 0
		.amdhsa_float_round_mode_32 0
		.amdhsa_float_round_mode_16_64 0
		.amdhsa_float_denorm_mode_32 3
		.amdhsa_float_denorm_mode_16_64 3
		.amdhsa_dx10_clamp 1
		.amdhsa_ieee_mode 1
		.amdhsa_fp16_overflow 0
		.amdhsa_exception_fp_ieee_invalid_op 0
		.amdhsa_exception_fp_denorm_src 0
		.amdhsa_exception_fp_ieee_div_zero 0
		.amdhsa_exception_fp_ieee_overflow 0
		.amdhsa_exception_fp_ieee_underflow 0
		.amdhsa_exception_fp_ieee_inexact 0
		.amdhsa_exception_int_div_zero 0
	.end_amdhsa_kernel
	.section	.text._ZN9rocsolver6v33100L18getri_kernel_smallILi32EdPdEEvT1_iilPiilS4_bb,"axG",@progbits,_ZN9rocsolver6v33100L18getri_kernel_smallILi32EdPdEEvT1_iilPiilS4_bb,comdat
.Lfunc_end31:
	.size	_ZN9rocsolver6v33100L18getri_kernel_smallILi32EdPdEEvT1_iilPiilS4_bb, .Lfunc_end31-_ZN9rocsolver6v33100L18getri_kernel_smallILi32EdPdEEvT1_iilPiilS4_bb
                                        ; -- End function
	.set _ZN9rocsolver6v33100L18getri_kernel_smallILi32EdPdEEvT1_iilPiilS4_bb.num_vgpr, 125
	.set _ZN9rocsolver6v33100L18getri_kernel_smallILi32EdPdEEvT1_iilPiilS4_bb.num_agpr, 0
	.set _ZN9rocsolver6v33100L18getri_kernel_smallILi32EdPdEEvT1_iilPiilS4_bb.numbered_sgpr, 24
	.set _ZN9rocsolver6v33100L18getri_kernel_smallILi32EdPdEEvT1_iilPiilS4_bb.num_named_barrier, 0
	.set _ZN9rocsolver6v33100L18getri_kernel_smallILi32EdPdEEvT1_iilPiilS4_bb.private_seg_size, 272
	.set _ZN9rocsolver6v33100L18getri_kernel_smallILi32EdPdEEvT1_iilPiilS4_bb.uses_vcc, 1
	.set _ZN9rocsolver6v33100L18getri_kernel_smallILi32EdPdEEvT1_iilPiilS4_bb.uses_flat_scratch, 0
	.set _ZN9rocsolver6v33100L18getri_kernel_smallILi32EdPdEEvT1_iilPiilS4_bb.has_dyn_sized_stack, 0
	.set _ZN9rocsolver6v33100L18getri_kernel_smallILi32EdPdEEvT1_iilPiilS4_bb.has_recursion, 0
	.set _ZN9rocsolver6v33100L18getri_kernel_smallILi32EdPdEEvT1_iilPiilS4_bb.has_indirect_call, 0
	.section	.AMDGPU.csdata,"",@progbits
; Kernel info:
; codeLenInByte = 31768
; TotalNumSgprs: 28
; NumVgprs: 125
; ScratchSize: 272
; MemoryBound: 0
; FloatMode: 240
; IeeeMode: 1
; LDSByteSize: 520 bytes/workgroup (compile time only)
; SGPRBlocks: 3
; VGPRBlocks: 31
; NumSGPRsForWavesPerEU: 28
; NumVGPRsForWavesPerEU: 125
; Occupancy: 2
; WaveLimiterHint : 1
; COMPUTE_PGM_RSRC2:SCRATCH_EN: 1
; COMPUTE_PGM_RSRC2:USER_SGPR: 6
; COMPUTE_PGM_RSRC2:TRAP_HANDLER: 0
; COMPUTE_PGM_RSRC2:TGID_X_EN: 1
; COMPUTE_PGM_RSRC2:TGID_Y_EN: 0
; COMPUTE_PGM_RSRC2:TGID_Z_EN: 0
; COMPUTE_PGM_RSRC2:TIDIG_COMP_CNT: 0
	.section	.text._ZN9rocsolver6v33100L18getri_kernel_smallILi33EdPdEEvT1_iilPiilS4_bb,"axG",@progbits,_ZN9rocsolver6v33100L18getri_kernel_smallILi33EdPdEEvT1_iilPiilS4_bb,comdat
	.globl	_ZN9rocsolver6v33100L18getri_kernel_smallILi33EdPdEEvT1_iilPiilS4_bb ; -- Begin function _ZN9rocsolver6v33100L18getri_kernel_smallILi33EdPdEEvT1_iilPiilS4_bb
	.p2align	8
	.type	_ZN9rocsolver6v33100L18getri_kernel_smallILi33EdPdEEvT1_iilPiilS4_bb,@function
_ZN9rocsolver6v33100L18getri_kernel_smallILi33EdPdEEvT1_iilPiilS4_bb: ; @_ZN9rocsolver6v33100L18getri_kernel_smallILi33EdPdEEvT1_iilPiilS4_bb
; %bb.0:
	s_add_u32 s0, s0, s7
	s_addc_u32 s1, s1, 0
	v_cmp_gt_u32_e32 vcc, 33, v0
	s_and_saveexec_b64 s[8:9], vcc
	s_cbranch_execz .LBB32_140
; %bb.1:
	s_load_dword s12, s[4:5], 0x38
	s_load_dwordx4 s[16:19], s[4:5], 0x10
	s_load_dwordx4 s[8:11], s[4:5], 0x28
                                        ; implicit-def: $sgpr20_sgpr21
	s_waitcnt lgkmcnt(0)
	s_bitcmp1_b32 s12, 8
	s_cselect_b64 s[22:23], -1, 0
	s_ashr_i32 s7, s6, 31
	s_bfe_u32 s12, s12, 0x10008
	s_cmp_eq_u32 s12, 0
	s_cbranch_scc1 .LBB32_3
; %bb.2:
	s_load_dword s12, s[4:5], 0x20
	s_mul_i32 s13, s8, s7
	s_mul_hi_u32 s14, s8, s6
	s_mul_i32 s9, s9, s6
	s_add_i32 s14, s14, s13
	s_add_i32 s9, s14, s9
	s_mul_i32 s8, s8, s6
	s_waitcnt lgkmcnt(0)
	s_ashr_i32 s13, s12, 31
	s_lshl_b64 s[8:9], s[8:9], 2
	s_add_u32 s14, s18, s8
	s_addc_u32 s15, s19, s9
	s_lshl_b64 s[8:9], s[12:13], 2
	s_add_u32 s20, s14, s8
	s_addc_u32 s21, s15, s9
.LBB32_3:
	s_load_dwordx4 s[12:15], s[4:5], 0x0
	s_load_dword s8, s[4:5], 0x38
	s_mul_i32 s9, s16, s7
	s_mul_hi_u32 s18, s16, s6
	s_add_i32 s9, s18, s9
	s_waitcnt lgkmcnt(0)
	s_ashr_i32 s5, s14, 31
	s_mov_b32 s4, s14
	s_mul_i32 s14, s17, s6
	s_add_i32 s17, s9, s14
	s_mul_i32 s16, s16, s6
	s_lshl_b64 s[16:17], s[16:17], 3
	s_add_u32 s9, s12, s16
	s_addc_u32 s12, s13, s17
	s_lshl_b64 s[4:5], s[4:5], 3
	s_add_u32 s4, s9, s4
	s_addc_u32 s5, s12, s5
	s_add_i32 s9, s15, s15
	v_add_u32_e32 v3, s9, v0
	v_ashrrev_i32_e32 v4, 31, v3
	v_lshlrev_b64 v[1:2], 3, v[3:4]
	v_add_u32_e32 v5, s15, v3
	v_mov_b32_e32 v4, s5
	v_add_co_u32_e32 v1, vcc, s4, v1
	v_ashrrev_i32_e32 v6, 31, v5
	v_addc_co_u32_e32 v2, vcc, v4, v2, vcc
	v_lshlrev_b64 v[3:4], 3, v[5:6]
	v_add_u32_e32 v7, s15, v5
	v_mov_b32_e32 v6, s5
	v_add_co_u32_e32 v3, vcc, s4, v3
	v_ashrrev_i32_e32 v8, 31, v7
	v_addc_co_u32_e32 v4, vcc, v6, v4, vcc
	;; [unrolled: 6-line block ×8, first 2 shown]
	v_lshlrev_b64 v[17:18], 3, v[19:20]
	v_mov_b32_e32 v21, s5
	v_add_co_u32_e32 v17, vcc, s4, v17
	v_addc_co_u32_e32 v18, vcc, v21, v18, vcc
	v_add_u32_e32 v21, s15, v19
	v_ashrrev_i32_e32 v22, 31, v21
	v_lshlrev_b64 v[19:20], 3, v[21:22]
	v_mov_b32_e32 v23, s5
	v_add_co_u32_e32 v19, vcc, s4, v19
	v_addc_co_u32_e32 v20, vcc, v23, v20, vcc
	v_add_u32_e32 v23, s15, v21
	v_ashrrev_i32_e32 v24, 31, v23
	;; [unrolled: 6-line block ×15, first 2 shown]
	v_lshlrev_b64 v[47:48], 3, v[49:50]
	v_mov_b32_e32 v51, s5
	v_add_co_u32_e32 v47, vcc, s4, v47
	v_addc_co_u32_e32 v48, vcc, v51, v48, vcc
	v_lshlrev_b32_e32 v69, 3, v0
	v_add_u32_e32 v51, s15, v49
	global_load_dwordx2 v[67:68], v69, s[4:5]
	global_load_dwordx2 v[72:73], v[1:2], off
	global_load_dwordx2 v[74:75], v[3:4], off
	;; [unrolled: 1-line block ×3, first 2 shown]
	v_mov_b32_e32 v49, s5
	v_add_co_u32_e32 v65, vcc, s4, v69
	s_ashr_i32 s13, s15, 31
	s_mov_b32 s12, s15
	v_addc_co_u32_e32 v66, vcc, 0, v49, vcc
	s_lshl_b64 s[12:13], s[12:13], 3
	v_mov_b32_e32 v49, s13
	v_add_co_u32_e32 v59, vcc, s12, v65
	v_addc_co_u32_e32 v60, vcc, v66, v49, vcc
	global_load_dwordx2 v[70:71], v[59:60], off
	global_load_dwordx2 v[86:87], v[15:16], off
	v_ashrrev_i32_e32 v52, 31, v51
	v_lshlrev_b64 v[49:50], 3, v[51:52]
	v_mov_b32_e32 v53, s5
	v_add_co_u32_e32 v49, vcc, s4, v49
	v_addc_co_u32_e32 v50, vcc, v53, v50, vcc
	v_add_u32_e32 v53, s15, v51
	v_ashrrev_i32_e32 v54, 31, v53
	v_lshlrev_b64 v[51:52], 3, v[53:54]
	v_mov_b32_e32 v55, s5
	v_add_co_u32_e32 v51, vcc, s4, v51
	v_addc_co_u32_e32 v52, vcc, v55, v52, vcc
	v_add_u32_e32 v55, s15, v53
	;; [unrolled: 6-line block ×5, first 2 shown]
	v_ashrrev_i32_e32 v64, 31, v63
	v_lshlrev_b64 v[61:62], 3, v[63:64]
	v_mov_b32_e32 v96, s5
	v_add_co_u32_e32 v61, vcc, s4, v61
	global_load_dwordx2 v[78:79], v[7:8], off
	global_load_dwordx2 v[80:81], v[9:10], off
	;; [unrolled: 1-line block ×8, first 2 shown]
	v_addc_co_u32_e32 v62, vcc, v96, v62, vcc
	global_load_dwordx2 v[96:97], v[25:26], off
	global_load_dwordx2 v[98:99], v[27:28], off
	;; [unrolled: 1-line block ×8, first 2 shown]
	v_add_u32_e32 v63, s15, v63
	v_ashrrev_i32_e32 v64, 31, v63
	v_lshlrev_b64 v[63:64], 3, v[63:64]
	v_mov_b32_e32 v112, s5
	v_add_co_u32_e32 v63, vcc, s4, v63
	v_addc_co_u32_e32 v64, vcc, v112, v64, vcc
	global_load_dwordx2 v[112:113], v[41:42], off
	global_load_dwordx2 v[114:115], v[43:44], off
	;; [unrolled: 1-line block ×6, first 2 shown]
	s_bitcmp0_b32 s8, 0
	s_waitcnt vmcnt(27)
	buffer_store_dword v68, off, s[0:3], 0 offset:4
	buffer_store_dword v67, off, s[0:3], 0
	global_load_dwordx2 v[67:68], v[45:46], off
	s_mov_b64 s[8:9], -1
	s_waitcnt vmcnt(29)
	buffer_store_dword v73, off, s[0:3], 0 offset:20
	buffer_store_dword v72, off, s[0:3], 0 offset:16
	s_waitcnt vmcnt(28)
	buffer_store_dword v71, off, s[0:3], 0 offset:12
	buffer_store_dword v70, off, s[0:3], 0 offset:8
	global_load_dwordx2 v[70:71], v[49:50], off
	s_nop 0
	global_load_dwordx2 v[72:73], v[53:54], off
	s_nop 0
	buffer_store_dword v75, off, s[0:3], 0 offset:28
	buffer_store_dword v74, off, s[0:3], 0 offset:24
	global_load_dwordx2 v[74:75], v[57:58], off
	s_nop 0
	buffer_store_dword v77, off, s[0:3], 0 offset:36
	buffer_store_dword v76, off, s[0:3], 0 offset:32
	global_load_dwordx2 v[76:77], v[63:64], off
	s_waitcnt vmcnt(36)
	buffer_store_dword v79, off, s[0:3], 0 offset:44
	buffer_store_dword v78, off, s[0:3], 0 offset:40
	s_waitcnt vmcnt(37)
	buffer_store_dword v81, off, s[0:3], 0 offset:52
	buffer_store_dword v80, off, s[0:3], 0 offset:48
	;; [unrolled: 3-line block ×4, first 2 shown]
	buffer_store_dword v86, off, s[0:3], 0 offset:72
	buffer_store_dword v87, off, s[0:3], 0 offset:76
	s_waitcnt vmcnt(42)
	buffer_store_dword v88, off, s[0:3], 0 offset:80
	buffer_store_dword v89, off, s[0:3], 0 offset:84
	s_waitcnt vmcnt(43)
	;; [unrolled: 3-line block ×15, first 2 shown]
	buffer_store_dword v67, off, s[0:3], 0 offset:192
	buffer_store_dword v68, off, s[0:3], 0 offset:196
	buffer_store_dword v117, off, s[0:3], 0 offset:204
	buffer_store_dword v116, off, s[0:3], 0 offset:200
	s_waitcnt vmcnt(49)
	buffer_store_dword v71, off, s[0:3], 0 offset:212
	buffer_store_dword v70, off, s[0:3], 0 offset:208
	buffer_store_dword v118, off, s[0:3], 0 offset:216
	buffer_store_dword v119, off, s[0:3], 0 offset:220
	s_waitcnt vmcnt(52)
	;; [unrolled: 5-line block ×4, first 2 shown]
	buffer_store_dword v77, off, s[0:3], 0 offset:260
	buffer_store_dword v76, off, s[0:3], 0 offset:256
	s_cbranch_scc1 .LBB32_138
; %bb.4:
	v_cmp_eq_u32_e64 s[4:5], 0, v0
	s_and_saveexec_b64 s[8:9], s[4:5]
; %bb.5:
	v_mov_b32_e32 v67, 0
	ds_write_b32 v67, v67 offset:264
; %bb.6:
	s_or_b64 exec, exec, s[8:9]
	v_mov_b32_e32 v67, 0
	v_lshl_add_u32 v67, v0, 3, v67
	s_waitcnt lgkmcnt(0)
	; wave barrier
	buffer_load_dword v70, v67, s[0:3], 0 offen
	buffer_load_dword v71, v67, s[0:3], 0 offen offset:4
	s_waitcnt vmcnt(0)
	v_cmp_eq_f64_e32 vcc, 0, v[70:71]
	s_and_saveexec_b64 s[12:13], vcc
	s_cbranch_execz .LBB32_10
; %bb.7:
	v_mov_b32_e32 v68, 0
	ds_read_b32 v71, v68 offset:264
	v_add_u32_e32 v70, 1, v0
	s_waitcnt lgkmcnt(0)
	v_readfirstlane_b32 s8, v71
	s_cmp_eq_u32 s8, 0
	s_cselect_b64 s[14:15], -1, 0
	v_cmp_gt_i32_e32 vcc, s8, v70
	s_or_b64 s[14:15], s[14:15], vcc
	s_and_b64 exec, exec, s[14:15]
	s_cbranch_execz .LBB32_10
; %bb.8:
	s_mov_b64 s[14:15], 0
	v_mov_b32_e32 v71, s8
.LBB32_9:                               ; =>This Inner Loop Header: Depth=1
	ds_cmpst_rtn_b32 v71, v68, v71, v70 offset:264
	s_waitcnt lgkmcnt(0)
	v_cmp_ne_u32_e32 vcc, 0, v71
	v_cmp_le_i32_e64 s[8:9], v71, v70
	s_and_b64 s[8:9], vcc, s[8:9]
	s_and_b64 s[8:9], exec, s[8:9]
	s_or_b64 s[14:15], s[8:9], s[14:15]
	s_andn2_b64 exec, exec, s[14:15]
	s_cbranch_execnz .LBB32_9
.LBB32_10:
	s_or_b64 exec, exec, s[12:13]
	v_mov_b32_e32 v70, 0
	; wave barrier
	ds_read_b32 v68, v70 offset:264
	s_and_saveexec_b64 s[8:9], s[4:5]
	s_cbranch_execz .LBB32_12
; %bb.11:
	s_lshl_b64 s[12:13], s[6:7], 2
	s_add_u32 s12, s10, s12
	s_addc_u32 s13, s11, s13
	s_waitcnt lgkmcnt(0)
	global_store_dword v70, v68, s[12:13]
.LBB32_12:
	s_or_b64 exec, exec, s[8:9]
	s_waitcnt lgkmcnt(0)
	v_cmp_ne_u32_e32 vcc, 0, v68
	s_mov_b64 s[8:9], 0
	s_cbranch_vccnz .LBB32_138
; %bb.13:
	buffer_load_dword v70, v67, s[0:3], 0 offen
	buffer_load_dword v71, v67, s[0:3], 0 offen offset:4
	s_waitcnt vmcnt(0)
	v_div_scale_f64 v[72:73], s[8:9], v[70:71], v[70:71], 1.0
	v_rcp_f64_e32 v[74:75], v[72:73]
	v_fma_f64 v[76:77], -v[72:73], v[74:75], 1.0
	v_fma_f64 v[74:75], v[74:75], v[76:77], v[74:75]
	v_div_scale_f64 v[76:77], vcc, 1.0, v[70:71], 1.0
	v_fma_f64 v[78:79], -v[72:73], v[74:75], 1.0
	v_fma_f64 v[74:75], v[74:75], v[78:79], v[74:75]
	v_mul_f64 v[78:79], v[76:77], v[74:75]
	v_fma_f64 v[72:73], -v[72:73], v[78:79], v[76:77]
	v_div_fmas_f64 v[72:73], v[72:73], v[74:75], v[78:79]
	v_div_fixup_f64 v[71:72], v[72:73], v[70:71], 1.0
	v_add_u32_e32 v70, 0x110, v69
	buffer_store_dword v72, v67, s[0:3], 0 offen offset:4
	buffer_store_dword v71, v67, s[0:3], 0 offen
	buffer_load_dword v74, off, s[0:3], 0 offset:12
	buffer_load_dword v73, off, s[0:3], 0 offset:8
	v_xor_b32_e32 v72, 0x80000000, v72
	s_waitcnt vmcnt(0)
	ds_write2_b64 v69, v[71:72], v[73:74] offset1:34
	s_waitcnt lgkmcnt(0)
	; wave barrier
	s_and_saveexec_b64 s[8:9], s[4:5]
	s_cbranch_execz .LBB32_15
; %bb.14:
	buffer_load_dword v71, v67, s[0:3], 0 offen
	buffer_load_dword v72, v67, s[0:3], 0 offen offset:4
	ds_read_b64 v[73:74], v70
	v_mov_b32_e32 v68, 0
	ds_read_b64 v[75:76], v68 offset:8
	s_waitcnt vmcnt(0) lgkmcnt(1)
	v_fma_f64 v[71:72], v[71:72], v[73:74], 0
	s_waitcnt lgkmcnt(0)
	v_mul_f64 v[71:72], v[71:72], v[75:76]
	buffer_store_dword v71, off, s[0:3], 0 offset:8
	buffer_store_dword v72, off, s[0:3], 0 offset:12
.LBB32_15:
	s_or_b64 exec, exec, s[8:9]
	; wave barrier
	buffer_load_dword v71, off, s[0:3], 0 offset:16
	buffer_load_dword v72, off, s[0:3], 0 offset:20
	v_cmp_gt_u32_e32 vcc, 2, v0
	s_waitcnt vmcnt(0)
	ds_write_b64 v70, v[71:72]
	s_waitcnt lgkmcnt(0)
	; wave barrier
	s_and_saveexec_b64 s[8:9], vcc
	s_cbranch_execz .LBB32_17
; %bb.16:
	buffer_load_dword v71, v67, s[0:3], 0 offen
	buffer_load_dword v72, v67, s[0:3], 0 offen offset:4
                                        ; kill: killed $vgpr67
	s_nop 0
	buffer_load_dword v67, off, s[0:3], 0 offset:8
	buffer_load_dword v68, off, s[0:3], 0 offset:12
	ds_read_b64 v[73:74], v70
	s_waitcnt vmcnt(2) lgkmcnt(0)
	v_fma_f64 v[75:76], v[71:72], v[73:74], 0
	v_mov_b32_e32 v71, 0
	ds_read2_b64 v[71:74], v71 offset0:2 offset1:35
	s_waitcnt vmcnt(0) lgkmcnt(0)
	v_fma_f64 v[67:68], v[67:68], v[73:74], v[75:76]
	v_cndmask_b32_e64 v68, v76, v68, s[4:5]
	v_cndmask_b32_e64 v67, v75, v67, s[4:5]
	v_mul_f64 v[67:68], v[67:68], v[71:72]
	buffer_store_dword v68, off, s[0:3], 0 offset:20
	buffer_store_dword v67, off, s[0:3], 0 offset:16
.LBB32_17:
	s_or_b64 exec, exec, s[8:9]
	; wave barrier
	buffer_load_dword v67, off, s[0:3], 0 offset:24
	buffer_load_dword v68, off, s[0:3], 0 offset:28
	v_cmp_gt_u32_e32 vcc, 3, v0
	v_add_u32_e32 v71, -1, v0
	s_waitcnt vmcnt(0)
	ds_write_b64 v70, v[67:68]
	s_waitcnt lgkmcnt(0)
	; wave barrier
	s_and_saveexec_b64 s[4:5], vcc
	s_cbranch_execz .LBB32_21
; %bb.18:
	v_mov_b32_e32 v67, 0
	v_add_u32_e32 v72, -1, v0
	v_add_u32_e32 v73, 0x110, v69
	v_mov_b32_e32 v74, v69
	v_mov_b32_e32 v68, 0
	s_mov_b64 s[8:9], 0
.LBB32_19:                              ; =>This Inner Loop Header: Depth=1
	buffer_load_dword v75, v74, s[0:3], 0 offen
	buffer_load_dword v76, v74, s[0:3], 0 offen offset:4
	ds_read_b64 v[77:78], v73
	v_add_u32_e32 v72, 1, v72
	v_cmp_lt_u32_e32 vcc, 1, v72
	v_add_u32_e32 v73, 8, v73
	s_or_b64 s[8:9], vcc, s[8:9]
	v_add_u32_e32 v74, 8, v74
	s_waitcnt vmcnt(0) lgkmcnt(0)
	v_fma_f64 v[67:68], v[75:76], v[77:78], v[67:68]
	s_andn2_b64 exec, exec, s[8:9]
	s_cbranch_execnz .LBB32_19
; %bb.20:
	s_or_b64 exec, exec, s[8:9]
	v_mov_b32_e32 v72, 0
	ds_read_b64 v[72:73], v72 offset:24
	s_waitcnt lgkmcnt(0)
	v_mul_f64 v[67:68], v[67:68], v[72:73]
	buffer_store_dword v68, off, s[0:3], 0 offset:28
	buffer_store_dword v67, off, s[0:3], 0 offset:24
.LBB32_21:
	s_or_b64 exec, exec, s[4:5]
	; wave barrier
	buffer_load_dword v67, off, s[0:3], 0 offset:32
	buffer_load_dword v68, off, s[0:3], 0 offset:36
	v_cmp_gt_u32_e32 vcc, 4, v0
	s_waitcnt vmcnt(0)
	ds_write_b64 v70, v[67:68]
	s_waitcnt lgkmcnt(0)
	; wave barrier
	s_and_saveexec_b64 s[4:5], vcc
	s_cbranch_execz .LBB32_25
; %bb.22:
	v_mov_b32_e32 v67, 0
	v_add_u32_e32 v72, -1, v0
	v_add_u32_e32 v73, 0x110, v69
	v_mov_b32_e32 v74, v69
	v_mov_b32_e32 v68, 0
	s_mov_b64 s[8:9], 0
.LBB32_23:                              ; =>This Inner Loop Header: Depth=1
	buffer_load_dword v75, v74, s[0:3], 0 offen
	buffer_load_dword v76, v74, s[0:3], 0 offen offset:4
	ds_read_b64 v[77:78], v73
	v_add_u32_e32 v72, 1, v72
	v_cmp_lt_u32_e32 vcc, 2, v72
	v_add_u32_e32 v73, 8, v73
	s_or_b64 s[8:9], vcc, s[8:9]
	v_add_u32_e32 v74, 8, v74
	s_waitcnt vmcnt(0) lgkmcnt(0)
	v_fma_f64 v[67:68], v[75:76], v[77:78], v[67:68]
	s_andn2_b64 exec, exec, s[8:9]
	s_cbranch_execnz .LBB32_23
; %bb.24:
	s_or_b64 exec, exec, s[8:9]
	v_mov_b32_e32 v72, 0
	ds_read_b64 v[72:73], v72 offset:32
	s_waitcnt lgkmcnt(0)
	v_mul_f64 v[67:68], v[67:68], v[72:73]
	buffer_store_dword v68, off, s[0:3], 0 offset:36
	buffer_store_dword v67, off, s[0:3], 0 offset:32
.LBB32_25:
	s_or_b64 exec, exec, s[4:5]
	; wave barrier
	buffer_load_dword v67, off, s[0:3], 0 offset:40
	buffer_load_dword v68, off, s[0:3], 0 offset:44
	v_cmp_gt_u32_e32 vcc, 5, v0
	;; [unrolled: 40-line block ×21, first 2 shown]
	s_waitcnt vmcnt(0)
	ds_write_b64 v70, v[67:68]
	s_waitcnt lgkmcnt(0)
	; wave barrier
	s_and_saveexec_b64 s[4:5], vcc
	s_cbranch_execz .LBB32_105
; %bb.102:
	v_mov_b32_e32 v67, 0
	v_add_u32_e32 v72, -1, v0
	v_add_u32_e32 v73, 0x110, v69
	v_mov_b32_e32 v74, v69
	v_mov_b32_e32 v68, 0
	s_mov_b64 s[8:9], 0
.LBB32_103:                             ; =>This Inner Loop Header: Depth=1
	buffer_load_dword v75, v74, s[0:3], 0 offen
	buffer_load_dword v76, v74, s[0:3], 0 offen offset:4
	ds_read_b64 v[77:78], v73
	v_add_u32_e32 v72, 1, v72
	v_cmp_lt_u32_e32 vcc, 22, v72
	v_add_u32_e32 v73, 8, v73
	s_or_b64 s[8:9], vcc, s[8:9]
	v_add_u32_e32 v74, 8, v74
	s_waitcnt vmcnt(0) lgkmcnt(0)
	v_fma_f64 v[67:68], v[75:76], v[77:78], v[67:68]
	s_andn2_b64 exec, exec, s[8:9]
	s_cbranch_execnz .LBB32_103
; %bb.104:
	s_or_b64 exec, exec, s[8:9]
	v_mov_b32_e32 v72, 0
	ds_read_b64 v[72:73], v72 offset:192
	s_waitcnt lgkmcnt(0)
	v_mul_f64 v[67:68], v[67:68], v[72:73]
	buffer_store_dword v68, off, s[0:3], 0 offset:196
	buffer_store_dword v67, off, s[0:3], 0 offset:192
.LBB32_105:
	s_or_b64 exec, exec, s[4:5]
	; wave barrier
	buffer_load_dword v67, off, s[0:3], 0 offset:200
	buffer_load_dword v68, off, s[0:3], 0 offset:204
	v_cmp_gt_u32_e32 vcc, 25, v0
	s_waitcnt vmcnt(0)
	ds_write_b64 v70, v[67:68]
	s_waitcnt lgkmcnt(0)
	; wave barrier
	s_and_saveexec_b64 s[4:5], vcc
	s_cbranch_execz .LBB32_109
; %bb.106:
	v_mov_b32_e32 v67, 0
	v_add_u32_e32 v72, -1, v0
	v_add_u32_e32 v73, 0x110, v69
	v_mov_b32_e32 v74, v69
	v_mov_b32_e32 v68, 0
	s_mov_b64 s[8:9], 0
.LBB32_107:                             ; =>This Inner Loop Header: Depth=1
	buffer_load_dword v75, v74, s[0:3], 0 offen
	buffer_load_dword v76, v74, s[0:3], 0 offen offset:4
	ds_read_b64 v[77:78], v73
	v_add_u32_e32 v72, 1, v72
	v_cmp_lt_u32_e32 vcc, 23, v72
	v_add_u32_e32 v73, 8, v73
	s_or_b64 s[8:9], vcc, s[8:9]
	v_add_u32_e32 v74, 8, v74
	s_waitcnt vmcnt(0) lgkmcnt(0)
	v_fma_f64 v[67:68], v[75:76], v[77:78], v[67:68]
	s_andn2_b64 exec, exec, s[8:9]
	s_cbranch_execnz .LBB32_107
; %bb.108:
	s_or_b64 exec, exec, s[8:9]
	v_mov_b32_e32 v72, 0
	ds_read_b64 v[72:73], v72 offset:200
	s_waitcnt lgkmcnt(0)
	v_mul_f64 v[67:68], v[67:68], v[72:73]
	buffer_store_dword v68, off, s[0:3], 0 offset:204
	buffer_store_dword v67, off, s[0:3], 0 offset:200
.LBB32_109:
	s_or_b64 exec, exec, s[4:5]
	; wave barrier
	buffer_load_dword v67, off, s[0:3], 0 offset:208
	buffer_load_dword v68, off, s[0:3], 0 offset:212
	v_cmp_gt_u32_e32 vcc, 26, v0
	;; [unrolled: 40-line block ×7, first 2 shown]
	s_waitcnt vmcnt(0)
	ds_write_b64 v70, v[67:68]
	s_waitcnt lgkmcnt(0)
	; wave barrier
	s_and_saveexec_b64 s[4:5], vcc
	s_cbranch_execz .LBB32_133
; %bb.130:
	v_mov_b32_e32 v67, 0
	v_add_u32_e32 v72, -1, v0
	v_add_u32_e32 v73, 0x110, v69
	v_mov_b32_e32 v74, v69
	v_mov_b32_e32 v68, 0
	s_mov_b64 s[8:9], 0
.LBB32_131:                             ; =>This Inner Loop Header: Depth=1
	buffer_load_dword v75, v74, s[0:3], 0 offen
	buffer_load_dword v76, v74, s[0:3], 0 offen offset:4
	ds_read_b64 v[77:78], v73
	v_add_u32_e32 v72, 1, v72
	v_cmp_lt_u32_e32 vcc, 29, v72
	v_add_u32_e32 v73, 8, v73
	s_or_b64 s[8:9], vcc, s[8:9]
	v_add_u32_e32 v74, 8, v74
	s_waitcnt vmcnt(0) lgkmcnt(0)
	v_fma_f64 v[67:68], v[75:76], v[77:78], v[67:68]
	s_andn2_b64 exec, exec, s[8:9]
	s_cbranch_execnz .LBB32_131
; %bb.132:
	s_or_b64 exec, exec, s[8:9]
	v_mov_b32_e32 v72, 0
	ds_read_b64 v[72:73], v72 offset:248
	s_waitcnt lgkmcnt(0)
	v_mul_f64 v[67:68], v[67:68], v[72:73]
	buffer_store_dword v68, off, s[0:3], 0 offset:252
	buffer_store_dword v67, off, s[0:3], 0 offset:248
.LBB32_133:
	s_or_b64 exec, exec, s[4:5]
	; wave barrier
	buffer_load_dword v67, off, s[0:3], 0 offset:256
	buffer_load_dword v68, off, s[0:3], 0 offset:260
	v_cmp_ne_u32_e32 vcc, 32, v0
	s_waitcnt vmcnt(0)
	ds_write_b64 v70, v[67:68]
	s_waitcnt lgkmcnt(0)
	; wave barrier
	s_and_saveexec_b64 s[4:5], vcc
	s_cbranch_execz .LBB32_137
; %bb.134:
	v_mov_b32_e32 v67, 0
	v_add_u32_e32 v70, 0x110, v69
	v_mov_b32_e32 v68, 0
	s_mov_b64 s[8:9], 0
.LBB32_135:                             ; =>This Inner Loop Header: Depth=1
	buffer_load_dword v72, v69, s[0:3], 0 offen
	buffer_load_dword v73, v69, s[0:3], 0 offen offset:4
	ds_read_b64 v[74:75], v70
	v_add_u32_e32 v71, 1, v71
	v_cmp_lt_u32_e32 vcc, 30, v71
	v_add_u32_e32 v70, 8, v70
	s_or_b64 s[8:9], vcc, s[8:9]
	v_add_u32_e32 v69, 8, v69
	s_waitcnt vmcnt(0) lgkmcnt(0)
	v_fma_f64 v[67:68], v[72:73], v[74:75], v[67:68]
	s_andn2_b64 exec, exec, s[8:9]
	s_cbranch_execnz .LBB32_135
; %bb.136:
	s_or_b64 exec, exec, s[8:9]
	v_mov_b32_e32 v69, 0
	ds_read_b64 v[69:70], v69 offset:256
	s_waitcnt lgkmcnt(0)
	v_mul_f64 v[67:68], v[67:68], v[69:70]
	buffer_store_dword v68, off, s[0:3], 0 offset:260
	buffer_store_dword v67, off, s[0:3], 0 offset:256
.LBB32_137:
	s_or_b64 exec, exec, s[4:5]
	s_mov_b64 s[8:9], -1
	; wave barrier
.LBB32_138:
	s_and_b64 vcc, exec, s[8:9]
	s_cbranch_vccz .LBB32_140
; %bb.139:
	s_lshl_b64 s[4:5], s[6:7], 2
	s_add_u32 s4, s10, s4
	s_addc_u32 s5, s11, s5
	v_mov_b32_e32 v67, 0
	global_load_dword v67, v67, s[4:5]
	s_waitcnt vmcnt(0)
	v_cmp_ne_u32_e32 vcc, 0, v67
	s_cbranch_vccz .LBB32_141
.LBB32_140:
	s_endpgm
.LBB32_141:
	v_mov_b32_e32 v67, 0x110
	v_lshl_add_u32 v67, v0, 3, v67
	v_cmp_eq_u32_e32 vcc, 32, v0
	s_and_saveexec_b64 s[4:5], vcc
	s_cbranch_execz .LBB32_143
; %bb.142:
	buffer_load_dword v68, off, s[0:3], 0 offset:248
	buffer_load_dword v69, off, s[0:3], 0 offset:252
	v_mov_b32_e32 v70, 0
	buffer_store_dword v70, off, s[0:3], 0 offset:248
	buffer_store_dword v70, off, s[0:3], 0 offset:252
	s_waitcnt vmcnt(2)
	ds_write_b64 v67, v[68:69]
.LBB32_143:
	s_or_b64 exec, exec, s[4:5]
	s_waitcnt lgkmcnt(0)
	; wave barrier
	buffer_load_dword v69, off, s[0:3], 0 offset:256
	buffer_load_dword v70, off, s[0:3], 0 offset:260
	;; [unrolled: 1-line block ×4, first 2 shown]
	v_mov_b32_e32 v68, 0
	ds_read_b64 v[73:74], v68 offset:528
	v_cmp_lt_u32_e32 vcc, 30, v0
	s_waitcnt vmcnt(2) lgkmcnt(0)
	v_fma_f64 v[69:70], v[69:70], v[73:74], 0
	s_waitcnt vmcnt(0)
	v_add_f64 v[69:70], v[71:72], -v[69:70]
	buffer_store_dword v69, off, s[0:3], 0 offset:248
	buffer_store_dword v70, off, s[0:3], 0 offset:252
	s_and_saveexec_b64 s[4:5], vcc
	s_cbranch_execz .LBB32_145
; %bb.144:
	buffer_load_dword v69, off, s[0:3], 0 offset:240
	buffer_load_dword v70, off, s[0:3], 0 offset:244
	s_waitcnt vmcnt(0)
	ds_write_b64 v67, v[69:70]
	buffer_store_dword v68, off, s[0:3], 0 offset:240
	buffer_store_dword v68, off, s[0:3], 0 offset:244
.LBB32_145:
	s_or_b64 exec, exec, s[4:5]
	s_waitcnt lgkmcnt(0)
	; wave barrier
	buffer_load_dword v72, off, s[0:3], 0 offset:248
	buffer_load_dword v73, off, s[0:3], 0 offset:252
	;; [unrolled: 1-line block ×6, first 2 shown]
	ds_read2_b64 v[68:71], v68 offset0:65 offset1:66
	v_cmp_lt_u32_e32 vcc, 29, v0
	s_waitcnt vmcnt(4) lgkmcnt(0)
	v_fma_f64 v[68:69], v[72:73], v[68:69], 0
	s_waitcnt vmcnt(2)
	v_fma_f64 v[68:69], v[74:75], v[70:71], v[68:69]
	s_waitcnt vmcnt(0)
	v_add_f64 v[68:69], v[76:77], -v[68:69]
	buffer_store_dword v68, off, s[0:3], 0 offset:240
	buffer_store_dword v69, off, s[0:3], 0 offset:244
	s_and_saveexec_b64 s[4:5], vcc
	s_cbranch_execz .LBB32_147
; %bb.146:
	buffer_load_dword v68, off, s[0:3], 0 offset:232
	buffer_load_dword v69, off, s[0:3], 0 offset:236
	v_mov_b32_e32 v70, 0
	buffer_store_dword v70, off, s[0:3], 0 offset:232
	buffer_store_dword v70, off, s[0:3], 0 offset:236
	s_waitcnt vmcnt(2)
	ds_write_b64 v67, v[68:69]
.LBB32_147:
	s_or_b64 exec, exec, s[4:5]
	s_waitcnt lgkmcnt(0)
	; wave barrier
	buffer_load_dword v73, off, s[0:3], 0 offset:240
	buffer_load_dword v74, off, s[0:3], 0 offset:244
	;; [unrolled: 1-line block ×8, first 2 shown]
	v_mov_b32_e32 v68, 0
	ds_read_b128 v[69:72], v68 offset:512
	v_cmp_lt_u32_e32 vcc, 28, v0
	s_waitcnt vmcnt(6) lgkmcnt(0)
	v_fma_f64 v[69:70], v[73:74], v[69:70], 0
	s_waitcnt vmcnt(4)
	v_fma_f64 v[69:70], v[75:76], v[71:72], v[69:70]
	ds_read_b64 v[71:72], v68 offset:528
	s_waitcnt vmcnt(2) lgkmcnt(0)
	v_fma_f64 v[69:70], v[77:78], v[71:72], v[69:70]
	s_waitcnt vmcnt(0)
	v_add_f64 v[69:70], v[79:80], -v[69:70]
	buffer_store_dword v69, off, s[0:3], 0 offset:232
	buffer_store_dword v70, off, s[0:3], 0 offset:236
	s_and_saveexec_b64 s[4:5], vcc
	s_cbranch_execz .LBB32_149
; %bb.148:
	buffer_load_dword v69, off, s[0:3], 0 offset:224
	buffer_load_dword v70, off, s[0:3], 0 offset:228
	s_waitcnt vmcnt(0)
	ds_write_b64 v67, v[69:70]
	buffer_store_dword v68, off, s[0:3], 0 offset:224
	buffer_store_dword v68, off, s[0:3], 0 offset:228
.LBB32_149:
	s_or_b64 exec, exec, s[4:5]
	s_waitcnt lgkmcnt(0)
	; wave barrier
	buffer_load_dword v73, off, s[0:3], 0 offset:232
	buffer_load_dword v74, off, s[0:3], 0 offset:236
	;; [unrolled: 1-line block ×10, first 2 shown]
	ds_read2_b64 v[69:72], v68 offset0:63 offset1:64
	v_cmp_lt_u32_e32 vcc, 27, v0
	s_waitcnt vmcnt(8) lgkmcnt(0)
	v_fma_f64 v[69:70], v[73:74], v[69:70], 0
	s_waitcnt vmcnt(6)
	v_fma_f64 v[72:73], v[75:76], v[71:72], v[69:70]
	ds_read2_b64 v[68:71], v68 offset0:65 offset1:66
	s_waitcnt vmcnt(4) lgkmcnt(0)
	v_fma_f64 v[68:69], v[77:78], v[68:69], v[72:73]
	s_waitcnt vmcnt(2)
	v_fma_f64 v[68:69], v[79:80], v[70:71], v[68:69]
	s_waitcnt vmcnt(0)
	v_add_f64 v[68:69], v[81:82], -v[68:69]
	buffer_store_dword v68, off, s[0:3], 0 offset:224
	buffer_store_dword v69, off, s[0:3], 0 offset:228
	s_and_saveexec_b64 s[4:5], vcc
	s_cbranch_execz .LBB32_151
; %bb.150:
	buffer_load_dword v68, off, s[0:3], 0 offset:216
	buffer_load_dword v69, off, s[0:3], 0 offset:220
	v_mov_b32_e32 v70, 0
	buffer_store_dword v70, off, s[0:3], 0 offset:216
	buffer_store_dword v70, off, s[0:3], 0 offset:220
	s_waitcnt vmcnt(2)
	ds_write_b64 v67, v[68:69]
.LBB32_151:
	s_or_b64 exec, exec, s[4:5]
	s_waitcnt lgkmcnt(0)
	; wave barrier
	buffer_load_dword v77, off, s[0:3], 0 offset:224
	buffer_load_dword v78, off, s[0:3], 0 offset:228
	;; [unrolled: 1-line block ×12, first 2 shown]
	v_mov_b32_e32 v68, 0
	ds_read_b128 v[69:72], v68 offset:496
	ds_read_b128 v[73:76], v68 offset:512
	v_cmp_lt_u32_e32 vcc, 26, v0
	s_waitcnt vmcnt(10) lgkmcnt(1)
	v_fma_f64 v[69:70], v[77:78], v[69:70], 0
	s_waitcnt vmcnt(8)
	v_fma_f64 v[69:70], v[79:80], v[71:72], v[69:70]
	ds_read_b64 v[71:72], v68 offset:528
	s_waitcnt vmcnt(6) lgkmcnt(1)
	v_fma_f64 v[69:70], v[81:82], v[73:74], v[69:70]
	s_waitcnt vmcnt(4)
	v_fma_f64 v[69:70], v[83:84], v[75:76], v[69:70]
	s_waitcnt vmcnt(2) lgkmcnt(0)
	v_fma_f64 v[69:70], v[85:86], v[71:72], v[69:70]
	s_waitcnt vmcnt(0)
	v_add_f64 v[69:70], v[87:88], -v[69:70]
	buffer_store_dword v69, off, s[0:3], 0 offset:216
	buffer_store_dword v70, off, s[0:3], 0 offset:220
	s_and_saveexec_b64 s[4:5], vcc
	s_cbranch_execz .LBB32_153
; %bb.152:
	buffer_load_dword v69, off, s[0:3], 0 offset:208
	buffer_load_dword v70, off, s[0:3], 0 offset:212
	s_waitcnt vmcnt(0)
	ds_write_b64 v67, v[69:70]
	buffer_store_dword v68, off, s[0:3], 0 offset:208
	buffer_store_dword v68, off, s[0:3], 0 offset:212
.LBB32_153:
	s_or_b64 exec, exec, s[4:5]
	s_waitcnt lgkmcnt(0)
	; wave barrier
	buffer_load_dword v77, off, s[0:3], 0 offset:216
	buffer_load_dword v78, off, s[0:3], 0 offset:220
	;; [unrolled: 1-line block ×14, first 2 shown]
	ds_read2_b64 v[69:72], v68 offset0:61 offset1:62
	ds_read2_b64 v[73:76], v68 offset0:63 offset1:64
	v_cmp_lt_u32_e32 vcc, 25, v0
	s_waitcnt vmcnt(12) lgkmcnt(1)
	v_fma_f64 v[69:70], v[77:78], v[69:70], 0
	s_waitcnt vmcnt(10)
	v_fma_f64 v[69:70], v[79:80], v[71:72], v[69:70]
	s_waitcnt vmcnt(8) lgkmcnt(0)
	v_fma_f64 v[69:70], v[81:82], v[73:74], v[69:70]
	s_waitcnt vmcnt(6)
	v_fma_f64 v[72:73], v[83:84], v[75:76], v[69:70]
	ds_read2_b64 v[68:71], v68 offset0:65 offset1:66
	s_waitcnt vmcnt(4) lgkmcnt(0)
	v_fma_f64 v[68:69], v[85:86], v[68:69], v[72:73]
	s_waitcnt vmcnt(2)
	v_fma_f64 v[68:69], v[87:88], v[70:71], v[68:69]
	s_waitcnt vmcnt(0)
	v_add_f64 v[68:69], v[89:90], -v[68:69]
	buffer_store_dword v68, off, s[0:3], 0 offset:208
	buffer_store_dword v69, off, s[0:3], 0 offset:212
	s_and_saveexec_b64 s[4:5], vcc
	s_cbranch_execz .LBB32_155
; %bb.154:
	buffer_load_dword v68, off, s[0:3], 0 offset:200
	buffer_load_dword v69, off, s[0:3], 0 offset:204
	v_mov_b32_e32 v70, 0
	buffer_store_dword v70, off, s[0:3], 0 offset:200
	buffer_store_dword v70, off, s[0:3], 0 offset:204
	s_waitcnt vmcnt(2)
	ds_write_b64 v67, v[68:69]
.LBB32_155:
	s_or_b64 exec, exec, s[4:5]
	s_waitcnt lgkmcnt(0)
	; wave barrier
	buffer_load_dword v77, off, s[0:3], 0 offset:208
	buffer_load_dword v78, off, s[0:3], 0 offset:212
	;; [unrolled: 1-line block ×16, first 2 shown]
	v_mov_b32_e32 v68, 0
	ds_read_b128 v[69:72], v68 offset:480
	ds_read_b128 v[73:76], v68 offset:496
	v_cmp_lt_u32_e32 vcc, 24, v0
	s_waitcnt vmcnt(14) lgkmcnt(1)
	v_fma_f64 v[69:70], v[77:78], v[69:70], 0
	s_waitcnt vmcnt(12)
	v_fma_f64 v[69:70], v[79:80], v[71:72], v[69:70]
	s_waitcnt vmcnt(10) lgkmcnt(0)
	v_fma_f64 v[69:70], v[81:82], v[73:74], v[69:70]
	s_waitcnt vmcnt(8)
	v_fma_f64 v[73:74], v[83:84], v[75:76], v[69:70]
	ds_read_b128 v[69:72], v68 offset:512
	ds_read_b64 v[75:76], v68 offset:528
	s_waitcnt vmcnt(6) lgkmcnt(1)
	v_fma_f64 v[69:70], v[85:86], v[69:70], v[73:74]
	s_waitcnt vmcnt(4)
	v_fma_f64 v[69:70], v[87:88], v[71:72], v[69:70]
	s_waitcnt vmcnt(2) lgkmcnt(0)
	v_fma_f64 v[69:70], v[89:90], v[75:76], v[69:70]
	s_waitcnt vmcnt(0)
	v_add_f64 v[69:70], v[91:92], -v[69:70]
	buffer_store_dword v69, off, s[0:3], 0 offset:200
	buffer_store_dword v70, off, s[0:3], 0 offset:204
	s_and_saveexec_b64 s[4:5], vcc
	s_cbranch_execz .LBB32_157
; %bb.156:
	buffer_load_dword v69, off, s[0:3], 0 offset:192
	buffer_load_dword v70, off, s[0:3], 0 offset:196
	s_waitcnt vmcnt(0)
	ds_write_b64 v67, v[69:70]
	buffer_store_dword v68, off, s[0:3], 0 offset:192
	buffer_store_dword v68, off, s[0:3], 0 offset:196
.LBB32_157:
	s_or_b64 exec, exec, s[4:5]
	s_waitcnt lgkmcnt(0)
	; wave barrier
	buffer_load_dword v77, off, s[0:3], 0 offset:200
	buffer_load_dword v78, off, s[0:3], 0 offset:204
	;; [unrolled: 1-line block ×18, first 2 shown]
	ds_read2_b64 v[69:72], v68 offset0:59 offset1:60
	ds_read2_b64 v[73:76], v68 offset0:61 offset1:62
	v_cmp_lt_u32_e32 vcc, 23, v0
	s_waitcnt vmcnt(16) lgkmcnt(1)
	v_fma_f64 v[69:70], v[77:78], v[69:70], 0
	s_waitcnt vmcnt(14)
	v_fma_f64 v[69:70], v[79:80], v[71:72], v[69:70]
	s_waitcnt vmcnt(12) lgkmcnt(0)
	v_fma_f64 v[69:70], v[81:82], v[73:74], v[69:70]
	s_waitcnt vmcnt(10)
	v_fma_f64 v[77:78], v[83:84], v[75:76], v[69:70]
	ds_read2_b64 v[69:72], v68 offset0:63 offset1:64
	ds_read2_b64 v[73:76], v68 offset0:65 offset1:66
	s_waitcnt vmcnt(8) lgkmcnt(1)
	v_fma_f64 v[68:69], v[85:86], v[69:70], v[77:78]
	s_waitcnt vmcnt(6)
	v_fma_f64 v[68:69], v[87:88], v[71:72], v[68:69]
	s_waitcnt vmcnt(4) lgkmcnt(0)
	v_fma_f64 v[68:69], v[89:90], v[73:74], v[68:69]
	s_waitcnt vmcnt(2)
	v_fma_f64 v[68:69], v[91:92], v[75:76], v[68:69]
	s_waitcnt vmcnt(0)
	v_add_f64 v[68:69], v[93:94], -v[68:69]
	buffer_store_dword v68, off, s[0:3], 0 offset:192
	buffer_store_dword v69, off, s[0:3], 0 offset:196
	s_and_saveexec_b64 s[4:5], vcc
	s_cbranch_execz .LBB32_159
; %bb.158:
	buffer_load_dword v68, off, s[0:3], 0 offset:184
	buffer_load_dword v69, off, s[0:3], 0 offset:188
	v_mov_b32_e32 v70, 0
	buffer_store_dword v70, off, s[0:3], 0 offset:184
	buffer_store_dword v70, off, s[0:3], 0 offset:188
	s_waitcnt vmcnt(2)
	ds_write_b64 v67, v[68:69]
.LBB32_159:
	s_or_b64 exec, exec, s[4:5]
	s_waitcnt lgkmcnt(0)
	; wave barrier
	buffer_load_dword v77, off, s[0:3], 0 offset:192
	buffer_load_dword v78, off, s[0:3], 0 offset:196
	;; [unrolled: 1-line block ×20, first 2 shown]
	v_mov_b32_e32 v68, 0
	ds_read_b128 v[69:72], v68 offset:464
	ds_read_b128 v[73:76], v68 offset:480
	v_cmp_lt_u32_e32 vcc, 22, v0
	s_waitcnt vmcnt(18) lgkmcnt(1)
	v_fma_f64 v[69:70], v[77:78], v[69:70], 0
	s_waitcnt vmcnt(16)
	v_fma_f64 v[69:70], v[79:80], v[71:72], v[69:70]
	s_waitcnt vmcnt(14) lgkmcnt(0)
	v_fma_f64 v[69:70], v[81:82], v[73:74], v[69:70]
	s_waitcnt vmcnt(12)
	v_fma_f64 v[77:78], v[83:84], v[75:76], v[69:70]
	ds_read_b128 v[69:72], v68 offset:496
	ds_read_b128 v[73:76], v68 offset:512
	s_waitcnt vmcnt(10) lgkmcnt(1)
	v_fma_f64 v[69:70], v[85:86], v[69:70], v[77:78]
	s_waitcnt vmcnt(8)
	v_fma_f64 v[69:70], v[87:88], v[71:72], v[69:70]
	ds_read_b64 v[71:72], v68 offset:528
	s_waitcnt vmcnt(6) lgkmcnt(1)
	v_fma_f64 v[69:70], v[89:90], v[73:74], v[69:70]
	s_waitcnt vmcnt(3)
	v_fma_f64 v[69:70], v[91:92], v[75:76], v[69:70]
	s_waitcnt vmcnt(2) lgkmcnt(0)
	v_fma_f64 v[69:70], v[93:94], v[71:72], v[69:70]
	s_waitcnt vmcnt(0)
	v_add_f64 v[69:70], v[95:96], -v[69:70]
	buffer_store_dword v69, off, s[0:3], 0 offset:184
	buffer_store_dword v70, off, s[0:3], 0 offset:188
	s_and_saveexec_b64 s[4:5], vcc
	s_cbranch_execz .LBB32_161
; %bb.160:
	buffer_load_dword v69, off, s[0:3], 0 offset:176
	buffer_load_dword v70, off, s[0:3], 0 offset:180
	s_waitcnt vmcnt(0)
	ds_write_b64 v67, v[69:70]
	buffer_store_dword v68, off, s[0:3], 0 offset:176
	buffer_store_dword v68, off, s[0:3], 0 offset:180
.LBB32_161:
	s_or_b64 exec, exec, s[4:5]
	s_waitcnt lgkmcnt(0)
	; wave barrier
	buffer_load_dword v77, off, s[0:3], 0 offset:184
	buffer_load_dword v78, off, s[0:3], 0 offset:188
	;; [unrolled: 1-line block ×20, first 2 shown]
	ds_read2_b64 v[69:72], v68 offset0:57 offset1:58
	buffer_load_dword v97, off, s[0:3], 0 offset:176
	buffer_load_dword v98, off, s[0:3], 0 offset:180
	ds_read2_b64 v[73:76], v68 offset0:59 offset1:60
	v_cmp_lt_u32_e32 vcc, 21, v0
	s_waitcnt vmcnt(20) lgkmcnt(1)
	v_fma_f64 v[69:70], v[77:78], v[69:70], 0
	s_waitcnt vmcnt(18)
	v_fma_f64 v[69:70], v[79:80], v[71:72], v[69:70]
	s_waitcnt vmcnt(16) lgkmcnt(0)
	v_fma_f64 v[69:70], v[81:82], v[73:74], v[69:70]
	s_waitcnt vmcnt(14)
	v_fma_f64 v[77:78], v[83:84], v[75:76], v[69:70]
	ds_read2_b64 v[69:72], v68 offset0:61 offset1:62
	ds_read2_b64 v[73:76], v68 offset0:63 offset1:64
	s_waitcnt vmcnt(12) lgkmcnt(1)
	v_fma_f64 v[69:70], v[85:86], v[69:70], v[77:78]
	s_waitcnt vmcnt(10)
	v_fma_f64 v[69:70], v[87:88], v[71:72], v[69:70]
	s_waitcnt vmcnt(8) lgkmcnt(0)
	v_fma_f64 v[69:70], v[89:90], v[73:74], v[69:70]
	s_waitcnt vmcnt(4)
	v_fma_f64 v[72:73], v[91:92], v[75:76], v[69:70]
	ds_read2_b64 v[68:71], v68 offset0:65 offset1:66
	s_waitcnt vmcnt(3) lgkmcnt(0)
	v_fma_f64 v[68:69], v[95:96], v[68:69], v[72:73]
	s_waitcnt vmcnt(2)
	v_fma_f64 v[68:69], v[93:94], v[70:71], v[68:69]
	s_waitcnt vmcnt(0)
	v_add_f64 v[68:69], v[97:98], -v[68:69]
	buffer_store_dword v68, off, s[0:3], 0 offset:176
	buffer_store_dword v69, off, s[0:3], 0 offset:180
	s_and_saveexec_b64 s[4:5], vcc
	s_cbranch_execz .LBB32_163
; %bb.162:
	buffer_load_dword v68, off, s[0:3], 0 offset:168
	buffer_load_dword v69, off, s[0:3], 0 offset:172
	v_mov_b32_e32 v70, 0
	buffer_store_dword v70, off, s[0:3], 0 offset:168
	buffer_store_dword v70, off, s[0:3], 0 offset:172
	s_waitcnt vmcnt(2)
	ds_write_b64 v67, v[68:69]
.LBB32_163:
	s_or_b64 exec, exec, s[4:5]
	s_waitcnt lgkmcnt(0)
	; wave barrier
	buffer_load_dword v77, off, s[0:3], 0 offset:176
	buffer_load_dword v78, off, s[0:3], 0 offset:180
	;; [unrolled: 1-line block ×21, first 2 shown]
	v_mov_b32_e32 v68, 0
	ds_read_b128 v[69:72], v68 offset:448
	ds_read_b128 v[73:76], v68 offset:464
	buffer_load_dword v94, off, s[0:3], 0 offset:260
	v_cmp_lt_u32_e32 vcc, 20, v0
	s_waitcnt vmcnt(20) lgkmcnt(1)
	v_fma_f64 v[69:70], v[77:78], v[69:70], 0
	buffer_load_dword v77, off, s[0:3], 0 offset:168
	buffer_load_dword v78, off, s[0:3], 0 offset:172
	s_waitcnt vmcnt(20)
	v_fma_f64 v[69:70], v[79:80], v[71:72], v[69:70]
	s_waitcnt vmcnt(18) lgkmcnt(0)
	v_fma_f64 v[69:70], v[81:82], v[73:74], v[69:70]
	s_waitcnt vmcnt(16)
	v_fma_f64 v[79:80], v[83:84], v[75:76], v[69:70]
	ds_read_b128 v[69:72], v68 offset:480
	ds_read_b128 v[73:76], v68 offset:496
	s_waitcnt vmcnt(14) lgkmcnt(1)
	v_fma_f64 v[69:70], v[85:86], v[69:70], v[79:80]
	s_waitcnt vmcnt(12)
	v_fma_f64 v[69:70], v[87:88], v[71:72], v[69:70]
	s_waitcnt vmcnt(10) lgkmcnt(0)
	v_fma_f64 v[69:70], v[89:90], v[73:74], v[69:70]
	s_waitcnt vmcnt(5)
	v_fma_f64 v[73:74], v[91:92], v[75:76], v[69:70]
	ds_read_b128 v[69:72], v68 offset:512
	ds_read_b64 v[75:76], v68 offset:528
	s_waitcnt vmcnt(4) lgkmcnt(1)
	v_fma_f64 v[69:70], v[97:98], v[69:70], v[73:74]
	s_waitcnt vmcnt(3)
	v_fma_f64 v[69:70], v[95:96], v[71:72], v[69:70]
	s_waitcnt vmcnt(2) lgkmcnt(0)
	v_fma_f64 v[69:70], v[93:94], v[75:76], v[69:70]
	s_waitcnt vmcnt(0)
	v_add_f64 v[69:70], v[77:78], -v[69:70]
	buffer_store_dword v70, off, s[0:3], 0 offset:172
	buffer_store_dword v69, off, s[0:3], 0 offset:168
	s_and_saveexec_b64 s[4:5], vcc
	s_cbranch_execz .LBB32_165
; %bb.164:
	buffer_load_dword v69, off, s[0:3], 0 offset:160
	buffer_load_dword v70, off, s[0:3], 0 offset:164
	s_waitcnt vmcnt(0)
	ds_write_b64 v67, v[69:70]
	buffer_store_dword v68, off, s[0:3], 0 offset:160
	buffer_store_dword v68, off, s[0:3], 0 offset:164
.LBB32_165:
	s_or_b64 exec, exec, s[4:5]
	s_waitcnt lgkmcnt(0)
	; wave barrier
	buffer_load_dword v77, off, s[0:3], 0 offset:168
	buffer_load_dword v78, off, s[0:3], 0 offset:172
	;; [unrolled: 1-line block ×21, first 2 shown]
	ds_read2_b64 v[69:72], v68 offset0:55 offset1:56
	ds_read2_b64 v[73:76], v68 offset0:57 offset1:58
	buffer_load_dword v94, off, s[0:3], 0 offset:252
	v_cmp_lt_u32_e32 vcc, 19, v0
	s_waitcnt vmcnt(20) lgkmcnt(1)
	v_fma_f64 v[69:70], v[77:78], v[69:70], 0
	buffer_load_dword v78, off, s[0:3], 0 offset:260
	buffer_load_dword v77, off, s[0:3], 0 offset:256
	s_waitcnt vmcnt(20)
	v_fma_f64 v[69:70], v[79:80], v[71:72], v[69:70]
	buffer_load_dword v79, off, s[0:3], 0 offset:160
	buffer_load_dword v80, off, s[0:3], 0 offset:164
	s_waitcnt vmcnt(20) lgkmcnt(0)
	v_fma_f64 v[69:70], v[81:82], v[73:74], v[69:70]
	s_waitcnt vmcnt(18)
	v_fma_f64 v[81:82], v[83:84], v[75:76], v[69:70]
	ds_read2_b64 v[69:72], v68 offset0:59 offset1:60
	ds_read2_b64 v[73:76], v68 offset0:61 offset1:62
	s_waitcnt vmcnt(16) lgkmcnt(1)
	v_fma_f64 v[69:70], v[85:86], v[69:70], v[81:82]
	s_waitcnt vmcnt(14)
	v_fma_f64 v[69:70], v[87:88], v[71:72], v[69:70]
	s_waitcnt vmcnt(12) lgkmcnt(0)
	v_fma_f64 v[69:70], v[89:90], v[73:74], v[69:70]
	s_waitcnt vmcnt(7)
	v_fma_f64 v[81:82], v[91:92], v[75:76], v[69:70]
	ds_read2_b64 v[69:72], v68 offset0:63 offset1:64
	ds_read2_b64 v[73:76], v68 offset0:65 offset1:66
	s_waitcnt vmcnt(6) lgkmcnt(1)
	v_fma_f64 v[68:69], v[97:98], v[69:70], v[81:82]
	s_waitcnt vmcnt(5)
	v_fma_f64 v[68:69], v[95:96], v[71:72], v[68:69]
	s_waitcnt vmcnt(4) lgkmcnt(0)
	v_fma_f64 v[68:69], v[93:94], v[73:74], v[68:69]
	s_waitcnt vmcnt(2)
	v_fma_f64 v[68:69], v[77:78], v[75:76], v[68:69]
	s_waitcnt vmcnt(0)
	v_add_f64 v[68:69], v[79:80], -v[68:69]
	buffer_store_dword v69, off, s[0:3], 0 offset:164
	buffer_store_dword v68, off, s[0:3], 0 offset:160
	s_and_saveexec_b64 s[4:5], vcc
	s_cbranch_execz .LBB32_167
; %bb.166:
	buffer_load_dword v68, off, s[0:3], 0 offset:152
	buffer_load_dword v69, off, s[0:3], 0 offset:156
	v_mov_b32_e32 v70, 0
	buffer_store_dword v70, off, s[0:3], 0 offset:152
	buffer_store_dword v70, off, s[0:3], 0 offset:156
	s_waitcnt vmcnt(2)
	ds_write_b64 v67, v[68:69]
.LBB32_167:
	s_or_b64 exec, exec, s[4:5]
	s_waitcnt lgkmcnt(0)
	; wave barrier
	buffer_load_dword v77, off, s[0:3], 0 offset:160
	buffer_load_dword v78, off, s[0:3], 0 offset:164
	;; [unrolled: 1-line block ×21, first 2 shown]
	v_mov_b32_e32 v68, 0
	ds_read_b128 v[69:72], v68 offset:432
	ds_read_b128 v[73:76], v68 offset:448
	buffer_load_dword v94, off, s[0:3], 0 offset:244
	v_cmp_lt_u32_e32 vcc, 18, v0
	s_waitcnt vmcnt(20) lgkmcnt(1)
	v_fma_f64 v[69:70], v[77:78], v[69:70], 0
	s_waitcnt vmcnt(18)
	v_fma_f64 v[69:70], v[79:80], v[71:72], v[69:70]
	buffer_load_dword v78, off, s[0:3], 0 offset:252
	buffer_load_dword v79, off, s[0:3], 0 offset:256
	buffer_load_dword v77, off, s[0:3], 0 offset:248
	buffer_load_dword v80, off, s[0:3], 0 offset:260
	s_waitcnt vmcnt(20) lgkmcnt(0)
	v_fma_f64 v[69:70], v[81:82], v[73:74], v[69:70]
	buffer_load_dword v81, off, s[0:3], 0 offset:152
	buffer_load_dword v82, off, s[0:3], 0 offset:156
	s_waitcnt vmcnt(20)
	v_fma_f64 v[83:84], v[83:84], v[75:76], v[69:70]
	ds_read_b128 v[69:72], v68 offset:464
	ds_read_b128 v[73:76], v68 offset:480
	s_waitcnt vmcnt(18) lgkmcnt(1)
	v_fma_f64 v[69:70], v[85:86], v[69:70], v[83:84]
	s_waitcnt vmcnt(16)
	v_fma_f64 v[69:70], v[87:88], v[71:72], v[69:70]
	s_waitcnt vmcnt(14) lgkmcnt(0)
	v_fma_f64 v[69:70], v[89:90], v[73:74], v[69:70]
	s_waitcnt vmcnt(9)
	v_fma_f64 v[83:84], v[91:92], v[75:76], v[69:70]
	ds_read_b128 v[69:72], v68 offset:496
	ds_read_b128 v[73:76], v68 offset:512
	s_waitcnt vmcnt(8) lgkmcnt(1)
	v_fma_f64 v[69:70], v[97:98], v[69:70], v[83:84]
	s_waitcnt vmcnt(7)
	v_fma_f64 v[69:70], v[95:96], v[71:72], v[69:70]
	ds_read_b64 v[71:72], v68 offset:528
	s_waitcnt vmcnt(6) lgkmcnt(1)
	v_fma_f64 v[69:70], v[93:94], v[73:74], v[69:70]
	s_waitcnt vmcnt(3)
	v_fma_f64 v[69:70], v[77:78], v[75:76], v[69:70]
	s_waitcnt vmcnt(2) lgkmcnt(0)
	v_fma_f64 v[69:70], v[79:80], v[71:72], v[69:70]
	s_waitcnt vmcnt(0)
	v_add_f64 v[69:70], v[81:82], -v[69:70]
	buffer_store_dword v70, off, s[0:3], 0 offset:156
	buffer_store_dword v69, off, s[0:3], 0 offset:152
	s_and_saveexec_b64 s[4:5], vcc
	s_cbranch_execz .LBB32_169
; %bb.168:
	buffer_load_dword v69, off, s[0:3], 0 offset:144
	buffer_load_dword v70, off, s[0:3], 0 offset:148
	s_waitcnt vmcnt(0)
	ds_write_b64 v67, v[69:70]
	buffer_store_dword v68, off, s[0:3], 0 offset:144
	buffer_store_dword v68, off, s[0:3], 0 offset:148
.LBB32_169:
	s_or_b64 exec, exec, s[4:5]
	s_waitcnt lgkmcnt(0)
	; wave barrier
	buffer_load_dword v77, off, s[0:3], 0 offset:152
	buffer_load_dword v78, off, s[0:3], 0 offset:156
	buffer_load_dword v79, off, s[0:3], 0 offset:160
	buffer_load_dword v80, off, s[0:3], 0 offset:164
	buffer_load_dword v81, off, s[0:3], 0 offset:168
	buffer_load_dword v82, off, s[0:3], 0 offset:172
	buffer_load_dword v83, off, s[0:3], 0 offset:176
	buffer_load_dword v84, off, s[0:3], 0 offset:180
	buffer_load_dword v85, off, s[0:3], 0 offset:184
	buffer_load_dword v86, off, s[0:3], 0 offset:188
	buffer_load_dword v87, off, s[0:3], 0 offset:192
	buffer_load_dword v88, off, s[0:3], 0 offset:196
	buffer_load_dword v89, off, s[0:3], 0 offset:200
	buffer_load_dword v90, off, s[0:3], 0 offset:204
	buffer_load_dword v92, off, s[0:3], 0 offset:212
	buffer_load_dword v93, off, s[0:3], 0 offset:232
	buffer_load_dword v95, off, s[0:3], 0 offset:224
	buffer_load_dword v97, off, s[0:3], 0 offset:216
	buffer_load_dword v91, off, s[0:3], 0 offset:208
	buffer_load_dword v98, off, s[0:3], 0 offset:220
	buffer_load_dword v96, off, s[0:3], 0 offset:228
	buffer_load_dword v94, off, s[0:3], 0 offset:236
	ds_read2_b64 v[69:72], v68 offset0:53 offset1:54
	ds_read2_b64 v[73:76], v68 offset0:55 offset1:56
	v_cmp_lt_u32_e32 vcc, 17, v0
	s_waitcnt vmcnt(20) lgkmcnt(1)
	v_fma_f64 v[69:70], v[77:78], v[69:70], 0
	s_waitcnt vmcnt(18)
	v_fma_f64 v[69:70], v[79:80], v[71:72], v[69:70]
	buffer_load_dword v78, off, s[0:3], 0 offset:244
	buffer_load_dword v79, off, s[0:3], 0 offset:256
	buffer_load_dword v99, off, s[0:3], 0 offset:248
	buffer_load_dword v77, off, s[0:3], 0 offset:240
	buffer_load_dword v100, off, s[0:3], 0 offset:252
	buffer_load_dword v80, off, s[0:3], 0 offset:260
	s_waitcnt vmcnt(22) lgkmcnt(0)
	v_fma_f64 v[69:70], v[81:82], v[73:74], v[69:70]
	s_waitcnt vmcnt(20)
	v_fma_f64 v[81:82], v[83:84], v[75:76], v[69:70]
	ds_read2_b64 v[69:72], v68 offset0:57 offset1:58
	buffer_load_dword v83, off, s[0:3], 0 offset:144
	buffer_load_dword v84, off, s[0:3], 0 offset:148
	ds_read2_b64 v[73:76], v68 offset0:59 offset1:60
	s_waitcnt vmcnt(20) lgkmcnt(1)
	v_fma_f64 v[69:70], v[85:86], v[69:70], v[81:82]
	s_waitcnt vmcnt(18)
	v_fma_f64 v[69:70], v[87:88], v[71:72], v[69:70]
	s_waitcnt vmcnt(16) lgkmcnt(0)
	v_fma_f64 v[69:70], v[89:90], v[73:74], v[69:70]
	s_waitcnt vmcnt(11)
	v_fma_f64 v[81:82], v[91:92], v[75:76], v[69:70]
	ds_read2_b64 v[69:72], v68 offset0:61 offset1:62
	ds_read2_b64 v[73:76], v68 offset0:63 offset1:64
	s_waitcnt vmcnt(10) lgkmcnt(1)
	v_fma_f64 v[69:70], v[97:98], v[69:70], v[81:82]
	s_waitcnt vmcnt(9)
	v_fma_f64 v[69:70], v[95:96], v[71:72], v[69:70]
	s_waitcnt vmcnt(8) lgkmcnt(0)
	v_fma_f64 v[69:70], v[93:94], v[73:74], v[69:70]
	s_waitcnt vmcnt(4)
	v_fma_f64 v[72:73], v[77:78], v[75:76], v[69:70]
	ds_read2_b64 v[68:71], v68 offset0:65 offset1:66
	s_waitcnt vmcnt(3) lgkmcnt(0)
	v_fma_f64 v[68:69], v[99:100], v[68:69], v[72:73]
	s_waitcnt vmcnt(2)
	v_fma_f64 v[68:69], v[79:80], v[70:71], v[68:69]
	s_waitcnt vmcnt(0)
	v_add_f64 v[68:69], v[83:84], -v[68:69]
	buffer_store_dword v69, off, s[0:3], 0 offset:148
	buffer_store_dword v68, off, s[0:3], 0 offset:144
	s_and_saveexec_b64 s[4:5], vcc
	s_cbranch_execz .LBB32_171
; %bb.170:
	buffer_load_dword v68, off, s[0:3], 0 offset:136
	buffer_load_dword v69, off, s[0:3], 0 offset:140
	v_mov_b32_e32 v70, 0
	buffer_store_dword v70, off, s[0:3], 0 offset:136
	buffer_store_dword v70, off, s[0:3], 0 offset:140
	s_waitcnt vmcnt(2)
	ds_write_b64 v67, v[68:69]
.LBB32_171:
	s_or_b64 exec, exec, s[4:5]
	s_waitcnt lgkmcnt(0)
	; wave barrier
	buffer_load_dword v77, off, s[0:3], 0 offset:144
	buffer_load_dword v78, off, s[0:3], 0 offset:148
	;; [unrolled: 1-line block ×22, first 2 shown]
	v_mov_b32_e32 v68, 0
	ds_read_b128 v[69:72], v68 offset:416
	ds_read_b128 v[73:76], v68 offset:432
	v_cmp_lt_u32_e32 vcc, 16, v0
	s_waitcnt vmcnt(20) lgkmcnt(1)
	v_fma_f64 v[69:70], v[77:78], v[69:70], 0
	s_waitcnt vmcnt(18)
	v_fma_f64 v[69:70], v[79:80], v[71:72], v[69:70]
	buffer_load_dword v78, off, s[0:3], 0 offset:236
	buffer_load_dword v79, off, s[0:3], 0 offset:256
	;; [unrolled: 1-line block ×8, first 2 shown]
	s_waitcnt vmcnt(24) lgkmcnt(0)
	v_fma_f64 v[69:70], v[81:82], v[73:74], v[69:70]
	s_waitcnt vmcnt(22)
	v_fma_f64 v[81:82], v[83:84], v[75:76], v[69:70]
	ds_read_b128 v[69:72], v68 offset:448
	ds_read_b128 v[73:76], v68 offset:464
	s_waitcnt vmcnt(20) lgkmcnt(1)
	v_fma_f64 v[69:70], v[85:86], v[69:70], v[81:82]
	buffer_load_dword v81, off, s[0:3], 0 offset:136
	buffer_load_dword v82, off, s[0:3], 0 offset:140
	s_waitcnt vmcnt(20)
	v_fma_f64 v[69:70], v[87:88], v[71:72], v[69:70]
	s_waitcnt vmcnt(18) lgkmcnt(0)
	v_fma_f64 v[69:70], v[89:90], v[73:74], v[69:70]
	s_waitcnt vmcnt(13)
	v_fma_f64 v[83:84], v[91:92], v[75:76], v[69:70]
	ds_read_b128 v[69:72], v68 offset:480
	ds_read_b128 v[73:76], v68 offset:496
	s_waitcnt vmcnt(12) lgkmcnt(1)
	v_fma_f64 v[69:70], v[97:98], v[69:70], v[83:84]
	s_waitcnt vmcnt(11)
	v_fma_f64 v[69:70], v[95:96], v[71:72], v[69:70]
	s_waitcnt vmcnt(10) lgkmcnt(0)
	v_fma_f64 v[69:70], v[93:94], v[73:74], v[69:70]
	s_waitcnt vmcnt(5)
	v_fma_f64 v[73:74], v[77:78], v[75:76], v[69:70]
	ds_read_b128 v[69:72], v68 offset:512
	ds_read_b64 v[75:76], v68 offset:528
	s_waitcnt vmcnt(4) lgkmcnt(1)
	v_fma_f64 v[69:70], v[101:102], v[69:70], v[73:74]
	s_waitcnt vmcnt(3)
	v_fma_f64 v[69:70], v[99:100], v[71:72], v[69:70]
	s_waitcnt vmcnt(2) lgkmcnt(0)
	v_fma_f64 v[69:70], v[79:80], v[75:76], v[69:70]
	s_waitcnt vmcnt(0)
	v_add_f64 v[69:70], v[81:82], -v[69:70]
	buffer_store_dword v70, off, s[0:3], 0 offset:140
	buffer_store_dword v69, off, s[0:3], 0 offset:136
	s_and_saveexec_b64 s[4:5], vcc
	s_cbranch_execz .LBB32_173
; %bb.172:
	buffer_load_dword v69, off, s[0:3], 0 offset:128
	buffer_load_dword v70, off, s[0:3], 0 offset:132
	s_waitcnt vmcnt(0)
	ds_write_b64 v67, v[69:70]
	buffer_store_dword v68, off, s[0:3], 0 offset:128
	buffer_store_dword v68, off, s[0:3], 0 offset:132
.LBB32_173:
	s_or_b64 exec, exec, s[4:5]
	s_waitcnt lgkmcnt(0)
	; wave barrier
	buffer_load_dword v77, off, s[0:3], 0 offset:136
	buffer_load_dword v78, off, s[0:3], 0 offset:140
	;; [unrolled: 1-line block ×22, first 2 shown]
	ds_read2_b64 v[69:72], v68 offset0:51 offset1:52
	ds_read2_b64 v[73:76], v68 offset0:53 offset1:54
	v_cmp_lt_u32_e32 vcc, 15, v0
	s_waitcnt vmcnt(20) lgkmcnt(1)
	v_fma_f64 v[69:70], v[77:78], v[69:70], 0
	s_waitcnt vmcnt(18)
	v_fma_f64 v[69:70], v[79:80], v[71:72], v[69:70]
	buffer_load_dword v78, off, s[0:3], 0 offset:228
	buffer_load_dword v79, off, s[0:3], 0 offset:248
	;; [unrolled: 1-line block ×8, first 2 shown]
	s_waitcnt vmcnt(24) lgkmcnt(0)
	v_fma_f64 v[69:70], v[81:82], v[73:74], v[69:70]
	s_waitcnt vmcnt(22)
	v_fma_f64 v[81:82], v[83:84], v[75:76], v[69:70]
	ds_read2_b64 v[69:72], v68 offset0:55 offset1:56
	ds_read2_b64 v[73:76], v68 offset0:57 offset1:58
	s_waitcnt vmcnt(20) lgkmcnt(1)
	v_fma_f64 v[69:70], v[85:86], v[69:70], v[81:82]
	buffer_load_dword v82, off, s[0:3], 0 offset:260
	buffer_load_dword v81, off, s[0:3], 0 offset:256
	;; [unrolled: 1-line block ×4, first 2 shown]
	s_waitcnt vmcnt(22)
	v_fma_f64 v[69:70], v[87:88], v[71:72], v[69:70]
	s_waitcnt vmcnt(20) lgkmcnt(0)
	v_fma_f64 v[69:70], v[89:90], v[73:74], v[69:70]
	s_waitcnt vmcnt(15)
	v_fma_f64 v[85:86], v[91:92], v[75:76], v[69:70]
	ds_read2_b64 v[69:72], v68 offset0:59 offset1:60
	ds_read2_b64 v[73:76], v68 offset0:61 offset1:62
	s_waitcnt vmcnt(14) lgkmcnt(1)
	v_fma_f64 v[69:70], v[97:98], v[69:70], v[85:86]
	s_waitcnt vmcnt(13)
	v_fma_f64 v[69:70], v[95:96], v[71:72], v[69:70]
	s_waitcnt vmcnt(12) lgkmcnt(0)
	v_fma_f64 v[69:70], v[93:94], v[73:74], v[69:70]
	s_waitcnt vmcnt(7)
	v_fma_f64 v[77:78], v[77:78], v[75:76], v[69:70]
	ds_read2_b64 v[69:72], v68 offset0:63 offset1:64
	ds_read2_b64 v[73:76], v68 offset0:65 offset1:66
	s_waitcnt vmcnt(6) lgkmcnt(1)
	v_fma_f64 v[68:69], v[101:102], v[69:70], v[77:78]
	s_waitcnt vmcnt(5)
	v_fma_f64 v[68:69], v[99:100], v[71:72], v[68:69]
	s_waitcnt vmcnt(4) lgkmcnt(0)
	v_fma_f64 v[68:69], v[79:80], v[73:74], v[68:69]
	s_waitcnt vmcnt(2)
	v_fma_f64 v[68:69], v[81:82], v[75:76], v[68:69]
	s_waitcnt vmcnt(0)
	v_add_f64 v[68:69], v[83:84], -v[68:69]
	buffer_store_dword v69, off, s[0:3], 0 offset:132
	buffer_store_dword v68, off, s[0:3], 0 offset:128
	s_and_saveexec_b64 s[4:5], vcc
	s_cbranch_execz .LBB32_175
; %bb.174:
	buffer_load_dword v68, off, s[0:3], 0 offset:120
	buffer_load_dword v69, off, s[0:3], 0 offset:124
	v_mov_b32_e32 v70, 0
	buffer_store_dword v70, off, s[0:3], 0 offset:120
	buffer_store_dword v70, off, s[0:3], 0 offset:124
	s_waitcnt vmcnt(2)
	ds_write_b64 v67, v[68:69]
.LBB32_175:
	s_or_b64 exec, exec, s[4:5]
	s_waitcnt lgkmcnt(0)
	; wave barrier
	buffer_load_dword v77, off, s[0:3], 0 offset:128
	buffer_load_dword v78, off, s[0:3], 0 offset:132
	;; [unrolled: 1-line block ×22, first 2 shown]
	v_mov_b32_e32 v68, 0
	ds_read_b128 v[69:72], v68 offset:400
	ds_read_b128 v[73:76], v68 offset:416
	v_cmp_lt_u32_e32 vcc, 14, v0
	s_waitcnt vmcnt(20) lgkmcnt(1)
	v_fma_f64 v[69:70], v[77:78], v[69:70], 0
	s_waitcnt vmcnt(18)
	v_fma_f64 v[69:70], v[79:80], v[71:72], v[69:70]
	buffer_load_dword v78, off, s[0:3], 0 offset:220
	buffer_load_dword v79, off, s[0:3], 0 offset:240
	;; [unrolled: 1-line block ×7, first 2 shown]
	s_waitcnt vmcnt(23) lgkmcnt(0)
	v_fma_f64 v[69:70], v[81:82], v[73:74], v[69:70]
	s_waitcnt vmcnt(21)
	v_fma_f64 v[80:81], v[83:84], v[75:76], v[69:70]
	ds_read_b128 v[69:72], v68 offset:432
	ds_read_b128 v[73:76], v68 offset:448
	s_waitcnt vmcnt(19) lgkmcnt(1)
	v_fma_f64 v[69:70], v[85:86], v[69:70], v[80:81]
	buffer_load_dword v80, off, s[0:3], 0 offset:244
	buffer_load_dword v82, off, s[0:3], 0 offset:252
	;; [unrolled: 1-line block ×7, first 2 shown]
	s_waitcnt vmcnt(24)
	v_fma_f64 v[69:70], v[87:88], v[71:72], v[69:70]
	s_waitcnt vmcnt(22) lgkmcnt(0)
	v_fma_f64 v[69:70], v[89:90], v[73:74], v[69:70]
	s_waitcnt vmcnt(17)
	v_fma_f64 v[87:88], v[91:92], v[75:76], v[69:70]
	ds_read_b128 v[69:72], v68 offset:464
	ds_read_b128 v[73:76], v68 offset:480
	s_waitcnt vmcnt(16) lgkmcnt(1)
	v_fma_f64 v[69:70], v[97:98], v[69:70], v[87:88]
	s_waitcnt vmcnt(15)
	v_fma_f64 v[69:70], v[95:96], v[71:72], v[69:70]
	s_waitcnt vmcnt(14) lgkmcnt(0)
	v_fma_f64 v[69:70], v[93:94], v[73:74], v[69:70]
	s_waitcnt vmcnt(9)
	v_fma_f64 v[77:78], v[77:78], v[75:76], v[69:70]
	ds_read_b128 v[69:72], v68 offset:496
	ds_read_b128 v[73:76], v68 offset:512
	s_waitcnt vmcnt(8) lgkmcnt(1)
	v_fma_f64 v[69:70], v[101:102], v[69:70], v[77:78]
	s_waitcnt vmcnt(7)
	v_fma_f64 v[69:70], v[99:100], v[71:72], v[69:70]
	ds_read_b64 v[71:72], v68 offset:528
	s_waitcnt vmcnt(6) lgkmcnt(1)
	v_fma_f64 v[69:70], v[79:80], v[73:74], v[69:70]
	s_waitcnt vmcnt(3)
	v_fma_f64 v[69:70], v[81:82], v[75:76], v[69:70]
	s_waitcnt vmcnt(2) lgkmcnt(0)
	v_fma_f64 v[69:70], v[83:84], v[71:72], v[69:70]
	s_waitcnt vmcnt(0)
	v_add_f64 v[69:70], v[85:86], -v[69:70]
	buffer_store_dword v70, off, s[0:3], 0 offset:124
	buffer_store_dword v69, off, s[0:3], 0 offset:120
	s_and_saveexec_b64 s[4:5], vcc
	s_cbranch_execz .LBB32_177
; %bb.176:
	buffer_load_dword v69, off, s[0:3], 0 offset:112
	buffer_load_dword v70, off, s[0:3], 0 offset:116
	s_waitcnt vmcnt(0)
	ds_write_b64 v67, v[69:70]
	buffer_store_dword v68, off, s[0:3], 0 offset:112
	buffer_store_dword v68, off, s[0:3], 0 offset:116
.LBB32_177:
	s_or_b64 exec, exec, s[4:5]
	s_waitcnt lgkmcnt(0)
	; wave barrier
	buffer_load_dword v77, off, s[0:3], 0 offset:120
	buffer_load_dword v78, off, s[0:3], 0 offset:124
	;; [unrolled: 1-line block ×22, first 2 shown]
	ds_read2_b64 v[69:72], v68 offset0:49 offset1:50
	ds_read2_b64 v[73:76], v68 offset0:51 offset1:52
	v_cmp_lt_u32_e32 vcc, 13, v0
	s_waitcnt vmcnt(20) lgkmcnt(1)
	v_fma_f64 v[69:70], v[77:78], v[69:70], 0
	s_waitcnt vmcnt(18)
	v_fma_f64 v[69:70], v[79:80], v[71:72], v[69:70]
	buffer_load_dword v78, off, s[0:3], 0 offset:212
	buffer_load_dword v79, off, s[0:3], 0 offset:232
	;; [unrolled: 1-line block ×7, first 2 shown]
	s_waitcnt vmcnt(23) lgkmcnt(0)
	v_fma_f64 v[69:70], v[81:82], v[73:74], v[69:70]
	s_waitcnt vmcnt(21)
	v_fma_f64 v[80:81], v[83:84], v[75:76], v[69:70]
	ds_read2_b64 v[69:72], v68 offset0:53 offset1:54
	ds_read2_b64 v[73:76], v68 offset0:55 offset1:56
	s_waitcnt vmcnt(19) lgkmcnt(1)
	v_fma_f64 v[69:70], v[85:86], v[69:70], v[80:81]
	buffer_load_dword v80, off, s[0:3], 0 offset:236
	buffer_load_dword v82, off, s[0:3], 0 offset:244
	;; [unrolled: 1-line block ×7, first 2 shown]
	s_waitcnt vmcnt(24)
	v_fma_f64 v[69:70], v[87:88], v[71:72], v[69:70]
	s_waitcnt vmcnt(22) lgkmcnt(0)
	v_fma_f64 v[69:70], v[89:90], v[73:74], v[69:70]
	s_waitcnt vmcnt(17)
	v_fma_f64 v[87:88], v[91:92], v[75:76], v[69:70]
	ds_read2_b64 v[69:72], v68 offset0:57 offset1:58
	buffer_load_dword v89, off, s[0:3], 0 offset:112
	buffer_load_dword v90, off, s[0:3], 0 offset:116
	ds_read2_b64 v[73:76], v68 offset0:59 offset1:60
	s_waitcnt vmcnt(18) lgkmcnt(1)
	v_fma_f64 v[69:70], v[97:98], v[69:70], v[87:88]
	s_waitcnt vmcnt(17)
	v_fma_f64 v[69:70], v[95:96], v[71:72], v[69:70]
	s_waitcnt vmcnt(16) lgkmcnt(0)
	v_fma_f64 v[69:70], v[93:94], v[73:74], v[69:70]
	s_waitcnt vmcnt(11)
	v_fma_f64 v[77:78], v[77:78], v[75:76], v[69:70]
	ds_read2_b64 v[69:72], v68 offset0:61 offset1:62
	ds_read2_b64 v[73:76], v68 offset0:63 offset1:64
	s_waitcnt vmcnt(10) lgkmcnt(1)
	v_fma_f64 v[69:70], v[101:102], v[69:70], v[77:78]
	s_waitcnt vmcnt(9)
	v_fma_f64 v[69:70], v[99:100], v[71:72], v[69:70]
	s_waitcnt vmcnt(8) lgkmcnt(0)
	v_fma_f64 v[69:70], v[79:80], v[73:74], v[69:70]
	s_waitcnt vmcnt(4)
	v_fma_f64 v[72:73], v[81:82], v[75:76], v[69:70]
	ds_read2_b64 v[68:71], v68 offset0:65 offset1:66
	s_waitcnt vmcnt(3) lgkmcnt(0)
	v_fma_f64 v[68:69], v[85:86], v[68:69], v[72:73]
	s_waitcnt vmcnt(2)
	v_fma_f64 v[68:69], v[83:84], v[70:71], v[68:69]
	s_waitcnt vmcnt(0)
	v_add_f64 v[68:69], v[89:90], -v[68:69]
	buffer_store_dword v69, off, s[0:3], 0 offset:116
	buffer_store_dword v68, off, s[0:3], 0 offset:112
	s_and_saveexec_b64 s[4:5], vcc
	s_cbranch_execz .LBB32_179
; %bb.178:
	buffer_load_dword v68, off, s[0:3], 0 offset:104
	buffer_load_dword v69, off, s[0:3], 0 offset:108
	v_mov_b32_e32 v70, 0
	buffer_store_dword v70, off, s[0:3], 0 offset:104
	buffer_store_dword v70, off, s[0:3], 0 offset:108
	s_waitcnt vmcnt(2)
	ds_write_b64 v67, v[68:69]
.LBB32_179:
	s_or_b64 exec, exec, s[4:5]
	s_waitcnt lgkmcnt(0)
	; wave barrier
	buffer_load_dword v77, off, s[0:3], 0 offset:112
	buffer_load_dword v78, off, s[0:3], 0 offset:116
	;; [unrolled: 1-line block ×22, first 2 shown]
	v_mov_b32_e32 v68, 0
	ds_read_b128 v[69:72], v68 offset:384
	ds_read_b128 v[73:76], v68 offset:400
	v_cmp_lt_u32_e32 vcc, 12, v0
	s_waitcnt vmcnt(20) lgkmcnt(1)
	v_fma_f64 v[69:70], v[77:78], v[69:70], 0
	s_waitcnt vmcnt(18)
	v_fma_f64 v[69:70], v[79:80], v[71:72], v[69:70]
	buffer_load_dword v78, off, s[0:3], 0 offset:204
	buffer_load_dword v79, off, s[0:3], 0 offset:224
	;; [unrolled: 1-line block ×7, first 2 shown]
	s_waitcnt vmcnt(23) lgkmcnt(0)
	v_fma_f64 v[69:70], v[81:82], v[73:74], v[69:70]
	s_waitcnt vmcnt(21)
	v_fma_f64 v[80:81], v[83:84], v[75:76], v[69:70]
	ds_read_b128 v[69:72], v68 offset:416
	ds_read_b128 v[73:76], v68 offset:432
	s_waitcnt vmcnt(19) lgkmcnt(1)
	v_fma_f64 v[69:70], v[85:86], v[69:70], v[80:81]
	buffer_load_dword v80, off, s[0:3], 0 offset:228
	s_waitcnt vmcnt(18)
	v_fma_f64 v[69:70], v[87:88], v[71:72], v[69:70]
	buffer_load_dword v82, off, s[0:3], 0 offset:236
	buffer_load_dword v83, off, s[0:3], 0 offset:256
	;; [unrolled: 1-line block ×8, first 2 shown]
	s_waitcnt vmcnt(24) lgkmcnt(0)
	v_fma_f64 v[69:70], v[89:90], v[73:74], v[69:70]
	s_waitcnt vmcnt(19)
	v_fma_f64 v[89:90], v[91:92], v[75:76], v[69:70]
	ds_read_b128 v[69:72], v68 offset:448
	ds_read_b128 v[73:76], v68 offset:464
	s_waitcnt vmcnt(18) lgkmcnt(1)
	v_fma_f64 v[69:70], v[97:98], v[69:70], v[89:90]
	buffer_load_dword v89, off, s[0:3], 0 offset:104
	buffer_load_dword v90, off, s[0:3], 0 offset:108
	s_waitcnt vmcnt(19)
	v_fma_f64 v[69:70], v[95:96], v[71:72], v[69:70]
	s_waitcnt vmcnt(18) lgkmcnt(0)
	v_fma_f64 v[69:70], v[93:94], v[73:74], v[69:70]
	s_waitcnt vmcnt(13)
	v_fma_f64 v[77:78], v[77:78], v[75:76], v[69:70]
	ds_read_b128 v[69:72], v68 offset:480
	ds_read_b128 v[73:76], v68 offset:496
	s_waitcnt vmcnt(12) lgkmcnt(1)
	v_fma_f64 v[69:70], v[101:102], v[69:70], v[77:78]
	s_waitcnt vmcnt(11)
	v_fma_f64 v[69:70], v[99:100], v[71:72], v[69:70]
	s_waitcnt vmcnt(10) lgkmcnt(0)
	v_fma_f64 v[69:70], v[79:80], v[73:74], v[69:70]
	s_waitcnt vmcnt(5)
	v_fma_f64 v[73:74], v[81:82], v[75:76], v[69:70]
	ds_read_b128 v[69:72], v68 offset:512
	ds_read_b64 v[75:76], v68 offset:528
	s_waitcnt vmcnt(4) lgkmcnt(1)
	v_fma_f64 v[69:70], v[87:88], v[69:70], v[73:74]
	s_waitcnt vmcnt(3)
	v_fma_f64 v[69:70], v[85:86], v[71:72], v[69:70]
	s_waitcnt vmcnt(2) lgkmcnt(0)
	v_fma_f64 v[69:70], v[83:84], v[75:76], v[69:70]
	s_waitcnt vmcnt(0)
	v_add_f64 v[69:70], v[89:90], -v[69:70]
	buffer_store_dword v70, off, s[0:3], 0 offset:108
	buffer_store_dword v69, off, s[0:3], 0 offset:104
	s_and_saveexec_b64 s[4:5], vcc
	s_cbranch_execz .LBB32_181
; %bb.180:
	buffer_load_dword v69, off, s[0:3], 0 offset:96
	buffer_load_dword v70, off, s[0:3], 0 offset:100
	s_waitcnt vmcnt(0)
	ds_write_b64 v67, v[69:70]
	buffer_store_dword v68, off, s[0:3], 0 offset:96
	buffer_store_dword v68, off, s[0:3], 0 offset:100
.LBB32_181:
	s_or_b64 exec, exec, s[4:5]
	s_waitcnt lgkmcnt(0)
	; wave barrier
	buffer_load_dword v77, off, s[0:3], 0 offset:104
	buffer_load_dword v78, off, s[0:3], 0 offset:108
	;; [unrolled: 1-line block ×22, first 2 shown]
	ds_read2_b64 v[69:72], v68 offset0:47 offset1:48
	ds_read2_b64 v[73:76], v68 offset0:49 offset1:50
	v_cmp_lt_u32_e32 vcc, 11, v0
	s_waitcnt vmcnt(20) lgkmcnt(1)
	v_fma_f64 v[69:70], v[77:78], v[69:70], 0
	s_waitcnt vmcnt(18)
	v_fma_f64 v[69:70], v[79:80], v[71:72], v[69:70]
	buffer_load_dword v78, off, s[0:3], 0 offset:196
	buffer_load_dword v79, off, s[0:3], 0 offset:216
	buffer_load_dword v99, off, s[0:3], 0 offset:208
	buffer_load_dword v101, off, s[0:3], 0 offset:200
	buffer_load_dword v77, off, s[0:3], 0 offset:192
	buffer_load_dword v102, off, s[0:3], 0 offset:204
	buffer_load_dword v100, off, s[0:3], 0 offset:212
	s_waitcnt vmcnt(23) lgkmcnt(0)
	v_fma_f64 v[69:70], v[81:82], v[73:74], v[69:70]
	s_waitcnt vmcnt(21)
	v_fma_f64 v[80:81], v[83:84], v[75:76], v[69:70]
	ds_read2_b64 v[69:72], v68 offset0:51 offset1:52
	ds_read2_b64 v[73:76], v68 offset0:53 offset1:54
	s_waitcnt vmcnt(19) lgkmcnt(1)
	v_fma_f64 v[69:70], v[85:86], v[69:70], v[80:81]
	buffer_load_dword v80, off, s[0:3], 0 offset:220
	s_waitcnt vmcnt(18)
	v_fma_f64 v[69:70], v[87:88], v[71:72], v[69:70]
	buffer_load_dword v82, off, s[0:3], 0 offset:228
	buffer_load_dword v83, off, s[0:3], 0 offset:248
	;; [unrolled: 1-line block ×8, first 2 shown]
	s_waitcnt vmcnt(24) lgkmcnt(0)
	v_fma_f64 v[69:70], v[89:90], v[73:74], v[69:70]
	s_waitcnt vmcnt(19)
	v_fma_f64 v[89:90], v[91:92], v[75:76], v[69:70]
	ds_read2_b64 v[69:72], v68 offset0:55 offset1:56
	ds_read2_b64 v[73:76], v68 offset0:57 offset1:58
	s_waitcnt vmcnt(18) lgkmcnt(1)
	v_fma_f64 v[69:70], v[97:98], v[69:70], v[89:90]
	buffer_load_dword v90, off, s[0:3], 0 offset:260
	buffer_load_dword v89, off, s[0:3], 0 offset:256
	;; [unrolled: 1-line block ×4, first 2 shown]
	s_waitcnt vmcnt(21)
	v_fma_f64 v[69:70], v[95:96], v[71:72], v[69:70]
	s_waitcnt vmcnt(20) lgkmcnt(0)
	v_fma_f64 v[69:70], v[93:94], v[73:74], v[69:70]
	s_waitcnt vmcnt(15)
	v_fma_f64 v[77:78], v[77:78], v[75:76], v[69:70]
	ds_read2_b64 v[69:72], v68 offset0:59 offset1:60
	ds_read2_b64 v[73:76], v68 offset0:61 offset1:62
	s_waitcnt vmcnt(14) lgkmcnt(1)
	v_fma_f64 v[69:70], v[101:102], v[69:70], v[77:78]
	s_waitcnt vmcnt(13)
	v_fma_f64 v[69:70], v[99:100], v[71:72], v[69:70]
	s_waitcnt vmcnt(12) lgkmcnt(0)
	v_fma_f64 v[69:70], v[79:80], v[73:74], v[69:70]
	s_waitcnt vmcnt(7)
	v_fma_f64 v[77:78], v[81:82], v[75:76], v[69:70]
	ds_read2_b64 v[69:72], v68 offset0:63 offset1:64
	ds_read2_b64 v[73:76], v68 offset0:65 offset1:66
	s_waitcnt vmcnt(6) lgkmcnt(1)
	v_fma_f64 v[68:69], v[87:88], v[69:70], v[77:78]
	s_waitcnt vmcnt(5)
	v_fma_f64 v[68:69], v[85:86], v[71:72], v[68:69]
	s_waitcnt vmcnt(4) lgkmcnt(0)
	v_fma_f64 v[68:69], v[83:84], v[73:74], v[68:69]
	s_waitcnt vmcnt(2)
	v_fma_f64 v[68:69], v[89:90], v[75:76], v[68:69]
	s_waitcnt vmcnt(0)
	v_add_f64 v[68:69], v[91:92], -v[68:69]
	buffer_store_dword v69, off, s[0:3], 0 offset:100
	buffer_store_dword v68, off, s[0:3], 0 offset:96
	s_and_saveexec_b64 s[4:5], vcc
	s_cbranch_execz .LBB32_183
; %bb.182:
	buffer_load_dword v68, off, s[0:3], 0 offset:88
	buffer_load_dword v69, off, s[0:3], 0 offset:92
	v_mov_b32_e32 v70, 0
	buffer_store_dword v70, off, s[0:3], 0 offset:88
	buffer_store_dword v70, off, s[0:3], 0 offset:92
	s_waitcnt vmcnt(2)
	ds_write_b64 v67, v[68:69]
.LBB32_183:
	s_or_b64 exec, exec, s[4:5]
	s_waitcnt lgkmcnt(0)
	; wave barrier
	buffer_load_dword v77, off, s[0:3], 0 offset:96
	buffer_load_dword v78, off, s[0:3], 0 offset:100
	;; [unrolled: 1-line block ×21, first 2 shown]
	v_mov_b32_e32 v68, 0
	ds_read_b128 v[69:72], v68 offset:368
	ds_read_b128 v[73:76], v68 offset:384
	buffer_load_dword v94, off, s[0:3], 0 offset:180
	v_cmp_lt_u32_e32 vcc, 10, v0
	s_waitcnt vmcnt(20) lgkmcnt(1)
	v_fma_f64 v[69:70], v[77:78], v[69:70], 0
	s_waitcnt vmcnt(18)
	v_fma_f64 v[69:70], v[79:80], v[71:72], v[69:70]
	buffer_load_dword v78, off, s[0:3], 0 offset:188
	buffer_load_dword v79, off, s[0:3], 0 offset:208
	;; [unrolled: 1-line block ×7, first 2 shown]
	s_waitcnt vmcnt(23) lgkmcnt(0)
	v_fma_f64 v[69:70], v[81:82], v[73:74], v[69:70]
	s_waitcnt vmcnt(21)
	v_fma_f64 v[80:81], v[83:84], v[75:76], v[69:70]
	ds_read_b128 v[69:72], v68 offset:400
	ds_read_b128 v[73:76], v68 offset:416
	s_waitcnt vmcnt(19) lgkmcnt(1)
	v_fma_f64 v[69:70], v[85:86], v[69:70], v[80:81]
	buffer_load_dword v80, off, s[0:3], 0 offset:212
	s_waitcnt vmcnt(18)
	v_fma_f64 v[69:70], v[87:88], v[71:72], v[69:70]
	buffer_load_dword v82, off, s[0:3], 0 offset:220
	buffer_load_dword v83, off, s[0:3], 0 offset:240
	;; [unrolled: 1-line block ×7, first 2 shown]
	s_waitcnt vmcnt(23) lgkmcnt(0)
	v_fma_f64 v[69:70], v[89:90], v[73:74], v[69:70]
	s_waitcnt vmcnt(18)
	v_fma_f64 v[89:90], v[91:92], v[75:76], v[69:70]
	ds_read_b128 v[69:72], v68 offset:432
	ds_read_b128 v[73:76], v68 offset:448
	buffer_load_dword v84, off, s[0:3], 0 offset:244
	s_waitcnt vmcnt(18) lgkmcnt(1)
	v_fma_f64 v[69:70], v[97:98], v[69:70], v[89:90]
	buffer_load_dword v90, off, s[0:3], 0 offset:252
	buffer_load_dword v91, off, s[0:3], 0 offset:256
	;; [unrolled: 1-line block ×4, first 2 shown]
	s_waitcnt vmcnt(21)
	v_fma_f64 v[69:70], v[95:96], v[71:72], v[69:70]
	s_waitcnt vmcnt(20) lgkmcnt(0)
	v_fma_f64 v[69:70], v[93:94], v[73:74], v[69:70]
	buffer_load_dword v93, off, s[0:3], 0 offset:88
	buffer_load_dword v94, off, s[0:3], 0 offset:92
	s_waitcnt vmcnt(17)
	v_fma_f64 v[77:78], v[77:78], v[75:76], v[69:70]
	ds_read_b128 v[69:72], v68 offset:464
	ds_read_b128 v[73:76], v68 offset:480
	s_waitcnt vmcnt(16) lgkmcnt(1)
	v_fma_f64 v[69:70], v[101:102], v[69:70], v[77:78]
	s_waitcnt vmcnt(15)
	v_fma_f64 v[69:70], v[99:100], v[71:72], v[69:70]
	s_waitcnt vmcnt(14) lgkmcnt(0)
	v_fma_f64 v[69:70], v[79:80], v[73:74], v[69:70]
	s_waitcnt vmcnt(9)
	v_fma_f64 v[77:78], v[81:82], v[75:76], v[69:70]
	ds_read_b128 v[69:72], v68 offset:496
	ds_read_b128 v[73:76], v68 offset:512
	s_waitcnt vmcnt(8) lgkmcnt(1)
	v_fma_f64 v[69:70], v[87:88], v[69:70], v[77:78]
	s_waitcnt vmcnt(7)
	v_fma_f64 v[69:70], v[85:86], v[71:72], v[69:70]
	ds_read_b64 v[71:72], v68 offset:528
	s_waitcnt vmcnt(6) lgkmcnt(1)
	v_fma_f64 v[69:70], v[83:84], v[73:74], v[69:70]
	s_waitcnt vmcnt(3)
	v_fma_f64 v[69:70], v[89:90], v[75:76], v[69:70]
	s_waitcnt vmcnt(2) lgkmcnt(0)
	v_fma_f64 v[69:70], v[91:92], v[71:72], v[69:70]
	s_waitcnt vmcnt(0)
	v_add_f64 v[69:70], v[93:94], -v[69:70]
	buffer_store_dword v70, off, s[0:3], 0 offset:92
	buffer_store_dword v69, off, s[0:3], 0 offset:88
	s_and_saveexec_b64 s[4:5], vcc
	s_cbranch_execz .LBB32_185
; %bb.184:
	buffer_load_dword v69, off, s[0:3], 0 offset:80
	buffer_load_dword v70, off, s[0:3], 0 offset:84
	s_waitcnt vmcnt(0)
	ds_write_b64 v67, v[69:70]
	buffer_store_dword v68, off, s[0:3], 0 offset:80
	buffer_store_dword v68, off, s[0:3], 0 offset:84
.LBB32_185:
	s_or_b64 exec, exec, s[4:5]
	s_waitcnt lgkmcnt(0)
	; wave barrier
	buffer_load_dword v77, off, s[0:3], 0 offset:88
	buffer_load_dword v78, off, s[0:3], 0 offset:92
	;; [unrolled: 1-line block ×21, first 2 shown]
	ds_read2_b64 v[69:72], v68 offset0:45 offset1:46
	ds_read2_b64 v[73:76], v68 offset0:47 offset1:48
	buffer_load_dword v94, off, s[0:3], 0 offset:172
	v_cmp_lt_u32_e32 vcc, 9, v0
	s_waitcnt vmcnt(20) lgkmcnt(1)
	v_fma_f64 v[69:70], v[77:78], v[69:70], 0
	s_waitcnt vmcnt(18)
	v_fma_f64 v[69:70], v[79:80], v[71:72], v[69:70]
	buffer_load_dword v78, off, s[0:3], 0 offset:180
	buffer_load_dword v79, off, s[0:3], 0 offset:200
	;; [unrolled: 1-line block ×7, first 2 shown]
	s_waitcnt vmcnt(23) lgkmcnt(0)
	v_fma_f64 v[69:70], v[81:82], v[73:74], v[69:70]
	s_waitcnt vmcnt(21)
	v_fma_f64 v[80:81], v[83:84], v[75:76], v[69:70]
	ds_read2_b64 v[69:72], v68 offset0:49 offset1:50
	ds_read2_b64 v[73:76], v68 offset0:51 offset1:52
	s_waitcnt vmcnt(19) lgkmcnt(1)
	v_fma_f64 v[69:70], v[85:86], v[69:70], v[80:81]
	buffer_load_dword v80, off, s[0:3], 0 offset:204
	s_waitcnt vmcnt(18)
	v_fma_f64 v[69:70], v[87:88], v[71:72], v[69:70]
	buffer_load_dword v82, off, s[0:3], 0 offset:212
	buffer_load_dword v83, off, s[0:3], 0 offset:232
	buffer_load_dword v85, off, s[0:3], 0 offset:224
	buffer_load_dword v87, off, s[0:3], 0 offset:216
	buffer_load_dword v81, off, s[0:3], 0 offset:208
	buffer_load_dword v88, off, s[0:3], 0 offset:220
	buffer_load_dword v86, off, s[0:3], 0 offset:228
	buffer_load_dword v84, off, s[0:3], 0 offset:236
	s_waitcnt vmcnt(24) lgkmcnt(0)
	v_fma_f64 v[69:70], v[89:90], v[73:74], v[69:70]
	s_waitcnt vmcnt(19)
	v_fma_f64 v[89:90], v[91:92], v[75:76], v[69:70]
	ds_read2_b64 v[69:72], v68 offset0:53 offset1:54
	ds_read2_b64 v[73:76], v68 offset0:55 offset1:56
	s_waitcnt vmcnt(18) lgkmcnt(1)
	v_fma_f64 v[69:70], v[97:98], v[69:70], v[89:90]
	s_waitcnt vmcnt(17)
	v_fma_f64 v[69:70], v[95:96], v[71:72], v[69:70]
	buffer_load_dword v90, off, s[0:3], 0 offset:244
	buffer_load_dword v91, off, s[0:3], 0 offset:256
	;; [unrolled: 1-line block ×6, first 2 shown]
	s_waitcnt vmcnt(22) lgkmcnt(0)
	v_fma_f64 v[69:70], v[93:94], v[73:74], v[69:70]
	s_waitcnt vmcnt(17)
	v_fma_f64 v[77:78], v[77:78], v[75:76], v[69:70]
	ds_read2_b64 v[69:72], v68 offset0:57 offset1:58
	buffer_load_dword v93, off, s[0:3], 0 offset:80
	buffer_load_dword v94, off, s[0:3], 0 offset:84
	ds_read2_b64 v[73:76], v68 offset0:59 offset1:60
	s_waitcnt vmcnt(18) lgkmcnt(1)
	v_fma_f64 v[69:70], v[101:102], v[69:70], v[77:78]
	s_waitcnt vmcnt(17)
	v_fma_f64 v[69:70], v[99:100], v[71:72], v[69:70]
	s_waitcnt vmcnt(16) lgkmcnt(0)
	v_fma_f64 v[69:70], v[79:80], v[73:74], v[69:70]
	s_waitcnt vmcnt(11)
	v_fma_f64 v[77:78], v[81:82], v[75:76], v[69:70]
	ds_read2_b64 v[69:72], v68 offset0:61 offset1:62
	ds_read2_b64 v[73:76], v68 offset0:63 offset1:64
	s_waitcnt vmcnt(10) lgkmcnt(1)
	v_fma_f64 v[69:70], v[87:88], v[69:70], v[77:78]
	s_waitcnt vmcnt(9)
	v_fma_f64 v[69:70], v[85:86], v[71:72], v[69:70]
	s_waitcnt vmcnt(8) lgkmcnt(0)
	v_fma_f64 v[69:70], v[83:84], v[73:74], v[69:70]
	s_waitcnt vmcnt(4)
	v_fma_f64 v[72:73], v[89:90], v[75:76], v[69:70]
	ds_read2_b64 v[68:71], v68 offset0:65 offset1:66
	s_waitcnt vmcnt(3) lgkmcnt(0)
	v_fma_f64 v[68:69], v[95:96], v[68:69], v[72:73]
	s_waitcnt vmcnt(2)
	v_fma_f64 v[68:69], v[91:92], v[70:71], v[68:69]
	s_waitcnt vmcnt(0)
	v_add_f64 v[68:69], v[93:94], -v[68:69]
	buffer_store_dword v69, off, s[0:3], 0 offset:84
	buffer_store_dword v68, off, s[0:3], 0 offset:80
	s_and_saveexec_b64 s[4:5], vcc
	s_cbranch_execz .LBB32_187
; %bb.186:
	buffer_load_dword v68, off, s[0:3], 0 offset:72
	buffer_load_dword v69, off, s[0:3], 0 offset:76
	v_mov_b32_e32 v70, 0
	buffer_store_dword v70, off, s[0:3], 0 offset:72
	buffer_store_dword v70, off, s[0:3], 0 offset:76
	s_waitcnt vmcnt(2)
	ds_write_b64 v67, v[68:69]
.LBB32_187:
	s_or_b64 exec, exec, s[4:5]
	s_waitcnt lgkmcnt(0)
	; wave barrier
	buffer_load_dword v77, off, s[0:3], 0 offset:80
	buffer_load_dword v78, off, s[0:3], 0 offset:84
	;; [unrolled: 1-line block ×21, first 2 shown]
	v_mov_b32_e32 v68, 0
	ds_read_b128 v[69:72], v68 offset:352
	ds_read_b128 v[73:76], v68 offset:368
	buffer_load_dword v94, off, s[0:3], 0 offset:164
	v_cmp_lt_u32_e32 vcc, 8, v0
	s_waitcnt vmcnt(20) lgkmcnt(1)
	v_fma_f64 v[69:70], v[77:78], v[69:70], 0
	s_waitcnt vmcnt(18)
	v_fma_f64 v[69:70], v[79:80], v[71:72], v[69:70]
	buffer_load_dword v78, off, s[0:3], 0 offset:172
	buffer_load_dword v79, off, s[0:3], 0 offset:192
	;; [unrolled: 1-line block ×7, first 2 shown]
	s_waitcnt vmcnt(23) lgkmcnt(0)
	v_fma_f64 v[69:70], v[81:82], v[73:74], v[69:70]
	s_waitcnt vmcnt(21)
	v_fma_f64 v[80:81], v[83:84], v[75:76], v[69:70]
	ds_read_b128 v[69:72], v68 offset:384
	ds_read_b128 v[73:76], v68 offset:400
	s_waitcnt vmcnt(19) lgkmcnt(1)
	v_fma_f64 v[69:70], v[85:86], v[69:70], v[80:81]
	buffer_load_dword v80, off, s[0:3], 0 offset:196
	s_waitcnt vmcnt(18)
	v_fma_f64 v[69:70], v[87:88], v[71:72], v[69:70]
	buffer_load_dword v82, off, s[0:3], 0 offset:204
	buffer_load_dword v83, off, s[0:3], 0 offset:224
	;; [unrolled: 1-line block ×8, first 2 shown]
	s_waitcnt vmcnt(24) lgkmcnt(0)
	v_fma_f64 v[69:70], v[89:90], v[73:74], v[69:70]
	s_waitcnt vmcnt(19)
	v_fma_f64 v[89:90], v[91:92], v[75:76], v[69:70]
	ds_read_b128 v[69:72], v68 offset:416
	ds_read_b128 v[73:76], v68 offset:432
	s_waitcnt vmcnt(18) lgkmcnt(1)
	v_fma_f64 v[69:70], v[97:98], v[69:70], v[89:90]
	s_waitcnt vmcnt(17)
	v_fma_f64 v[69:70], v[95:96], v[71:72], v[69:70]
	buffer_load_dword v90, off, s[0:3], 0 offset:236
	buffer_load_dword v91, off, s[0:3], 0 offset:256
	;; [unrolled: 1-line block ×8, first 2 shown]
	s_waitcnt vmcnt(24) lgkmcnt(0)
	v_fma_f64 v[69:70], v[93:94], v[73:74], v[69:70]
	s_waitcnt vmcnt(19)
	v_fma_f64 v[77:78], v[77:78], v[75:76], v[69:70]
	ds_read_b128 v[69:72], v68 offset:448
	ds_read_b128 v[73:76], v68 offset:464
	s_waitcnt vmcnt(18) lgkmcnt(1)
	v_fma_f64 v[69:70], v[101:102], v[69:70], v[77:78]
	buffer_load_dword v77, off, s[0:3], 0 offset:72
	buffer_load_dword v78, off, s[0:3], 0 offset:76
	s_waitcnt vmcnt(19)
	v_fma_f64 v[69:70], v[99:100], v[71:72], v[69:70]
	s_waitcnt vmcnt(18) lgkmcnt(0)
	v_fma_f64 v[69:70], v[79:80], v[73:74], v[69:70]
	s_waitcnt vmcnt(13)
	v_fma_f64 v[79:80], v[81:82], v[75:76], v[69:70]
	ds_read_b128 v[69:72], v68 offset:480
	ds_read_b128 v[73:76], v68 offset:496
	s_waitcnt vmcnt(12) lgkmcnt(1)
	v_fma_f64 v[69:70], v[87:88], v[69:70], v[79:80]
	s_waitcnt vmcnt(11)
	v_fma_f64 v[69:70], v[85:86], v[71:72], v[69:70]
	s_waitcnt vmcnt(10) lgkmcnt(0)
	v_fma_f64 v[69:70], v[83:84], v[73:74], v[69:70]
	s_waitcnt vmcnt(5)
	v_fma_f64 v[73:74], v[89:90], v[75:76], v[69:70]
	ds_read_b128 v[69:72], v68 offset:512
	ds_read_b64 v[75:76], v68 offset:528
	s_waitcnt vmcnt(4) lgkmcnt(1)
	v_fma_f64 v[69:70], v[97:98], v[69:70], v[73:74]
	s_waitcnt vmcnt(3)
	v_fma_f64 v[69:70], v[95:96], v[71:72], v[69:70]
	s_waitcnt vmcnt(2) lgkmcnt(0)
	v_fma_f64 v[69:70], v[91:92], v[75:76], v[69:70]
	s_waitcnt vmcnt(0)
	v_add_f64 v[69:70], v[77:78], -v[69:70]
	buffer_store_dword v70, off, s[0:3], 0 offset:76
	buffer_store_dword v69, off, s[0:3], 0 offset:72
	s_and_saveexec_b64 s[4:5], vcc
	s_cbranch_execz .LBB32_189
; %bb.188:
	buffer_load_dword v69, off, s[0:3], 0 offset:64
	buffer_load_dword v70, off, s[0:3], 0 offset:68
	s_waitcnt vmcnt(0)
	ds_write_b64 v67, v[69:70]
	buffer_store_dword v68, off, s[0:3], 0 offset:64
	buffer_store_dword v68, off, s[0:3], 0 offset:68
.LBB32_189:
	s_or_b64 exec, exec, s[4:5]
	s_waitcnt lgkmcnt(0)
	; wave barrier
	buffer_load_dword v77, off, s[0:3], 0 offset:72
	buffer_load_dword v78, off, s[0:3], 0 offset:76
	;; [unrolled: 1-line block ×21, first 2 shown]
	ds_read2_b64 v[69:72], v68 offset0:43 offset1:44
	ds_read2_b64 v[73:76], v68 offset0:45 offset1:46
	buffer_load_dword v94, off, s[0:3], 0 offset:156
	v_cmp_lt_u32_e32 vcc, 7, v0
	s_waitcnt vmcnt(20) lgkmcnt(1)
	v_fma_f64 v[69:70], v[77:78], v[69:70], 0
	s_waitcnt vmcnt(18)
	v_fma_f64 v[69:70], v[79:80], v[71:72], v[69:70]
	buffer_load_dword v78, off, s[0:3], 0 offset:164
	buffer_load_dword v79, off, s[0:3], 0 offset:184
	;; [unrolled: 1-line block ×7, first 2 shown]
	s_waitcnt vmcnt(23) lgkmcnt(0)
	v_fma_f64 v[69:70], v[81:82], v[73:74], v[69:70]
	s_waitcnt vmcnt(21)
	v_fma_f64 v[80:81], v[83:84], v[75:76], v[69:70]
	ds_read2_b64 v[69:72], v68 offset0:47 offset1:48
	ds_read2_b64 v[73:76], v68 offset0:49 offset1:50
	s_waitcnt vmcnt(19) lgkmcnt(1)
	v_fma_f64 v[69:70], v[85:86], v[69:70], v[80:81]
	buffer_load_dword v80, off, s[0:3], 0 offset:188
	s_waitcnt vmcnt(18)
	v_fma_f64 v[69:70], v[87:88], v[71:72], v[69:70]
	buffer_load_dword v82, off, s[0:3], 0 offset:196
	buffer_load_dword v83, off, s[0:3], 0 offset:216
	;; [unrolled: 1-line block ×8, first 2 shown]
	s_waitcnt vmcnt(24) lgkmcnt(0)
	v_fma_f64 v[69:70], v[89:90], v[73:74], v[69:70]
	s_waitcnt vmcnt(19)
	v_fma_f64 v[89:90], v[91:92], v[75:76], v[69:70]
	ds_read2_b64 v[69:72], v68 offset0:51 offset1:52
	ds_read2_b64 v[73:76], v68 offset0:53 offset1:54
	s_waitcnt vmcnt(18) lgkmcnt(1)
	v_fma_f64 v[69:70], v[97:98], v[69:70], v[89:90]
	s_waitcnt vmcnt(17)
	v_fma_f64 v[69:70], v[95:96], v[71:72], v[69:70]
	buffer_load_dword v90, off, s[0:3], 0 offset:228
	buffer_load_dword v91, off, s[0:3], 0 offset:248
	;; [unrolled: 1-line block ×8, first 2 shown]
	s_waitcnt vmcnt(24) lgkmcnt(0)
	v_fma_f64 v[69:70], v[93:94], v[73:74], v[69:70]
	s_waitcnt vmcnt(19)
	v_fma_f64 v[77:78], v[77:78], v[75:76], v[69:70]
	ds_read2_b64 v[69:72], v68 offset0:55 offset1:56
	ds_read2_b64 v[73:76], v68 offset0:57 offset1:58
	s_waitcnt vmcnt(18) lgkmcnt(1)
	v_fma_f64 v[69:70], v[101:102], v[69:70], v[77:78]
	buffer_load_dword v78, off, s[0:3], 0 offset:260
	buffer_load_dword v77, off, s[0:3], 0 offset:256
	;; [unrolled: 1-line block ×4, first 2 shown]
	s_waitcnt vmcnt(21)
	v_fma_f64 v[69:70], v[99:100], v[71:72], v[69:70]
	s_waitcnt vmcnt(20) lgkmcnt(0)
	v_fma_f64 v[69:70], v[79:80], v[73:74], v[69:70]
	s_waitcnt vmcnt(15)
	v_fma_f64 v[79:80], v[81:82], v[75:76], v[69:70]
	ds_read2_b64 v[69:72], v68 offset0:59 offset1:60
	ds_read2_b64 v[73:76], v68 offset0:61 offset1:62
	s_waitcnt vmcnt(14) lgkmcnt(1)
	v_fma_f64 v[69:70], v[87:88], v[69:70], v[79:80]
	s_waitcnt vmcnt(13)
	v_fma_f64 v[69:70], v[85:86], v[71:72], v[69:70]
	s_waitcnt vmcnt(12) lgkmcnt(0)
	v_fma_f64 v[69:70], v[83:84], v[73:74], v[69:70]
	s_waitcnt vmcnt(7)
	v_fma_f64 v[79:80], v[89:90], v[75:76], v[69:70]
	ds_read2_b64 v[69:72], v68 offset0:63 offset1:64
	ds_read2_b64 v[73:76], v68 offset0:65 offset1:66
	s_waitcnt vmcnt(6) lgkmcnt(1)
	v_fma_f64 v[68:69], v[97:98], v[69:70], v[79:80]
	s_waitcnt vmcnt(5)
	v_fma_f64 v[68:69], v[95:96], v[71:72], v[68:69]
	s_waitcnt vmcnt(4) lgkmcnt(0)
	v_fma_f64 v[68:69], v[91:92], v[73:74], v[68:69]
	s_waitcnt vmcnt(2)
	v_fma_f64 v[68:69], v[77:78], v[75:76], v[68:69]
	s_waitcnt vmcnt(0)
	v_add_f64 v[68:69], v[93:94], -v[68:69]
	buffer_store_dword v69, off, s[0:3], 0 offset:68
	buffer_store_dword v68, off, s[0:3], 0 offset:64
	s_and_saveexec_b64 s[4:5], vcc
	s_cbranch_execz .LBB32_191
; %bb.190:
	buffer_load_dword v68, off, s[0:3], 0 offset:56
	buffer_load_dword v69, off, s[0:3], 0 offset:60
	v_mov_b32_e32 v70, 0
	buffer_store_dword v70, off, s[0:3], 0 offset:56
	buffer_store_dword v70, off, s[0:3], 0 offset:60
	s_waitcnt vmcnt(2)
	ds_write_b64 v67, v[68:69]
.LBB32_191:
	s_or_b64 exec, exec, s[4:5]
	s_waitcnt lgkmcnt(0)
	; wave barrier
	buffer_load_dword v77, off, s[0:3], 0 offset:64
	buffer_load_dword v78, off, s[0:3], 0 offset:68
	;; [unrolled: 1-line block ×21, first 2 shown]
	v_mov_b32_e32 v68, 0
	ds_read_b128 v[69:72], v68 offset:336
	ds_read_b128 v[73:76], v68 offset:352
	buffer_load_dword v94, off, s[0:3], 0 offset:148
	v_cmp_lt_u32_e32 vcc, 6, v0
	s_waitcnt vmcnt(20) lgkmcnt(1)
	v_fma_f64 v[69:70], v[77:78], v[69:70], 0
	s_waitcnt vmcnt(18)
	v_fma_f64 v[69:70], v[79:80], v[71:72], v[69:70]
	buffer_load_dword v78, off, s[0:3], 0 offset:156
	buffer_load_dword v79, off, s[0:3], 0 offset:176
	;; [unrolled: 1-line block ×7, first 2 shown]
	s_waitcnt vmcnt(23) lgkmcnt(0)
	v_fma_f64 v[69:70], v[81:82], v[73:74], v[69:70]
	s_waitcnt vmcnt(21)
	v_fma_f64 v[80:81], v[83:84], v[75:76], v[69:70]
	ds_read_b128 v[69:72], v68 offset:368
	ds_read_b128 v[73:76], v68 offset:384
	s_waitcnt vmcnt(19) lgkmcnt(1)
	v_fma_f64 v[69:70], v[85:86], v[69:70], v[80:81]
	buffer_load_dword v80, off, s[0:3], 0 offset:180
	s_waitcnt vmcnt(18)
	v_fma_f64 v[69:70], v[87:88], v[71:72], v[69:70]
	buffer_load_dword v82, off, s[0:3], 0 offset:188
	buffer_load_dword v83, off, s[0:3], 0 offset:208
	buffer_load_dword v85, off, s[0:3], 0 offset:200
	buffer_load_dword v87, off, s[0:3], 0 offset:192
	buffer_load_dword v81, off, s[0:3], 0 offset:184
	buffer_load_dword v88, off, s[0:3], 0 offset:196
	buffer_load_dword v86, off, s[0:3], 0 offset:204
	buffer_load_dword v84, off, s[0:3], 0 offset:212
	s_waitcnt vmcnt(24) lgkmcnt(0)
	v_fma_f64 v[69:70], v[89:90], v[73:74], v[69:70]
	s_waitcnt vmcnt(19)
	v_fma_f64 v[89:90], v[91:92], v[75:76], v[69:70]
	ds_read_b128 v[69:72], v68 offset:400
	ds_read_b128 v[73:76], v68 offset:416
	s_waitcnt vmcnt(18) lgkmcnt(1)
	v_fma_f64 v[69:70], v[97:98], v[69:70], v[89:90]
	s_waitcnt vmcnt(17)
	v_fma_f64 v[69:70], v[95:96], v[71:72], v[69:70]
	buffer_load_dword v90, off, s[0:3], 0 offset:220
	buffer_load_dword v91, off, s[0:3], 0 offset:240
	;; [unrolled: 1-line block ×7, first 2 shown]
	s_waitcnt vmcnt(23) lgkmcnt(0)
	v_fma_f64 v[69:70], v[93:94], v[73:74], v[69:70]
	s_waitcnt vmcnt(18)
	v_fma_f64 v[77:78], v[77:78], v[75:76], v[69:70]
	ds_read_b128 v[69:72], v68 offset:432
	ds_read_b128 v[73:76], v68 offset:448
	buffer_load_dword v92, off, s[0:3], 0 offset:244
	s_waitcnt vmcnt(18) lgkmcnt(1)
	v_fma_f64 v[69:70], v[101:102], v[69:70], v[77:78]
	buffer_load_dword v78, off, s[0:3], 0 offset:252
	buffer_load_dword v93, off, s[0:3], 0 offset:256
	buffer_load_dword v77, off, s[0:3], 0 offset:248
	buffer_load_dword v94, off, s[0:3], 0 offset:260
	s_waitcnt vmcnt(21)
	v_fma_f64 v[69:70], v[99:100], v[71:72], v[69:70]
	s_waitcnt vmcnt(20) lgkmcnt(0)
	v_fma_f64 v[69:70], v[79:80], v[73:74], v[69:70]
	buffer_load_dword v79, off, s[0:3], 0 offset:56
	buffer_load_dword v80, off, s[0:3], 0 offset:60
	s_waitcnt vmcnt(17)
	v_fma_f64 v[81:82], v[81:82], v[75:76], v[69:70]
	ds_read_b128 v[69:72], v68 offset:464
	ds_read_b128 v[73:76], v68 offset:480
	s_waitcnt vmcnt(16) lgkmcnt(1)
	v_fma_f64 v[69:70], v[87:88], v[69:70], v[81:82]
	s_waitcnt vmcnt(15)
	v_fma_f64 v[69:70], v[85:86], v[71:72], v[69:70]
	s_waitcnt vmcnt(14) lgkmcnt(0)
	v_fma_f64 v[69:70], v[83:84], v[73:74], v[69:70]
	s_waitcnt vmcnt(9)
	v_fma_f64 v[81:82], v[89:90], v[75:76], v[69:70]
	ds_read_b128 v[69:72], v68 offset:496
	ds_read_b128 v[73:76], v68 offset:512
	s_waitcnt vmcnt(8) lgkmcnt(1)
	v_fma_f64 v[69:70], v[97:98], v[69:70], v[81:82]
	s_waitcnt vmcnt(7)
	v_fma_f64 v[69:70], v[95:96], v[71:72], v[69:70]
	ds_read_b64 v[71:72], v68 offset:528
	s_waitcnt vmcnt(6) lgkmcnt(1)
	v_fma_f64 v[69:70], v[91:92], v[73:74], v[69:70]
	s_waitcnt vmcnt(3)
	v_fma_f64 v[69:70], v[77:78], v[75:76], v[69:70]
	s_waitcnt vmcnt(2) lgkmcnt(0)
	v_fma_f64 v[69:70], v[93:94], v[71:72], v[69:70]
	s_waitcnt vmcnt(0)
	v_add_f64 v[69:70], v[79:80], -v[69:70]
	buffer_store_dword v70, off, s[0:3], 0 offset:60
	buffer_store_dword v69, off, s[0:3], 0 offset:56
	s_and_saveexec_b64 s[4:5], vcc
	s_cbranch_execz .LBB32_193
; %bb.192:
	buffer_load_dword v69, off, s[0:3], 0 offset:48
	buffer_load_dword v70, off, s[0:3], 0 offset:52
	s_waitcnt vmcnt(0)
	ds_write_b64 v67, v[69:70]
	buffer_store_dword v68, off, s[0:3], 0 offset:48
	buffer_store_dword v68, off, s[0:3], 0 offset:52
.LBB32_193:
	s_or_b64 exec, exec, s[4:5]
	s_waitcnt lgkmcnt(0)
	; wave barrier
	buffer_load_dword v77, off, s[0:3], 0 offset:56
	buffer_load_dword v78, off, s[0:3], 0 offset:60
	buffer_load_dword v79, off, s[0:3], 0 offset:64
	buffer_load_dword v80, off, s[0:3], 0 offset:68
	buffer_load_dword v81, off, s[0:3], 0 offset:72
	buffer_load_dword v82, off, s[0:3], 0 offset:76
	buffer_load_dword v83, off, s[0:3], 0 offset:80
	buffer_load_dword v84, off, s[0:3], 0 offset:84
	buffer_load_dword v85, off, s[0:3], 0 offset:88
	buffer_load_dword v86, off, s[0:3], 0 offset:92
	buffer_load_dword v87, off, s[0:3], 0 offset:96
	buffer_load_dword v88, off, s[0:3], 0 offset:100
	buffer_load_dword v89, off, s[0:3], 0 offset:104
	buffer_load_dword v90, off, s[0:3], 0 offset:108
	buffer_load_dword v92, off, s[0:3], 0 offset:116
	buffer_load_dword v93, off, s[0:3], 0 offset:136
	buffer_load_dword v95, off, s[0:3], 0 offset:128
	buffer_load_dword v97, off, s[0:3], 0 offset:120
	buffer_load_dword v91, off, s[0:3], 0 offset:112
	buffer_load_dword v98, off, s[0:3], 0 offset:124
	buffer_load_dword v96, off, s[0:3], 0 offset:132
	buffer_load_dword v94, off, s[0:3], 0 offset:140
	ds_read2_b64 v[69:72], v68 offset0:41 offset1:42
	ds_read2_b64 v[73:76], v68 offset0:43 offset1:44
	v_cmp_lt_u32_e32 vcc, 5, v0
	s_waitcnt vmcnt(20) lgkmcnt(1)
	v_fma_f64 v[69:70], v[77:78], v[69:70], 0
	s_waitcnt vmcnt(18)
	v_fma_f64 v[69:70], v[79:80], v[71:72], v[69:70]
	buffer_load_dword v78, off, s[0:3], 0 offset:148
	buffer_load_dword v79, off, s[0:3], 0 offset:168
	;; [unrolled: 1-line block ×7, first 2 shown]
	s_waitcnt vmcnt(23) lgkmcnt(0)
	v_fma_f64 v[69:70], v[81:82], v[73:74], v[69:70]
	s_waitcnt vmcnt(21)
	v_fma_f64 v[80:81], v[83:84], v[75:76], v[69:70]
	ds_read2_b64 v[69:72], v68 offset0:45 offset1:46
	ds_read2_b64 v[73:76], v68 offset0:47 offset1:48
	s_waitcnt vmcnt(19) lgkmcnt(1)
	v_fma_f64 v[69:70], v[85:86], v[69:70], v[80:81]
	buffer_load_dword v80, off, s[0:3], 0 offset:172
	s_waitcnt vmcnt(18)
	v_fma_f64 v[69:70], v[87:88], v[71:72], v[69:70]
	buffer_load_dword v82, off, s[0:3], 0 offset:180
	buffer_load_dword v83, off, s[0:3], 0 offset:200
	buffer_load_dword v85, off, s[0:3], 0 offset:192
	buffer_load_dword v87, off, s[0:3], 0 offset:184
	buffer_load_dword v81, off, s[0:3], 0 offset:176
	buffer_load_dword v88, off, s[0:3], 0 offset:188
	buffer_load_dword v86, off, s[0:3], 0 offset:196
	buffer_load_dword v84, off, s[0:3], 0 offset:204
	s_waitcnt vmcnt(24) lgkmcnt(0)
	v_fma_f64 v[69:70], v[89:90], v[73:74], v[69:70]
	s_waitcnt vmcnt(19)
	v_fma_f64 v[89:90], v[91:92], v[75:76], v[69:70]
	ds_read2_b64 v[69:72], v68 offset0:49 offset1:50
	ds_read2_b64 v[73:76], v68 offset0:51 offset1:52
	s_waitcnt vmcnt(18) lgkmcnt(1)
	v_fma_f64 v[69:70], v[97:98], v[69:70], v[89:90]
	s_waitcnt vmcnt(17)
	v_fma_f64 v[69:70], v[95:96], v[71:72], v[69:70]
	buffer_load_dword v90, off, s[0:3], 0 offset:212
	buffer_load_dword v91, off, s[0:3], 0 offset:232
	;; [unrolled: 1-line block ×8, first 2 shown]
	s_waitcnt vmcnt(24) lgkmcnt(0)
	v_fma_f64 v[69:70], v[93:94], v[73:74], v[69:70]
	s_waitcnt vmcnt(19)
	v_fma_f64 v[77:78], v[77:78], v[75:76], v[69:70]
	ds_read2_b64 v[69:72], v68 offset0:53 offset1:54
	ds_read2_b64 v[73:76], v68 offset0:55 offset1:56
	s_waitcnt vmcnt(18) lgkmcnt(1)
	v_fma_f64 v[69:70], v[101:102], v[69:70], v[77:78]
	s_waitcnt vmcnt(17)
	v_fma_f64 v[69:70], v[99:100], v[71:72], v[69:70]
	buffer_load_dword v78, off, s[0:3], 0 offset:244
	buffer_load_dword v93, off, s[0:3], 0 offset:256
	;; [unrolled: 1-line block ×6, first 2 shown]
	s_waitcnt vmcnt(22) lgkmcnt(0)
	v_fma_f64 v[69:70], v[79:80], v[73:74], v[69:70]
	s_waitcnt vmcnt(17)
	v_fma_f64 v[79:80], v[81:82], v[75:76], v[69:70]
	ds_read2_b64 v[69:72], v68 offset0:57 offset1:58
	buffer_load_dword v81, off, s[0:3], 0 offset:48
	buffer_load_dword v82, off, s[0:3], 0 offset:52
	ds_read2_b64 v[73:76], v68 offset0:59 offset1:60
	s_waitcnt vmcnt(18) lgkmcnt(1)
	v_fma_f64 v[69:70], v[87:88], v[69:70], v[79:80]
	s_waitcnt vmcnt(17)
	v_fma_f64 v[69:70], v[85:86], v[71:72], v[69:70]
	s_waitcnt vmcnt(16) lgkmcnt(0)
	v_fma_f64 v[69:70], v[83:84], v[73:74], v[69:70]
	s_waitcnt vmcnt(11)
	v_fma_f64 v[79:80], v[89:90], v[75:76], v[69:70]
	ds_read2_b64 v[69:72], v68 offset0:61 offset1:62
	ds_read2_b64 v[73:76], v68 offset0:63 offset1:64
	s_waitcnt vmcnt(10) lgkmcnt(1)
	v_fma_f64 v[69:70], v[97:98], v[69:70], v[79:80]
	s_waitcnt vmcnt(9)
	v_fma_f64 v[69:70], v[95:96], v[71:72], v[69:70]
	s_waitcnt vmcnt(8) lgkmcnt(0)
	v_fma_f64 v[69:70], v[91:92], v[73:74], v[69:70]
	s_waitcnt vmcnt(4)
	v_fma_f64 v[72:73], v[77:78], v[75:76], v[69:70]
	ds_read2_b64 v[68:71], v68 offset0:65 offset1:66
	s_waitcnt vmcnt(3) lgkmcnt(0)
	v_fma_f64 v[68:69], v[99:100], v[68:69], v[72:73]
	s_waitcnt vmcnt(2)
	v_fma_f64 v[68:69], v[93:94], v[70:71], v[68:69]
	s_waitcnt vmcnt(0)
	v_add_f64 v[68:69], v[81:82], -v[68:69]
	buffer_store_dword v69, off, s[0:3], 0 offset:52
	buffer_store_dword v68, off, s[0:3], 0 offset:48
	s_and_saveexec_b64 s[4:5], vcc
	s_cbranch_execz .LBB32_195
; %bb.194:
	buffer_load_dword v68, off, s[0:3], 0 offset:40
	buffer_load_dword v69, off, s[0:3], 0 offset:44
	v_mov_b32_e32 v70, 0
	buffer_store_dword v70, off, s[0:3], 0 offset:40
	buffer_store_dword v70, off, s[0:3], 0 offset:44
	s_waitcnt vmcnt(2)
	ds_write_b64 v67, v[68:69]
.LBB32_195:
	s_or_b64 exec, exec, s[4:5]
	s_waitcnt lgkmcnt(0)
	; wave barrier
	buffer_load_dword v77, off, s[0:3], 0 offset:48
	buffer_load_dword v78, off, s[0:3], 0 offset:52
	;; [unrolled: 1-line block ×22, first 2 shown]
	v_mov_b32_e32 v68, 0
	ds_read_b128 v[69:72], v68 offset:320
	ds_read_b128 v[73:76], v68 offset:336
	v_cmp_lt_u32_e32 vcc, 4, v0
	s_waitcnt vmcnt(20) lgkmcnt(1)
	v_fma_f64 v[69:70], v[77:78], v[69:70], 0
	s_waitcnt vmcnt(18)
	v_fma_f64 v[69:70], v[79:80], v[71:72], v[69:70]
	buffer_load_dword v78, off, s[0:3], 0 offset:140
	buffer_load_dword v79, off, s[0:3], 0 offset:160
	;; [unrolled: 1-line block ×7, first 2 shown]
	s_waitcnt vmcnt(23) lgkmcnt(0)
	v_fma_f64 v[69:70], v[81:82], v[73:74], v[69:70]
	s_waitcnt vmcnt(21)
	v_fma_f64 v[80:81], v[83:84], v[75:76], v[69:70]
	ds_read_b128 v[69:72], v68 offset:352
	ds_read_b128 v[73:76], v68 offset:368
	s_waitcnt vmcnt(19) lgkmcnt(1)
	v_fma_f64 v[69:70], v[85:86], v[69:70], v[80:81]
	buffer_load_dword v80, off, s[0:3], 0 offset:164
	s_waitcnt vmcnt(18)
	v_fma_f64 v[69:70], v[87:88], v[71:72], v[69:70]
	buffer_load_dword v82, off, s[0:3], 0 offset:172
	buffer_load_dword v83, off, s[0:3], 0 offset:192
	buffer_load_dword v85, off, s[0:3], 0 offset:184
	buffer_load_dword v87, off, s[0:3], 0 offset:176
	buffer_load_dword v81, off, s[0:3], 0 offset:168
	buffer_load_dword v88, off, s[0:3], 0 offset:180
	buffer_load_dword v86, off, s[0:3], 0 offset:188
	buffer_load_dword v84, off, s[0:3], 0 offset:196
	s_waitcnt vmcnt(24) lgkmcnt(0)
	v_fma_f64 v[69:70], v[89:90], v[73:74], v[69:70]
	s_waitcnt vmcnt(19)
	v_fma_f64 v[89:90], v[91:92], v[75:76], v[69:70]
	ds_read_b128 v[69:72], v68 offset:384
	ds_read_b128 v[73:76], v68 offset:400
	s_waitcnt vmcnt(18) lgkmcnt(1)
	v_fma_f64 v[69:70], v[97:98], v[69:70], v[89:90]
	s_waitcnt vmcnt(17)
	v_fma_f64 v[69:70], v[95:96], v[71:72], v[69:70]
	buffer_load_dword v90, off, s[0:3], 0 offset:204
	buffer_load_dword v91, off, s[0:3], 0 offset:224
	buffer_load_dword v95, off, s[0:3], 0 offset:216
	buffer_load_dword v97, off, s[0:3], 0 offset:208
	buffer_load_dword v89, off, s[0:3], 0 offset:200
	buffer_load_dword v98, off, s[0:3], 0 offset:212
	buffer_load_dword v96, off, s[0:3], 0 offset:220
	buffer_load_dword v92, off, s[0:3], 0 offset:228
	s_waitcnt vmcnt(24) lgkmcnt(0)
	v_fma_f64 v[69:70], v[93:94], v[73:74], v[69:70]
	s_waitcnt vmcnt(19)
	v_fma_f64 v[77:78], v[77:78], v[75:76], v[69:70]
	ds_read_b128 v[69:72], v68 offset:416
	ds_read_b128 v[73:76], v68 offset:432
	s_waitcnt vmcnt(18) lgkmcnt(1)
	v_fma_f64 v[69:70], v[101:102], v[69:70], v[77:78]
	;; [unrolled: 18-line block ×3, first 2 shown]
	buffer_load_dword v79, off, s[0:3], 0 offset:40
	buffer_load_dword v80, off, s[0:3], 0 offset:44
	s_waitcnt vmcnt(19)
	v_fma_f64 v[69:70], v[85:86], v[71:72], v[69:70]
	s_waitcnt vmcnt(18) lgkmcnt(0)
	v_fma_f64 v[69:70], v[83:84], v[73:74], v[69:70]
	s_waitcnt vmcnt(13)
	v_fma_f64 v[81:82], v[89:90], v[75:76], v[69:70]
	ds_read_b128 v[69:72], v68 offset:480
	ds_read_b128 v[73:76], v68 offset:496
	s_waitcnt vmcnt(12) lgkmcnt(1)
	v_fma_f64 v[69:70], v[97:98], v[69:70], v[81:82]
	s_waitcnt vmcnt(11)
	v_fma_f64 v[69:70], v[95:96], v[71:72], v[69:70]
	s_waitcnt vmcnt(10) lgkmcnt(0)
	v_fma_f64 v[69:70], v[91:92], v[73:74], v[69:70]
	s_waitcnt vmcnt(5)
	v_fma_f64 v[73:74], v[77:78], v[75:76], v[69:70]
	ds_read_b128 v[69:72], v68 offset:512
	ds_read_b64 v[75:76], v68 offset:528
	s_waitcnt vmcnt(4) lgkmcnt(1)
	v_fma_f64 v[69:70], v[101:102], v[69:70], v[73:74]
	s_waitcnt vmcnt(3)
	v_fma_f64 v[69:70], v[99:100], v[71:72], v[69:70]
	s_waitcnt vmcnt(2) lgkmcnt(0)
	v_fma_f64 v[69:70], v[93:94], v[75:76], v[69:70]
	s_waitcnt vmcnt(0)
	v_add_f64 v[69:70], v[79:80], -v[69:70]
	buffer_store_dword v70, off, s[0:3], 0 offset:44
	buffer_store_dword v69, off, s[0:3], 0 offset:40
	s_and_saveexec_b64 s[4:5], vcc
	s_cbranch_execz .LBB32_197
; %bb.196:
	buffer_load_dword v69, off, s[0:3], 0 offset:32
	buffer_load_dword v70, off, s[0:3], 0 offset:36
	s_waitcnt vmcnt(0)
	ds_write_b64 v67, v[69:70]
	buffer_store_dword v68, off, s[0:3], 0 offset:32
	buffer_store_dword v68, off, s[0:3], 0 offset:36
.LBB32_197:
	s_or_b64 exec, exec, s[4:5]
	s_waitcnt lgkmcnt(0)
	; wave barrier
	buffer_load_dword v77, off, s[0:3], 0 offset:40
	buffer_load_dword v78, off, s[0:3], 0 offset:44
	;; [unrolled: 1-line block ×22, first 2 shown]
	ds_read2_b64 v[69:72], v68 offset0:39 offset1:40
	ds_read2_b64 v[73:76], v68 offset0:41 offset1:42
	v_cmp_lt_u32_e32 vcc, 3, v0
	s_waitcnt vmcnt(20) lgkmcnt(1)
	v_fma_f64 v[69:70], v[77:78], v[69:70], 0
	s_waitcnt vmcnt(18)
	v_fma_f64 v[69:70], v[79:80], v[71:72], v[69:70]
	buffer_load_dword v78, off, s[0:3], 0 offset:132
	buffer_load_dword v79, off, s[0:3], 0 offset:152
	;; [unrolled: 1-line block ×7, first 2 shown]
	s_waitcnt vmcnt(23) lgkmcnt(0)
	v_fma_f64 v[69:70], v[81:82], v[73:74], v[69:70]
	s_waitcnt vmcnt(21)
	v_fma_f64 v[80:81], v[83:84], v[75:76], v[69:70]
	ds_read2_b64 v[69:72], v68 offset0:43 offset1:44
	ds_read2_b64 v[73:76], v68 offset0:45 offset1:46
	s_waitcnt vmcnt(19) lgkmcnt(1)
	v_fma_f64 v[69:70], v[85:86], v[69:70], v[80:81]
	buffer_load_dword v80, off, s[0:3], 0 offset:156
	s_waitcnt vmcnt(18)
	v_fma_f64 v[69:70], v[87:88], v[71:72], v[69:70]
	buffer_load_dword v82, off, s[0:3], 0 offset:164
	buffer_load_dword v83, off, s[0:3], 0 offset:184
	buffer_load_dword v85, off, s[0:3], 0 offset:176
	buffer_load_dword v87, off, s[0:3], 0 offset:168
	buffer_load_dword v81, off, s[0:3], 0 offset:160
	buffer_load_dword v88, off, s[0:3], 0 offset:172
	buffer_load_dword v86, off, s[0:3], 0 offset:180
	buffer_load_dword v84, off, s[0:3], 0 offset:188
	s_waitcnt vmcnt(24) lgkmcnt(0)
	v_fma_f64 v[69:70], v[89:90], v[73:74], v[69:70]
	s_waitcnt vmcnt(19)
	v_fma_f64 v[89:90], v[91:92], v[75:76], v[69:70]
	ds_read2_b64 v[69:72], v68 offset0:47 offset1:48
	ds_read2_b64 v[73:76], v68 offset0:49 offset1:50
	s_waitcnt vmcnt(18) lgkmcnt(1)
	v_fma_f64 v[69:70], v[97:98], v[69:70], v[89:90]
	s_waitcnt vmcnt(17)
	v_fma_f64 v[69:70], v[95:96], v[71:72], v[69:70]
	buffer_load_dword v90, off, s[0:3], 0 offset:196
	buffer_load_dword v91, off, s[0:3], 0 offset:216
	buffer_load_dword v95, off, s[0:3], 0 offset:208
	buffer_load_dword v97, off, s[0:3], 0 offset:200
	buffer_load_dword v89, off, s[0:3], 0 offset:192
	buffer_load_dword v98, off, s[0:3], 0 offset:204
	buffer_load_dword v96, off, s[0:3], 0 offset:212
	buffer_load_dword v92, off, s[0:3], 0 offset:220
	s_waitcnt vmcnt(24) lgkmcnt(0)
	v_fma_f64 v[69:70], v[93:94], v[73:74], v[69:70]
	s_waitcnt vmcnt(19)
	v_fma_f64 v[77:78], v[77:78], v[75:76], v[69:70]
	ds_read2_b64 v[69:72], v68 offset0:51 offset1:52
	ds_read2_b64 v[73:76], v68 offset0:53 offset1:54
	s_waitcnt vmcnt(18) lgkmcnt(1)
	v_fma_f64 v[69:70], v[101:102], v[69:70], v[77:78]
	;; [unrolled: 18-line block ×3, first 2 shown]
	buffer_load_dword v80, off, s[0:3], 0 offset:260
	buffer_load_dword v79, off, s[0:3], 0 offset:256
	;; [unrolled: 1-line block ×4, first 2 shown]
	s_waitcnt vmcnt(21)
	v_fma_f64 v[69:70], v[85:86], v[71:72], v[69:70]
	s_waitcnt vmcnt(20) lgkmcnt(0)
	v_fma_f64 v[69:70], v[83:84], v[73:74], v[69:70]
	s_waitcnt vmcnt(15)
	v_fma_f64 v[83:84], v[89:90], v[75:76], v[69:70]
	ds_read2_b64 v[69:72], v68 offset0:59 offset1:60
	ds_read2_b64 v[73:76], v68 offset0:61 offset1:62
	s_waitcnt vmcnt(14) lgkmcnt(1)
	v_fma_f64 v[69:70], v[97:98], v[69:70], v[83:84]
	s_waitcnt vmcnt(13)
	v_fma_f64 v[69:70], v[95:96], v[71:72], v[69:70]
	s_waitcnt vmcnt(12) lgkmcnt(0)
	v_fma_f64 v[69:70], v[91:92], v[73:74], v[69:70]
	s_waitcnt vmcnt(7)
	v_fma_f64 v[77:78], v[77:78], v[75:76], v[69:70]
	ds_read2_b64 v[69:72], v68 offset0:63 offset1:64
	ds_read2_b64 v[73:76], v68 offset0:65 offset1:66
	s_waitcnt vmcnt(6) lgkmcnt(1)
	v_fma_f64 v[68:69], v[101:102], v[69:70], v[77:78]
	s_waitcnt vmcnt(5)
	v_fma_f64 v[68:69], v[99:100], v[71:72], v[68:69]
	s_waitcnt vmcnt(4) lgkmcnt(0)
	v_fma_f64 v[68:69], v[93:94], v[73:74], v[68:69]
	s_waitcnt vmcnt(2)
	v_fma_f64 v[68:69], v[79:80], v[75:76], v[68:69]
	s_waitcnt vmcnt(0)
	v_add_f64 v[68:69], v[81:82], -v[68:69]
	buffer_store_dword v69, off, s[0:3], 0 offset:36
	buffer_store_dword v68, off, s[0:3], 0 offset:32
	s_and_saveexec_b64 s[4:5], vcc
	s_cbranch_execz .LBB32_199
; %bb.198:
	buffer_load_dword v68, off, s[0:3], 0 offset:24
	buffer_load_dword v69, off, s[0:3], 0 offset:28
	v_mov_b32_e32 v70, 0
	buffer_store_dword v70, off, s[0:3], 0 offset:24
	buffer_store_dword v70, off, s[0:3], 0 offset:28
	s_waitcnt vmcnt(2)
	ds_write_b64 v67, v[68:69]
.LBB32_199:
	s_or_b64 exec, exec, s[4:5]
	s_waitcnt lgkmcnt(0)
	; wave barrier
	buffer_load_dword v77, off, s[0:3], 0 offset:32
	buffer_load_dword v78, off, s[0:3], 0 offset:36
	;; [unrolled: 1-line block ×22, first 2 shown]
	v_mov_b32_e32 v68, 0
	ds_read_b128 v[69:72], v68 offset:304
	ds_read_b128 v[73:76], v68 offset:320
	v_cmp_lt_u32_e32 vcc, 2, v0
	s_waitcnt vmcnt(20) lgkmcnt(1)
	v_fma_f64 v[69:70], v[77:78], v[69:70], 0
	s_waitcnt vmcnt(18)
	v_fma_f64 v[69:70], v[79:80], v[71:72], v[69:70]
	buffer_load_dword v78, off, s[0:3], 0 offset:124
	buffer_load_dword v79, off, s[0:3], 0 offset:144
	;; [unrolled: 1-line block ×7, first 2 shown]
	s_waitcnt vmcnt(23) lgkmcnt(0)
	v_fma_f64 v[69:70], v[81:82], v[73:74], v[69:70]
	s_waitcnt vmcnt(21)
	v_fma_f64 v[80:81], v[83:84], v[75:76], v[69:70]
	ds_read_b128 v[69:72], v68 offset:336
	ds_read_b128 v[73:76], v68 offset:352
	s_waitcnt vmcnt(19) lgkmcnt(1)
	v_fma_f64 v[69:70], v[85:86], v[69:70], v[80:81]
	buffer_load_dword v80, off, s[0:3], 0 offset:148
	s_waitcnt vmcnt(18)
	v_fma_f64 v[69:70], v[87:88], v[71:72], v[69:70]
	buffer_load_dword v82, off, s[0:3], 0 offset:156
	buffer_load_dword v83, off, s[0:3], 0 offset:176
	;; [unrolled: 1-line block ×7, first 2 shown]
	s_waitcnt vmcnt(23) lgkmcnt(0)
	v_fma_f64 v[69:70], v[89:90], v[73:74], v[69:70]
	s_waitcnt vmcnt(18)
	v_fma_f64 v[89:90], v[91:92], v[75:76], v[69:70]
	ds_read_b128 v[69:72], v68 offset:368
	ds_read_b128 v[73:76], v68 offset:384
	buffer_load_dword v84, off, s[0:3], 0 offset:180
	s_waitcnt vmcnt(18) lgkmcnt(1)
	v_fma_f64 v[69:70], v[97:98], v[69:70], v[89:90]
	s_waitcnt vmcnt(17)
	v_fma_f64 v[69:70], v[95:96], v[71:72], v[69:70]
	buffer_load_dword v90, off, s[0:3], 0 offset:188
	buffer_load_dword v91, off, s[0:3], 0 offset:208
	;; [unrolled: 1-line block ×8, first 2 shown]
	s_waitcnt vmcnt(24) lgkmcnt(0)
	v_fma_f64 v[69:70], v[93:94], v[73:74], v[69:70]
	s_waitcnt vmcnt(19)
	v_fma_f64 v[77:78], v[77:78], v[75:76], v[69:70]
	ds_read_b128 v[69:72], v68 offset:400
	ds_read_b128 v[73:76], v68 offset:416
	s_waitcnt vmcnt(18) lgkmcnt(1)
	v_fma_f64 v[69:70], v[101:102], v[69:70], v[77:78]
	s_waitcnt vmcnt(17)
	v_fma_f64 v[69:70], v[99:100], v[71:72], v[69:70]
	buffer_load_dword v78, off, s[0:3], 0 offset:220
	buffer_load_dword v93, off, s[0:3], 0 offset:240
	;; [unrolled: 1-line block ×7, first 2 shown]
	s_waitcnt vmcnt(23) lgkmcnt(0)
	v_fma_f64 v[69:70], v[79:80], v[73:74], v[69:70]
	s_waitcnt vmcnt(18)
	v_fma_f64 v[79:80], v[81:82], v[75:76], v[69:70]
	ds_read_b128 v[69:72], v68 offset:432
	ds_read_b128 v[73:76], v68 offset:448
	buffer_load_dword v94, off, s[0:3], 0 offset:244
	s_waitcnt vmcnt(18) lgkmcnt(1)
	v_fma_f64 v[69:70], v[87:88], v[69:70], v[79:80]
	buffer_load_dword v80, off, s[0:3], 0 offset:252
	buffer_load_dword v81, off, s[0:3], 0 offset:256
	buffer_load_dword v79, off, s[0:3], 0 offset:248
	buffer_load_dword v82, off, s[0:3], 0 offset:260
	s_waitcnt vmcnt(21)
	v_fma_f64 v[69:70], v[85:86], v[71:72], v[69:70]
	s_waitcnt vmcnt(20) lgkmcnt(0)
	v_fma_f64 v[69:70], v[83:84], v[73:74], v[69:70]
	buffer_load_dword v83, off, s[0:3], 0 offset:24
	buffer_load_dword v84, off, s[0:3], 0 offset:28
	s_waitcnt vmcnt(17)
	v_fma_f64 v[85:86], v[89:90], v[75:76], v[69:70]
	ds_read_b128 v[69:72], v68 offset:464
	ds_read_b128 v[73:76], v68 offset:480
	s_waitcnt vmcnt(16) lgkmcnt(1)
	v_fma_f64 v[69:70], v[97:98], v[69:70], v[85:86]
	s_waitcnt vmcnt(15)
	v_fma_f64 v[69:70], v[95:96], v[71:72], v[69:70]
	s_waitcnt vmcnt(14) lgkmcnt(0)
	v_fma_f64 v[69:70], v[91:92], v[73:74], v[69:70]
	s_waitcnt vmcnt(9)
	v_fma_f64 v[77:78], v[77:78], v[75:76], v[69:70]
	ds_read_b128 v[69:72], v68 offset:496
	ds_read_b128 v[73:76], v68 offset:512
	s_waitcnt vmcnt(8) lgkmcnt(1)
	v_fma_f64 v[69:70], v[101:102], v[69:70], v[77:78]
	s_waitcnt vmcnt(7)
	v_fma_f64 v[69:70], v[99:100], v[71:72], v[69:70]
	ds_read_b64 v[71:72], v68 offset:528
	s_waitcnt vmcnt(6) lgkmcnt(1)
	v_fma_f64 v[69:70], v[93:94], v[73:74], v[69:70]
	s_waitcnt vmcnt(3)
	v_fma_f64 v[69:70], v[79:80], v[75:76], v[69:70]
	s_waitcnt vmcnt(2) lgkmcnt(0)
	v_fma_f64 v[69:70], v[81:82], v[71:72], v[69:70]
	s_waitcnt vmcnt(0)
	v_add_f64 v[69:70], v[83:84], -v[69:70]
	buffer_store_dword v70, off, s[0:3], 0 offset:28
	buffer_store_dword v69, off, s[0:3], 0 offset:24
	s_and_saveexec_b64 s[4:5], vcc
	s_cbranch_execz .LBB32_201
; %bb.200:
	buffer_load_dword v69, off, s[0:3], 0 offset:16
	buffer_load_dword v70, off, s[0:3], 0 offset:20
	s_waitcnt vmcnt(0)
	ds_write_b64 v67, v[69:70]
	buffer_store_dword v68, off, s[0:3], 0 offset:16
	buffer_store_dword v68, off, s[0:3], 0 offset:20
.LBB32_201:
	s_or_b64 exec, exec, s[4:5]
	s_waitcnt lgkmcnt(0)
	; wave barrier
	buffer_load_dword v77, off, s[0:3], 0 offset:24
	buffer_load_dword v78, off, s[0:3], 0 offset:28
	;; [unrolled: 1-line block ×22, first 2 shown]
	ds_read2_b64 v[69:72], v68 offset0:37 offset1:38
	ds_read2_b64 v[73:76], v68 offset0:39 offset1:40
	v_cmp_lt_u32_e32 vcc, 1, v0
	s_waitcnt vmcnt(20) lgkmcnt(1)
	v_fma_f64 v[69:70], v[77:78], v[69:70], 0
	s_waitcnt vmcnt(18)
	v_fma_f64 v[69:70], v[79:80], v[71:72], v[69:70]
	buffer_load_dword v78, off, s[0:3], 0 offset:116
	buffer_load_dword v79, off, s[0:3], 0 offset:136
	;; [unrolled: 1-line block ×7, first 2 shown]
	s_waitcnt vmcnt(23) lgkmcnt(0)
	v_fma_f64 v[69:70], v[81:82], v[73:74], v[69:70]
	s_waitcnt vmcnt(21)
	v_fma_f64 v[80:81], v[83:84], v[75:76], v[69:70]
	ds_read2_b64 v[69:72], v68 offset0:41 offset1:42
	ds_read2_b64 v[73:76], v68 offset0:43 offset1:44
	s_waitcnt vmcnt(19) lgkmcnt(1)
	v_fma_f64 v[69:70], v[85:86], v[69:70], v[80:81]
	buffer_load_dword v80, off, s[0:3], 0 offset:140
	s_waitcnt vmcnt(18)
	v_fma_f64 v[69:70], v[87:88], v[71:72], v[69:70]
	buffer_load_dword v82, off, s[0:3], 0 offset:148
	buffer_load_dword v83, off, s[0:3], 0 offset:168
	;; [unrolled: 1-line block ×7, first 2 shown]
	s_waitcnt vmcnt(23) lgkmcnt(0)
	v_fma_f64 v[69:70], v[89:90], v[73:74], v[69:70]
	s_waitcnt vmcnt(18)
	v_fma_f64 v[89:90], v[91:92], v[75:76], v[69:70]
	ds_read2_b64 v[69:72], v68 offset0:45 offset1:46
	ds_read2_b64 v[73:76], v68 offset0:47 offset1:48
	buffer_load_dword v84, off, s[0:3], 0 offset:172
	s_waitcnt vmcnt(18) lgkmcnt(1)
	v_fma_f64 v[69:70], v[97:98], v[69:70], v[89:90]
	s_waitcnt vmcnt(17)
	v_fma_f64 v[69:70], v[95:96], v[71:72], v[69:70]
	buffer_load_dword v90, off, s[0:3], 0 offset:180
	buffer_load_dword v91, off, s[0:3], 0 offset:200
	buffer_load_dword v95, off, s[0:3], 0 offset:192
	buffer_load_dword v97, off, s[0:3], 0 offset:184
	buffer_load_dword v89, off, s[0:3], 0 offset:176
	buffer_load_dword v98, off, s[0:3], 0 offset:188
	buffer_load_dword v96, off, s[0:3], 0 offset:196
	buffer_load_dword v92, off, s[0:3], 0 offset:204
	s_waitcnt vmcnt(24) lgkmcnt(0)
	v_fma_f64 v[69:70], v[93:94], v[73:74], v[69:70]
	s_waitcnt vmcnt(19)
	v_fma_f64 v[77:78], v[77:78], v[75:76], v[69:70]
	ds_read2_b64 v[69:72], v68 offset0:49 offset1:50
	ds_read2_b64 v[73:76], v68 offset0:51 offset1:52
	s_waitcnt vmcnt(18) lgkmcnt(1)
	v_fma_f64 v[69:70], v[101:102], v[69:70], v[77:78]
	s_waitcnt vmcnt(17)
	v_fma_f64 v[69:70], v[99:100], v[71:72], v[69:70]
	buffer_load_dword v78, off, s[0:3], 0 offset:212
	buffer_load_dword v93, off, s[0:3], 0 offset:232
	;; [unrolled: 1-line block ×8, first 2 shown]
	s_waitcnt vmcnt(24) lgkmcnt(0)
	v_fma_f64 v[69:70], v[79:80], v[73:74], v[69:70]
	s_waitcnt vmcnt(19)
	v_fma_f64 v[79:80], v[81:82], v[75:76], v[69:70]
	ds_read2_b64 v[69:72], v68 offset0:53 offset1:54
	ds_read2_b64 v[73:76], v68 offset0:55 offset1:56
	s_waitcnt vmcnt(18) lgkmcnt(1)
	v_fma_f64 v[69:70], v[87:88], v[69:70], v[79:80]
	s_waitcnt vmcnt(17)
	v_fma_f64 v[69:70], v[85:86], v[71:72], v[69:70]
	buffer_load_dword v80, off, s[0:3], 0 offset:244
	buffer_load_dword v81, off, s[0:3], 0 offset:256
	;; [unrolled: 1-line block ×6, first 2 shown]
	s_waitcnt vmcnt(22) lgkmcnt(0)
	v_fma_f64 v[69:70], v[83:84], v[73:74], v[69:70]
	s_waitcnt vmcnt(17)
	v_fma_f64 v[83:84], v[89:90], v[75:76], v[69:70]
	ds_read2_b64 v[69:72], v68 offset0:57 offset1:58
	buffer_load_dword v87, off, s[0:3], 0 offset:16
	buffer_load_dword v88, off, s[0:3], 0 offset:20
	ds_read2_b64 v[73:76], v68 offset0:59 offset1:60
	s_waitcnt vmcnt(18) lgkmcnt(1)
	v_fma_f64 v[69:70], v[97:98], v[69:70], v[83:84]
	s_waitcnt vmcnt(17)
	v_fma_f64 v[69:70], v[95:96], v[71:72], v[69:70]
	s_waitcnt vmcnt(16) lgkmcnt(0)
	v_fma_f64 v[69:70], v[91:92], v[73:74], v[69:70]
	s_waitcnt vmcnt(11)
	v_fma_f64 v[77:78], v[77:78], v[75:76], v[69:70]
	ds_read2_b64 v[69:72], v68 offset0:61 offset1:62
	ds_read2_b64 v[73:76], v68 offset0:63 offset1:64
	s_waitcnt vmcnt(10) lgkmcnt(1)
	v_fma_f64 v[69:70], v[101:102], v[69:70], v[77:78]
	s_waitcnt vmcnt(9)
	v_fma_f64 v[69:70], v[99:100], v[71:72], v[69:70]
	s_waitcnt vmcnt(8) lgkmcnt(0)
	v_fma_f64 v[69:70], v[93:94], v[73:74], v[69:70]
	s_waitcnt vmcnt(4)
	v_fma_f64 v[72:73], v[79:80], v[75:76], v[69:70]
	ds_read2_b64 v[68:71], v68 offset0:65 offset1:66
	s_waitcnt vmcnt(3) lgkmcnt(0)
	v_fma_f64 v[68:69], v[85:86], v[68:69], v[72:73]
	s_waitcnt vmcnt(2)
	v_fma_f64 v[68:69], v[81:82], v[70:71], v[68:69]
	s_waitcnt vmcnt(0)
	v_add_f64 v[68:69], v[87:88], -v[68:69]
	buffer_store_dword v69, off, s[0:3], 0 offset:20
	buffer_store_dword v68, off, s[0:3], 0 offset:16
	s_and_saveexec_b64 s[4:5], vcc
	s_cbranch_execz .LBB32_203
; %bb.202:
	buffer_load_dword v68, off, s[0:3], 0 offset:8
	buffer_load_dword v69, off, s[0:3], 0 offset:12
	v_mov_b32_e32 v70, 0
	buffer_store_dword v70, off, s[0:3], 0 offset:8
	buffer_store_dword v70, off, s[0:3], 0 offset:12
	s_waitcnt vmcnt(2)
	ds_write_b64 v67, v[68:69]
.LBB32_203:
	s_or_b64 exec, exec, s[4:5]
	s_waitcnt lgkmcnt(0)
	; wave barrier
	buffer_load_dword v78, off, s[0:3], 0 offset:16
	buffer_load_dword v79, off, s[0:3], 0 offset:20
	;; [unrolled: 1-line block ×22, first 2 shown]
	v_mov_b32_e32 v69, 0
	ds_read_b128 v[70:73], v69 offset:288
	ds_read_b128 v[74:77], v69 offset:304
	v_cmp_ne_u32_e32 vcc, 0, v0
	s_waitcnt vmcnt(20) lgkmcnt(1)
	v_fma_f64 v[70:71], v[78:79], v[70:71], 0
	s_waitcnt vmcnt(18)
	v_fma_f64 v[70:71], v[80:81], v[72:73], v[70:71]
	buffer_load_dword v79, off, s[0:3], 0 offset:108
	buffer_load_dword v80, off, s[0:3], 0 offset:128
	;; [unrolled: 1-line block ×7, first 2 shown]
	s_waitcnt vmcnt(23) lgkmcnt(0)
	v_fma_f64 v[70:71], v[82:83], v[74:75], v[70:71]
	s_waitcnt vmcnt(21)
	v_fma_f64 v[81:82], v[84:85], v[76:77], v[70:71]
	ds_read_b128 v[70:73], v69 offset:320
	ds_read_b128 v[74:77], v69 offset:336
	s_waitcnt vmcnt(19) lgkmcnt(1)
	v_fma_f64 v[70:71], v[86:87], v[70:71], v[81:82]
	buffer_load_dword v81, off, s[0:3], 0 offset:132
	s_waitcnt vmcnt(18)
	v_fma_f64 v[70:71], v[88:89], v[72:73], v[70:71]
	buffer_load_dword v83, off, s[0:3], 0 offset:140
	buffer_load_dword v84, off, s[0:3], 0 offset:160
	buffer_load_dword v86, off, s[0:3], 0 offset:152
	buffer_load_dword v88, off, s[0:3], 0 offset:144
	buffer_load_dword v82, off, s[0:3], 0 offset:136
	buffer_load_dword v89, off, s[0:3], 0 offset:148
	buffer_load_dword v87, off, s[0:3], 0 offset:156
	s_waitcnt vmcnt(23) lgkmcnt(0)
	v_fma_f64 v[70:71], v[90:91], v[74:75], v[70:71]
	s_waitcnt vmcnt(18)
	v_fma_f64 v[90:91], v[92:93], v[76:77], v[70:71]
	ds_read_b128 v[70:73], v69 offset:352
	ds_read_b128 v[74:77], v69 offset:368
	buffer_load_dword v85, off, s[0:3], 0 offset:164
	s_waitcnt vmcnt(18) lgkmcnt(1)
	v_fma_f64 v[70:71], v[98:99], v[70:71], v[90:91]
	s_waitcnt vmcnt(17)
	v_fma_f64 v[70:71], v[96:97], v[72:73], v[70:71]
	buffer_load_dword v91, off, s[0:3], 0 offset:172
	buffer_load_dword v92, off, s[0:3], 0 offset:192
	buffer_load_dword v96, off, s[0:3], 0 offset:184
	buffer_load_dword v98, off, s[0:3], 0 offset:176
	buffer_load_dword v90, off, s[0:3], 0 offset:168
	buffer_load_dword v99, off, s[0:3], 0 offset:180
	buffer_load_dword v97, off, s[0:3], 0 offset:188
	buffer_load_dword v93, off, s[0:3], 0 offset:196
	s_waitcnt vmcnt(24) lgkmcnt(0)
	v_fma_f64 v[70:71], v[94:95], v[74:75], v[70:71]
	s_waitcnt vmcnt(19)
	v_fma_f64 v[78:79], v[78:79], v[76:77], v[70:71]
	ds_read_b128 v[70:73], v69 offset:384
	ds_read_b128 v[74:77], v69 offset:400
	s_waitcnt vmcnt(18) lgkmcnt(1)
	v_fma_f64 v[70:71], v[102:103], v[70:71], v[78:79]
	s_waitcnt vmcnt(17)
	v_fma_f64 v[70:71], v[100:101], v[72:73], v[70:71]
	buffer_load_dword v79, off, s[0:3], 0 offset:204
	buffer_load_dword v94, off, s[0:3], 0 offset:224
	buffer_load_dword v100, off, s[0:3], 0 offset:216
	buffer_load_dword v102, off, s[0:3], 0 offset:208
	buffer_load_dword v78, off, s[0:3], 0 offset:200
	buffer_load_dword v103, off, s[0:3], 0 offset:212
	buffer_load_dword v101, off, s[0:3], 0 offset:220
	buffer_load_dword v95, off, s[0:3], 0 offset:228
	s_waitcnt vmcnt(24) lgkmcnt(0)
	v_fma_f64 v[70:71], v[80:81], v[74:75], v[70:71]
	s_waitcnt vmcnt(19)
	v_fma_f64 v[80:81], v[82:83], v[76:77], v[70:71]
	ds_read_b128 v[70:73], v69 offset:416
	ds_read_b128 v[74:77], v69 offset:432
	;; [unrolled: 18-line block ×3, first 2 shown]
	s_waitcnt vmcnt(18) lgkmcnt(1)
	v_fma_f64 v[70:71], v[98:99], v[70:71], v[84:85]
	buffer_load_dword v84, off, s[0:3], 0 offset:8
	buffer_load_dword v85, off, s[0:3], 0 offset:12
	s_waitcnt vmcnt(19)
	v_fma_f64 v[70:71], v[96:97], v[72:73], v[70:71]
	s_waitcnt vmcnt(18) lgkmcnt(0)
	v_fma_f64 v[70:71], v[92:93], v[74:75], v[70:71]
	s_waitcnt vmcnt(13)
	v_fma_f64 v[78:79], v[78:79], v[76:77], v[70:71]
	ds_read_b128 v[70:73], v69 offset:480
	ds_read_b128 v[74:77], v69 offset:496
	s_waitcnt vmcnt(12) lgkmcnt(1)
	v_fma_f64 v[70:71], v[102:103], v[70:71], v[78:79]
	s_waitcnt vmcnt(11)
	v_fma_f64 v[70:71], v[100:101], v[72:73], v[70:71]
	s_waitcnt vmcnt(10) lgkmcnt(0)
	v_fma_f64 v[70:71], v[94:95], v[74:75], v[70:71]
	s_waitcnt vmcnt(5)
	v_fma_f64 v[74:75], v[80:81], v[76:77], v[70:71]
	ds_read_b128 v[70:73], v69 offset:512
	ds_read_b64 v[76:77], v69 offset:528
	s_waitcnt vmcnt(4) lgkmcnt(1)
	v_fma_f64 v[70:71], v[88:89], v[70:71], v[74:75]
	s_waitcnt vmcnt(3)
	v_fma_f64 v[70:71], v[86:87], v[72:73], v[70:71]
	s_waitcnt vmcnt(2) lgkmcnt(0)
	v_fma_f64 v[70:71], v[82:83], v[76:77], v[70:71]
	s_waitcnt vmcnt(0)
	v_add_f64 v[70:71], v[84:85], -v[70:71]
	buffer_store_dword v71, off, s[0:3], 0 offset:12
	buffer_store_dword v70, off, s[0:3], 0 offset:8
	s_and_saveexec_b64 s[4:5], vcc
	s_cbranch_execz .LBB32_205
; %bb.204:
	buffer_load_dword v70, off, s[0:3], 0
	buffer_load_dword v71, off, s[0:3], 0 offset:4
	s_waitcnt vmcnt(0)
	ds_write_b64 v67, v[70:71]
	buffer_store_dword v69, off, s[0:3], 0
	buffer_store_dword v69, off, s[0:3], 0 offset:4
.LBB32_205:
	s_or_b64 exec, exec, s[4:5]
	s_waitcnt lgkmcnt(0)
	; wave barrier
	buffer_load_dword v67, off, s[0:3], 0 offset:8
	buffer_load_dword v68, off, s[0:3], 0 offset:12
	buffer_load_dword v78, off, s[0:3], 0 offset:16
	buffer_load_dword v79, off, s[0:3], 0 offset:20
	buffer_load_dword v80, off, s[0:3], 0 offset:24
	buffer_load_dword v81, off, s[0:3], 0 offset:28
	buffer_load_dword v82, off, s[0:3], 0 offset:32
	buffer_load_dword v83, off, s[0:3], 0 offset:36
	buffer_load_dword v84, off, s[0:3], 0 offset:40
	buffer_load_dword v85, off, s[0:3], 0 offset:44
	buffer_load_dword v86, off, s[0:3], 0 offset:48
	buffer_load_dword v87, off, s[0:3], 0 offset:52
	buffer_load_dword v88, off, s[0:3], 0 offset:56
	buffer_load_dword v89, off, s[0:3], 0 offset:60
	buffer_load_dword v91, off, s[0:3], 0 offset:68
	buffer_load_dword v92, off, s[0:3], 0 offset:88
	buffer_load_dword v94, off, s[0:3], 0 offset:80
	buffer_load_dword v96, off, s[0:3], 0 offset:72
	buffer_load_dword v90, off, s[0:3], 0 offset:64
	buffer_load_dword v97, off, s[0:3], 0 offset:76
	buffer_load_dword v95, off, s[0:3], 0 offset:84
	buffer_load_dword v93, off, s[0:3], 0 offset:92
	ds_read2_b64 v[70:73], v69 offset0:35 offset1:36
	ds_read2_b64 v[74:77], v69 offset0:37 offset1:38
	s_and_b64 vcc, exec, s[22:23]
	s_waitcnt vmcnt(20) lgkmcnt(1)
	v_fma_f64 v[67:68], v[67:68], v[70:71], 0
	s_waitcnt vmcnt(18)
	v_fma_f64 v[67:68], v[78:79], v[72:73], v[67:68]
	buffer_load_dword v79, off, s[0:3], 0 offset:100
	buffer_load_dword v98, off, s[0:3], 0 offset:120
	;; [unrolled: 1-line block ×8, first 2 shown]
	ds_read2_b64 v[70:73], v69 offset0:39 offset1:40
	s_waitcnt vmcnt(24) lgkmcnt(1)
	v_fma_f64 v[67:68], v[80:81], v[74:75], v[67:68]
	s_waitcnt vmcnt(22)
	v_fma_f64 v[67:68], v[82:83], v[76:77], v[67:68]
	ds_read2_b64 v[74:77], v69 offset0:41 offset1:42
	s_waitcnt vmcnt(20) lgkmcnt(1)
	v_fma_f64 v[67:68], v[84:85], v[70:71], v[67:68]
	s_waitcnt vmcnt(18)
	v_fma_f64 v[67:68], v[86:87], v[72:73], v[67:68]
	buffer_load_dword v81, off, s[0:3], 0 offset:132
	buffer_load_dword v82, off, s[0:3], 0 offset:152
	;; [unrolled: 1-line block ×7, first 2 shown]
	s_waitcnt vmcnt(23) lgkmcnt(0)
	v_fma_f64 v[67:68], v[88:89], v[74:75], v[67:68]
	s_waitcnt vmcnt(18)
	v_fma_f64 v[67:68], v[90:91], v[76:77], v[67:68]
	ds_read2_b64 v[70:73], v69 offset0:43 offset1:44
	ds_read2_b64 v[74:77], v69 offset0:45 offset1:46
	buffer_load_dword v83, off, s[0:3], 0 offset:156
	s_waitcnt vmcnt(18) lgkmcnt(1)
	v_fma_f64 v[67:68], v[96:97], v[70:71], v[67:68]
	s_waitcnt vmcnt(17)
	v_fma_f64 v[67:68], v[94:95], v[72:73], v[67:68]
	buffer_load_dword v89, off, s[0:3], 0 offset:164
	buffer_load_dword v90, off, s[0:3], 0 offset:184
	;; [unrolled: 1-line block ×8, first 2 shown]
	ds_read2_b64 v[70:73], v69 offset0:47 offset1:48
	s_waitcnt vmcnt(24) lgkmcnt(1)
	v_fma_f64 v[67:68], v[92:93], v[74:75], v[67:68]
	s_waitcnt vmcnt(19)
	v_fma_f64 v[67:68], v[78:79], v[76:77], v[67:68]
	ds_read2_b64 v[74:77], v69 offset0:49 offset1:50
	s_waitcnt vmcnt(18) lgkmcnt(1)
	v_fma_f64 v[67:68], v[102:103], v[70:71], v[67:68]
	s_waitcnt vmcnt(17)
	v_fma_f64 v[67:68], v[100:101], v[72:73], v[67:68]
	buffer_load_dword v79, off, s[0:3], 0 offset:196
	buffer_load_dword v92, off, s[0:3], 0 offset:216
	;; [unrolled: 1-line block ×8, first 2 shown]
	ds_read2_b64 v[70:73], v69 offset0:51 offset1:52
	s_waitcnt vmcnt(24) lgkmcnt(1)
	v_fma_f64 v[67:68], v[98:99], v[74:75], v[67:68]
	s_waitcnt vmcnt(19)
	v_fma_f64 v[67:68], v[80:81], v[76:77], v[67:68]
	ds_read2_b64 v[74:77], v69 offset0:53 offset1:54
	s_waitcnt vmcnt(18) lgkmcnt(1)
	v_fma_f64 v[67:68], v[86:87], v[70:71], v[67:68]
	s_waitcnt vmcnt(17)
	v_fma_f64 v[70:71], v[84:85], v[72:73], v[67:68]
	buffer_load_dword v81, off, s[0:3], 0 offset:228
	buffer_load_dword v67, off, s[0:3], 0 offset:248
	;; [unrolled: 1-line block ×8, first 2 shown]
	s_waitcnt vmcnt(24) lgkmcnt(0)
	v_fma_f64 v[70:71], v[82:83], v[74:75], v[70:71]
	s_waitcnt vmcnt(19)
	v_fma_f64 v[82:83], v[88:89], v[76:77], v[70:71]
	ds_read2_b64 v[70:73], v69 offset0:55 offset1:56
	ds_read2_b64 v[74:77], v69 offset0:57 offset1:58
	s_waitcnt vmcnt(18) lgkmcnt(1)
	v_fma_f64 v[70:71], v[96:97], v[70:71], v[82:83]
	buffer_load_dword v83, off, s[0:3], 0 offset:260
	buffer_load_dword v82, off, s[0:3], 0 offset:256
	buffer_load_dword v88, off, s[0:3], 0
	buffer_load_dword v89, off, s[0:3], 0 offset:4
	s_waitcnt vmcnt(21)
	v_fma_f64 v[70:71], v[94:95], v[72:73], v[70:71]
	s_waitcnt vmcnt(20) lgkmcnt(0)
	v_fma_f64 v[70:71], v[90:91], v[74:75], v[70:71]
	s_waitcnt vmcnt(15)
	v_fma_f64 v[78:79], v[78:79], v[76:77], v[70:71]
	ds_read2_b64 v[70:73], v69 offset0:59 offset1:60
	ds_read2_b64 v[74:77], v69 offset0:61 offset1:62
	s_waitcnt vmcnt(14) lgkmcnt(1)
	v_fma_f64 v[70:71], v[102:103], v[70:71], v[78:79]
	s_waitcnt vmcnt(13)
	v_fma_f64 v[70:71], v[100:101], v[72:73], v[70:71]
	s_waitcnt vmcnt(12) lgkmcnt(0)
	v_fma_f64 v[70:71], v[92:93], v[74:75], v[70:71]
	s_waitcnt vmcnt(7)
	v_fma_f64 v[78:79], v[80:81], v[76:77], v[70:71]
	ds_read2_b64 v[70:73], v69 offset0:63 offset1:64
	ds_read2_b64 v[74:77], v69 offset0:65 offset1:66
	s_waitcnt vmcnt(6) lgkmcnt(1)
	v_fma_f64 v[69:70], v[86:87], v[70:71], v[78:79]
	s_waitcnt vmcnt(5)
	v_fma_f64 v[69:70], v[84:85], v[72:73], v[69:70]
	s_waitcnt vmcnt(4) lgkmcnt(0)
	v_fma_f64 v[69:70], v[67:68], v[74:75], v[69:70]
	s_waitcnt vmcnt(2)
	v_fma_f64 v[69:70], v[82:83], v[76:77], v[69:70]
	s_waitcnt vmcnt(0)
	v_add_f64 v[69:70], v[88:89], -v[69:70]
	buffer_store_dword v70, off, s[0:3], 0 offset:4
	buffer_store_dword v69, off, s[0:3], 0
	s_cbranch_vccz .LBB32_270
; %bb.206:
	v_mov_b32_e32 v0, 0
	global_load_dword v69, v0, s[20:21] offset:124
	s_waitcnt vmcnt(0)
	v_add_u32_e32 v69, -1, v69
	v_cmp_ne_u32_e32 vcc, 31, v69
	s_cbranch_vccz .LBB32_208
; %bb.207:
	v_lshlrev_b32_e32 v69, 3, v69
	buffer_load_dword v70, v69, s[0:3], 0 offen
	buffer_load_dword v71, v69, s[0:3], 0 offen offset:4
	s_waitcnt vmcnt(1)
	buffer_store_dword v70, off, s[0:3], 0 offset:248
	s_waitcnt vmcnt(1)
	buffer_store_dword v71, off, s[0:3], 0 offset:252
	buffer_store_dword v67, v69, s[0:3], 0 offen
	buffer_store_dword v68, v69, s[0:3], 0 offen offset:4
.LBB32_208:
	global_load_dword v0, v0, s[20:21] offset:120
	s_waitcnt vmcnt(0)
	v_add_u32_e32 v0, -1, v0
	v_cmp_eq_u32_e32 vcc, 30, v0
	s_cbranch_vccnz .LBB32_210
; %bb.209:
	v_lshlrev_b32_e32 v0, 3, v0
	buffer_load_dword v67, v0, s[0:3], 0 offen
	buffer_load_dword v68, v0, s[0:3], 0 offen offset:4
	buffer_load_dword v69, off, s[0:3], 0 offset:244
	buffer_load_dword v70, off, s[0:3], 0 offset:240
	s_waitcnt vmcnt(3)
	buffer_store_dword v67, off, s[0:3], 0 offset:240
	s_waitcnt vmcnt(3)
	buffer_store_dword v68, off, s[0:3], 0 offset:244
	s_waitcnt vmcnt(3)
	buffer_store_dword v69, v0, s[0:3], 0 offen offset:4
	s_waitcnt vmcnt(3)
	buffer_store_dword v70, v0, s[0:3], 0 offen
.LBB32_210:
	v_mov_b32_e32 v0, 0
	global_load_dword v67, v0, s[20:21] offset:116
	s_waitcnt vmcnt(0)
	v_add_u32_e32 v67, -1, v67
	v_cmp_eq_u32_e32 vcc, 29, v67
	s_cbranch_vccnz .LBB32_212
; %bb.211:
	v_lshlrev_b32_e32 v67, 3, v67
	buffer_load_dword v68, v67, s[0:3], 0 offen
	buffer_load_dword v69, v67, s[0:3], 0 offen offset:4
	buffer_load_dword v70, off, s[0:3], 0 offset:232
	buffer_load_dword v71, off, s[0:3], 0 offset:236
	s_waitcnt vmcnt(3)
	buffer_store_dword v68, off, s[0:3], 0 offset:232
	s_waitcnt vmcnt(3)
	buffer_store_dword v69, off, s[0:3], 0 offset:236
	s_waitcnt vmcnt(3)
	buffer_store_dword v70, v67, s[0:3], 0 offen
	s_waitcnt vmcnt(3)
	buffer_store_dword v71, v67, s[0:3], 0 offen offset:4
.LBB32_212:
	global_load_dword v0, v0, s[20:21] offset:112
	s_waitcnt vmcnt(0)
	v_add_u32_e32 v0, -1, v0
	v_cmp_eq_u32_e32 vcc, 28, v0
	s_cbranch_vccnz .LBB32_214
; %bb.213:
	v_lshlrev_b32_e32 v0, 3, v0
	buffer_load_dword v67, v0, s[0:3], 0 offen
	buffer_load_dword v68, v0, s[0:3], 0 offen offset:4
	buffer_load_dword v69, off, s[0:3], 0 offset:228
	buffer_load_dword v70, off, s[0:3], 0 offset:224
	s_waitcnt vmcnt(3)
	buffer_store_dword v67, off, s[0:3], 0 offset:224
	s_waitcnt vmcnt(3)
	buffer_store_dword v68, off, s[0:3], 0 offset:228
	s_waitcnt vmcnt(3)
	buffer_store_dword v69, v0, s[0:3], 0 offen offset:4
	s_waitcnt vmcnt(3)
	buffer_store_dword v70, v0, s[0:3], 0 offen
.LBB32_214:
	v_mov_b32_e32 v0, 0
	global_load_dword v67, v0, s[20:21] offset:108
	s_waitcnt vmcnt(0)
	v_add_u32_e32 v67, -1, v67
	v_cmp_eq_u32_e32 vcc, 27, v67
	s_cbranch_vccnz .LBB32_216
; %bb.215:
	v_lshlrev_b32_e32 v67, 3, v67
	buffer_load_dword v68, v67, s[0:3], 0 offen
	buffer_load_dword v69, v67, s[0:3], 0 offen offset:4
	buffer_load_dword v70, off, s[0:3], 0 offset:216
	buffer_load_dword v71, off, s[0:3], 0 offset:220
	s_waitcnt vmcnt(3)
	buffer_store_dword v68, off, s[0:3], 0 offset:216
	s_waitcnt vmcnt(3)
	buffer_store_dword v69, off, s[0:3], 0 offset:220
	s_waitcnt vmcnt(3)
	buffer_store_dword v70, v67, s[0:3], 0 offen
	s_waitcnt vmcnt(3)
	buffer_store_dword v71, v67, s[0:3], 0 offen offset:4
.LBB32_216:
	global_load_dword v0, v0, s[20:21] offset:104
	s_waitcnt vmcnt(0)
	v_add_u32_e32 v0, -1, v0
	v_cmp_eq_u32_e32 vcc, 26, v0
	s_cbranch_vccnz .LBB32_218
; %bb.217:
	v_lshlrev_b32_e32 v0, 3, v0
	buffer_load_dword v67, v0, s[0:3], 0 offen
	buffer_load_dword v68, v0, s[0:3], 0 offen offset:4
	buffer_load_dword v69, off, s[0:3], 0 offset:212
	buffer_load_dword v70, off, s[0:3], 0 offset:208
	s_waitcnt vmcnt(3)
	buffer_store_dword v67, off, s[0:3], 0 offset:208
	s_waitcnt vmcnt(3)
	buffer_store_dword v68, off, s[0:3], 0 offset:212
	s_waitcnt vmcnt(3)
	buffer_store_dword v69, v0, s[0:3], 0 offen offset:4
	s_waitcnt vmcnt(3)
	buffer_store_dword v70, v0, s[0:3], 0 offen
.LBB32_218:
	v_mov_b32_e32 v0, 0
	global_load_dword v67, v0, s[20:21] offset:100
	s_waitcnt vmcnt(0)
	v_add_u32_e32 v67, -1, v67
	v_cmp_eq_u32_e32 vcc, 25, v67
	s_cbranch_vccnz .LBB32_220
; %bb.219:
	v_lshlrev_b32_e32 v67, 3, v67
	buffer_load_dword v68, v67, s[0:3], 0 offen
	buffer_load_dword v69, v67, s[0:3], 0 offen offset:4
	buffer_load_dword v70, off, s[0:3], 0 offset:200
	buffer_load_dword v71, off, s[0:3], 0 offset:204
	s_waitcnt vmcnt(3)
	buffer_store_dword v68, off, s[0:3], 0 offset:200
	s_waitcnt vmcnt(3)
	buffer_store_dword v69, off, s[0:3], 0 offset:204
	s_waitcnt vmcnt(3)
	buffer_store_dword v70, v67, s[0:3], 0 offen
	s_waitcnt vmcnt(3)
	buffer_store_dword v71, v67, s[0:3], 0 offen offset:4
.LBB32_220:
	global_load_dword v0, v0, s[20:21] offset:96
	s_waitcnt vmcnt(0)
	v_add_u32_e32 v0, -1, v0
	v_cmp_eq_u32_e32 vcc, 24, v0
	s_cbranch_vccnz .LBB32_222
; %bb.221:
	v_lshlrev_b32_e32 v0, 3, v0
	buffer_load_dword v67, v0, s[0:3], 0 offen
	buffer_load_dword v68, v0, s[0:3], 0 offen offset:4
	buffer_load_dword v69, off, s[0:3], 0 offset:196
	buffer_load_dword v70, off, s[0:3], 0 offset:192
	s_waitcnt vmcnt(3)
	buffer_store_dword v67, off, s[0:3], 0 offset:192
	s_waitcnt vmcnt(3)
	buffer_store_dword v68, off, s[0:3], 0 offset:196
	s_waitcnt vmcnt(3)
	buffer_store_dword v69, v0, s[0:3], 0 offen offset:4
	s_waitcnt vmcnt(3)
	buffer_store_dword v70, v0, s[0:3], 0 offen
.LBB32_222:
	v_mov_b32_e32 v0, 0
	global_load_dword v67, v0, s[20:21] offset:92
	s_waitcnt vmcnt(0)
	v_add_u32_e32 v67, -1, v67
	v_cmp_eq_u32_e32 vcc, 23, v67
	s_cbranch_vccnz .LBB32_224
; %bb.223:
	v_lshlrev_b32_e32 v67, 3, v67
	buffer_load_dword v68, v67, s[0:3], 0 offen
	buffer_load_dword v69, v67, s[0:3], 0 offen offset:4
	buffer_load_dword v70, off, s[0:3], 0 offset:184
	buffer_load_dword v71, off, s[0:3], 0 offset:188
	s_waitcnt vmcnt(3)
	buffer_store_dword v68, off, s[0:3], 0 offset:184
	s_waitcnt vmcnt(3)
	buffer_store_dword v69, off, s[0:3], 0 offset:188
	s_waitcnt vmcnt(3)
	buffer_store_dword v70, v67, s[0:3], 0 offen
	s_waitcnt vmcnt(3)
	buffer_store_dword v71, v67, s[0:3], 0 offen offset:4
.LBB32_224:
	global_load_dword v0, v0, s[20:21] offset:88
	s_waitcnt vmcnt(0)
	v_add_u32_e32 v0, -1, v0
	v_cmp_eq_u32_e32 vcc, 22, v0
	s_cbranch_vccnz .LBB32_226
; %bb.225:
	v_lshlrev_b32_e32 v0, 3, v0
	buffer_load_dword v67, v0, s[0:3], 0 offen
	buffer_load_dword v68, v0, s[0:3], 0 offen offset:4
	buffer_load_dword v69, off, s[0:3], 0 offset:180
	buffer_load_dword v70, off, s[0:3], 0 offset:176
	s_waitcnt vmcnt(3)
	buffer_store_dword v67, off, s[0:3], 0 offset:176
	s_waitcnt vmcnt(3)
	buffer_store_dword v68, off, s[0:3], 0 offset:180
	s_waitcnt vmcnt(3)
	buffer_store_dword v69, v0, s[0:3], 0 offen offset:4
	s_waitcnt vmcnt(3)
	buffer_store_dword v70, v0, s[0:3], 0 offen
.LBB32_226:
	v_mov_b32_e32 v0, 0
	global_load_dword v67, v0, s[20:21] offset:84
	s_waitcnt vmcnt(0)
	v_add_u32_e32 v67, -1, v67
	v_cmp_eq_u32_e32 vcc, 21, v67
	s_cbranch_vccnz .LBB32_228
; %bb.227:
	v_lshlrev_b32_e32 v67, 3, v67
	buffer_load_dword v68, v67, s[0:3], 0 offen
	buffer_load_dword v69, v67, s[0:3], 0 offen offset:4
	buffer_load_dword v70, off, s[0:3], 0 offset:168
	buffer_load_dword v71, off, s[0:3], 0 offset:172
	s_waitcnt vmcnt(3)
	buffer_store_dword v68, off, s[0:3], 0 offset:168
	s_waitcnt vmcnt(3)
	buffer_store_dword v69, off, s[0:3], 0 offset:172
	s_waitcnt vmcnt(3)
	buffer_store_dword v70, v67, s[0:3], 0 offen
	s_waitcnt vmcnt(3)
	buffer_store_dword v71, v67, s[0:3], 0 offen offset:4
.LBB32_228:
	global_load_dword v0, v0, s[20:21] offset:80
	s_waitcnt vmcnt(0)
	v_add_u32_e32 v0, -1, v0
	v_cmp_eq_u32_e32 vcc, 20, v0
	s_cbranch_vccnz .LBB32_230
; %bb.229:
	v_lshlrev_b32_e32 v0, 3, v0
	buffer_load_dword v67, v0, s[0:3], 0 offen
	buffer_load_dword v68, v0, s[0:3], 0 offen offset:4
	buffer_load_dword v69, off, s[0:3], 0 offset:164
	buffer_load_dword v70, off, s[0:3], 0 offset:160
	s_waitcnt vmcnt(3)
	buffer_store_dword v67, off, s[0:3], 0 offset:160
	s_waitcnt vmcnt(3)
	buffer_store_dword v68, off, s[0:3], 0 offset:164
	s_waitcnt vmcnt(3)
	buffer_store_dword v69, v0, s[0:3], 0 offen offset:4
	s_waitcnt vmcnt(3)
	buffer_store_dword v70, v0, s[0:3], 0 offen
.LBB32_230:
	v_mov_b32_e32 v0, 0
	global_load_dword v67, v0, s[20:21] offset:76
	s_waitcnt vmcnt(0)
	v_add_u32_e32 v67, -1, v67
	v_cmp_eq_u32_e32 vcc, 19, v67
	s_cbranch_vccnz .LBB32_232
; %bb.231:
	v_lshlrev_b32_e32 v67, 3, v67
	buffer_load_dword v68, v67, s[0:3], 0 offen
	buffer_load_dword v69, v67, s[0:3], 0 offen offset:4
	buffer_load_dword v70, off, s[0:3], 0 offset:152
	buffer_load_dword v71, off, s[0:3], 0 offset:156
	s_waitcnt vmcnt(3)
	buffer_store_dword v68, off, s[0:3], 0 offset:152
	s_waitcnt vmcnt(3)
	buffer_store_dword v69, off, s[0:3], 0 offset:156
	s_waitcnt vmcnt(3)
	buffer_store_dword v70, v67, s[0:3], 0 offen
	s_waitcnt vmcnt(3)
	buffer_store_dword v71, v67, s[0:3], 0 offen offset:4
.LBB32_232:
	global_load_dword v0, v0, s[20:21] offset:72
	s_waitcnt vmcnt(0)
	v_add_u32_e32 v0, -1, v0
	v_cmp_eq_u32_e32 vcc, 18, v0
	s_cbranch_vccnz .LBB32_234
; %bb.233:
	v_lshlrev_b32_e32 v0, 3, v0
	buffer_load_dword v67, v0, s[0:3], 0 offen
	buffer_load_dword v68, v0, s[0:3], 0 offen offset:4
	buffer_load_dword v69, off, s[0:3], 0 offset:148
	buffer_load_dword v70, off, s[0:3], 0 offset:144
	s_waitcnt vmcnt(3)
	buffer_store_dword v67, off, s[0:3], 0 offset:144
	s_waitcnt vmcnt(3)
	buffer_store_dword v68, off, s[0:3], 0 offset:148
	s_waitcnt vmcnt(3)
	buffer_store_dword v69, v0, s[0:3], 0 offen offset:4
	s_waitcnt vmcnt(3)
	buffer_store_dword v70, v0, s[0:3], 0 offen
.LBB32_234:
	v_mov_b32_e32 v0, 0
	global_load_dword v67, v0, s[20:21] offset:68
	s_waitcnt vmcnt(0)
	v_add_u32_e32 v67, -1, v67
	v_cmp_eq_u32_e32 vcc, 17, v67
	s_cbranch_vccnz .LBB32_236
; %bb.235:
	v_lshlrev_b32_e32 v67, 3, v67
	buffer_load_dword v68, v67, s[0:3], 0 offen
	buffer_load_dword v69, v67, s[0:3], 0 offen offset:4
	buffer_load_dword v70, off, s[0:3], 0 offset:136
	buffer_load_dword v71, off, s[0:3], 0 offset:140
	s_waitcnt vmcnt(3)
	buffer_store_dword v68, off, s[0:3], 0 offset:136
	s_waitcnt vmcnt(3)
	buffer_store_dword v69, off, s[0:3], 0 offset:140
	s_waitcnt vmcnt(3)
	buffer_store_dword v70, v67, s[0:3], 0 offen
	s_waitcnt vmcnt(3)
	buffer_store_dword v71, v67, s[0:3], 0 offen offset:4
.LBB32_236:
	global_load_dword v0, v0, s[20:21] offset:64
	s_waitcnt vmcnt(0)
	v_add_u32_e32 v0, -1, v0
	v_cmp_eq_u32_e32 vcc, 16, v0
	s_cbranch_vccnz .LBB32_238
; %bb.237:
	v_lshlrev_b32_e32 v0, 3, v0
	buffer_load_dword v67, v0, s[0:3], 0 offen
	buffer_load_dword v68, v0, s[0:3], 0 offen offset:4
	buffer_load_dword v69, off, s[0:3], 0 offset:132
	buffer_load_dword v70, off, s[0:3], 0 offset:128
	s_waitcnt vmcnt(3)
	buffer_store_dword v67, off, s[0:3], 0 offset:128
	s_waitcnt vmcnt(3)
	buffer_store_dword v68, off, s[0:3], 0 offset:132
	s_waitcnt vmcnt(3)
	buffer_store_dword v69, v0, s[0:3], 0 offen offset:4
	s_waitcnt vmcnt(3)
	buffer_store_dword v70, v0, s[0:3], 0 offen
.LBB32_238:
	v_mov_b32_e32 v0, 0
	global_load_dword v67, v0, s[20:21] offset:60
	s_waitcnt vmcnt(0)
	v_add_u32_e32 v67, -1, v67
	v_cmp_eq_u32_e32 vcc, 15, v67
	s_cbranch_vccnz .LBB32_240
; %bb.239:
	v_lshlrev_b32_e32 v67, 3, v67
	buffer_load_dword v68, v67, s[0:3], 0 offen
	buffer_load_dword v69, v67, s[0:3], 0 offen offset:4
	buffer_load_dword v70, off, s[0:3], 0 offset:120
	buffer_load_dword v71, off, s[0:3], 0 offset:124
	s_waitcnt vmcnt(3)
	buffer_store_dword v68, off, s[0:3], 0 offset:120
	s_waitcnt vmcnt(3)
	buffer_store_dword v69, off, s[0:3], 0 offset:124
	s_waitcnt vmcnt(3)
	buffer_store_dword v70, v67, s[0:3], 0 offen
	s_waitcnt vmcnt(3)
	buffer_store_dword v71, v67, s[0:3], 0 offen offset:4
.LBB32_240:
	global_load_dword v0, v0, s[20:21] offset:56
	s_waitcnt vmcnt(0)
	v_add_u32_e32 v0, -1, v0
	v_cmp_eq_u32_e32 vcc, 14, v0
	s_cbranch_vccnz .LBB32_242
; %bb.241:
	v_lshlrev_b32_e32 v0, 3, v0
	buffer_load_dword v67, v0, s[0:3], 0 offen
	buffer_load_dword v68, v0, s[0:3], 0 offen offset:4
	buffer_load_dword v69, off, s[0:3], 0 offset:116
	buffer_load_dword v70, off, s[0:3], 0 offset:112
	s_waitcnt vmcnt(3)
	buffer_store_dword v67, off, s[0:3], 0 offset:112
	s_waitcnt vmcnt(3)
	buffer_store_dword v68, off, s[0:3], 0 offset:116
	s_waitcnt vmcnt(3)
	buffer_store_dword v69, v0, s[0:3], 0 offen offset:4
	s_waitcnt vmcnt(3)
	buffer_store_dword v70, v0, s[0:3], 0 offen
.LBB32_242:
	v_mov_b32_e32 v0, 0
	global_load_dword v67, v0, s[20:21] offset:52
	s_waitcnt vmcnt(0)
	v_add_u32_e32 v67, -1, v67
	v_cmp_eq_u32_e32 vcc, 13, v67
	s_cbranch_vccnz .LBB32_244
; %bb.243:
	v_lshlrev_b32_e32 v67, 3, v67
	buffer_load_dword v68, v67, s[0:3], 0 offen
	buffer_load_dword v69, v67, s[0:3], 0 offen offset:4
	buffer_load_dword v70, off, s[0:3], 0 offset:104
	buffer_load_dword v71, off, s[0:3], 0 offset:108
	s_waitcnt vmcnt(3)
	buffer_store_dword v68, off, s[0:3], 0 offset:104
	s_waitcnt vmcnt(3)
	buffer_store_dword v69, off, s[0:3], 0 offset:108
	s_waitcnt vmcnt(3)
	buffer_store_dword v70, v67, s[0:3], 0 offen
	s_waitcnt vmcnt(3)
	buffer_store_dword v71, v67, s[0:3], 0 offen offset:4
.LBB32_244:
	global_load_dword v0, v0, s[20:21] offset:48
	s_waitcnt vmcnt(0)
	v_add_u32_e32 v0, -1, v0
	v_cmp_eq_u32_e32 vcc, 12, v0
	s_cbranch_vccnz .LBB32_246
; %bb.245:
	v_lshlrev_b32_e32 v0, 3, v0
	buffer_load_dword v67, v0, s[0:3], 0 offen
	buffer_load_dword v68, v0, s[0:3], 0 offen offset:4
	buffer_load_dword v69, off, s[0:3], 0 offset:100
	buffer_load_dword v70, off, s[0:3], 0 offset:96
	s_waitcnt vmcnt(3)
	buffer_store_dword v67, off, s[0:3], 0 offset:96
	s_waitcnt vmcnt(3)
	buffer_store_dword v68, off, s[0:3], 0 offset:100
	s_waitcnt vmcnt(3)
	buffer_store_dword v69, v0, s[0:3], 0 offen offset:4
	s_waitcnt vmcnt(3)
	buffer_store_dword v70, v0, s[0:3], 0 offen
.LBB32_246:
	v_mov_b32_e32 v0, 0
	global_load_dword v67, v0, s[20:21] offset:44
	s_waitcnt vmcnt(0)
	v_add_u32_e32 v67, -1, v67
	v_cmp_eq_u32_e32 vcc, 11, v67
	s_cbranch_vccnz .LBB32_248
; %bb.247:
	v_lshlrev_b32_e32 v67, 3, v67
	buffer_load_dword v68, v67, s[0:3], 0 offen
	buffer_load_dword v69, v67, s[0:3], 0 offen offset:4
	buffer_load_dword v70, off, s[0:3], 0 offset:88
	buffer_load_dword v71, off, s[0:3], 0 offset:92
	s_waitcnt vmcnt(3)
	buffer_store_dword v68, off, s[0:3], 0 offset:88
	s_waitcnt vmcnt(3)
	buffer_store_dword v69, off, s[0:3], 0 offset:92
	s_waitcnt vmcnt(3)
	buffer_store_dword v70, v67, s[0:3], 0 offen
	s_waitcnt vmcnt(3)
	buffer_store_dword v71, v67, s[0:3], 0 offen offset:4
.LBB32_248:
	global_load_dword v0, v0, s[20:21] offset:40
	s_waitcnt vmcnt(0)
	v_add_u32_e32 v0, -1, v0
	v_cmp_eq_u32_e32 vcc, 10, v0
	s_cbranch_vccnz .LBB32_250
; %bb.249:
	v_lshlrev_b32_e32 v0, 3, v0
	buffer_load_dword v67, v0, s[0:3], 0 offen
	buffer_load_dword v68, v0, s[0:3], 0 offen offset:4
	buffer_load_dword v69, off, s[0:3], 0 offset:84
	buffer_load_dword v70, off, s[0:3], 0 offset:80
	s_waitcnt vmcnt(3)
	buffer_store_dword v67, off, s[0:3], 0 offset:80
	s_waitcnt vmcnt(3)
	buffer_store_dword v68, off, s[0:3], 0 offset:84
	s_waitcnt vmcnt(3)
	buffer_store_dword v69, v0, s[0:3], 0 offen offset:4
	s_waitcnt vmcnt(3)
	buffer_store_dword v70, v0, s[0:3], 0 offen
.LBB32_250:
	v_mov_b32_e32 v0, 0
	global_load_dword v67, v0, s[20:21] offset:36
	s_waitcnt vmcnt(0)
	v_add_u32_e32 v67, -1, v67
	v_cmp_eq_u32_e32 vcc, 9, v67
	s_cbranch_vccnz .LBB32_252
; %bb.251:
	v_lshlrev_b32_e32 v67, 3, v67
	buffer_load_dword v68, v67, s[0:3], 0 offen
	buffer_load_dword v69, v67, s[0:3], 0 offen offset:4
	buffer_load_dword v70, off, s[0:3], 0 offset:72
	buffer_load_dword v71, off, s[0:3], 0 offset:76
	s_waitcnt vmcnt(3)
	buffer_store_dword v68, off, s[0:3], 0 offset:72
	s_waitcnt vmcnt(3)
	buffer_store_dword v69, off, s[0:3], 0 offset:76
	s_waitcnt vmcnt(3)
	buffer_store_dword v70, v67, s[0:3], 0 offen
	s_waitcnt vmcnt(3)
	buffer_store_dword v71, v67, s[0:3], 0 offen offset:4
.LBB32_252:
	global_load_dword v0, v0, s[20:21] offset:32
	s_waitcnt vmcnt(0)
	v_add_u32_e32 v0, -1, v0
	v_cmp_eq_u32_e32 vcc, 8, v0
	s_cbranch_vccnz .LBB32_254
; %bb.253:
	v_lshlrev_b32_e32 v0, 3, v0
	buffer_load_dword v67, v0, s[0:3], 0 offen
	buffer_load_dword v68, v0, s[0:3], 0 offen offset:4
	buffer_load_dword v69, off, s[0:3], 0 offset:68
	buffer_load_dword v70, off, s[0:3], 0 offset:64
	s_waitcnt vmcnt(3)
	buffer_store_dword v67, off, s[0:3], 0 offset:64
	s_waitcnt vmcnt(3)
	buffer_store_dword v68, off, s[0:3], 0 offset:68
	s_waitcnt vmcnt(3)
	buffer_store_dword v69, v0, s[0:3], 0 offen offset:4
	s_waitcnt vmcnt(3)
	buffer_store_dword v70, v0, s[0:3], 0 offen
.LBB32_254:
	v_mov_b32_e32 v0, 0
	global_load_dword v67, v0, s[20:21] offset:28
	s_waitcnt vmcnt(0)
	v_add_u32_e32 v67, -1, v67
	v_cmp_eq_u32_e32 vcc, 7, v67
	s_cbranch_vccnz .LBB32_256
; %bb.255:
	v_lshlrev_b32_e32 v67, 3, v67
	buffer_load_dword v68, v67, s[0:3], 0 offen
	buffer_load_dword v69, v67, s[0:3], 0 offen offset:4
	buffer_load_dword v70, off, s[0:3], 0 offset:56
	buffer_load_dword v71, off, s[0:3], 0 offset:60
	s_waitcnt vmcnt(3)
	buffer_store_dword v68, off, s[0:3], 0 offset:56
	s_waitcnt vmcnt(3)
	buffer_store_dword v69, off, s[0:3], 0 offset:60
	s_waitcnt vmcnt(3)
	buffer_store_dword v70, v67, s[0:3], 0 offen
	s_waitcnt vmcnt(3)
	buffer_store_dword v71, v67, s[0:3], 0 offen offset:4
.LBB32_256:
	global_load_dword v0, v0, s[20:21] offset:24
	s_waitcnt vmcnt(0)
	v_add_u32_e32 v0, -1, v0
	v_cmp_eq_u32_e32 vcc, 6, v0
	s_cbranch_vccnz .LBB32_258
; %bb.257:
	v_lshlrev_b32_e32 v0, 3, v0
	buffer_load_dword v67, v0, s[0:3], 0 offen
	buffer_load_dword v68, v0, s[0:3], 0 offen offset:4
	buffer_load_dword v69, off, s[0:3], 0 offset:52
	buffer_load_dword v70, off, s[0:3], 0 offset:48
	s_waitcnt vmcnt(3)
	buffer_store_dword v67, off, s[0:3], 0 offset:48
	s_waitcnt vmcnt(3)
	buffer_store_dword v68, off, s[0:3], 0 offset:52
	s_waitcnt vmcnt(3)
	buffer_store_dword v69, v0, s[0:3], 0 offen offset:4
	s_waitcnt vmcnt(3)
	buffer_store_dword v70, v0, s[0:3], 0 offen
.LBB32_258:
	v_mov_b32_e32 v0, 0
	global_load_dword v67, v0, s[20:21] offset:20
	s_waitcnt vmcnt(0)
	v_add_u32_e32 v67, -1, v67
	v_cmp_eq_u32_e32 vcc, 5, v67
	s_cbranch_vccnz .LBB32_260
; %bb.259:
	v_lshlrev_b32_e32 v67, 3, v67
	buffer_load_dword v68, v67, s[0:3], 0 offen
	buffer_load_dword v69, v67, s[0:3], 0 offen offset:4
	buffer_load_dword v70, off, s[0:3], 0 offset:40
	buffer_load_dword v71, off, s[0:3], 0 offset:44
	s_waitcnt vmcnt(3)
	buffer_store_dword v68, off, s[0:3], 0 offset:40
	s_waitcnt vmcnt(3)
	buffer_store_dword v69, off, s[0:3], 0 offset:44
	s_waitcnt vmcnt(3)
	buffer_store_dword v70, v67, s[0:3], 0 offen
	s_waitcnt vmcnt(3)
	buffer_store_dword v71, v67, s[0:3], 0 offen offset:4
.LBB32_260:
	global_load_dword v0, v0, s[20:21] offset:16
	s_waitcnt vmcnt(0)
	v_add_u32_e32 v0, -1, v0
	v_cmp_eq_u32_e32 vcc, 4, v0
	s_cbranch_vccnz .LBB32_262
; %bb.261:
	v_lshlrev_b32_e32 v0, 3, v0
	buffer_load_dword v67, v0, s[0:3], 0 offen
	buffer_load_dword v68, v0, s[0:3], 0 offen offset:4
	buffer_load_dword v69, off, s[0:3], 0 offset:36
	buffer_load_dword v70, off, s[0:3], 0 offset:32
	s_waitcnt vmcnt(3)
	buffer_store_dword v67, off, s[0:3], 0 offset:32
	s_waitcnt vmcnt(3)
	buffer_store_dword v68, off, s[0:3], 0 offset:36
	s_waitcnt vmcnt(3)
	buffer_store_dword v69, v0, s[0:3], 0 offen offset:4
	s_waitcnt vmcnt(3)
	buffer_store_dword v70, v0, s[0:3], 0 offen
.LBB32_262:
	v_mov_b32_e32 v0, 0
	global_load_dword v67, v0, s[20:21] offset:12
	s_waitcnt vmcnt(0)
	v_add_u32_e32 v67, -1, v67
	v_cmp_eq_u32_e32 vcc, 3, v67
	s_cbranch_vccnz .LBB32_264
; %bb.263:
	v_lshlrev_b32_e32 v67, 3, v67
	buffer_load_dword v68, v67, s[0:3], 0 offen
	buffer_load_dword v69, v67, s[0:3], 0 offen offset:4
	buffer_load_dword v70, off, s[0:3], 0 offset:24
	buffer_load_dword v71, off, s[0:3], 0 offset:28
	s_waitcnt vmcnt(3)
	buffer_store_dword v68, off, s[0:3], 0 offset:24
	s_waitcnt vmcnt(3)
	buffer_store_dword v69, off, s[0:3], 0 offset:28
	s_waitcnt vmcnt(3)
	buffer_store_dword v70, v67, s[0:3], 0 offen
	s_waitcnt vmcnt(3)
	buffer_store_dword v71, v67, s[0:3], 0 offen offset:4
.LBB32_264:
	global_load_dword v0, v0, s[20:21] offset:8
	s_waitcnt vmcnt(0)
	v_add_u32_e32 v0, -1, v0
	v_cmp_eq_u32_e32 vcc, 2, v0
	s_cbranch_vccnz .LBB32_266
; %bb.265:
	v_lshlrev_b32_e32 v0, 3, v0
	buffer_load_dword v67, v0, s[0:3], 0 offen
	buffer_load_dword v68, v0, s[0:3], 0 offen offset:4
	buffer_load_dword v69, off, s[0:3], 0 offset:20
	buffer_load_dword v70, off, s[0:3], 0 offset:16
	s_waitcnt vmcnt(3)
	buffer_store_dword v67, off, s[0:3], 0 offset:16
	s_waitcnt vmcnt(3)
	buffer_store_dword v68, off, s[0:3], 0 offset:20
	s_waitcnt vmcnt(3)
	buffer_store_dword v69, v0, s[0:3], 0 offen offset:4
	s_waitcnt vmcnt(3)
	buffer_store_dword v70, v0, s[0:3], 0 offen
.LBB32_266:
	v_mov_b32_e32 v0, 0
	global_load_dword v67, v0, s[20:21] offset:4
	s_waitcnt vmcnt(0)
	v_add_u32_e32 v67, -1, v67
	v_cmp_eq_u32_e32 vcc, 1, v67
	s_cbranch_vccnz .LBB32_268
; %bb.267:
	v_lshlrev_b32_e32 v67, 3, v67
	buffer_load_dword v68, v67, s[0:3], 0 offen
	buffer_load_dword v69, v67, s[0:3], 0 offen offset:4
	buffer_load_dword v70, off, s[0:3], 0 offset:8
	buffer_load_dword v71, off, s[0:3], 0 offset:12
	s_waitcnt vmcnt(3)
	buffer_store_dword v68, off, s[0:3], 0 offset:8
	s_waitcnt vmcnt(3)
	buffer_store_dword v69, off, s[0:3], 0 offset:12
	s_waitcnt vmcnt(3)
	buffer_store_dword v70, v67, s[0:3], 0 offen
	s_waitcnt vmcnt(3)
	buffer_store_dword v71, v67, s[0:3], 0 offen offset:4
.LBB32_268:
	global_load_dword v0, v0, s[20:21]
	s_nop 0
	buffer_load_dword v69, off, s[0:3], 0
	buffer_load_dword v70, off, s[0:3], 0 offset:4
	s_waitcnt vmcnt(2)
	v_add_u32_e32 v0, -1, v0
	v_cmp_eq_u32_e32 vcc, 0, v0
	s_cbranch_vccnz .LBB32_270
; %bb.269:
	v_lshlrev_b32_e32 v0, 3, v0
	buffer_load_dword v67, v0, s[0:3], 0 offen offset:4
	buffer_load_dword v68, v0, s[0:3], 0 offen
	s_waitcnt vmcnt(1)
	buffer_store_dword v67, off, s[0:3], 0 offset:4
	s_waitcnt vmcnt(1)
	buffer_store_dword v68, off, s[0:3], 0
	buffer_store_dword v70, v0, s[0:3], 0 offen offset:4
	buffer_store_dword v69, v0, s[0:3], 0 offen
	buffer_load_dword v69, off, s[0:3], 0
	s_nop 0
	buffer_load_dword v70, off, s[0:3], 0 offset:4
.LBB32_270:
	buffer_load_dword v67, off, s[0:3], 0 offset:8
	buffer_load_dword v68, off, s[0:3], 0 offset:12
	s_waitcnt vmcnt(2)
	global_store_dwordx2 v[65:66], v[69:70], off
	buffer_load_dword v65, off, s[0:3], 0 offset:16
	s_nop 0
	buffer_load_dword v66, off, s[0:3], 0 offset:20
	buffer_load_dword v69, off, s[0:3], 0 offset:24
	;; [unrolled: 1-line block ×53, first 2 shown]
	s_waitcnt vmcnt(55)
	global_store_dwordx2 v[59:60], v[67:68], off
	buffer_load_dword v59, off, s[0:3], 0 offset:232
	s_nop 0
	buffer_load_dword v60, off, s[0:3], 0 offset:236
	buffer_load_dword v67, off, s[0:3], 0 offset:240
	;; [unrolled: 1-line block ×7, first 2 shown]
	s_waitcnt vmcnt(61)
	global_store_dwordx2 v[1:2], v[65:66], off
	s_waitcnt vmcnt(60)
	global_store_dwordx2 v[3:4], v[69:70], off
	;; [unrolled: 2-line block ×31, first 2 shown]
	s_endpgm
	.section	.rodata,"a",@progbits
	.p2align	6, 0x0
	.amdhsa_kernel _ZN9rocsolver6v33100L18getri_kernel_smallILi33EdPdEEvT1_iilPiilS4_bb
		.amdhsa_group_segment_fixed_size 536
		.amdhsa_private_segment_fixed_size 272
		.amdhsa_kernarg_size 60
		.amdhsa_user_sgpr_count 6
		.amdhsa_user_sgpr_private_segment_buffer 1
		.amdhsa_user_sgpr_dispatch_ptr 0
		.amdhsa_user_sgpr_queue_ptr 0
		.amdhsa_user_sgpr_kernarg_segment_ptr 1
		.amdhsa_user_sgpr_dispatch_id 0
		.amdhsa_user_sgpr_flat_scratch_init 0
		.amdhsa_user_sgpr_private_segment_size 0
		.amdhsa_uses_dynamic_stack 0
		.amdhsa_system_sgpr_private_segment_wavefront_offset 1
		.amdhsa_system_sgpr_workgroup_id_x 1
		.amdhsa_system_sgpr_workgroup_id_y 0
		.amdhsa_system_sgpr_workgroup_id_z 0
		.amdhsa_system_sgpr_workgroup_info 0
		.amdhsa_system_vgpr_workitem_id 0
		.amdhsa_next_free_vgpr 125
		.amdhsa_next_free_sgpr 24
		.amdhsa_reserve_vcc 1
		.amdhsa_reserve_flat_scratch 0
		.amdhsa_float_round_mode_32 0
		.amdhsa_float_round_mode_16_64 0
		.amdhsa_float_denorm_mode_32 3
		.amdhsa_float_denorm_mode_16_64 3
		.amdhsa_dx10_clamp 1
		.amdhsa_ieee_mode 1
		.amdhsa_fp16_overflow 0
		.amdhsa_exception_fp_ieee_invalid_op 0
		.amdhsa_exception_fp_denorm_src 0
		.amdhsa_exception_fp_ieee_div_zero 0
		.amdhsa_exception_fp_ieee_overflow 0
		.amdhsa_exception_fp_ieee_underflow 0
		.amdhsa_exception_fp_ieee_inexact 0
		.amdhsa_exception_int_div_zero 0
	.end_amdhsa_kernel
	.section	.text._ZN9rocsolver6v33100L18getri_kernel_smallILi33EdPdEEvT1_iilPiilS4_bb,"axG",@progbits,_ZN9rocsolver6v33100L18getri_kernel_smallILi33EdPdEEvT1_iilPiilS4_bb,comdat
.Lfunc_end32:
	.size	_ZN9rocsolver6v33100L18getri_kernel_smallILi33EdPdEEvT1_iilPiilS4_bb, .Lfunc_end32-_ZN9rocsolver6v33100L18getri_kernel_smallILi33EdPdEEvT1_iilPiilS4_bb
                                        ; -- End function
	.set _ZN9rocsolver6v33100L18getri_kernel_smallILi33EdPdEEvT1_iilPiilS4_bb.num_vgpr, 125
	.set _ZN9rocsolver6v33100L18getri_kernel_smallILi33EdPdEEvT1_iilPiilS4_bb.num_agpr, 0
	.set _ZN9rocsolver6v33100L18getri_kernel_smallILi33EdPdEEvT1_iilPiilS4_bb.numbered_sgpr, 24
	.set _ZN9rocsolver6v33100L18getri_kernel_smallILi33EdPdEEvT1_iilPiilS4_bb.num_named_barrier, 0
	.set _ZN9rocsolver6v33100L18getri_kernel_smallILi33EdPdEEvT1_iilPiilS4_bb.private_seg_size, 272
	.set _ZN9rocsolver6v33100L18getri_kernel_smallILi33EdPdEEvT1_iilPiilS4_bb.uses_vcc, 1
	.set _ZN9rocsolver6v33100L18getri_kernel_smallILi33EdPdEEvT1_iilPiilS4_bb.uses_flat_scratch, 0
	.set _ZN9rocsolver6v33100L18getri_kernel_smallILi33EdPdEEvT1_iilPiilS4_bb.has_dyn_sized_stack, 0
	.set _ZN9rocsolver6v33100L18getri_kernel_smallILi33EdPdEEvT1_iilPiilS4_bb.has_recursion, 0
	.set _ZN9rocsolver6v33100L18getri_kernel_smallILi33EdPdEEvT1_iilPiilS4_bb.has_indirect_call, 0
	.section	.AMDGPU.csdata,"",@progbits
; Kernel info:
; codeLenInByte = 33284
; TotalNumSgprs: 28
; NumVgprs: 125
; ScratchSize: 272
; MemoryBound: 0
; FloatMode: 240
; IeeeMode: 1
; LDSByteSize: 536 bytes/workgroup (compile time only)
; SGPRBlocks: 3
; VGPRBlocks: 31
; NumSGPRsForWavesPerEU: 28
; NumVGPRsForWavesPerEU: 125
; Occupancy: 2
; WaveLimiterHint : 1
; COMPUTE_PGM_RSRC2:SCRATCH_EN: 1
; COMPUTE_PGM_RSRC2:USER_SGPR: 6
; COMPUTE_PGM_RSRC2:TRAP_HANDLER: 0
; COMPUTE_PGM_RSRC2:TGID_X_EN: 1
; COMPUTE_PGM_RSRC2:TGID_Y_EN: 0
; COMPUTE_PGM_RSRC2:TGID_Z_EN: 0
; COMPUTE_PGM_RSRC2:TIDIG_COMP_CNT: 0
	.section	.text._ZN9rocsolver6v33100L18getri_kernel_smallILi34EdPdEEvT1_iilPiilS4_bb,"axG",@progbits,_ZN9rocsolver6v33100L18getri_kernel_smallILi34EdPdEEvT1_iilPiilS4_bb,comdat
	.globl	_ZN9rocsolver6v33100L18getri_kernel_smallILi34EdPdEEvT1_iilPiilS4_bb ; -- Begin function _ZN9rocsolver6v33100L18getri_kernel_smallILi34EdPdEEvT1_iilPiilS4_bb
	.p2align	8
	.type	_ZN9rocsolver6v33100L18getri_kernel_smallILi34EdPdEEvT1_iilPiilS4_bb,@function
_ZN9rocsolver6v33100L18getri_kernel_smallILi34EdPdEEvT1_iilPiilS4_bb: ; @_ZN9rocsolver6v33100L18getri_kernel_smallILi34EdPdEEvT1_iilPiilS4_bb
; %bb.0:
	s_add_u32 s0, s0, s7
	s_addc_u32 s1, s1, 0
	v_cmp_gt_u32_e32 vcc, 34, v0
	s_and_saveexec_b64 s[8:9], vcc
	s_cbranch_execz .LBB33_144
; %bb.1:
	s_load_dword s12, s[4:5], 0x38
	s_load_dwordx4 s[16:19], s[4:5], 0x10
	s_load_dwordx4 s[8:11], s[4:5], 0x28
                                        ; implicit-def: $sgpr20_sgpr21
	s_waitcnt lgkmcnt(0)
	s_bitcmp1_b32 s12, 8
	s_cselect_b64 s[22:23], -1, 0
	s_ashr_i32 s7, s6, 31
	s_bfe_u32 s12, s12, 0x10008
	s_cmp_eq_u32 s12, 0
	s_cbranch_scc1 .LBB33_3
; %bb.2:
	s_load_dword s12, s[4:5], 0x20
	s_mul_i32 s13, s8, s7
	s_mul_hi_u32 s14, s8, s6
	s_mul_i32 s9, s9, s6
	s_add_i32 s14, s14, s13
	s_add_i32 s9, s14, s9
	s_mul_i32 s8, s8, s6
	s_waitcnt lgkmcnt(0)
	s_ashr_i32 s13, s12, 31
	s_lshl_b64 s[8:9], s[8:9], 2
	s_add_u32 s14, s18, s8
	s_addc_u32 s15, s19, s9
	s_lshl_b64 s[8:9], s[12:13], 2
	s_add_u32 s20, s14, s8
	s_addc_u32 s21, s15, s9
.LBB33_3:
	s_load_dwordx4 s[12:15], s[4:5], 0x0
	s_load_dword s8, s[4:5], 0x38
	s_mul_i32 s9, s16, s7
	s_mul_hi_u32 s18, s16, s6
	s_add_i32 s9, s18, s9
	s_waitcnt lgkmcnt(0)
	s_ashr_i32 s5, s14, 31
	s_mov_b32 s4, s14
	s_mul_i32 s14, s17, s6
	s_add_i32 s17, s9, s14
	s_mul_i32 s16, s16, s6
	s_lshl_b64 s[16:17], s[16:17], 3
	s_add_u32 s9, s12, s16
	s_addc_u32 s12, s13, s17
	s_lshl_b64 s[4:5], s[4:5], 3
	s_add_u32 s4, s9, s4
	s_addc_u32 s5, s12, s5
	s_add_i32 s9, s15, s15
	v_add_u32_e32 v1, s9, v0
	v_ashrrev_i32_e32 v2, 31, v1
	v_lshlrev_b64 v[3:4], 3, v[1:2]
	v_add_u32_e32 v5, s15, v1
	v_mov_b32_e32 v2, s5
	v_add_co_u32_e32 v3, vcc, s4, v3
	v_ashrrev_i32_e32 v6, 31, v5
	v_addc_co_u32_e32 v4, vcc, v2, v4, vcc
	v_lshlrev_b64 v[1:2], 3, v[5:6]
	v_add_u32_e32 v7, s15, v5
	v_mov_b32_e32 v6, s5
	v_add_co_u32_e32 v1, vcc, s4, v1
	v_ashrrev_i32_e32 v8, 31, v7
	v_addc_co_u32_e32 v2, vcc, v6, v2, vcc
	;; [unrolled: 6-line block ×8, first 2 shown]
	v_lshlrev_b64 v[17:18], 3, v[19:20]
	v_mov_b32_e32 v21, s5
	v_add_co_u32_e32 v17, vcc, s4, v17
	v_addc_co_u32_e32 v18, vcc, v21, v18, vcc
	v_add_u32_e32 v21, s15, v19
	v_ashrrev_i32_e32 v22, 31, v21
	v_lshlrev_b64 v[19:20], 3, v[21:22]
	v_mov_b32_e32 v23, s5
	v_add_co_u32_e32 v19, vcc, s4, v19
	v_addc_co_u32_e32 v20, vcc, v23, v20, vcc
	v_add_u32_e32 v23, s15, v21
	v_ashrrev_i32_e32 v24, 31, v23
	;; [unrolled: 6-line block ×16, first 2 shown]
	v_lshlrev_b32_e32 v71, 3, v0
	v_lshlrev_b64 v[49:50], 3, v[51:52]
	global_load_dwordx2 v[69:70], v71, s[4:5]
	global_load_dwordx2 v[74:75], v[3:4], off
	global_load_dwordx2 v[78:79], v[5:6], off
	;; [unrolled: 1-line block ×3, first 2 shown]
	v_mov_b32_e32 v52, s5
	v_add_co_u32_e32 v67, vcc, s4, v71
	s_ashr_i32 s13, s15, 31
	s_mov_b32 s12, s15
	v_addc_co_u32_e32 v68, vcc, 0, v52, vcc
	s_lshl_b64 s[12:13], s[12:13], 3
	v_mov_b32_e32 v52, s13
	v_add_co_u32_e32 v61, vcc, s12, v67
	v_addc_co_u32_e32 v62, vcc, v68, v52, vcc
	global_load_dwordx2 v[72:73], v[61:62], off
	global_load_dwordx2 v[80:81], v[7:8], off
	global_load_dwordx2 v[82:83], v[9:10], off
	v_mov_b32_e32 v53, s5
	v_add_co_u32_e32 v49, vcc, s4, v49
	v_addc_co_u32_e32 v50, vcc, v53, v50, vcc
	v_add_u32_e32 v53, s15, v51
	v_ashrrev_i32_e32 v54, 31, v53
	v_lshlrev_b64 v[51:52], 3, v[53:54]
	v_mov_b32_e32 v55, s5
	v_add_co_u32_e32 v51, vcc, s4, v51
	v_addc_co_u32_e32 v52, vcc, v55, v52, vcc
	v_add_u32_e32 v55, s15, v53
	v_ashrrev_i32_e32 v56, 31, v55
	v_lshlrev_b64 v[53:54], 3, v[55:56]
	v_mov_b32_e32 v57, s5
	v_add_co_u32_e32 v53, vcc, s4, v53
	v_addc_co_u32_e32 v54, vcc, v57, v54, vcc
	v_add_u32_e32 v57, s15, v55
	v_ashrrev_i32_e32 v58, 31, v57
	v_lshlrev_b64 v[55:56], 3, v[57:58]
	v_mov_b32_e32 v59, s5
	v_add_co_u32_e32 v55, vcc, s4, v55
	v_addc_co_u32_e32 v56, vcc, v59, v56, vcc
	v_add_u32_e32 v59, s15, v57
	v_ashrrev_i32_e32 v60, 31, v59
	v_lshlrev_b64 v[57:58], 3, v[59:60]
	v_mov_b32_e32 v63, s5
	v_add_co_u32_e32 v57, vcc, s4, v57
	v_addc_co_u32_e32 v58, vcc, v63, v58, vcc
	v_add_u32_e32 v63, s15, v59
	v_ashrrev_i32_e32 v64, 31, v63
	v_lshlrev_b64 v[59:60], 3, v[63:64]
	v_mov_b32_e32 v65, s5
	v_add_co_u32_e32 v59, vcc, s4, v59
	v_addc_co_u32_e32 v60, vcc, v65, v60, vcc
	v_add_u32_e32 v65, s15, v63
	v_ashrrev_i32_e32 v66, 31, v65
	v_lshlrev_b64 v[63:64], 3, v[65:66]
	v_mov_b32_e32 v92, s5
	v_add_co_u32_e32 v63, vcc, s4, v63
	global_load_dwordx2 v[84:85], v[11:12], off
	global_load_dwordx2 v[86:87], v[13:14], off
	;; [unrolled: 1-line block ×4, first 2 shown]
	v_addc_co_u32_e32 v64, vcc, v92, v64, vcc
	global_load_dwordx2 v[92:93], v[19:20], off
	global_load_dwordx2 v[94:95], v[21:22], off
	;; [unrolled: 1-line block ×8, first 2 shown]
	v_add_u32_e32 v65, s15, v65
	v_ashrrev_i32_e32 v66, 31, v65
	v_lshlrev_b64 v[65:66], 3, v[65:66]
	v_mov_b32_e32 v108, s5
	v_add_co_u32_e32 v65, vcc, s4, v65
	v_addc_co_u32_e32 v66, vcc, v108, v66, vcc
	global_load_dwordx2 v[108:109], v[35:36], off
	global_load_dwordx2 v[110:111], v[37:38], off
	;; [unrolled: 1-line block ×8, first 2 shown]
	s_bitcmp0_b32 s8, 0
	s_waitcnt vmcnt(26)
	buffer_store_dword v70, off, s[0:3], 0 offset:4
	buffer_store_dword v69, off, s[0:3], 0
	global_load_dwordx2 v[69:70], v[39:40], off
	s_mov_b64 s[8:9], -1
	s_waitcnt vmcnt(25)
	buffer_store_dword v73, off, s[0:3], 0 offset:12
	buffer_store_dword v72, off, s[0:3], 0 offset:8
	global_load_dwordx2 v[72:73], v[43:44], off
	s_nop 0
	buffer_store_dword v75, off, s[0:3], 0 offset:20
	buffer_store_dword v74, off, s[0:3], 0 offset:16
	global_load_dwordx2 v[74:75], v[47:48], off
	s_nop 0
	;; [unrolled: 4-line block ×3, first 2 shown]
	buffer_store_dword v79, off, s[0:3], 0 offset:36
	buffer_store_dword v78, off, s[0:3], 0 offset:32
	global_load_dwordx2 v[78:79], v[55:56], off
	s_waitcnt vmcnt(36)
	buffer_store_dword v81, off, s[0:3], 0 offset:44
	buffer_store_dword v80, off, s[0:3], 0 offset:40
	global_load_dwordx2 v[80:81], v[59:60], off
	s_waitcnt vmcnt(38)
	;; [unrolled: 4-line block ×3, first 2 shown]
	buffer_store_dword v85, off, s[0:3], 0 offset:60
	buffer_store_dword v84, off, s[0:3], 0 offset:56
	s_waitcnt vmcnt(41)
	buffer_store_dword v87, off, s[0:3], 0 offset:68
	buffer_store_dword v86, off, s[0:3], 0 offset:64
	s_waitcnt vmcnt(42)
	;; [unrolled: 3-line block ×14, first 2 shown]
	buffer_store_dword v69, off, s[0:3], 0 offset:168
	buffer_store_dword v70, off, s[0:3], 0 offset:172
	buffer_store_dword v112, off, s[0:3], 0 offset:176
	buffer_store_dword v113, off, s[0:3], 0 offset:180
	s_waitcnt vmcnt(47)
	buffer_store_dword v72, off, s[0:3], 0 offset:184
	buffer_store_dword v73, off, s[0:3], 0 offset:188
	buffer_store_dword v114, off, s[0:3], 0 offset:192
	buffer_store_dword v115, off, s[0:3], 0 offset:196
	s_waitcnt vmcnt(48)
	;; [unrolled: 5-line block ×6, first 2 shown]
	buffer_store_dword v82, off, s[0:3], 0 offset:264
	buffer_store_dword v83, off, s[0:3], 0 offset:268
	s_cbranch_scc1 .LBB33_142
; %bb.4:
	v_cmp_eq_u32_e64 s[4:5], 0, v0
	s_and_saveexec_b64 s[8:9], s[4:5]
; %bb.5:
	v_mov_b32_e32 v69, 0
	ds_write_b32 v69, v69 offset:544
; %bb.6:
	s_or_b64 exec, exec, s[8:9]
	v_mov_b32_e32 v69, 0
	v_lshl_add_u32 v69, v0, 3, v69
	s_waitcnt lgkmcnt(0)
	; wave barrier
	buffer_load_dword v72, v69, s[0:3], 0 offen
	buffer_load_dword v73, v69, s[0:3], 0 offen offset:4
	s_waitcnt vmcnt(0)
	v_cmp_eq_f64_e32 vcc, 0, v[72:73]
	s_and_saveexec_b64 s[12:13], vcc
	s_cbranch_execz .LBB33_10
; %bb.7:
	v_mov_b32_e32 v70, 0
	ds_read_b32 v73, v70 offset:544
	v_add_u32_e32 v72, 1, v0
	s_waitcnt lgkmcnt(0)
	v_readfirstlane_b32 s8, v73
	s_cmp_eq_u32 s8, 0
	s_cselect_b64 s[14:15], -1, 0
	v_cmp_gt_i32_e32 vcc, s8, v72
	s_or_b64 s[14:15], s[14:15], vcc
	s_and_b64 exec, exec, s[14:15]
	s_cbranch_execz .LBB33_10
; %bb.8:
	s_mov_b64 s[14:15], 0
	v_mov_b32_e32 v73, s8
.LBB33_9:                               ; =>This Inner Loop Header: Depth=1
	ds_cmpst_rtn_b32 v73, v70, v73, v72 offset:544
	s_waitcnt lgkmcnt(0)
	v_cmp_ne_u32_e32 vcc, 0, v73
	v_cmp_le_i32_e64 s[8:9], v73, v72
	s_and_b64 s[8:9], vcc, s[8:9]
	s_and_b64 s[8:9], exec, s[8:9]
	s_or_b64 s[14:15], s[8:9], s[14:15]
	s_andn2_b64 exec, exec, s[14:15]
	s_cbranch_execnz .LBB33_9
.LBB33_10:
	s_or_b64 exec, exec, s[12:13]
	v_mov_b32_e32 v72, 0
	; wave barrier
	ds_read_b32 v70, v72 offset:544
	s_and_saveexec_b64 s[8:9], s[4:5]
	s_cbranch_execz .LBB33_12
; %bb.11:
	s_lshl_b64 s[12:13], s[6:7], 2
	s_add_u32 s12, s10, s12
	s_addc_u32 s13, s11, s13
	s_waitcnt lgkmcnt(0)
	global_store_dword v72, v70, s[12:13]
.LBB33_12:
	s_or_b64 exec, exec, s[8:9]
	s_waitcnt lgkmcnt(0)
	v_cmp_ne_u32_e32 vcc, 0, v70
	s_mov_b64 s[8:9], 0
	s_cbranch_vccnz .LBB33_142
; %bb.13:
	buffer_load_dword v72, v69, s[0:3], 0 offen
	buffer_load_dword v73, v69, s[0:3], 0 offen offset:4
	s_waitcnt vmcnt(0)
	v_div_scale_f64 v[74:75], s[8:9], v[72:73], v[72:73], 1.0
	v_rcp_f64_e32 v[76:77], v[74:75]
	v_fma_f64 v[78:79], -v[74:75], v[76:77], 1.0
	v_fma_f64 v[76:77], v[76:77], v[78:79], v[76:77]
	v_div_scale_f64 v[78:79], vcc, 1.0, v[72:73], 1.0
	v_fma_f64 v[80:81], -v[74:75], v[76:77], 1.0
	v_fma_f64 v[76:77], v[76:77], v[80:81], v[76:77]
	v_mul_f64 v[80:81], v[78:79], v[76:77]
	v_fma_f64 v[74:75], -v[74:75], v[80:81], v[78:79]
	v_div_fmas_f64 v[74:75], v[74:75], v[76:77], v[80:81]
	v_div_fixup_f64 v[73:74], v[74:75], v[72:73], 1.0
	v_add_u32_e32 v72, 0x110, v71
	buffer_store_dword v74, v69, s[0:3], 0 offen offset:4
	buffer_store_dword v73, v69, s[0:3], 0 offen
	buffer_load_dword v76, off, s[0:3], 0 offset:12
	buffer_load_dword v75, off, s[0:3], 0 offset:8
	v_xor_b32_e32 v74, 0x80000000, v74
	s_waitcnt vmcnt(0)
	ds_write2_b64 v71, v[73:74], v[75:76] offset1:34
	s_waitcnt lgkmcnt(0)
	; wave barrier
	s_and_saveexec_b64 s[8:9], s[4:5]
	s_cbranch_execz .LBB33_15
; %bb.14:
	buffer_load_dword v73, v69, s[0:3], 0 offen
	buffer_load_dword v74, v69, s[0:3], 0 offen offset:4
	ds_read_b64 v[75:76], v72
	v_mov_b32_e32 v70, 0
	ds_read_b64 v[77:78], v70 offset:8
	s_waitcnt vmcnt(0) lgkmcnt(1)
	v_fma_f64 v[73:74], v[73:74], v[75:76], 0
	s_waitcnt lgkmcnt(0)
	v_mul_f64 v[73:74], v[73:74], v[77:78]
	buffer_store_dword v73, off, s[0:3], 0 offset:8
	buffer_store_dword v74, off, s[0:3], 0 offset:12
.LBB33_15:
	s_or_b64 exec, exec, s[8:9]
	; wave barrier
	buffer_load_dword v73, off, s[0:3], 0 offset:16
	buffer_load_dword v74, off, s[0:3], 0 offset:20
	v_cmp_gt_u32_e32 vcc, 2, v0
	s_waitcnt vmcnt(0)
	ds_write_b64 v72, v[73:74]
	s_waitcnt lgkmcnt(0)
	; wave barrier
	s_and_saveexec_b64 s[8:9], vcc
	s_cbranch_execz .LBB33_17
; %bb.16:
	buffer_load_dword v73, v69, s[0:3], 0 offen
	buffer_load_dword v74, v69, s[0:3], 0 offen offset:4
                                        ; kill: killed $vgpr69
	s_nop 0
	buffer_load_dword v69, off, s[0:3], 0 offset:8
	buffer_load_dword v70, off, s[0:3], 0 offset:12
	ds_read_b64 v[75:76], v72
	s_waitcnt vmcnt(2) lgkmcnt(0)
	v_fma_f64 v[77:78], v[73:74], v[75:76], 0
	v_mov_b32_e32 v73, 0
	ds_read2_b64 v[73:76], v73 offset0:2 offset1:35
	s_waitcnt vmcnt(0) lgkmcnt(0)
	v_fma_f64 v[69:70], v[69:70], v[75:76], v[77:78]
	v_cndmask_b32_e64 v70, v78, v70, s[4:5]
	v_cndmask_b32_e64 v69, v77, v69, s[4:5]
	v_mul_f64 v[69:70], v[69:70], v[73:74]
	buffer_store_dword v70, off, s[0:3], 0 offset:20
	buffer_store_dword v69, off, s[0:3], 0 offset:16
.LBB33_17:
	s_or_b64 exec, exec, s[8:9]
	; wave barrier
	buffer_load_dword v69, off, s[0:3], 0 offset:24
	buffer_load_dword v70, off, s[0:3], 0 offset:28
	v_cmp_gt_u32_e32 vcc, 3, v0
	v_add_u32_e32 v73, -1, v0
	s_waitcnt vmcnt(0)
	ds_write_b64 v72, v[69:70]
	s_waitcnt lgkmcnt(0)
	; wave barrier
	s_and_saveexec_b64 s[4:5], vcc
	s_cbranch_execz .LBB33_21
; %bb.18:
	v_mov_b32_e32 v69, 0
	v_add_u32_e32 v74, -1, v0
	v_add_u32_e32 v75, 0x110, v71
	v_mov_b32_e32 v76, v71
	v_mov_b32_e32 v70, 0
	s_mov_b64 s[8:9], 0
.LBB33_19:                              ; =>This Inner Loop Header: Depth=1
	buffer_load_dword v77, v76, s[0:3], 0 offen
	buffer_load_dword v78, v76, s[0:3], 0 offen offset:4
	ds_read_b64 v[79:80], v75
	v_add_u32_e32 v74, 1, v74
	v_cmp_lt_u32_e32 vcc, 1, v74
	v_add_u32_e32 v75, 8, v75
	s_or_b64 s[8:9], vcc, s[8:9]
	v_add_u32_e32 v76, 8, v76
	s_waitcnt vmcnt(0) lgkmcnt(0)
	v_fma_f64 v[69:70], v[77:78], v[79:80], v[69:70]
	s_andn2_b64 exec, exec, s[8:9]
	s_cbranch_execnz .LBB33_19
; %bb.20:
	s_or_b64 exec, exec, s[8:9]
	v_mov_b32_e32 v74, 0
	ds_read_b64 v[74:75], v74 offset:24
	s_waitcnt lgkmcnt(0)
	v_mul_f64 v[69:70], v[69:70], v[74:75]
	buffer_store_dword v70, off, s[0:3], 0 offset:28
	buffer_store_dword v69, off, s[0:3], 0 offset:24
.LBB33_21:
	s_or_b64 exec, exec, s[4:5]
	; wave barrier
	buffer_load_dword v69, off, s[0:3], 0 offset:32
	buffer_load_dword v70, off, s[0:3], 0 offset:36
	v_cmp_gt_u32_e32 vcc, 4, v0
	s_waitcnt vmcnt(0)
	ds_write_b64 v72, v[69:70]
	s_waitcnt lgkmcnt(0)
	; wave barrier
	s_and_saveexec_b64 s[4:5], vcc
	s_cbranch_execz .LBB33_25
; %bb.22:
	v_mov_b32_e32 v69, 0
	v_add_u32_e32 v74, -1, v0
	v_add_u32_e32 v75, 0x110, v71
	v_mov_b32_e32 v76, v71
	v_mov_b32_e32 v70, 0
	s_mov_b64 s[8:9], 0
.LBB33_23:                              ; =>This Inner Loop Header: Depth=1
	buffer_load_dword v77, v76, s[0:3], 0 offen
	buffer_load_dword v78, v76, s[0:3], 0 offen offset:4
	ds_read_b64 v[79:80], v75
	v_add_u32_e32 v74, 1, v74
	v_cmp_lt_u32_e32 vcc, 2, v74
	v_add_u32_e32 v75, 8, v75
	s_or_b64 s[8:9], vcc, s[8:9]
	v_add_u32_e32 v76, 8, v76
	s_waitcnt vmcnt(0) lgkmcnt(0)
	v_fma_f64 v[69:70], v[77:78], v[79:80], v[69:70]
	s_andn2_b64 exec, exec, s[8:9]
	s_cbranch_execnz .LBB33_23
; %bb.24:
	s_or_b64 exec, exec, s[8:9]
	v_mov_b32_e32 v74, 0
	ds_read_b64 v[74:75], v74 offset:32
	s_waitcnt lgkmcnt(0)
	v_mul_f64 v[69:70], v[69:70], v[74:75]
	buffer_store_dword v70, off, s[0:3], 0 offset:36
	buffer_store_dword v69, off, s[0:3], 0 offset:32
.LBB33_25:
	s_or_b64 exec, exec, s[4:5]
	; wave barrier
	buffer_load_dword v69, off, s[0:3], 0 offset:40
	buffer_load_dword v70, off, s[0:3], 0 offset:44
	v_cmp_gt_u32_e32 vcc, 5, v0
	;; [unrolled: 40-line block ×21, first 2 shown]
	s_waitcnt vmcnt(0)
	ds_write_b64 v72, v[69:70]
	s_waitcnt lgkmcnt(0)
	; wave barrier
	s_and_saveexec_b64 s[4:5], vcc
	s_cbranch_execz .LBB33_105
; %bb.102:
	v_mov_b32_e32 v69, 0
	v_add_u32_e32 v74, -1, v0
	v_add_u32_e32 v75, 0x110, v71
	v_mov_b32_e32 v76, v71
	v_mov_b32_e32 v70, 0
	s_mov_b64 s[8:9], 0
.LBB33_103:                             ; =>This Inner Loop Header: Depth=1
	buffer_load_dword v77, v76, s[0:3], 0 offen
	buffer_load_dword v78, v76, s[0:3], 0 offen offset:4
	ds_read_b64 v[79:80], v75
	v_add_u32_e32 v74, 1, v74
	v_cmp_lt_u32_e32 vcc, 22, v74
	v_add_u32_e32 v75, 8, v75
	s_or_b64 s[8:9], vcc, s[8:9]
	v_add_u32_e32 v76, 8, v76
	s_waitcnt vmcnt(0) lgkmcnt(0)
	v_fma_f64 v[69:70], v[77:78], v[79:80], v[69:70]
	s_andn2_b64 exec, exec, s[8:9]
	s_cbranch_execnz .LBB33_103
; %bb.104:
	s_or_b64 exec, exec, s[8:9]
	v_mov_b32_e32 v74, 0
	ds_read_b64 v[74:75], v74 offset:192
	s_waitcnt lgkmcnt(0)
	v_mul_f64 v[69:70], v[69:70], v[74:75]
	buffer_store_dword v70, off, s[0:3], 0 offset:196
	buffer_store_dword v69, off, s[0:3], 0 offset:192
.LBB33_105:
	s_or_b64 exec, exec, s[4:5]
	; wave barrier
	buffer_load_dword v69, off, s[0:3], 0 offset:200
	buffer_load_dword v70, off, s[0:3], 0 offset:204
	v_cmp_gt_u32_e32 vcc, 25, v0
	s_waitcnt vmcnt(0)
	ds_write_b64 v72, v[69:70]
	s_waitcnt lgkmcnt(0)
	; wave barrier
	s_and_saveexec_b64 s[4:5], vcc
	s_cbranch_execz .LBB33_109
; %bb.106:
	v_mov_b32_e32 v69, 0
	v_add_u32_e32 v74, -1, v0
	v_add_u32_e32 v75, 0x110, v71
	v_mov_b32_e32 v76, v71
	v_mov_b32_e32 v70, 0
	s_mov_b64 s[8:9], 0
.LBB33_107:                             ; =>This Inner Loop Header: Depth=1
	buffer_load_dword v77, v76, s[0:3], 0 offen
	buffer_load_dword v78, v76, s[0:3], 0 offen offset:4
	ds_read_b64 v[79:80], v75
	v_add_u32_e32 v74, 1, v74
	v_cmp_lt_u32_e32 vcc, 23, v74
	v_add_u32_e32 v75, 8, v75
	s_or_b64 s[8:9], vcc, s[8:9]
	v_add_u32_e32 v76, 8, v76
	s_waitcnt vmcnt(0) lgkmcnt(0)
	v_fma_f64 v[69:70], v[77:78], v[79:80], v[69:70]
	s_andn2_b64 exec, exec, s[8:9]
	s_cbranch_execnz .LBB33_107
; %bb.108:
	s_or_b64 exec, exec, s[8:9]
	v_mov_b32_e32 v74, 0
	ds_read_b64 v[74:75], v74 offset:200
	s_waitcnt lgkmcnt(0)
	v_mul_f64 v[69:70], v[69:70], v[74:75]
	buffer_store_dword v70, off, s[0:3], 0 offset:204
	buffer_store_dword v69, off, s[0:3], 0 offset:200
.LBB33_109:
	s_or_b64 exec, exec, s[4:5]
	; wave barrier
	buffer_load_dword v69, off, s[0:3], 0 offset:208
	buffer_load_dword v70, off, s[0:3], 0 offset:212
	v_cmp_gt_u32_e32 vcc, 26, v0
	;; [unrolled: 40-line block ×8, first 2 shown]
	s_waitcnt vmcnt(0)
	ds_write_b64 v72, v[69:70]
	s_waitcnt lgkmcnt(0)
	; wave barrier
	s_and_saveexec_b64 s[4:5], vcc
	s_cbranch_execz .LBB33_137
; %bb.134:
	v_mov_b32_e32 v69, 0
	v_add_u32_e32 v74, -1, v0
	v_add_u32_e32 v75, 0x110, v71
	v_mov_b32_e32 v76, v71
	v_mov_b32_e32 v70, 0
	s_mov_b64 s[8:9], 0
.LBB33_135:                             ; =>This Inner Loop Header: Depth=1
	buffer_load_dword v77, v76, s[0:3], 0 offen
	buffer_load_dword v78, v76, s[0:3], 0 offen offset:4
	ds_read_b64 v[79:80], v75
	v_add_u32_e32 v74, 1, v74
	v_cmp_lt_u32_e32 vcc, 30, v74
	v_add_u32_e32 v75, 8, v75
	s_or_b64 s[8:9], vcc, s[8:9]
	v_add_u32_e32 v76, 8, v76
	s_waitcnt vmcnt(0) lgkmcnt(0)
	v_fma_f64 v[69:70], v[77:78], v[79:80], v[69:70]
	s_andn2_b64 exec, exec, s[8:9]
	s_cbranch_execnz .LBB33_135
; %bb.136:
	s_or_b64 exec, exec, s[8:9]
	v_mov_b32_e32 v74, 0
	ds_read_b64 v[74:75], v74 offset:256
	s_waitcnt lgkmcnt(0)
	v_mul_f64 v[69:70], v[69:70], v[74:75]
	buffer_store_dword v70, off, s[0:3], 0 offset:260
	buffer_store_dword v69, off, s[0:3], 0 offset:256
.LBB33_137:
	s_or_b64 exec, exec, s[4:5]
	; wave barrier
	buffer_load_dword v69, off, s[0:3], 0 offset:264
	buffer_load_dword v70, off, s[0:3], 0 offset:268
	v_cmp_ne_u32_e32 vcc, 33, v0
	s_waitcnt vmcnt(0)
	ds_write_b64 v72, v[69:70]
	s_waitcnt lgkmcnt(0)
	; wave barrier
	s_and_saveexec_b64 s[4:5], vcc
	s_cbranch_execz .LBB33_141
; %bb.138:
	v_mov_b32_e32 v69, 0
	v_add_u32_e32 v72, 0x110, v71
	v_mov_b32_e32 v70, 0
	s_mov_b64 s[8:9], 0
.LBB33_139:                             ; =>This Inner Loop Header: Depth=1
	buffer_load_dword v74, v71, s[0:3], 0 offen
	buffer_load_dword v75, v71, s[0:3], 0 offen offset:4
	ds_read_b64 v[76:77], v72
	v_add_u32_e32 v73, 1, v73
	v_cmp_lt_u32_e32 vcc, 31, v73
	v_add_u32_e32 v72, 8, v72
	s_or_b64 s[8:9], vcc, s[8:9]
	v_add_u32_e32 v71, 8, v71
	s_waitcnt vmcnt(0) lgkmcnt(0)
	v_fma_f64 v[69:70], v[74:75], v[76:77], v[69:70]
	s_andn2_b64 exec, exec, s[8:9]
	s_cbranch_execnz .LBB33_139
; %bb.140:
	s_or_b64 exec, exec, s[8:9]
	v_mov_b32_e32 v71, 0
	ds_read_b64 v[71:72], v71 offset:264
	s_waitcnt lgkmcnt(0)
	v_mul_f64 v[69:70], v[69:70], v[71:72]
	buffer_store_dword v70, off, s[0:3], 0 offset:268
	buffer_store_dword v69, off, s[0:3], 0 offset:264
.LBB33_141:
	s_or_b64 exec, exec, s[4:5]
	s_mov_b64 s[8:9], -1
	; wave barrier
.LBB33_142:
	s_and_b64 vcc, exec, s[8:9]
	s_cbranch_vccz .LBB33_144
; %bb.143:
	s_lshl_b64 s[4:5], s[6:7], 2
	s_add_u32 s4, s10, s4
	s_addc_u32 s5, s11, s5
	v_mov_b32_e32 v69, 0
	global_load_dword v69, v69, s[4:5]
	s_waitcnt vmcnt(0)
	v_cmp_ne_u32_e32 vcc, 0, v69
	s_cbranch_vccz .LBB33_145
.LBB33_144:
	s_endpgm
.LBB33_145:
	v_mov_b32_e32 v69, 0x110
	v_lshl_add_u32 v69, v0, 3, v69
	v_cmp_eq_u32_e32 vcc, 33, v0
	s_and_saveexec_b64 s[4:5], vcc
	s_cbranch_execz .LBB33_147
; %bb.146:
	buffer_load_dword v70, off, s[0:3], 0 offset:256
	buffer_load_dword v71, off, s[0:3], 0 offset:260
	v_mov_b32_e32 v72, 0
	buffer_store_dword v72, off, s[0:3], 0 offset:256
	buffer_store_dword v72, off, s[0:3], 0 offset:260
	s_waitcnt vmcnt(2)
	ds_write_b64 v69, v[70:71]
.LBB33_147:
	s_or_b64 exec, exec, s[4:5]
	s_waitcnt lgkmcnt(0)
	; wave barrier
	buffer_load_dword v71, off, s[0:3], 0 offset:264
	buffer_load_dword v72, off, s[0:3], 0 offset:268
	;; [unrolled: 1-line block ×4, first 2 shown]
	v_mov_b32_e32 v70, 0
	ds_read_b64 v[75:76], v70 offset:536
	v_cmp_lt_u32_e32 vcc, 31, v0
	s_waitcnt vmcnt(2) lgkmcnt(0)
	v_fma_f64 v[71:72], v[71:72], v[75:76], 0
	s_waitcnt vmcnt(0)
	v_add_f64 v[71:72], v[73:74], -v[71:72]
	buffer_store_dword v71, off, s[0:3], 0 offset:256
	buffer_store_dword v72, off, s[0:3], 0 offset:260
	s_and_saveexec_b64 s[4:5], vcc
	s_cbranch_execz .LBB33_149
; %bb.148:
	buffer_load_dword v71, off, s[0:3], 0 offset:248
	buffer_load_dword v72, off, s[0:3], 0 offset:252
	s_waitcnt vmcnt(0)
	ds_write_b64 v69, v[71:72]
	buffer_store_dword v70, off, s[0:3], 0 offset:248
	buffer_store_dword v70, off, s[0:3], 0 offset:252
.LBB33_149:
	s_or_b64 exec, exec, s[4:5]
	s_waitcnt lgkmcnt(0)
	; wave barrier
	buffer_load_dword v74, off, s[0:3], 0 offset:256
	buffer_load_dword v75, off, s[0:3], 0 offset:260
	;; [unrolled: 1-line block ×6, first 2 shown]
	ds_read_b128 v[70:73], v70 offset:528
	v_cmp_lt_u32_e32 vcc, 30, v0
	s_waitcnt vmcnt(4) lgkmcnt(0)
	v_fma_f64 v[70:71], v[74:75], v[70:71], 0
	s_waitcnt vmcnt(2)
	v_fma_f64 v[70:71], v[76:77], v[72:73], v[70:71]
	s_waitcnt vmcnt(0)
	v_add_f64 v[70:71], v[78:79], -v[70:71]
	buffer_store_dword v70, off, s[0:3], 0 offset:248
	buffer_store_dword v71, off, s[0:3], 0 offset:252
	s_and_saveexec_b64 s[4:5], vcc
	s_cbranch_execz .LBB33_151
; %bb.150:
	buffer_load_dword v70, off, s[0:3], 0 offset:240
	buffer_load_dword v71, off, s[0:3], 0 offset:244
	v_mov_b32_e32 v72, 0
	buffer_store_dword v72, off, s[0:3], 0 offset:240
	buffer_store_dword v72, off, s[0:3], 0 offset:244
	s_waitcnt vmcnt(2)
	ds_write_b64 v69, v[70:71]
.LBB33_151:
	s_or_b64 exec, exec, s[4:5]
	s_waitcnt lgkmcnt(0)
	; wave barrier
	buffer_load_dword v75, off, s[0:3], 0 offset:248
	buffer_load_dword v76, off, s[0:3], 0 offset:252
	;; [unrolled: 1-line block ×8, first 2 shown]
	v_mov_b32_e32 v70, 0
	ds_read2_b64 v[71:74], v70 offset0:65 offset1:66
	v_cmp_lt_u32_e32 vcc, 29, v0
	s_waitcnt vmcnt(6) lgkmcnt(0)
	v_fma_f64 v[71:72], v[75:76], v[71:72], 0
	s_waitcnt vmcnt(4)
	v_fma_f64 v[71:72], v[77:78], v[73:74], v[71:72]
	ds_read_b64 v[73:74], v70 offset:536
	s_waitcnt vmcnt(2) lgkmcnt(0)
	v_fma_f64 v[71:72], v[79:80], v[73:74], v[71:72]
	s_waitcnt vmcnt(0)
	v_add_f64 v[71:72], v[81:82], -v[71:72]
	buffer_store_dword v71, off, s[0:3], 0 offset:240
	buffer_store_dword v72, off, s[0:3], 0 offset:244
	s_and_saveexec_b64 s[4:5], vcc
	s_cbranch_execz .LBB33_153
; %bb.152:
	buffer_load_dword v71, off, s[0:3], 0 offset:232
	buffer_load_dword v72, off, s[0:3], 0 offset:236
	s_waitcnt vmcnt(0)
	ds_write_b64 v69, v[71:72]
	buffer_store_dword v70, off, s[0:3], 0 offset:232
	buffer_store_dword v70, off, s[0:3], 0 offset:236
.LBB33_153:
	s_or_b64 exec, exec, s[4:5]
	s_waitcnt lgkmcnt(0)
	; wave barrier
	buffer_load_dword v79, off, s[0:3], 0 offset:240
	buffer_load_dword v80, off, s[0:3], 0 offset:244
	;; [unrolled: 1-line block ×10, first 2 shown]
	ds_read_b128 v[71:74], v70 offset:512
	ds_read_b128 v[75:78], v70 offset:528
	v_cmp_lt_u32_e32 vcc, 28, v0
	s_waitcnt vmcnt(8) lgkmcnt(1)
	v_fma_f64 v[70:71], v[79:80], v[71:72], 0
	s_waitcnt vmcnt(6)
	v_fma_f64 v[70:71], v[81:82], v[73:74], v[70:71]
	s_waitcnt vmcnt(4) lgkmcnt(0)
	v_fma_f64 v[70:71], v[83:84], v[75:76], v[70:71]
	s_waitcnt vmcnt(2)
	v_fma_f64 v[70:71], v[85:86], v[77:78], v[70:71]
	s_waitcnt vmcnt(0)
	v_add_f64 v[70:71], v[87:88], -v[70:71]
	buffer_store_dword v70, off, s[0:3], 0 offset:232
	buffer_store_dword v71, off, s[0:3], 0 offset:236
	s_and_saveexec_b64 s[4:5], vcc
	s_cbranch_execz .LBB33_155
; %bb.154:
	buffer_load_dword v70, off, s[0:3], 0 offset:224
	buffer_load_dword v71, off, s[0:3], 0 offset:228
	v_mov_b32_e32 v72, 0
	buffer_store_dword v72, off, s[0:3], 0 offset:224
	buffer_store_dword v72, off, s[0:3], 0 offset:228
	s_waitcnt vmcnt(2)
	ds_write_b64 v69, v[70:71]
.LBB33_155:
	s_or_b64 exec, exec, s[4:5]
	s_waitcnt lgkmcnt(0)
	; wave barrier
	buffer_load_dword v79, off, s[0:3], 0 offset:232
	buffer_load_dword v80, off, s[0:3], 0 offset:236
	;; [unrolled: 1-line block ×12, first 2 shown]
	v_mov_b32_e32 v70, 0
	ds_read2_b64 v[71:74], v70 offset0:63 offset1:64
	ds_read2_b64 v[75:78], v70 offset0:65 offset1:66
	v_cmp_lt_u32_e32 vcc, 27, v0
	s_waitcnt vmcnt(10) lgkmcnt(1)
	v_fma_f64 v[71:72], v[79:80], v[71:72], 0
	s_waitcnt vmcnt(8)
	v_fma_f64 v[71:72], v[81:82], v[73:74], v[71:72]
	ds_read_b64 v[73:74], v70 offset:536
	s_waitcnt vmcnt(6) lgkmcnt(1)
	v_fma_f64 v[71:72], v[83:84], v[75:76], v[71:72]
	s_waitcnt vmcnt(4)
	v_fma_f64 v[71:72], v[85:86], v[77:78], v[71:72]
	s_waitcnt vmcnt(2) lgkmcnt(0)
	v_fma_f64 v[71:72], v[87:88], v[73:74], v[71:72]
	s_waitcnt vmcnt(0)
	v_add_f64 v[71:72], v[89:90], -v[71:72]
	buffer_store_dword v71, off, s[0:3], 0 offset:224
	buffer_store_dword v72, off, s[0:3], 0 offset:228
	s_and_saveexec_b64 s[4:5], vcc
	s_cbranch_execz .LBB33_157
; %bb.156:
	buffer_load_dword v71, off, s[0:3], 0 offset:216
	buffer_load_dword v72, off, s[0:3], 0 offset:220
	s_waitcnt vmcnt(0)
	ds_write_b64 v69, v[71:72]
	buffer_store_dword v70, off, s[0:3], 0 offset:216
	buffer_store_dword v70, off, s[0:3], 0 offset:220
.LBB33_157:
	s_or_b64 exec, exec, s[4:5]
	s_waitcnt lgkmcnt(0)
	; wave barrier
	buffer_load_dword v79, off, s[0:3], 0 offset:224
	buffer_load_dword v80, off, s[0:3], 0 offset:228
	;; [unrolled: 1-line block ×14, first 2 shown]
	ds_read_b128 v[71:74], v70 offset:496
	ds_read_b128 v[75:78], v70 offset:512
	v_cmp_lt_u32_e32 vcc, 26, v0
	s_waitcnt vmcnt(12) lgkmcnt(1)
	v_fma_f64 v[71:72], v[79:80], v[71:72], 0
	s_waitcnt vmcnt(10)
	v_fma_f64 v[71:72], v[81:82], v[73:74], v[71:72]
	s_waitcnt vmcnt(8) lgkmcnt(0)
	v_fma_f64 v[71:72], v[83:84], v[75:76], v[71:72]
	s_waitcnt vmcnt(6)
	v_fma_f64 v[74:75], v[85:86], v[77:78], v[71:72]
	ds_read_b128 v[70:73], v70 offset:528
	s_waitcnt vmcnt(4) lgkmcnt(0)
	v_fma_f64 v[70:71], v[87:88], v[70:71], v[74:75]
	s_waitcnt vmcnt(2)
	v_fma_f64 v[70:71], v[89:90], v[72:73], v[70:71]
	s_waitcnt vmcnt(0)
	v_add_f64 v[70:71], v[91:92], -v[70:71]
	buffer_store_dword v70, off, s[0:3], 0 offset:216
	buffer_store_dword v71, off, s[0:3], 0 offset:220
	s_and_saveexec_b64 s[4:5], vcc
	s_cbranch_execz .LBB33_159
; %bb.158:
	buffer_load_dword v70, off, s[0:3], 0 offset:208
	buffer_load_dword v71, off, s[0:3], 0 offset:212
	v_mov_b32_e32 v72, 0
	buffer_store_dword v72, off, s[0:3], 0 offset:208
	buffer_store_dword v72, off, s[0:3], 0 offset:212
	s_waitcnt vmcnt(2)
	ds_write_b64 v69, v[70:71]
.LBB33_159:
	s_or_b64 exec, exec, s[4:5]
	s_waitcnt lgkmcnt(0)
	; wave barrier
	buffer_load_dword v79, off, s[0:3], 0 offset:216
	buffer_load_dword v80, off, s[0:3], 0 offset:220
	;; [unrolled: 1-line block ×16, first 2 shown]
	v_mov_b32_e32 v70, 0
	ds_read2_b64 v[71:74], v70 offset0:61 offset1:62
	ds_read2_b64 v[75:78], v70 offset0:63 offset1:64
	v_cmp_lt_u32_e32 vcc, 25, v0
	s_waitcnt vmcnt(14) lgkmcnt(1)
	v_fma_f64 v[71:72], v[79:80], v[71:72], 0
	s_waitcnt vmcnt(12)
	v_fma_f64 v[71:72], v[81:82], v[73:74], v[71:72]
	s_waitcnt vmcnt(10) lgkmcnt(0)
	v_fma_f64 v[71:72], v[83:84], v[75:76], v[71:72]
	s_waitcnt vmcnt(8)
	v_fma_f64 v[75:76], v[85:86], v[77:78], v[71:72]
	ds_read2_b64 v[71:74], v70 offset0:65 offset1:66
	ds_read_b64 v[77:78], v70 offset:536
	s_waitcnt vmcnt(6) lgkmcnt(1)
	v_fma_f64 v[71:72], v[87:88], v[71:72], v[75:76]
	s_waitcnt vmcnt(4)
	v_fma_f64 v[71:72], v[89:90], v[73:74], v[71:72]
	s_waitcnt vmcnt(2) lgkmcnt(0)
	v_fma_f64 v[71:72], v[91:92], v[77:78], v[71:72]
	s_waitcnt vmcnt(0)
	v_add_f64 v[71:72], v[93:94], -v[71:72]
	buffer_store_dword v71, off, s[0:3], 0 offset:208
	buffer_store_dword v72, off, s[0:3], 0 offset:212
	s_and_saveexec_b64 s[4:5], vcc
	s_cbranch_execz .LBB33_161
; %bb.160:
	buffer_load_dword v71, off, s[0:3], 0 offset:200
	buffer_load_dword v72, off, s[0:3], 0 offset:204
	s_waitcnt vmcnt(0)
	ds_write_b64 v69, v[71:72]
	buffer_store_dword v70, off, s[0:3], 0 offset:200
	buffer_store_dword v70, off, s[0:3], 0 offset:204
.LBB33_161:
	s_or_b64 exec, exec, s[4:5]
	s_waitcnt lgkmcnt(0)
	; wave barrier
	buffer_load_dword v79, off, s[0:3], 0 offset:208
	buffer_load_dword v80, off, s[0:3], 0 offset:212
	;; [unrolled: 1-line block ×18, first 2 shown]
	ds_read_b128 v[71:74], v70 offset:480
	ds_read_b128 v[75:78], v70 offset:496
	v_cmp_lt_u32_e32 vcc, 24, v0
	s_waitcnt vmcnt(16) lgkmcnt(1)
	v_fma_f64 v[71:72], v[79:80], v[71:72], 0
	s_waitcnt vmcnt(14)
	v_fma_f64 v[71:72], v[81:82], v[73:74], v[71:72]
	s_waitcnt vmcnt(12) lgkmcnt(0)
	v_fma_f64 v[71:72], v[83:84], v[75:76], v[71:72]
	s_waitcnt vmcnt(10)
	v_fma_f64 v[79:80], v[85:86], v[77:78], v[71:72]
	ds_read_b128 v[71:74], v70 offset:512
	ds_read_b128 v[75:78], v70 offset:528
	s_waitcnt vmcnt(8) lgkmcnt(1)
	v_fma_f64 v[70:71], v[87:88], v[71:72], v[79:80]
	s_waitcnt vmcnt(6)
	v_fma_f64 v[70:71], v[89:90], v[73:74], v[70:71]
	s_waitcnt vmcnt(4) lgkmcnt(0)
	v_fma_f64 v[70:71], v[91:92], v[75:76], v[70:71]
	s_waitcnt vmcnt(2)
	v_fma_f64 v[70:71], v[93:94], v[77:78], v[70:71]
	s_waitcnt vmcnt(0)
	v_add_f64 v[70:71], v[95:96], -v[70:71]
	buffer_store_dword v70, off, s[0:3], 0 offset:200
	buffer_store_dword v71, off, s[0:3], 0 offset:204
	s_and_saveexec_b64 s[4:5], vcc
	s_cbranch_execz .LBB33_163
; %bb.162:
	buffer_load_dword v70, off, s[0:3], 0 offset:192
	buffer_load_dword v71, off, s[0:3], 0 offset:196
	v_mov_b32_e32 v72, 0
	buffer_store_dword v72, off, s[0:3], 0 offset:192
	buffer_store_dword v72, off, s[0:3], 0 offset:196
	s_waitcnt vmcnt(2)
	ds_write_b64 v69, v[70:71]
.LBB33_163:
	s_or_b64 exec, exec, s[4:5]
	s_waitcnt lgkmcnt(0)
	; wave barrier
	buffer_load_dword v79, off, s[0:3], 0 offset:200
	buffer_load_dword v80, off, s[0:3], 0 offset:204
	;; [unrolled: 1-line block ×20, first 2 shown]
	v_mov_b32_e32 v70, 0
	ds_read2_b64 v[71:74], v70 offset0:59 offset1:60
	ds_read2_b64 v[75:78], v70 offset0:61 offset1:62
	v_cmp_lt_u32_e32 vcc, 23, v0
	s_waitcnt vmcnt(18) lgkmcnt(1)
	v_fma_f64 v[71:72], v[79:80], v[71:72], 0
	s_waitcnt vmcnt(16)
	v_fma_f64 v[71:72], v[81:82], v[73:74], v[71:72]
	s_waitcnt vmcnt(14) lgkmcnt(0)
	v_fma_f64 v[71:72], v[83:84], v[75:76], v[71:72]
	s_waitcnt vmcnt(12)
	v_fma_f64 v[79:80], v[85:86], v[77:78], v[71:72]
	ds_read2_b64 v[71:74], v70 offset0:63 offset1:64
	ds_read2_b64 v[75:78], v70 offset0:65 offset1:66
	s_waitcnt vmcnt(10) lgkmcnt(1)
	v_fma_f64 v[71:72], v[87:88], v[71:72], v[79:80]
	s_waitcnt vmcnt(8)
	v_fma_f64 v[71:72], v[89:90], v[73:74], v[71:72]
	ds_read_b64 v[73:74], v70 offset:536
	s_waitcnt vmcnt(6) lgkmcnt(1)
	v_fma_f64 v[71:72], v[91:92], v[75:76], v[71:72]
	s_waitcnt vmcnt(3)
	v_fma_f64 v[71:72], v[93:94], v[77:78], v[71:72]
	s_waitcnt vmcnt(2) lgkmcnt(0)
	v_fma_f64 v[71:72], v[95:96], v[73:74], v[71:72]
	s_waitcnt vmcnt(0)
	v_add_f64 v[71:72], v[97:98], -v[71:72]
	buffer_store_dword v71, off, s[0:3], 0 offset:192
	buffer_store_dword v72, off, s[0:3], 0 offset:196
	s_and_saveexec_b64 s[4:5], vcc
	s_cbranch_execz .LBB33_165
; %bb.164:
	buffer_load_dword v71, off, s[0:3], 0 offset:184
	buffer_load_dword v72, off, s[0:3], 0 offset:188
	s_waitcnt vmcnt(0)
	ds_write_b64 v69, v[71:72]
	buffer_store_dword v70, off, s[0:3], 0 offset:184
	buffer_store_dword v70, off, s[0:3], 0 offset:188
.LBB33_165:
	s_or_b64 exec, exec, s[4:5]
	s_waitcnt lgkmcnt(0)
	; wave barrier
	buffer_load_dword v79, off, s[0:3], 0 offset:192
	buffer_load_dword v80, off, s[0:3], 0 offset:196
	;; [unrolled: 1-line block ×20, first 2 shown]
	ds_read_b128 v[71:74], v70 offset:464
	buffer_load_dword v99, off, s[0:3], 0 offset:184
	buffer_load_dword v100, off, s[0:3], 0 offset:188
	ds_read_b128 v[75:78], v70 offset:480
	v_cmp_lt_u32_e32 vcc, 22, v0
	s_waitcnt vmcnt(20) lgkmcnt(1)
	v_fma_f64 v[71:72], v[79:80], v[71:72], 0
	s_waitcnt vmcnt(18)
	v_fma_f64 v[71:72], v[81:82], v[73:74], v[71:72]
	s_waitcnt vmcnt(16) lgkmcnt(0)
	v_fma_f64 v[71:72], v[83:84], v[75:76], v[71:72]
	s_waitcnt vmcnt(14)
	v_fma_f64 v[79:80], v[85:86], v[77:78], v[71:72]
	ds_read_b128 v[71:74], v70 offset:496
	ds_read_b128 v[75:78], v70 offset:512
	s_waitcnt vmcnt(12) lgkmcnt(1)
	v_fma_f64 v[71:72], v[87:88], v[71:72], v[79:80]
	s_waitcnt vmcnt(10)
	v_fma_f64 v[71:72], v[89:90], v[73:74], v[71:72]
	s_waitcnt vmcnt(8) lgkmcnt(0)
	v_fma_f64 v[71:72], v[91:92], v[75:76], v[71:72]
	s_waitcnt vmcnt(4)
	v_fma_f64 v[74:75], v[93:94], v[77:78], v[71:72]
	ds_read_b128 v[70:73], v70 offset:528
	s_waitcnt vmcnt(3) lgkmcnt(0)
	v_fma_f64 v[70:71], v[97:98], v[70:71], v[74:75]
	s_waitcnt vmcnt(2)
	v_fma_f64 v[70:71], v[95:96], v[72:73], v[70:71]
	s_waitcnt vmcnt(0)
	v_add_f64 v[70:71], v[99:100], -v[70:71]
	buffer_store_dword v70, off, s[0:3], 0 offset:184
	buffer_store_dword v71, off, s[0:3], 0 offset:188
	s_and_saveexec_b64 s[4:5], vcc
	s_cbranch_execz .LBB33_167
; %bb.166:
	buffer_load_dword v70, off, s[0:3], 0 offset:176
	buffer_load_dword v71, off, s[0:3], 0 offset:180
	v_mov_b32_e32 v72, 0
	buffer_store_dword v72, off, s[0:3], 0 offset:176
	buffer_store_dword v72, off, s[0:3], 0 offset:180
	s_waitcnt vmcnt(2)
	ds_write_b64 v69, v[70:71]
.LBB33_167:
	s_or_b64 exec, exec, s[4:5]
	s_waitcnt lgkmcnt(0)
	; wave barrier
	buffer_load_dword v79, off, s[0:3], 0 offset:184
	buffer_load_dword v80, off, s[0:3], 0 offset:188
	;; [unrolled: 1-line block ×21, first 2 shown]
	v_mov_b32_e32 v70, 0
	ds_read2_b64 v[71:74], v70 offset0:57 offset1:58
	ds_read2_b64 v[75:78], v70 offset0:59 offset1:60
	buffer_load_dword v96, off, s[0:3], 0 offset:268
	v_cmp_lt_u32_e32 vcc, 21, v0
	s_waitcnt vmcnt(20) lgkmcnt(1)
	v_fma_f64 v[71:72], v[79:80], v[71:72], 0
	buffer_load_dword v79, off, s[0:3], 0 offset:176
	buffer_load_dword v80, off, s[0:3], 0 offset:180
	s_waitcnt vmcnt(20)
	v_fma_f64 v[71:72], v[81:82], v[73:74], v[71:72]
	s_waitcnt vmcnt(18) lgkmcnt(0)
	v_fma_f64 v[71:72], v[83:84], v[75:76], v[71:72]
	s_waitcnt vmcnt(16)
	v_fma_f64 v[81:82], v[85:86], v[77:78], v[71:72]
	ds_read2_b64 v[71:74], v70 offset0:61 offset1:62
	ds_read2_b64 v[75:78], v70 offset0:63 offset1:64
	s_waitcnt vmcnt(14) lgkmcnt(1)
	v_fma_f64 v[71:72], v[87:88], v[71:72], v[81:82]
	s_waitcnt vmcnt(12)
	v_fma_f64 v[71:72], v[89:90], v[73:74], v[71:72]
	s_waitcnt vmcnt(10) lgkmcnt(0)
	v_fma_f64 v[71:72], v[91:92], v[75:76], v[71:72]
	s_waitcnt vmcnt(5)
	v_fma_f64 v[75:76], v[93:94], v[77:78], v[71:72]
	ds_read2_b64 v[71:74], v70 offset0:65 offset1:66
	ds_read_b64 v[77:78], v70 offset:536
	s_waitcnt vmcnt(4) lgkmcnt(1)
	v_fma_f64 v[71:72], v[99:100], v[71:72], v[75:76]
	s_waitcnt vmcnt(3)
	v_fma_f64 v[71:72], v[97:98], v[73:74], v[71:72]
	s_waitcnt vmcnt(2) lgkmcnt(0)
	v_fma_f64 v[71:72], v[95:96], v[77:78], v[71:72]
	s_waitcnt vmcnt(0)
	v_add_f64 v[71:72], v[79:80], -v[71:72]
	buffer_store_dword v72, off, s[0:3], 0 offset:180
	buffer_store_dword v71, off, s[0:3], 0 offset:176
	s_and_saveexec_b64 s[4:5], vcc
	s_cbranch_execz .LBB33_169
; %bb.168:
	buffer_load_dword v71, off, s[0:3], 0 offset:168
	buffer_load_dword v72, off, s[0:3], 0 offset:172
	s_waitcnt vmcnt(0)
	ds_write_b64 v69, v[71:72]
	buffer_store_dword v70, off, s[0:3], 0 offset:168
	buffer_store_dword v70, off, s[0:3], 0 offset:172
.LBB33_169:
	s_or_b64 exec, exec, s[4:5]
	s_waitcnt lgkmcnt(0)
	; wave barrier
	buffer_load_dword v79, off, s[0:3], 0 offset:176
	buffer_load_dword v80, off, s[0:3], 0 offset:180
	;; [unrolled: 1-line block ×21, first 2 shown]
	ds_read_b128 v[71:74], v70 offset:448
	ds_read_b128 v[75:78], v70 offset:464
	buffer_load_dword v96, off, s[0:3], 0 offset:260
	v_cmp_lt_u32_e32 vcc, 20, v0
	s_waitcnt vmcnt(20) lgkmcnt(1)
	v_fma_f64 v[71:72], v[79:80], v[71:72], 0
	buffer_load_dword v80, off, s[0:3], 0 offset:268
	buffer_load_dword v79, off, s[0:3], 0 offset:264
	s_waitcnt vmcnt(20)
	v_fma_f64 v[71:72], v[81:82], v[73:74], v[71:72]
	buffer_load_dword v81, off, s[0:3], 0 offset:168
	buffer_load_dword v82, off, s[0:3], 0 offset:172
	s_waitcnt vmcnt(20) lgkmcnt(0)
	v_fma_f64 v[71:72], v[83:84], v[75:76], v[71:72]
	s_waitcnt vmcnt(18)
	v_fma_f64 v[83:84], v[85:86], v[77:78], v[71:72]
	ds_read_b128 v[71:74], v70 offset:480
	ds_read_b128 v[75:78], v70 offset:496
	s_waitcnt vmcnt(16) lgkmcnt(1)
	v_fma_f64 v[71:72], v[87:88], v[71:72], v[83:84]
	s_waitcnt vmcnt(14)
	v_fma_f64 v[71:72], v[89:90], v[73:74], v[71:72]
	s_waitcnt vmcnt(12) lgkmcnt(0)
	v_fma_f64 v[71:72], v[91:92], v[75:76], v[71:72]
	s_waitcnt vmcnt(7)
	v_fma_f64 v[83:84], v[93:94], v[77:78], v[71:72]
	ds_read_b128 v[71:74], v70 offset:512
	ds_read_b128 v[75:78], v70 offset:528
	s_waitcnt vmcnt(6) lgkmcnt(1)
	v_fma_f64 v[70:71], v[99:100], v[71:72], v[83:84]
	s_waitcnt vmcnt(5)
	v_fma_f64 v[70:71], v[97:98], v[73:74], v[70:71]
	s_waitcnt vmcnt(4) lgkmcnt(0)
	v_fma_f64 v[70:71], v[95:96], v[75:76], v[70:71]
	s_waitcnt vmcnt(2)
	v_fma_f64 v[70:71], v[79:80], v[77:78], v[70:71]
	s_waitcnt vmcnt(0)
	v_add_f64 v[70:71], v[81:82], -v[70:71]
	buffer_store_dword v71, off, s[0:3], 0 offset:172
	buffer_store_dword v70, off, s[0:3], 0 offset:168
	s_and_saveexec_b64 s[4:5], vcc
	s_cbranch_execz .LBB33_171
; %bb.170:
	buffer_load_dword v70, off, s[0:3], 0 offset:160
	buffer_load_dword v71, off, s[0:3], 0 offset:164
	v_mov_b32_e32 v72, 0
	buffer_store_dword v72, off, s[0:3], 0 offset:160
	buffer_store_dword v72, off, s[0:3], 0 offset:164
	s_waitcnt vmcnt(2)
	ds_write_b64 v69, v[70:71]
.LBB33_171:
	s_or_b64 exec, exec, s[4:5]
	s_waitcnt lgkmcnt(0)
	; wave barrier
	buffer_load_dword v79, off, s[0:3], 0 offset:168
	buffer_load_dword v80, off, s[0:3], 0 offset:172
	;; [unrolled: 1-line block ×21, first 2 shown]
	v_mov_b32_e32 v70, 0
	ds_read2_b64 v[71:74], v70 offset0:55 offset1:56
	ds_read2_b64 v[75:78], v70 offset0:57 offset1:58
	buffer_load_dword v96, off, s[0:3], 0 offset:252
	v_cmp_lt_u32_e32 vcc, 19, v0
	s_waitcnt vmcnt(20) lgkmcnt(1)
	v_fma_f64 v[71:72], v[79:80], v[71:72], 0
	s_waitcnt vmcnt(18)
	v_fma_f64 v[71:72], v[81:82], v[73:74], v[71:72]
	buffer_load_dword v80, off, s[0:3], 0 offset:260
	buffer_load_dword v81, off, s[0:3], 0 offset:264
	;; [unrolled: 1-line block ×4, first 2 shown]
	s_waitcnt vmcnt(20) lgkmcnt(0)
	v_fma_f64 v[71:72], v[83:84], v[75:76], v[71:72]
	buffer_load_dword v83, off, s[0:3], 0 offset:160
	buffer_load_dword v84, off, s[0:3], 0 offset:164
	s_waitcnt vmcnt(20)
	v_fma_f64 v[85:86], v[85:86], v[77:78], v[71:72]
	ds_read2_b64 v[71:74], v70 offset0:59 offset1:60
	ds_read2_b64 v[75:78], v70 offset0:61 offset1:62
	s_waitcnt vmcnt(18) lgkmcnt(1)
	v_fma_f64 v[71:72], v[87:88], v[71:72], v[85:86]
	s_waitcnt vmcnt(16)
	v_fma_f64 v[71:72], v[89:90], v[73:74], v[71:72]
	s_waitcnt vmcnt(14) lgkmcnt(0)
	v_fma_f64 v[71:72], v[91:92], v[75:76], v[71:72]
	s_waitcnt vmcnt(9)
	v_fma_f64 v[85:86], v[93:94], v[77:78], v[71:72]
	ds_read2_b64 v[71:74], v70 offset0:63 offset1:64
	ds_read2_b64 v[75:78], v70 offset0:65 offset1:66
	s_waitcnt vmcnt(8) lgkmcnt(1)
	v_fma_f64 v[71:72], v[99:100], v[71:72], v[85:86]
	s_waitcnt vmcnt(7)
	v_fma_f64 v[71:72], v[97:98], v[73:74], v[71:72]
	ds_read_b64 v[73:74], v70 offset:536
	s_waitcnt vmcnt(6) lgkmcnt(1)
	v_fma_f64 v[71:72], v[95:96], v[75:76], v[71:72]
	s_waitcnt vmcnt(3)
	v_fma_f64 v[71:72], v[79:80], v[77:78], v[71:72]
	s_waitcnt vmcnt(2) lgkmcnt(0)
	v_fma_f64 v[71:72], v[81:82], v[73:74], v[71:72]
	s_waitcnt vmcnt(0)
	v_add_f64 v[71:72], v[83:84], -v[71:72]
	buffer_store_dword v72, off, s[0:3], 0 offset:164
	buffer_store_dword v71, off, s[0:3], 0 offset:160
	s_and_saveexec_b64 s[4:5], vcc
	s_cbranch_execz .LBB33_173
; %bb.172:
	buffer_load_dword v71, off, s[0:3], 0 offset:152
	buffer_load_dword v72, off, s[0:3], 0 offset:156
	s_waitcnt vmcnt(0)
	ds_write_b64 v69, v[71:72]
	buffer_store_dword v70, off, s[0:3], 0 offset:152
	buffer_store_dword v70, off, s[0:3], 0 offset:156
.LBB33_173:
	s_or_b64 exec, exec, s[4:5]
	s_waitcnt lgkmcnt(0)
	; wave barrier
	buffer_load_dword v79, off, s[0:3], 0 offset:160
	buffer_load_dword v80, off, s[0:3], 0 offset:164
	;; [unrolled: 1-line block ×22, first 2 shown]
	ds_read_b128 v[71:74], v70 offset:432
	ds_read_b128 v[75:78], v70 offset:448
	v_cmp_lt_u32_e32 vcc, 18, v0
	s_waitcnt vmcnt(20) lgkmcnt(1)
	v_fma_f64 v[71:72], v[79:80], v[71:72], 0
	s_waitcnt vmcnt(18)
	v_fma_f64 v[71:72], v[81:82], v[73:74], v[71:72]
	buffer_load_dword v80, off, s[0:3], 0 offset:252
	buffer_load_dword v81, off, s[0:3], 0 offset:264
	;; [unrolled: 1-line block ×6, first 2 shown]
	s_waitcnt vmcnt(22) lgkmcnt(0)
	v_fma_f64 v[71:72], v[83:84], v[75:76], v[71:72]
	s_waitcnt vmcnt(20)
	v_fma_f64 v[83:84], v[85:86], v[77:78], v[71:72]
	ds_read_b128 v[71:74], v70 offset:464
	buffer_load_dword v85, off, s[0:3], 0 offset:152
	buffer_load_dword v86, off, s[0:3], 0 offset:156
	ds_read_b128 v[75:78], v70 offset:480
	s_waitcnt vmcnt(20) lgkmcnt(1)
	v_fma_f64 v[71:72], v[87:88], v[71:72], v[83:84]
	s_waitcnt vmcnt(18)
	v_fma_f64 v[71:72], v[89:90], v[73:74], v[71:72]
	s_waitcnt vmcnt(16) lgkmcnt(0)
	v_fma_f64 v[71:72], v[91:92], v[75:76], v[71:72]
	s_waitcnt vmcnt(11)
	v_fma_f64 v[83:84], v[93:94], v[77:78], v[71:72]
	ds_read_b128 v[71:74], v70 offset:496
	ds_read_b128 v[75:78], v70 offset:512
	s_waitcnt vmcnt(10) lgkmcnt(1)
	v_fma_f64 v[71:72], v[99:100], v[71:72], v[83:84]
	s_waitcnt vmcnt(9)
	v_fma_f64 v[71:72], v[97:98], v[73:74], v[71:72]
	s_waitcnt vmcnt(8) lgkmcnt(0)
	v_fma_f64 v[71:72], v[95:96], v[75:76], v[71:72]
	s_waitcnt vmcnt(4)
	v_fma_f64 v[74:75], v[79:80], v[77:78], v[71:72]
	ds_read_b128 v[70:73], v70 offset:528
	s_waitcnt vmcnt(3) lgkmcnt(0)
	v_fma_f64 v[70:71], v[101:102], v[70:71], v[74:75]
	s_waitcnt vmcnt(2)
	v_fma_f64 v[70:71], v[81:82], v[72:73], v[70:71]
	s_waitcnt vmcnt(0)
	v_add_f64 v[70:71], v[85:86], -v[70:71]
	buffer_store_dword v71, off, s[0:3], 0 offset:156
	buffer_store_dword v70, off, s[0:3], 0 offset:152
	s_and_saveexec_b64 s[4:5], vcc
	s_cbranch_execz .LBB33_175
; %bb.174:
	buffer_load_dword v70, off, s[0:3], 0 offset:144
	buffer_load_dword v71, off, s[0:3], 0 offset:148
	v_mov_b32_e32 v72, 0
	buffer_store_dword v72, off, s[0:3], 0 offset:144
	buffer_store_dword v72, off, s[0:3], 0 offset:148
	s_waitcnt vmcnt(2)
	ds_write_b64 v69, v[70:71]
.LBB33_175:
	s_or_b64 exec, exec, s[4:5]
	s_waitcnt lgkmcnt(0)
	; wave barrier
	buffer_load_dword v79, off, s[0:3], 0 offset:152
	buffer_load_dword v80, off, s[0:3], 0 offset:156
	;; [unrolled: 1-line block ×22, first 2 shown]
	v_mov_b32_e32 v70, 0
	ds_read2_b64 v[71:74], v70 offset0:53 offset1:54
	ds_read2_b64 v[75:78], v70 offset0:55 offset1:56
	v_cmp_lt_u32_e32 vcc, 17, v0
	s_waitcnt vmcnt(20) lgkmcnt(1)
	v_fma_f64 v[71:72], v[79:80], v[71:72], 0
	s_waitcnt vmcnt(18)
	v_fma_f64 v[71:72], v[81:82], v[73:74], v[71:72]
	buffer_load_dword v80, off, s[0:3], 0 offset:244
	buffer_load_dword v81, off, s[0:3], 0 offset:264
	;; [unrolled: 1-line block ×8, first 2 shown]
	s_waitcnt vmcnt(24) lgkmcnt(0)
	v_fma_f64 v[71:72], v[83:84], v[75:76], v[71:72]
	s_waitcnt vmcnt(22)
	v_fma_f64 v[83:84], v[85:86], v[77:78], v[71:72]
	ds_read2_b64 v[71:74], v70 offset0:57 offset1:58
	ds_read2_b64 v[75:78], v70 offset0:59 offset1:60
	s_waitcnt vmcnt(20) lgkmcnt(1)
	v_fma_f64 v[71:72], v[87:88], v[71:72], v[83:84]
	buffer_load_dword v83, off, s[0:3], 0 offset:144
	buffer_load_dword v84, off, s[0:3], 0 offset:148
	s_waitcnt vmcnt(20)
	v_fma_f64 v[71:72], v[89:90], v[73:74], v[71:72]
	s_waitcnt vmcnt(18) lgkmcnt(0)
	v_fma_f64 v[71:72], v[91:92], v[75:76], v[71:72]
	s_waitcnt vmcnt(13)
	v_fma_f64 v[85:86], v[93:94], v[77:78], v[71:72]
	ds_read2_b64 v[71:74], v70 offset0:61 offset1:62
	ds_read2_b64 v[75:78], v70 offset0:63 offset1:64
	s_waitcnt vmcnt(12) lgkmcnt(1)
	v_fma_f64 v[71:72], v[99:100], v[71:72], v[85:86]
	s_waitcnt vmcnt(11)
	v_fma_f64 v[71:72], v[97:98], v[73:74], v[71:72]
	s_waitcnt vmcnt(10) lgkmcnt(0)
	v_fma_f64 v[71:72], v[95:96], v[75:76], v[71:72]
	s_waitcnt vmcnt(5)
	v_fma_f64 v[75:76], v[79:80], v[77:78], v[71:72]
	ds_read2_b64 v[71:74], v70 offset0:65 offset1:66
	ds_read_b64 v[77:78], v70 offset:536
	s_waitcnt vmcnt(4) lgkmcnt(1)
	v_fma_f64 v[71:72], v[103:104], v[71:72], v[75:76]
	s_waitcnt vmcnt(3)
	v_fma_f64 v[71:72], v[101:102], v[73:74], v[71:72]
	s_waitcnt vmcnt(2) lgkmcnt(0)
	v_fma_f64 v[71:72], v[81:82], v[77:78], v[71:72]
	s_waitcnt vmcnt(0)
	v_add_f64 v[71:72], v[83:84], -v[71:72]
	buffer_store_dword v72, off, s[0:3], 0 offset:148
	buffer_store_dword v71, off, s[0:3], 0 offset:144
	s_and_saveexec_b64 s[4:5], vcc
	s_cbranch_execz .LBB33_177
; %bb.176:
	buffer_load_dword v71, off, s[0:3], 0 offset:136
	buffer_load_dword v72, off, s[0:3], 0 offset:140
	s_waitcnt vmcnt(0)
	ds_write_b64 v69, v[71:72]
	buffer_store_dword v70, off, s[0:3], 0 offset:136
	buffer_store_dword v70, off, s[0:3], 0 offset:140
.LBB33_177:
	s_or_b64 exec, exec, s[4:5]
	s_waitcnt lgkmcnt(0)
	; wave barrier
	buffer_load_dword v79, off, s[0:3], 0 offset:144
	buffer_load_dword v80, off, s[0:3], 0 offset:148
	;; [unrolled: 1-line block ×22, first 2 shown]
	ds_read_b128 v[71:74], v70 offset:416
	ds_read_b128 v[75:78], v70 offset:432
	v_cmp_lt_u32_e32 vcc, 16, v0
	s_waitcnt vmcnt(20) lgkmcnt(1)
	v_fma_f64 v[71:72], v[79:80], v[71:72], 0
	s_waitcnt vmcnt(18)
	v_fma_f64 v[71:72], v[81:82], v[73:74], v[71:72]
	buffer_load_dword v80, off, s[0:3], 0 offset:236
	buffer_load_dword v81, off, s[0:3], 0 offset:256
	;; [unrolled: 1-line block ×8, first 2 shown]
	s_waitcnt vmcnt(24) lgkmcnt(0)
	v_fma_f64 v[71:72], v[83:84], v[75:76], v[71:72]
	s_waitcnt vmcnt(22)
	v_fma_f64 v[83:84], v[85:86], v[77:78], v[71:72]
	ds_read_b128 v[71:74], v70 offset:448
	ds_read_b128 v[75:78], v70 offset:464
	s_waitcnt vmcnt(20) lgkmcnt(1)
	v_fma_f64 v[71:72], v[87:88], v[71:72], v[83:84]
	buffer_load_dword v84, off, s[0:3], 0 offset:268
	buffer_load_dword v83, off, s[0:3], 0 offset:264
	;; [unrolled: 1-line block ×4, first 2 shown]
	s_waitcnt vmcnt(22)
	v_fma_f64 v[71:72], v[89:90], v[73:74], v[71:72]
	s_waitcnt vmcnt(20) lgkmcnt(0)
	v_fma_f64 v[71:72], v[91:92], v[75:76], v[71:72]
	s_waitcnt vmcnt(15)
	v_fma_f64 v[87:88], v[93:94], v[77:78], v[71:72]
	ds_read_b128 v[71:74], v70 offset:480
	ds_read_b128 v[75:78], v70 offset:496
	s_waitcnt vmcnt(14) lgkmcnt(1)
	v_fma_f64 v[71:72], v[99:100], v[71:72], v[87:88]
	s_waitcnt vmcnt(13)
	v_fma_f64 v[71:72], v[97:98], v[73:74], v[71:72]
	s_waitcnt vmcnt(12) lgkmcnt(0)
	v_fma_f64 v[71:72], v[95:96], v[75:76], v[71:72]
	s_waitcnt vmcnt(7)
	v_fma_f64 v[79:80], v[79:80], v[77:78], v[71:72]
	ds_read_b128 v[71:74], v70 offset:512
	ds_read_b128 v[75:78], v70 offset:528
	s_waitcnt vmcnt(6) lgkmcnt(1)
	v_fma_f64 v[70:71], v[103:104], v[71:72], v[79:80]
	s_waitcnt vmcnt(5)
	v_fma_f64 v[70:71], v[101:102], v[73:74], v[70:71]
	s_waitcnt vmcnt(4) lgkmcnt(0)
	v_fma_f64 v[70:71], v[81:82], v[75:76], v[70:71]
	s_waitcnt vmcnt(2)
	v_fma_f64 v[70:71], v[83:84], v[77:78], v[70:71]
	s_waitcnt vmcnt(0)
	v_add_f64 v[70:71], v[85:86], -v[70:71]
	buffer_store_dword v71, off, s[0:3], 0 offset:140
	buffer_store_dword v70, off, s[0:3], 0 offset:136
	s_and_saveexec_b64 s[4:5], vcc
	s_cbranch_execz .LBB33_179
; %bb.178:
	buffer_load_dword v70, off, s[0:3], 0 offset:128
	buffer_load_dword v71, off, s[0:3], 0 offset:132
	v_mov_b32_e32 v72, 0
	buffer_store_dword v72, off, s[0:3], 0 offset:128
	buffer_store_dword v72, off, s[0:3], 0 offset:132
	s_waitcnt vmcnt(2)
	ds_write_b64 v69, v[70:71]
.LBB33_179:
	s_or_b64 exec, exec, s[4:5]
	s_waitcnt lgkmcnt(0)
	; wave barrier
	buffer_load_dword v79, off, s[0:3], 0 offset:136
	buffer_load_dword v80, off, s[0:3], 0 offset:140
	;; [unrolled: 1-line block ×22, first 2 shown]
	v_mov_b32_e32 v70, 0
	ds_read2_b64 v[71:74], v70 offset0:51 offset1:52
	ds_read2_b64 v[75:78], v70 offset0:53 offset1:54
	v_cmp_lt_u32_e32 vcc, 15, v0
	s_waitcnt vmcnt(20) lgkmcnt(1)
	v_fma_f64 v[71:72], v[79:80], v[71:72], 0
	s_waitcnt vmcnt(18)
	v_fma_f64 v[71:72], v[81:82], v[73:74], v[71:72]
	buffer_load_dword v80, off, s[0:3], 0 offset:228
	buffer_load_dword v81, off, s[0:3], 0 offset:248
	buffer_load_dword v101, off, s[0:3], 0 offset:240
	buffer_load_dword v103, off, s[0:3], 0 offset:232
	buffer_load_dword v79, off, s[0:3], 0 offset:224
	buffer_load_dword v104, off, s[0:3], 0 offset:236
	buffer_load_dword v102, off, s[0:3], 0 offset:244
	s_waitcnt vmcnt(23) lgkmcnt(0)
	v_fma_f64 v[71:72], v[83:84], v[75:76], v[71:72]
	s_waitcnt vmcnt(21)
	v_fma_f64 v[82:83], v[85:86], v[77:78], v[71:72]
	ds_read2_b64 v[71:74], v70 offset0:55 offset1:56
	ds_read2_b64 v[75:78], v70 offset0:57 offset1:58
	s_waitcnt vmcnt(19) lgkmcnt(1)
	v_fma_f64 v[71:72], v[87:88], v[71:72], v[82:83]
	buffer_load_dword v82, off, s[0:3], 0 offset:252
	buffer_load_dword v84, off, s[0:3], 0 offset:260
	;; [unrolled: 1-line block ×7, first 2 shown]
	s_waitcnt vmcnt(24)
	v_fma_f64 v[71:72], v[89:90], v[73:74], v[71:72]
	s_waitcnt vmcnt(22) lgkmcnt(0)
	v_fma_f64 v[71:72], v[91:92], v[75:76], v[71:72]
	s_waitcnt vmcnt(17)
	v_fma_f64 v[89:90], v[93:94], v[77:78], v[71:72]
	ds_read2_b64 v[71:74], v70 offset0:59 offset1:60
	ds_read2_b64 v[75:78], v70 offset0:61 offset1:62
	s_waitcnt vmcnt(16) lgkmcnt(1)
	v_fma_f64 v[71:72], v[99:100], v[71:72], v[89:90]
	s_waitcnt vmcnt(15)
	v_fma_f64 v[71:72], v[97:98], v[73:74], v[71:72]
	s_waitcnt vmcnt(14) lgkmcnt(0)
	v_fma_f64 v[71:72], v[95:96], v[75:76], v[71:72]
	s_waitcnt vmcnt(9)
	v_fma_f64 v[79:80], v[79:80], v[77:78], v[71:72]
	ds_read2_b64 v[71:74], v70 offset0:63 offset1:64
	ds_read2_b64 v[75:78], v70 offset0:65 offset1:66
	s_waitcnt vmcnt(8) lgkmcnt(1)
	v_fma_f64 v[71:72], v[103:104], v[71:72], v[79:80]
	s_waitcnt vmcnt(7)
	v_fma_f64 v[71:72], v[101:102], v[73:74], v[71:72]
	ds_read_b64 v[73:74], v70 offset:536
	s_waitcnt vmcnt(6) lgkmcnt(1)
	v_fma_f64 v[71:72], v[81:82], v[75:76], v[71:72]
	s_waitcnt vmcnt(3)
	v_fma_f64 v[71:72], v[83:84], v[77:78], v[71:72]
	s_waitcnt vmcnt(2) lgkmcnt(0)
	v_fma_f64 v[71:72], v[85:86], v[73:74], v[71:72]
	s_waitcnt vmcnt(0)
	v_add_f64 v[71:72], v[87:88], -v[71:72]
	buffer_store_dword v72, off, s[0:3], 0 offset:132
	buffer_store_dword v71, off, s[0:3], 0 offset:128
	s_and_saveexec_b64 s[4:5], vcc
	s_cbranch_execz .LBB33_181
; %bb.180:
	buffer_load_dword v71, off, s[0:3], 0 offset:120
	buffer_load_dword v72, off, s[0:3], 0 offset:124
	s_waitcnt vmcnt(0)
	ds_write_b64 v69, v[71:72]
	buffer_store_dword v70, off, s[0:3], 0 offset:120
	buffer_store_dword v70, off, s[0:3], 0 offset:124
.LBB33_181:
	s_or_b64 exec, exec, s[4:5]
	s_waitcnt lgkmcnt(0)
	; wave barrier
	buffer_load_dword v79, off, s[0:3], 0 offset:128
	buffer_load_dword v80, off, s[0:3], 0 offset:132
	;; [unrolled: 1-line block ×22, first 2 shown]
	ds_read_b128 v[71:74], v70 offset:400
	ds_read_b128 v[75:78], v70 offset:416
	v_cmp_lt_u32_e32 vcc, 14, v0
	s_waitcnt vmcnt(20) lgkmcnt(1)
	v_fma_f64 v[71:72], v[79:80], v[71:72], 0
	s_waitcnt vmcnt(18)
	v_fma_f64 v[71:72], v[81:82], v[73:74], v[71:72]
	buffer_load_dword v80, off, s[0:3], 0 offset:220
	buffer_load_dword v81, off, s[0:3], 0 offset:240
	;; [unrolled: 1-line block ×7, first 2 shown]
	s_waitcnt vmcnt(23) lgkmcnt(0)
	v_fma_f64 v[71:72], v[83:84], v[75:76], v[71:72]
	s_waitcnt vmcnt(21)
	v_fma_f64 v[82:83], v[85:86], v[77:78], v[71:72]
	ds_read_b128 v[71:74], v70 offset:432
	ds_read_b128 v[75:78], v70 offset:448
	s_waitcnt vmcnt(19) lgkmcnt(1)
	v_fma_f64 v[71:72], v[87:88], v[71:72], v[82:83]
	buffer_load_dword v82, off, s[0:3], 0 offset:244
	buffer_load_dword v84, off, s[0:3], 0 offset:252
	;; [unrolled: 1-line block ×7, first 2 shown]
	s_waitcnt vmcnt(24)
	v_fma_f64 v[71:72], v[89:90], v[73:74], v[71:72]
	s_waitcnt vmcnt(22) lgkmcnt(0)
	v_fma_f64 v[71:72], v[91:92], v[75:76], v[71:72]
	s_waitcnt vmcnt(17)
	v_fma_f64 v[89:90], v[93:94], v[77:78], v[71:72]
	ds_read_b128 v[71:74], v70 offset:464
	buffer_load_dword v91, off, s[0:3], 0 offset:120
	buffer_load_dword v92, off, s[0:3], 0 offset:124
	ds_read_b128 v[75:78], v70 offset:480
	s_waitcnt vmcnt(18) lgkmcnt(1)
	v_fma_f64 v[71:72], v[99:100], v[71:72], v[89:90]
	s_waitcnt vmcnt(17)
	v_fma_f64 v[71:72], v[97:98], v[73:74], v[71:72]
	s_waitcnt vmcnt(16) lgkmcnt(0)
	v_fma_f64 v[71:72], v[95:96], v[75:76], v[71:72]
	s_waitcnt vmcnt(11)
	v_fma_f64 v[79:80], v[79:80], v[77:78], v[71:72]
	ds_read_b128 v[71:74], v70 offset:496
	ds_read_b128 v[75:78], v70 offset:512
	s_waitcnt vmcnt(10) lgkmcnt(1)
	v_fma_f64 v[71:72], v[103:104], v[71:72], v[79:80]
	s_waitcnt vmcnt(9)
	v_fma_f64 v[71:72], v[101:102], v[73:74], v[71:72]
	s_waitcnt vmcnt(8) lgkmcnt(0)
	v_fma_f64 v[71:72], v[81:82], v[75:76], v[71:72]
	s_waitcnt vmcnt(4)
	v_fma_f64 v[74:75], v[83:84], v[77:78], v[71:72]
	ds_read_b128 v[70:73], v70 offset:528
	s_waitcnt vmcnt(3) lgkmcnt(0)
	v_fma_f64 v[70:71], v[87:88], v[70:71], v[74:75]
	s_waitcnt vmcnt(2)
	v_fma_f64 v[70:71], v[85:86], v[72:73], v[70:71]
	s_waitcnt vmcnt(0)
	v_add_f64 v[70:71], v[91:92], -v[70:71]
	buffer_store_dword v71, off, s[0:3], 0 offset:124
	buffer_store_dword v70, off, s[0:3], 0 offset:120
	s_and_saveexec_b64 s[4:5], vcc
	s_cbranch_execz .LBB33_183
; %bb.182:
	buffer_load_dword v70, off, s[0:3], 0 offset:112
	buffer_load_dword v71, off, s[0:3], 0 offset:116
	v_mov_b32_e32 v72, 0
	buffer_store_dword v72, off, s[0:3], 0 offset:112
	buffer_store_dword v72, off, s[0:3], 0 offset:116
	s_waitcnt vmcnt(2)
	ds_write_b64 v69, v[70:71]
.LBB33_183:
	s_or_b64 exec, exec, s[4:5]
	s_waitcnt lgkmcnt(0)
	; wave barrier
	buffer_load_dword v79, off, s[0:3], 0 offset:120
	buffer_load_dword v80, off, s[0:3], 0 offset:124
	buffer_load_dword v81, off, s[0:3], 0 offset:128
	buffer_load_dword v82, off, s[0:3], 0 offset:132
	buffer_load_dword v83, off, s[0:3], 0 offset:136
	buffer_load_dword v84, off, s[0:3], 0 offset:140
	buffer_load_dword v85, off, s[0:3], 0 offset:144
	buffer_load_dword v86, off, s[0:3], 0 offset:148
	buffer_load_dword v87, off, s[0:3], 0 offset:152
	buffer_load_dword v88, off, s[0:3], 0 offset:156
	buffer_load_dword v89, off, s[0:3], 0 offset:160
	buffer_load_dword v90, off, s[0:3], 0 offset:164
	buffer_load_dword v91, off, s[0:3], 0 offset:168
	buffer_load_dword v92, off, s[0:3], 0 offset:172
	buffer_load_dword v94, off, s[0:3], 0 offset:180
	buffer_load_dword v95, off, s[0:3], 0 offset:200
	buffer_load_dword v97, off, s[0:3], 0 offset:192
	buffer_load_dword v99, off, s[0:3], 0 offset:184
	buffer_load_dword v93, off, s[0:3], 0 offset:176
	buffer_load_dword v100, off, s[0:3], 0 offset:188
	buffer_load_dword v98, off, s[0:3], 0 offset:196
	buffer_load_dword v96, off, s[0:3], 0 offset:204
	v_mov_b32_e32 v70, 0
	ds_read2_b64 v[71:74], v70 offset0:49 offset1:50
	ds_read2_b64 v[75:78], v70 offset0:51 offset1:52
	v_cmp_lt_u32_e32 vcc, 13, v0
	s_waitcnt vmcnt(20) lgkmcnt(1)
	v_fma_f64 v[71:72], v[79:80], v[71:72], 0
	s_waitcnt vmcnt(18)
	v_fma_f64 v[71:72], v[81:82], v[73:74], v[71:72]
	buffer_load_dword v80, off, s[0:3], 0 offset:212
	buffer_load_dword v81, off, s[0:3], 0 offset:232
	;; [unrolled: 1-line block ×7, first 2 shown]
	s_waitcnt vmcnt(23) lgkmcnt(0)
	v_fma_f64 v[71:72], v[83:84], v[75:76], v[71:72]
	s_waitcnt vmcnt(21)
	v_fma_f64 v[82:83], v[85:86], v[77:78], v[71:72]
	ds_read2_b64 v[71:74], v70 offset0:53 offset1:54
	ds_read2_b64 v[75:78], v70 offset0:55 offset1:56
	s_waitcnt vmcnt(19) lgkmcnt(1)
	v_fma_f64 v[71:72], v[87:88], v[71:72], v[82:83]
	buffer_load_dword v82, off, s[0:3], 0 offset:236
	s_waitcnt vmcnt(18)
	v_fma_f64 v[71:72], v[89:90], v[73:74], v[71:72]
	buffer_load_dword v84, off, s[0:3], 0 offset:244
	buffer_load_dword v85, off, s[0:3], 0 offset:264
	;; [unrolled: 1-line block ×8, first 2 shown]
	s_waitcnt vmcnt(24) lgkmcnt(0)
	v_fma_f64 v[71:72], v[91:92], v[75:76], v[71:72]
	s_waitcnt vmcnt(19)
	v_fma_f64 v[91:92], v[93:94], v[77:78], v[71:72]
	ds_read2_b64 v[71:74], v70 offset0:57 offset1:58
	ds_read2_b64 v[75:78], v70 offset0:59 offset1:60
	s_waitcnt vmcnt(18) lgkmcnt(1)
	v_fma_f64 v[71:72], v[99:100], v[71:72], v[91:92]
	buffer_load_dword v91, off, s[0:3], 0 offset:112
	buffer_load_dword v92, off, s[0:3], 0 offset:116
	s_waitcnt vmcnt(19)
	v_fma_f64 v[71:72], v[97:98], v[73:74], v[71:72]
	s_waitcnt vmcnt(18) lgkmcnt(0)
	v_fma_f64 v[71:72], v[95:96], v[75:76], v[71:72]
	s_waitcnt vmcnt(13)
	v_fma_f64 v[79:80], v[79:80], v[77:78], v[71:72]
	ds_read2_b64 v[71:74], v70 offset0:61 offset1:62
	ds_read2_b64 v[75:78], v70 offset0:63 offset1:64
	s_waitcnt vmcnt(12) lgkmcnt(1)
	v_fma_f64 v[71:72], v[103:104], v[71:72], v[79:80]
	s_waitcnt vmcnt(11)
	v_fma_f64 v[71:72], v[101:102], v[73:74], v[71:72]
	s_waitcnt vmcnt(10) lgkmcnt(0)
	v_fma_f64 v[71:72], v[81:82], v[75:76], v[71:72]
	s_waitcnt vmcnt(5)
	v_fma_f64 v[75:76], v[83:84], v[77:78], v[71:72]
	ds_read2_b64 v[71:74], v70 offset0:65 offset1:66
	ds_read_b64 v[77:78], v70 offset:536
	s_waitcnt vmcnt(4) lgkmcnt(1)
	v_fma_f64 v[71:72], v[89:90], v[71:72], v[75:76]
	s_waitcnt vmcnt(3)
	v_fma_f64 v[71:72], v[87:88], v[73:74], v[71:72]
	s_waitcnt vmcnt(2) lgkmcnt(0)
	v_fma_f64 v[71:72], v[85:86], v[77:78], v[71:72]
	s_waitcnt vmcnt(0)
	v_add_f64 v[71:72], v[91:92], -v[71:72]
	buffer_store_dword v72, off, s[0:3], 0 offset:116
	buffer_store_dword v71, off, s[0:3], 0 offset:112
	s_and_saveexec_b64 s[4:5], vcc
	s_cbranch_execz .LBB33_185
; %bb.184:
	buffer_load_dword v71, off, s[0:3], 0 offset:104
	buffer_load_dword v72, off, s[0:3], 0 offset:108
	s_waitcnt vmcnt(0)
	ds_write_b64 v69, v[71:72]
	buffer_store_dword v70, off, s[0:3], 0 offset:104
	buffer_store_dword v70, off, s[0:3], 0 offset:108
.LBB33_185:
	s_or_b64 exec, exec, s[4:5]
	s_waitcnt lgkmcnt(0)
	; wave barrier
	buffer_load_dword v79, off, s[0:3], 0 offset:112
	buffer_load_dword v80, off, s[0:3], 0 offset:116
	;; [unrolled: 1-line block ×22, first 2 shown]
	ds_read_b128 v[71:74], v70 offset:384
	ds_read_b128 v[75:78], v70 offset:400
	v_cmp_lt_u32_e32 vcc, 12, v0
	s_waitcnt vmcnt(20) lgkmcnt(1)
	v_fma_f64 v[71:72], v[79:80], v[71:72], 0
	s_waitcnt vmcnt(18)
	v_fma_f64 v[71:72], v[81:82], v[73:74], v[71:72]
	buffer_load_dword v80, off, s[0:3], 0 offset:204
	buffer_load_dword v81, off, s[0:3], 0 offset:224
	;; [unrolled: 1-line block ×7, first 2 shown]
	s_waitcnt vmcnt(23) lgkmcnt(0)
	v_fma_f64 v[71:72], v[83:84], v[75:76], v[71:72]
	s_waitcnt vmcnt(21)
	v_fma_f64 v[82:83], v[85:86], v[77:78], v[71:72]
	ds_read_b128 v[71:74], v70 offset:416
	ds_read_b128 v[75:78], v70 offset:432
	s_waitcnt vmcnt(19) lgkmcnt(1)
	v_fma_f64 v[71:72], v[87:88], v[71:72], v[82:83]
	buffer_load_dword v82, off, s[0:3], 0 offset:228
	s_waitcnt vmcnt(18)
	v_fma_f64 v[71:72], v[89:90], v[73:74], v[71:72]
	buffer_load_dword v84, off, s[0:3], 0 offset:236
	buffer_load_dword v85, off, s[0:3], 0 offset:256
	;; [unrolled: 1-line block ×8, first 2 shown]
	s_waitcnt vmcnt(24) lgkmcnt(0)
	v_fma_f64 v[71:72], v[91:92], v[75:76], v[71:72]
	s_waitcnt vmcnt(19)
	v_fma_f64 v[91:92], v[93:94], v[77:78], v[71:72]
	ds_read_b128 v[71:74], v70 offset:448
	ds_read_b128 v[75:78], v70 offset:464
	s_waitcnt vmcnt(18) lgkmcnt(1)
	v_fma_f64 v[71:72], v[99:100], v[71:72], v[91:92]
	buffer_load_dword v92, off, s[0:3], 0 offset:268
	buffer_load_dword v91, off, s[0:3], 0 offset:264
	buffer_load_dword v93, off, s[0:3], 0 offset:104
	buffer_load_dword v94, off, s[0:3], 0 offset:108
	s_waitcnt vmcnt(21)
	v_fma_f64 v[71:72], v[97:98], v[73:74], v[71:72]
	s_waitcnt vmcnt(20) lgkmcnt(0)
	v_fma_f64 v[71:72], v[95:96], v[75:76], v[71:72]
	s_waitcnt vmcnt(15)
	v_fma_f64 v[79:80], v[79:80], v[77:78], v[71:72]
	ds_read_b128 v[71:74], v70 offset:480
	ds_read_b128 v[75:78], v70 offset:496
	s_waitcnt vmcnt(14) lgkmcnt(1)
	v_fma_f64 v[71:72], v[103:104], v[71:72], v[79:80]
	s_waitcnt vmcnt(13)
	v_fma_f64 v[71:72], v[101:102], v[73:74], v[71:72]
	s_waitcnt vmcnt(12) lgkmcnt(0)
	v_fma_f64 v[71:72], v[81:82], v[75:76], v[71:72]
	s_waitcnt vmcnt(7)
	v_fma_f64 v[79:80], v[83:84], v[77:78], v[71:72]
	ds_read_b128 v[71:74], v70 offset:512
	ds_read_b128 v[75:78], v70 offset:528
	s_waitcnt vmcnt(6) lgkmcnt(1)
	v_fma_f64 v[70:71], v[89:90], v[71:72], v[79:80]
	s_waitcnt vmcnt(5)
	v_fma_f64 v[70:71], v[87:88], v[73:74], v[70:71]
	s_waitcnt vmcnt(4) lgkmcnt(0)
	v_fma_f64 v[70:71], v[85:86], v[75:76], v[70:71]
	s_waitcnt vmcnt(2)
	v_fma_f64 v[70:71], v[91:92], v[77:78], v[70:71]
	s_waitcnt vmcnt(0)
	v_add_f64 v[70:71], v[93:94], -v[70:71]
	buffer_store_dword v71, off, s[0:3], 0 offset:108
	buffer_store_dword v70, off, s[0:3], 0 offset:104
	s_and_saveexec_b64 s[4:5], vcc
	s_cbranch_execz .LBB33_187
; %bb.186:
	buffer_load_dword v70, off, s[0:3], 0 offset:96
	buffer_load_dword v71, off, s[0:3], 0 offset:100
	v_mov_b32_e32 v72, 0
	buffer_store_dword v72, off, s[0:3], 0 offset:96
	buffer_store_dword v72, off, s[0:3], 0 offset:100
	s_waitcnt vmcnt(2)
	ds_write_b64 v69, v[70:71]
.LBB33_187:
	s_or_b64 exec, exec, s[4:5]
	s_waitcnt lgkmcnt(0)
	; wave barrier
	buffer_load_dword v79, off, s[0:3], 0 offset:104
	buffer_load_dword v80, off, s[0:3], 0 offset:108
	;; [unrolled: 1-line block ×21, first 2 shown]
	v_mov_b32_e32 v70, 0
	ds_read2_b64 v[71:74], v70 offset0:47 offset1:48
	ds_read2_b64 v[75:78], v70 offset0:49 offset1:50
	buffer_load_dword v96, off, s[0:3], 0 offset:188
	v_cmp_lt_u32_e32 vcc, 11, v0
	s_waitcnt vmcnt(20) lgkmcnt(1)
	v_fma_f64 v[71:72], v[79:80], v[71:72], 0
	s_waitcnt vmcnt(18)
	v_fma_f64 v[71:72], v[81:82], v[73:74], v[71:72]
	buffer_load_dword v80, off, s[0:3], 0 offset:196
	buffer_load_dword v81, off, s[0:3], 0 offset:216
	;; [unrolled: 1-line block ×7, first 2 shown]
	s_waitcnt vmcnt(23) lgkmcnt(0)
	v_fma_f64 v[71:72], v[83:84], v[75:76], v[71:72]
	s_waitcnt vmcnt(21)
	v_fma_f64 v[82:83], v[85:86], v[77:78], v[71:72]
	ds_read2_b64 v[71:74], v70 offset0:51 offset1:52
	ds_read2_b64 v[75:78], v70 offset0:53 offset1:54
	s_waitcnt vmcnt(19) lgkmcnt(1)
	v_fma_f64 v[71:72], v[87:88], v[71:72], v[82:83]
	buffer_load_dword v82, off, s[0:3], 0 offset:220
	s_waitcnt vmcnt(18)
	v_fma_f64 v[71:72], v[89:90], v[73:74], v[71:72]
	buffer_load_dword v84, off, s[0:3], 0 offset:228
	buffer_load_dword v85, off, s[0:3], 0 offset:248
	;; [unrolled: 1-line block ×7, first 2 shown]
	s_waitcnt vmcnt(23) lgkmcnt(0)
	v_fma_f64 v[71:72], v[91:92], v[75:76], v[71:72]
	s_waitcnt vmcnt(18)
	v_fma_f64 v[91:92], v[93:94], v[77:78], v[71:72]
	ds_read2_b64 v[71:74], v70 offset0:55 offset1:56
	ds_read2_b64 v[75:78], v70 offset0:57 offset1:58
	buffer_load_dword v86, off, s[0:3], 0 offset:252
	s_waitcnt vmcnt(18) lgkmcnt(1)
	v_fma_f64 v[71:72], v[99:100], v[71:72], v[91:92]
	buffer_load_dword v92, off, s[0:3], 0 offset:260
	buffer_load_dword v93, off, s[0:3], 0 offset:264
	;; [unrolled: 1-line block ×4, first 2 shown]
	s_waitcnt vmcnt(21)
	v_fma_f64 v[71:72], v[97:98], v[73:74], v[71:72]
	s_waitcnt vmcnt(20) lgkmcnt(0)
	v_fma_f64 v[71:72], v[95:96], v[75:76], v[71:72]
	buffer_load_dword v95, off, s[0:3], 0 offset:96
	buffer_load_dword v96, off, s[0:3], 0 offset:100
	s_waitcnt vmcnt(17)
	v_fma_f64 v[79:80], v[79:80], v[77:78], v[71:72]
	ds_read2_b64 v[71:74], v70 offset0:59 offset1:60
	ds_read2_b64 v[75:78], v70 offset0:61 offset1:62
	s_waitcnt vmcnt(16) lgkmcnt(1)
	v_fma_f64 v[71:72], v[103:104], v[71:72], v[79:80]
	s_waitcnt vmcnt(15)
	v_fma_f64 v[71:72], v[101:102], v[73:74], v[71:72]
	s_waitcnt vmcnt(14) lgkmcnt(0)
	v_fma_f64 v[71:72], v[81:82], v[75:76], v[71:72]
	s_waitcnt vmcnt(9)
	v_fma_f64 v[79:80], v[83:84], v[77:78], v[71:72]
	ds_read2_b64 v[71:74], v70 offset0:63 offset1:64
	ds_read2_b64 v[75:78], v70 offset0:65 offset1:66
	s_waitcnt vmcnt(8) lgkmcnt(1)
	v_fma_f64 v[71:72], v[89:90], v[71:72], v[79:80]
	s_waitcnt vmcnt(7)
	v_fma_f64 v[71:72], v[87:88], v[73:74], v[71:72]
	ds_read_b64 v[73:74], v70 offset:536
	s_waitcnt vmcnt(6) lgkmcnt(1)
	v_fma_f64 v[71:72], v[85:86], v[75:76], v[71:72]
	s_waitcnt vmcnt(3)
	v_fma_f64 v[71:72], v[91:92], v[77:78], v[71:72]
	s_waitcnt vmcnt(2) lgkmcnt(0)
	v_fma_f64 v[71:72], v[93:94], v[73:74], v[71:72]
	s_waitcnt vmcnt(0)
	v_add_f64 v[71:72], v[95:96], -v[71:72]
	buffer_store_dword v72, off, s[0:3], 0 offset:100
	buffer_store_dword v71, off, s[0:3], 0 offset:96
	s_and_saveexec_b64 s[4:5], vcc
	s_cbranch_execz .LBB33_189
; %bb.188:
	buffer_load_dword v71, off, s[0:3], 0 offset:88
	buffer_load_dword v72, off, s[0:3], 0 offset:92
	s_waitcnt vmcnt(0)
	ds_write_b64 v69, v[71:72]
	buffer_store_dword v70, off, s[0:3], 0 offset:88
	buffer_store_dword v70, off, s[0:3], 0 offset:92
.LBB33_189:
	s_or_b64 exec, exec, s[4:5]
	s_waitcnt lgkmcnt(0)
	; wave barrier
	buffer_load_dword v79, off, s[0:3], 0 offset:96
	buffer_load_dword v80, off, s[0:3], 0 offset:100
	;; [unrolled: 1-line block ×21, first 2 shown]
	ds_read_b128 v[71:74], v70 offset:368
	ds_read_b128 v[75:78], v70 offset:384
	buffer_load_dword v96, off, s[0:3], 0 offset:180
	v_cmp_lt_u32_e32 vcc, 10, v0
	s_waitcnt vmcnt(20) lgkmcnt(1)
	v_fma_f64 v[71:72], v[79:80], v[71:72], 0
	s_waitcnt vmcnt(18)
	v_fma_f64 v[71:72], v[81:82], v[73:74], v[71:72]
	buffer_load_dword v80, off, s[0:3], 0 offset:188
	buffer_load_dword v81, off, s[0:3], 0 offset:208
	;; [unrolled: 1-line block ×7, first 2 shown]
	s_waitcnt vmcnt(23) lgkmcnt(0)
	v_fma_f64 v[71:72], v[83:84], v[75:76], v[71:72]
	s_waitcnt vmcnt(21)
	v_fma_f64 v[82:83], v[85:86], v[77:78], v[71:72]
	ds_read_b128 v[71:74], v70 offset:400
	ds_read_b128 v[75:78], v70 offset:416
	s_waitcnt vmcnt(19) lgkmcnt(1)
	v_fma_f64 v[71:72], v[87:88], v[71:72], v[82:83]
	buffer_load_dword v82, off, s[0:3], 0 offset:212
	s_waitcnt vmcnt(18)
	v_fma_f64 v[71:72], v[89:90], v[73:74], v[71:72]
	buffer_load_dword v84, off, s[0:3], 0 offset:220
	buffer_load_dword v85, off, s[0:3], 0 offset:240
	;; [unrolled: 1-line block ×8, first 2 shown]
	s_waitcnt vmcnt(24) lgkmcnt(0)
	v_fma_f64 v[71:72], v[91:92], v[75:76], v[71:72]
	s_waitcnt vmcnt(19)
	v_fma_f64 v[91:92], v[93:94], v[77:78], v[71:72]
	ds_read_b128 v[71:74], v70 offset:432
	ds_read_b128 v[75:78], v70 offset:448
	s_waitcnt vmcnt(18) lgkmcnt(1)
	v_fma_f64 v[71:72], v[99:100], v[71:72], v[91:92]
	s_waitcnt vmcnt(17)
	v_fma_f64 v[71:72], v[97:98], v[73:74], v[71:72]
	buffer_load_dword v92, off, s[0:3], 0 offset:252
	buffer_load_dword v93, off, s[0:3], 0 offset:264
	buffer_load_dword v97, off, s[0:3], 0 offset:256
	buffer_load_dword v91, off, s[0:3], 0 offset:248
	buffer_load_dword v98, off, s[0:3], 0 offset:260
	buffer_load_dword v94, off, s[0:3], 0 offset:268
	s_waitcnt vmcnt(22) lgkmcnt(0)
	v_fma_f64 v[71:72], v[95:96], v[75:76], v[71:72]
	s_waitcnt vmcnt(17)
	v_fma_f64 v[79:80], v[79:80], v[77:78], v[71:72]
	ds_read_b128 v[71:74], v70 offset:464
	buffer_load_dword v95, off, s[0:3], 0 offset:88
	buffer_load_dword v96, off, s[0:3], 0 offset:92
	ds_read_b128 v[75:78], v70 offset:480
	s_waitcnt vmcnt(18) lgkmcnt(1)
	v_fma_f64 v[71:72], v[103:104], v[71:72], v[79:80]
	s_waitcnt vmcnt(17)
	v_fma_f64 v[71:72], v[101:102], v[73:74], v[71:72]
	s_waitcnt vmcnt(16) lgkmcnt(0)
	v_fma_f64 v[71:72], v[81:82], v[75:76], v[71:72]
	s_waitcnt vmcnt(11)
	v_fma_f64 v[79:80], v[83:84], v[77:78], v[71:72]
	ds_read_b128 v[71:74], v70 offset:496
	ds_read_b128 v[75:78], v70 offset:512
	s_waitcnt vmcnt(10) lgkmcnt(1)
	v_fma_f64 v[71:72], v[89:90], v[71:72], v[79:80]
	s_waitcnt vmcnt(9)
	v_fma_f64 v[71:72], v[87:88], v[73:74], v[71:72]
	s_waitcnt vmcnt(8) lgkmcnt(0)
	v_fma_f64 v[71:72], v[85:86], v[75:76], v[71:72]
	s_waitcnt vmcnt(4)
	v_fma_f64 v[74:75], v[91:92], v[77:78], v[71:72]
	ds_read_b128 v[70:73], v70 offset:528
	s_waitcnt vmcnt(3) lgkmcnt(0)
	v_fma_f64 v[70:71], v[97:98], v[70:71], v[74:75]
	s_waitcnt vmcnt(2)
	v_fma_f64 v[70:71], v[93:94], v[72:73], v[70:71]
	s_waitcnt vmcnt(0)
	v_add_f64 v[70:71], v[95:96], -v[70:71]
	buffer_store_dword v71, off, s[0:3], 0 offset:92
	buffer_store_dword v70, off, s[0:3], 0 offset:88
	s_and_saveexec_b64 s[4:5], vcc
	s_cbranch_execz .LBB33_191
; %bb.190:
	buffer_load_dword v70, off, s[0:3], 0 offset:80
	buffer_load_dword v71, off, s[0:3], 0 offset:84
	v_mov_b32_e32 v72, 0
	buffer_store_dword v72, off, s[0:3], 0 offset:80
	buffer_store_dword v72, off, s[0:3], 0 offset:84
	s_waitcnt vmcnt(2)
	ds_write_b64 v69, v[70:71]
.LBB33_191:
	s_or_b64 exec, exec, s[4:5]
	s_waitcnt lgkmcnt(0)
	; wave barrier
	buffer_load_dword v79, off, s[0:3], 0 offset:88
	buffer_load_dword v80, off, s[0:3], 0 offset:92
	;; [unrolled: 1-line block ×21, first 2 shown]
	v_mov_b32_e32 v70, 0
	ds_read2_b64 v[71:74], v70 offset0:45 offset1:46
	ds_read2_b64 v[75:78], v70 offset0:47 offset1:48
	buffer_load_dword v96, off, s[0:3], 0 offset:172
	v_cmp_lt_u32_e32 vcc, 9, v0
	s_waitcnt vmcnt(20) lgkmcnt(1)
	v_fma_f64 v[71:72], v[79:80], v[71:72], 0
	s_waitcnt vmcnt(18)
	v_fma_f64 v[71:72], v[81:82], v[73:74], v[71:72]
	buffer_load_dword v80, off, s[0:3], 0 offset:180
	buffer_load_dword v81, off, s[0:3], 0 offset:200
	;; [unrolled: 1-line block ×7, first 2 shown]
	s_waitcnt vmcnt(23) lgkmcnt(0)
	v_fma_f64 v[71:72], v[83:84], v[75:76], v[71:72]
	s_waitcnt vmcnt(21)
	v_fma_f64 v[82:83], v[85:86], v[77:78], v[71:72]
	ds_read2_b64 v[71:74], v70 offset0:49 offset1:50
	ds_read2_b64 v[75:78], v70 offset0:51 offset1:52
	s_waitcnt vmcnt(19) lgkmcnt(1)
	v_fma_f64 v[71:72], v[87:88], v[71:72], v[82:83]
	buffer_load_dword v82, off, s[0:3], 0 offset:204
	s_waitcnt vmcnt(18)
	v_fma_f64 v[71:72], v[89:90], v[73:74], v[71:72]
	buffer_load_dword v84, off, s[0:3], 0 offset:212
	buffer_load_dword v85, off, s[0:3], 0 offset:232
	;; [unrolled: 1-line block ×8, first 2 shown]
	s_waitcnt vmcnt(24) lgkmcnt(0)
	v_fma_f64 v[71:72], v[91:92], v[75:76], v[71:72]
	s_waitcnt vmcnt(19)
	v_fma_f64 v[91:92], v[93:94], v[77:78], v[71:72]
	ds_read2_b64 v[71:74], v70 offset0:53 offset1:54
	ds_read2_b64 v[75:78], v70 offset0:55 offset1:56
	s_waitcnt vmcnt(18) lgkmcnt(1)
	v_fma_f64 v[71:72], v[99:100], v[71:72], v[91:92]
	s_waitcnt vmcnt(17)
	v_fma_f64 v[71:72], v[97:98], v[73:74], v[71:72]
	buffer_load_dword v92, off, s[0:3], 0 offset:244
	buffer_load_dword v93, off, s[0:3], 0 offset:264
	;; [unrolled: 1-line block ×8, first 2 shown]
	s_waitcnt vmcnt(24) lgkmcnt(0)
	v_fma_f64 v[71:72], v[95:96], v[75:76], v[71:72]
	s_waitcnt vmcnt(19)
	v_fma_f64 v[79:80], v[79:80], v[77:78], v[71:72]
	ds_read2_b64 v[71:74], v70 offset0:57 offset1:58
	ds_read2_b64 v[75:78], v70 offset0:59 offset1:60
	s_waitcnt vmcnt(18) lgkmcnt(1)
	v_fma_f64 v[71:72], v[103:104], v[71:72], v[79:80]
	buffer_load_dword v79, off, s[0:3], 0 offset:80
	buffer_load_dword v80, off, s[0:3], 0 offset:84
	s_waitcnt vmcnt(19)
	v_fma_f64 v[71:72], v[101:102], v[73:74], v[71:72]
	s_waitcnt vmcnt(18) lgkmcnt(0)
	v_fma_f64 v[71:72], v[81:82], v[75:76], v[71:72]
	s_waitcnt vmcnt(13)
	v_fma_f64 v[81:82], v[83:84], v[77:78], v[71:72]
	ds_read2_b64 v[71:74], v70 offset0:61 offset1:62
	ds_read2_b64 v[75:78], v70 offset0:63 offset1:64
	s_waitcnt vmcnt(12) lgkmcnt(1)
	v_fma_f64 v[71:72], v[89:90], v[71:72], v[81:82]
	s_waitcnt vmcnt(11)
	v_fma_f64 v[71:72], v[87:88], v[73:74], v[71:72]
	s_waitcnt vmcnt(10) lgkmcnt(0)
	v_fma_f64 v[71:72], v[85:86], v[75:76], v[71:72]
	s_waitcnt vmcnt(5)
	v_fma_f64 v[75:76], v[91:92], v[77:78], v[71:72]
	ds_read2_b64 v[71:74], v70 offset0:65 offset1:66
	ds_read_b64 v[77:78], v70 offset:536
	s_waitcnt vmcnt(4) lgkmcnt(1)
	v_fma_f64 v[71:72], v[99:100], v[71:72], v[75:76]
	s_waitcnt vmcnt(3)
	v_fma_f64 v[71:72], v[97:98], v[73:74], v[71:72]
	s_waitcnt vmcnt(2) lgkmcnt(0)
	v_fma_f64 v[71:72], v[93:94], v[77:78], v[71:72]
	s_waitcnt vmcnt(0)
	v_add_f64 v[71:72], v[79:80], -v[71:72]
	buffer_store_dword v72, off, s[0:3], 0 offset:84
	buffer_store_dword v71, off, s[0:3], 0 offset:80
	s_and_saveexec_b64 s[4:5], vcc
	s_cbranch_execz .LBB33_193
; %bb.192:
	buffer_load_dword v71, off, s[0:3], 0 offset:72
	buffer_load_dword v72, off, s[0:3], 0 offset:76
	s_waitcnt vmcnt(0)
	ds_write_b64 v69, v[71:72]
	buffer_store_dword v70, off, s[0:3], 0 offset:72
	buffer_store_dword v70, off, s[0:3], 0 offset:76
.LBB33_193:
	s_or_b64 exec, exec, s[4:5]
	s_waitcnt lgkmcnt(0)
	; wave barrier
	buffer_load_dword v79, off, s[0:3], 0 offset:80
	buffer_load_dword v80, off, s[0:3], 0 offset:84
	;; [unrolled: 1-line block ×21, first 2 shown]
	ds_read_b128 v[71:74], v70 offset:352
	ds_read_b128 v[75:78], v70 offset:368
	buffer_load_dword v96, off, s[0:3], 0 offset:164
	v_cmp_lt_u32_e32 vcc, 8, v0
	s_waitcnt vmcnt(20) lgkmcnt(1)
	v_fma_f64 v[71:72], v[79:80], v[71:72], 0
	s_waitcnt vmcnt(18)
	v_fma_f64 v[71:72], v[81:82], v[73:74], v[71:72]
	buffer_load_dword v80, off, s[0:3], 0 offset:172
	buffer_load_dword v81, off, s[0:3], 0 offset:192
	buffer_load_dword v101, off, s[0:3], 0 offset:184
	buffer_load_dword v103, off, s[0:3], 0 offset:176
	buffer_load_dword v79, off, s[0:3], 0 offset:168
	buffer_load_dword v104, off, s[0:3], 0 offset:180
	buffer_load_dword v102, off, s[0:3], 0 offset:188
	s_waitcnt vmcnt(23) lgkmcnt(0)
	v_fma_f64 v[71:72], v[83:84], v[75:76], v[71:72]
	s_waitcnt vmcnt(21)
	v_fma_f64 v[82:83], v[85:86], v[77:78], v[71:72]
	ds_read_b128 v[71:74], v70 offset:384
	ds_read_b128 v[75:78], v70 offset:400
	s_waitcnt vmcnt(19) lgkmcnt(1)
	v_fma_f64 v[71:72], v[87:88], v[71:72], v[82:83]
	buffer_load_dword v82, off, s[0:3], 0 offset:196
	s_waitcnt vmcnt(18)
	v_fma_f64 v[71:72], v[89:90], v[73:74], v[71:72]
	buffer_load_dword v84, off, s[0:3], 0 offset:204
	buffer_load_dword v85, off, s[0:3], 0 offset:224
	;; [unrolled: 1-line block ×8, first 2 shown]
	s_waitcnt vmcnt(24) lgkmcnt(0)
	v_fma_f64 v[71:72], v[91:92], v[75:76], v[71:72]
	s_waitcnt vmcnt(19)
	v_fma_f64 v[91:92], v[93:94], v[77:78], v[71:72]
	ds_read_b128 v[71:74], v70 offset:416
	ds_read_b128 v[75:78], v70 offset:432
	s_waitcnt vmcnt(18) lgkmcnt(1)
	v_fma_f64 v[71:72], v[99:100], v[71:72], v[91:92]
	s_waitcnt vmcnt(17)
	v_fma_f64 v[71:72], v[97:98], v[73:74], v[71:72]
	buffer_load_dword v92, off, s[0:3], 0 offset:236
	buffer_load_dword v93, off, s[0:3], 0 offset:256
	;; [unrolled: 1-line block ×8, first 2 shown]
	s_waitcnt vmcnt(24) lgkmcnt(0)
	v_fma_f64 v[71:72], v[95:96], v[75:76], v[71:72]
	s_waitcnt vmcnt(19)
	v_fma_f64 v[79:80], v[79:80], v[77:78], v[71:72]
	ds_read_b128 v[71:74], v70 offset:448
	ds_read_b128 v[75:78], v70 offset:464
	s_waitcnt vmcnt(18) lgkmcnt(1)
	v_fma_f64 v[71:72], v[103:104], v[71:72], v[79:80]
	buffer_load_dword v80, off, s[0:3], 0 offset:268
	buffer_load_dword v79, off, s[0:3], 0 offset:264
	;; [unrolled: 1-line block ×4, first 2 shown]
	s_waitcnt vmcnt(21)
	v_fma_f64 v[71:72], v[101:102], v[73:74], v[71:72]
	s_waitcnt vmcnt(20) lgkmcnt(0)
	v_fma_f64 v[71:72], v[81:82], v[75:76], v[71:72]
	s_waitcnt vmcnt(15)
	v_fma_f64 v[81:82], v[83:84], v[77:78], v[71:72]
	ds_read_b128 v[71:74], v70 offset:480
	ds_read_b128 v[75:78], v70 offset:496
	s_waitcnt vmcnt(14) lgkmcnt(1)
	v_fma_f64 v[71:72], v[89:90], v[71:72], v[81:82]
	s_waitcnt vmcnt(13)
	v_fma_f64 v[71:72], v[87:88], v[73:74], v[71:72]
	s_waitcnt vmcnt(12) lgkmcnt(0)
	v_fma_f64 v[71:72], v[85:86], v[75:76], v[71:72]
	s_waitcnt vmcnt(7)
	v_fma_f64 v[81:82], v[91:92], v[77:78], v[71:72]
	ds_read_b128 v[71:74], v70 offset:512
	ds_read_b128 v[75:78], v70 offset:528
	s_waitcnt vmcnt(6) lgkmcnt(1)
	v_fma_f64 v[70:71], v[99:100], v[71:72], v[81:82]
	s_waitcnt vmcnt(5)
	v_fma_f64 v[70:71], v[97:98], v[73:74], v[70:71]
	s_waitcnt vmcnt(4) lgkmcnt(0)
	v_fma_f64 v[70:71], v[93:94], v[75:76], v[70:71]
	s_waitcnt vmcnt(2)
	v_fma_f64 v[70:71], v[79:80], v[77:78], v[70:71]
	s_waitcnt vmcnt(0)
	v_add_f64 v[70:71], v[95:96], -v[70:71]
	buffer_store_dword v71, off, s[0:3], 0 offset:76
	buffer_store_dword v70, off, s[0:3], 0 offset:72
	s_and_saveexec_b64 s[4:5], vcc
	s_cbranch_execz .LBB33_195
; %bb.194:
	buffer_load_dword v70, off, s[0:3], 0 offset:64
	buffer_load_dword v71, off, s[0:3], 0 offset:68
	v_mov_b32_e32 v72, 0
	buffer_store_dword v72, off, s[0:3], 0 offset:64
	buffer_store_dword v72, off, s[0:3], 0 offset:68
	s_waitcnt vmcnt(2)
	ds_write_b64 v69, v[70:71]
.LBB33_195:
	s_or_b64 exec, exec, s[4:5]
	s_waitcnt lgkmcnt(0)
	; wave barrier
	buffer_load_dword v79, off, s[0:3], 0 offset:72
	buffer_load_dword v80, off, s[0:3], 0 offset:76
	;; [unrolled: 1-line block ×21, first 2 shown]
	v_mov_b32_e32 v70, 0
	ds_read2_b64 v[71:74], v70 offset0:43 offset1:44
	ds_read2_b64 v[75:78], v70 offset0:45 offset1:46
	buffer_load_dword v96, off, s[0:3], 0 offset:156
	v_cmp_lt_u32_e32 vcc, 7, v0
	s_waitcnt vmcnt(20) lgkmcnt(1)
	v_fma_f64 v[71:72], v[79:80], v[71:72], 0
	s_waitcnt vmcnt(18)
	v_fma_f64 v[71:72], v[81:82], v[73:74], v[71:72]
	buffer_load_dword v80, off, s[0:3], 0 offset:164
	buffer_load_dword v81, off, s[0:3], 0 offset:184
	;; [unrolled: 1-line block ×7, first 2 shown]
	s_waitcnt vmcnt(23) lgkmcnt(0)
	v_fma_f64 v[71:72], v[83:84], v[75:76], v[71:72]
	s_waitcnt vmcnt(21)
	v_fma_f64 v[82:83], v[85:86], v[77:78], v[71:72]
	ds_read2_b64 v[71:74], v70 offset0:47 offset1:48
	ds_read2_b64 v[75:78], v70 offset0:49 offset1:50
	s_waitcnt vmcnt(19) lgkmcnt(1)
	v_fma_f64 v[71:72], v[87:88], v[71:72], v[82:83]
	buffer_load_dword v82, off, s[0:3], 0 offset:188
	s_waitcnt vmcnt(18)
	v_fma_f64 v[71:72], v[89:90], v[73:74], v[71:72]
	buffer_load_dword v84, off, s[0:3], 0 offset:196
	buffer_load_dword v85, off, s[0:3], 0 offset:216
	;; [unrolled: 1-line block ×8, first 2 shown]
	s_waitcnt vmcnt(24) lgkmcnt(0)
	v_fma_f64 v[71:72], v[91:92], v[75:76], v[71:72]
	s_waitcnt vmcnt(19)
	v_fma_f64 v[91:92], v[93:94], v[77:78], v[71:72]
	ds_read2_b64 v[71:74], v70 offset0:51 offset1:52
	ds_read2_b64 v[75:78], v70 offset0:53 offset1:54
	s_waitcnt vmcnt(18) lgkmcnt(1)
	v_fma_f64 v[71:72], v[99:100], v[71:72], v[91:92]
	s_waitcnt vmcnt(17)
	v_fma_f64 v[71:72], v[97:98], v[73:74], v[71:72]
	buffer_load_dword v92, off, s[0:3], 0 offset:228
	buffer_load_dword v93, off, s[0:3], 0 offset:248
	;; [unrolled: 1-line block ×7, first 2 shown]
	s_waitcnt vmcnt(23) lgkmcnt(0)
	v_fma_f64 v[71:72], v[95:96], v[75:76], v[71:72]
	s_waitcnt vmcnt(18)
	v_fma_f64 v[79:80], v[79:80], v[77:78], v[71:72]
	ds_read2_b64 v[71:74], v70 offset0:55 offset1:56
	ds_read2_b64 v[75:78], v70 offset0:57 offset1:58
	buffer_load_dword v94, off, s[0:3], 0 offset:252
	s_waitcnt vmcnt(18) lgkmcnt(1)
	v_fma_f64 v[71:72], v[103:104], v[71:72], v[79:80]
	buffer_load_dword v80, off, s[0:3], 0 offset:260
	buffer_load_dword v95, off, s[0:3], 0 offset:264
	;; [unrolled: 1-line block ×4, first 2 shown]
	s_waitcnt vmcnt(21)
	v_fma_f64 v[71:72], v[101:102], v[73:74], v[71:72]
	s_waitcnt vmcnt(20) lgkmcnt(0)
	v_fma_f64 v[71:72], v[81:82], v[75:76], v[71:72]
	buffer_load_dword v81, off, s[0:3], 0 offset:64
	buffer_load_dword v82, off, s[0:3], 0 offset:68
	s_waitcnt vmcnt(17)
	v_fma_f64 v[83:84], v[83:84], v[77:78], v[71:72]
	ds_read2_b64 v[71:74], v70 offset0:59 offset1:60
	ds_read2_b64 v[75:78], v70 offset0:61 offset1:62
	s_waitcnt vmcnt(16) lgkmcnt(1)
	v_fma_f64 v[71:72], v[89:90], v[71:72], v[83:84]
	s_waitcnt vmcnt(15)
	v_fma_f64 v[71:72], v[87:88], v[73:74], v[71:72]
	s_waitcnt vmcnt(14) lgkmcnt(0)
	v_fma_f64 v[71:72], v[85:86], v[75:76], v[71:72]
	s_waitcnt vmcnt(9)
	v_fma_f64 v[83:84], v[91:92], v[77:78], v[71:72]
	ds_read2_b64 v[71:74], v70 offset0:63 offset1:64
	ds_read2_b64 v[75:78], v70 offset0:65 offset1:66
	s_waitcnt vmcnt(8) lgkmcnt(1)
	v_fma_f64 v[71:72], v[99:100], v[71:72], v[83:84]
	s_waitcnt vmcnt(7)
	v_fma_f64 v[71:72], v[97:98], v[73:74], v[71:72]
	ds_read_b64 v[73:74], v70 offset:536
	s_waitcnt vmcnt(6) lgkmcnt(1)
	v_fma_f64 v[71:72], v[93:94], v[75:76], v[71:72]
	s_waitcnt vmcnt(3)
	v_fma_f64 v[71:72], v[79:80], v[77:78], v[71:72]
	s_waitcnt vmcnt(2) lgkmcnt(0)
	v_fma_f64 v[71:72], v[95:96], v[73:74], v[71:72]
	s_waitcnt vmcnt(0)
	v_add_f64 v[71:72], v[81:82], -v[71:72]
	buffer_store_dword v72, off, s[0:3], 0 offset:68
	buffer_store_dword v71, off, s[0:3], 0 offset:64
	s_and_saveexec_b64 s[4:5], vcc
	s_cbranch_execz .LBB33_197
; %bb.196:
	buffer_load_dword v71, off, s[0:3], 0 offset:56
	buffer_load_dword v72, off, s[0:3], 0 offset:60
	s_waitcnt vmcnt(0)
	ds_write_b64 v69, v[71:72]
	buffer_store_dword v70, off, s[0:3], 0 offset:56
	buffer_store_dword v70, off, s[0:3], 0 offset:60
.LBB33_197:
	s_or_b64 exec, exec, s[4:5]
	s_waitcnt lgkmcnt(0)
	; wave barrier
	buffer_load_dword v79, off, s[0:3], 0 offset:64
	buffer_load_dword v80, off, s[0:3], 0 offset:68
	;; [unrolled: 1-line block ×22, first 2 shown]
	ds_read_b128 v[71:74], v70 offset:336
	ds_read_b128 v[75:78], v70 offset:352
	v_cmp_lt_u32_e32 vcc, 6, v0
	s_waitcnt vmcnt(20) lgkmcnt(1)
	v_fma_f64 v[71:72], v[79:80], v[71:72], 0
	s_waitcnt vmcnt(18)
	v_fma_f64 v[71:72], v[81:82], v[73:74], v[71:72]
	buffer_load_dword v80, off, s[0:3], 0 offset:156
	buffer_load_dword v81, off, s[0:3], 0 offset:176
	;; [unrolled: 1-line block ×7, first 2 shown]
	s_waitcnt vmcnt(23) lgkmcnt(0)
	v_fma_f64 v[71:72], v[83:84], v[75:76], v[71:72]
	s_waitcnt vmcnt(21)
	v_fma_f64 v[82:83], v[85:86], v[77:78], v[71:72]
	ds_read_b128 v[71:74], v70 offset:368
	ds_read_b128 v[75:78], v70 offset:384
	s_waitcnt vmcnt(19) lgkmcnt(1)
	v_fma_f64 v[71:72], v[87:88], v[71:72], v[82:83]
	buffer_load_dword v82, off, s[0:3], 0 offset:180
	s_waitcnt vmcnt(18)
	v_fma_f64 v[71:72], v[89:90], v[73:74], v[71:72]
	buffer_load_dword v84, off, s[0:3], 0 offset:188
	buffer_load_dword v85, off, s[0:3], 0 offset:208
	;; [unrolled: 1-line block ×8, first 2 shown]
	s_waitcnt vmcnt(24) lgkmcnt(0)
	v_fma_f64 v[71:72], v[91:92], v[75:76], v[71:72]
	s_waitcnt vmcnt(19)
	v_fma_f64 v[91:92], v[93:94], v[77:78], v[71:72]
	ds_read_b128 v[71:74], v70 offset:400
	ds_read_b128 v[75:78], v70 offset:416
	s_waitcnt vmcnt(18) lgkmcnt(1)
	v_fma_f64 v[71:72], v[99:100], v[71:72], v[91:92]
	s_waitcnt vmcnt(17)
	v_fma_f64 v[71:72], v[97:98], v[73:74], v[71:72]
	buffer_load_dword v92, off, s[0:3], 0 offset:220
	buffer_load_dword v93, off, s[0:3], 0 offset:240
	;; [unrolled: 1-line block ×8, first 2 shown]
	s_waitcnt vmcnt(24) lgkmcnt(0)
	v_fma_f64 v[71:72], v[95:96], v[75:76], v[71:72]
	s_waitcnt vmcnt(19)
	v_fma_f64 v[79:80], v[79:80], v[77:78], v[71:72]
	ds_read_b128 v[71:74], v70 offset:432
	ds_read_b128 v[75:78], v70 offset:448
	s_waitcnt vmcnt(18) lgkmcnt(1)
	v_fma_f64 v[71:72], v[103:104], v[71:72], v[79:80]
	s_waitcnt vmcnt(17)
	v_fma_f64 v[71:72], v[101:102], v[73:74], v[71:72]
	buffer_load_dword v80, off, s[0:3], 0 offset:252
	buffer_load_dword v95, off, s[0:3], 0 offset:264
	;; [unrolled: 1-line block ×6, first 2 shown]
	s_waitcnt vmcnt(22) lgkmcnt(0)
	v_fma_f64 v[71:72], v[81:82], v[75:76], v[71:72]
	s_waitcnt vmcnt(17)
	v_fma_f64 v[81:82], v[83:84], v[77:78], v[71:72]
	ds_read_b128 v[71:74], v70 offset:464
	buffer_load_dword v83, off, s[0:3], 0 offset:56
	buffer_load_dword v84, off, s[0:3], 0 offset:60
	ds_read_b128 v[75:78], v70 offset:480
	s_waitcnt vmcnt(18) lgkmcnt(1)
	v_fma_f64 v[71:72], v[89:90], v[71:72], v[81:82]
	s_waitcnt vmcnt(17)
	v_fma_f64 v[71:72], v[87:88], v[73:74], v[71:72]
	s_waitcnt vmcnt(16) lgkmcnt(0)
	v_fma_f64 v[71:72], v[85:86], v[75:76], v[71:72]
	s_waitcnt vmcnt(11)
	v_fma_f64 v[81:82], v[91:92], v[77:78], v[71:72]
	ds_read_b128 v[71:74], v70 offset:496
	ds_read_b128 v[75:78], v70 offset:512
	s_waitcnt vmcnt(10) lgkmcnt(1)
	v_fma_f64 v[71:72], v[99:100], v[71:72], v[81:82]
	s_waitcnt vmcnt(9)
	v_fma_f64 v[71:72], v[97:98], v[73:74], v[71:72]
	s_waitcnt vmcnt(8) lgkmcnt(0)
	v_fma_f64 v[71:72], v[93:94], v[75:76], v[71:72]
	s_waitcnt vmcnt(4)
	v_fma_f64 v[74:75], v[79:80], v[77:78], v[71:72]
	ds_read_b128 v[70:73], v70 offset:528
	s_waitcnt vmcnt(3) lgkmcnt(0)
	v_fma_f64 v[70:71], v[101:102], v[70:71], v[74:75]
	s_waitcnt vmcnt(2)
	v_fma_f64 v[70:71], v[95:96], v[72:73], v[70:71]
	s_waitcnt vmcnt(0)
	v_add_f64 v[70:71], v[83:84], -v[70:71]
	buffer_store_dword v71, off, s[0:3], 0 offset:60
	buffer_store_dword v70, off, s[0:3], 0 offset:56
	s_and_saveexec_b64 s[4:5], vcc
	s_cbranch_execz .LBB33_199
; %bb.198:
	buffer_load_dword v70, off, s[0:3], 0 offset:48
	buffer_load_dword v71, off, s[0:3], 0 offset:52
	v_mov_b32_e32 v72, 0
	buffer_store_dword v72, off, s[0:3], 0 offset:48
	buffer_store_dword v72, off, s[0:3], 0 offset:52
	s_waitcnt vmcnt(2)
	ds_write_b64 v69, v[70:71]
.LBB33_199:
	s_or_b64 exec, exec, s[4:5]
	s_waitcnt lgkmcnt(0)
	; wave barrier
	buffer_load_dword v79, off, s[0:3], 0 offset:56
	buffer_load_dword v80, off, s[0:3], 0 offset:60
	;; [unrolled: 1-line block ×22, first 2 shown]
	v_mov_b32_e32 v70, 0
	ds_read2_b64 v[71:74], v70 offset0:41 offset1:42
	ds_read2_b64 v[75:78], v70 offset0:43 offset1:44
	v_cmp_lt_u32_e32 vcc, 5, v0
	s_waitcnt vmcnt(20) lgkmcnt(1)
	v_fma_f64 v[71:72], v[79:80], v[71:72], 0
	s_waitcnt vmcnt(18)
	v_fma_f64 v[71:72], v[81:82], v[73:74], v[71:72]
	buffer_load_dword v80, off, s[0:3], 0 offset:148
	buffer_load_dword v81, off, s[0:3], 0 offset:168
	;; [unrolled: 1-line block ×7, first 2 shown]
	s_waitcnt vmcnt(23) lgkmcnt(0)
	v_fma_f64 v[71:72], v[83:84], v[75:76], v[71:72]
	s_waitcnt vmcnt(21)
	v_fma_f64 v[82:83], v[85:86], v[77:78], v[71:72]
	ds_read2_b64 v[71:74], v70 offset0:45 offset1:46
	ds_read2_b64 v[75:78], v70 offset0:47 offset1:48
	s_waitcnt vmcnt(19) lgkmcnt(1)
	v_fma_f64 v[71:72], v[87:88], v[71:72], v[82:83]
	buffer_load_dword v82, off, s[0:3], 0 offset:172
	s_waitcnt vmcnt(18)
	v_fma_f64 v[71:72], v[89:90], v[73:74], v[71:72]
	buffer_load_dword v84, off, s[0:3], 0 offset:180
	buffer_load_dword v85, off, s[0:3], 0 offset:200
	buffer_load_dword v87, off, s[0:3], 0 offset:192
	buffer_load_dword v89, off, s[0:3], 0 offset:184
	buffer_load_dword v83, off, s[0:3], 0 offset:176
	buffer_load_dword v90, off, s[0:3], 0 offset:188
	buffer_load_dword v88, off, s[0:3], 0 offset:196
	buffer_load_dword v86, off, s[0:3], 0 offset:204
	s_waitcnt vmcnt(24) lgkmcnt(0)
	v_fma_f64 v[71:72], v[91:92], v[75:76], v[71:72]
	s_waitcnt vmcnt(19)
	v_fma_f64 v[91:92], v[93:94], v[77:78], v[71:72]
	ds_read2_b64 v[71:74], v70 offset0:49 offset1:50
	ds_read2_b64 v[75:78], v70 offset0:51 offset1:52
	s_waitcnt vmcnt(18) lgkmcnt(1)
	v_fma_f64 v[71:72], v[99:100], v[71:72], v[91:92]
	s_waitcnt vmcnt(17)
	v_fma_f64 v[71:72], v[97:98], v[73:74], v[71:72]
	buffer_load_dword v92, off, s[0:3], 0 offset:212
	buffer_load_dword v93, off, s[0:3], 0 offset:232
	buffer_load_dword v97, off, s[0:3], 0 offset:224
	buffer_load_dword v99, off, s[0:3], 0 offset:216
	buffer_load_dword v91, off, s[0:3], 0 offset:208
	buffer_load_dword v100, off, s[0:3], 0 offset:220
	buffer_load_dword v98, off, s[0:3], 0 offset:228
	buffer_load_dword v94, off, s[0:3], 0 offset:236
	s_waitcnt vmcnt(24) lgkmcnt(0)
	v_fma_f64 v[71:72], v[95:96], v[75:76], v[71:72]
	s_waitcnt vmcnt(19)
	v_fma_f64 v[79:80], v[79:80], v[77:78], v[71:72]
	ds_read2_b64 v[71:74], v70 offset0:53 offset1:54
	ds_read2_b64 v[75:78], v70 offset0:55 offset1:56
	s_waitcnt vmcnt(18) lgkmcnt(1)
	v_fma_f64 v[71:72], v[103:104], v[71:72], v[79:80]
	;; [unrolled: 18-line block ×3, first 2 shown]
	buffer_load_dword v81, off, s[0:3], 0 offset:48
	buffer_load_dword v82, off, s[0:3], 0 offset:52
	s_waitcnt vmcnt(19)
	v_fma_f64 v[71:72], v[87:88], v[73:74], v[71:72]
	s_waitcnt vmcnt(18) lgkmcnt(0)
	v_fma_f64 v[71:72], v[85:86], v[75:76], v[71:72]
	s_waitcnt vmcnt(13)
	v_fma_f64 v[83:84], v[91:92], v[77:78], v[71:72]
	ds_read2_b64 v[71:74], v70 offset0:61 offset1:62
	ds_read2_b64 v[75:78], v70 offset0:63 offset1:64
	s_waitcnt vmcnt(12) lgkmcnt(1)
	v_fma_f64 v[71:72], v[99:100], v[71:72], v[83:84]
	s_waitcnt vmcnt(11)
	v_fma_f64 v[71:72], v[97:98], v[73:74], v[71:72]
	s_waitcnt vmcnt(10) lgkmcnt(0)
	v_fma_f64 v[71:72], v[93:94], v[75:76], v[71:72]
	s_waitcnt vmcnt(5)
	v_fma_f64 v[75:76], v[79:80], v[77:78], v[71:72]
	ds_read2_b64 v[71:74], v70 offset0:65 offset1:66
	ds_read_b64 v[77:78], v70 offset:536
	s_waitcnt vmcnt(4) lgkmcnt(1)
	v_fma_f64 v[71:72], v[103:104], v[71:72], v[75:76]
	s_waitcnt vmcnt(3)
	v_fma_f64 v[71:72], v[101:102], v[73:74], v[71:72]
	s_waitcnt vmcnt(2) lgkmcnt(0)
	v_fma_f64 v[71:72], v[95:96], v[77:78], v[71:72]
	s_waitcnt vmcnt(0)
	v_add_f64 v[71:72], v[81:82], -v[71:72]
	buffer_store_dword v72, off, s[0:3], 0 offset:52
	buffer_store_dword v71, off, s[0:3], 0 offset:48
	s_and_saveexec_b64 s[4:5], vcc
	s_cbranch_execz .LBB33_201
; %bb.200:
	buffer_load_dword v71, off, s[0:3], 0 offset:40
	buffer_load_dword v72, off, s[0:3], 0 offset:44
	s_waitcnt vmcnt(0)
	ds_write_b64 v69, v[71:72]
	buffer_store_dword v70, off, s[0:3], 0 offset:40
	buffer_store_dword v70, off, s[0:3], 0 offset:44
.LBB33_201:
	s_or_b64 exec, exec, s[4:5]
	s_waitcnt lgkmcnt(0)
	; wave barrier
	buffer_load_dword v79, off, s[0:3], 0 offset:48
	buffer_load_dword v80, off, s[0:3], 0 offset:52
	;; [unrolled: 1-line block ×22, first 2 shown]
	ds_read_b128 v[71:74], v70 offset:320
	ds_read_b128 v[75:78], v70 offset:336
	v_cmp_lt_u32_e32 vcc, 4, v0
	s_waitcnt vmcnt(20) lgkmcnt(1)
	v_fma_f64 v[71:72], v[79:80], v[71:72], 0
	s_waitcnt vmcnt(18)
	v_fma_f64 v[71:72], v[81:82], v[73:74], v[71:72]
	buffer_load_dword v80, off, s[0:3], 0 offset:140
	buffer_load_dword v81, off, s[0:3], 0 offset:160
	buffer_load_dword v101, off, s[0:3], 0 offset:152
	buffer_load_dword v103, off, s[0:3], 0 offset:144
	buffer_load_dword v79, off, s[0:3], 0 offset:136
	buffer_load_dword v104, off, s[0:3], 0 offset:148
	buffer_load_dword v102, off, s[0:3], 0 offset:156
	s_waitcnt vmcnt(23) lgkmcnt(0)
	v_fma_f64 v[71:72], v[83:84], v[75:76], v[71:72]
	s_waitcnt vmcnt(21)
	v_fma_f64 v[82:83], v[85:86], v[77:78], v[71:72]
	ds_read_b128 v[71:74], v70 offset:352
	ds_read_b128 v[75:78], v70 offset:368
	s_waitcnt vmcnt(19) lgkmcnt(1)
	v_fma_f64 v[71:72], v[87:88], v[71:72], v[82:83]
	buffer_load_dword v82, off, s[0:3], 0 offset:164
	s_waitcnt vmcnt(18)
	v_fma_f64 v[71:72], v[89:90], v[73:74], v[71:72]
	buffer_load_dword v84, off, s[0:3], 0 offset:172
	buffer_load_dword v85, off, s[0:3], 0 offset:192
	buffer_load_dword v87, off, s[0:3], 0 offset:184
	buffer_load_dword v89, off, s[0:3], 0 offset:176
	buffer_load_dword v83, off, s[0:3], 0 offset:168
	buffer_load_dword v90, off, s[0:3], 0 offset:180
	buffer_load_dword v88, off, s[0:3], 0 offset:188
	buffer_load_dword v86, off, s[0:3], 0 offset:196
	s_waitcnt vmcnt(24) lgkmcnt(0)
	v_fma_f64 v[71:72], v[91:92], v[75:76], v[71:72]
	s_waitcnt vmcnt(19)
	v_fma_f64 v[91:92], v[93:94], v[77:78], v[71:72]
	ds_read_b128 v[71:74], v70 offset:384
	ds_read_b128 v[75:78], v70 offset:400
	s_waitcnt vmcnt(18) lgkmcnt(1)
	v_fma_f64 v[71:72], v[99:100], v[71:72], v[91:92]
	s_waitcnt vmcnt(17)
	v_fma_f64 v[71:72], v[97:98], v[73:74], v[71:72]
	buffer_load_dword v92, off, s[0:3], 0 offset:204
	buffer_load_dword v93, off, s[0:3], 0 offset:224
	buffer_load_dword v97, off, s[0:3], 0 offset:216
	buffer_load_dword v99, off, s[0:3], 0 offset:208
	buffer_load_dword v91, off, s[0:3], 0 offset:200
	buffer_load_dword v100, off, s[0:3], 0 offset:212
	buffer_load_dword v98, off, s[0:3], 0 offset:220
	buffer_load_dword v94, off, s[0:3], 0 offset:228
	s_waitcnt vmcnt(24) lgkmcnt(0)
	v_fma_f64 v[71:72], v[95:96], v[75:76], v[71:72]
	s_waitcnt vmcnt(19)
	v_fma_f64 v[79:80], v[79:80], v[77:78], v[71:72]
	ds_read_b128 v[71:74], v70 offset:416
	ds_read_b128 v[75:78], v70 offset:432
	s_waitcnt vmcnt(18) lgkmcnt(1)
	v_fma_f64 v[71:72], v[103:104], v[71:72], v[79:80]
	;; [unrolled: 18-line block ×3, first 2 shown]
	buffer_load_dword v82, off, s[0:3], 0 offset:268
	buffer_load_dword v81, off, s[0:3], 0 offset:264
	;; [unrolled: 1-line block ×4, first 2 shown]
	s_waitcnt vmcnt(21)
	v_fma_f64 v[71:72], v[87:88], v[73:74], v[71:72]
	s_waitcnt vmcnt(20) lgkmcnt(0)
	v_fma_f64 v[71:72], v[85:86], v[75:76], v[71:72]
	s_waitcnt vmcnt(15)
	v_fma_f64 v[85:86], v[91:92], v[77:78], v[71:72]
	ds_read_b128 v[71:74], v70 offset:480
	ds_read_b128 v[75:78], v70 offset:496
	s_waitcnt vmcnt(14) lgkmcnt(1)
	v_fma_f64 v[71:72], v[99:100], v[71:72], v[85:86]
	s_waitcnt vmcnt(13)
	v_fma_f64 v[71:72], v[97:98], v[73:74], v[71:72]
	s_waitcnt vmcnt(12) lgkmcnt(0)
	v_fma_f64 v[71:72], v[93:94], v[75:76], v[71:72]
	s_waitcnt vmcnt(7)
	v_fma_f64 v[79:80], v[79:80], v[77:78], v[71:72]
	ds_read_b128 v[71:74], v70 offset:512
	ds_read_b128 v[75:78], v70 offset:528
	s_waitcnt vmcnt(6) lgkmcnt(1)
	v_fma_f64 v[70:71], v[103:104], v[71:72], v[79:80]
	s_waitcnt vmcnt(5)
	v_fma_f64 v[70:71], v[101:102], v[73:74], v[70:71]
	s_waitcnt vmcnt(4) lgkmcnt(0)
	v_fma_f64 v[70:71], v[95:96], v[75:76], v[70:71]
	s_waitcnt vmcnt(2)
	v_fma_f64 v[70:71], v[81:82], v[77:78], v[70:71]
	s_waitcnt vmcnt(0)
	v_add_f64 v[70:71], v[83:84], -v[70:71]
	buffer_store_dword v71, off, s[0:3], 0 offset:44
	buffer_store_dword v70, off, s[0:3], 0 offset:40
	s_and_saveexec_b64 s[4:5], vcc
	s_cbranch_execz .LBB33_203
; %bb.202:
	buffer_load_dword v70, off, s[0:3], 0 offset:32
	buffer_load_dword v71, off, s[0:3], 0 offset:36
	v_mov_b32_e32 v72, 0
	buffer_store_dword v72, off, s[0:3], 0 offset:32
	buffer_store_dword v72, off, s[0:3], 0 offset:36
	s_waitcnt vmcnt(2)
	ds_write_b64 v69, v[70:71]
.LBB33_203:
	s_or_b64 exec, exec, s[4:5]
	s_waitcnt lgkmcnt(0)
	; wave barrier
	buffer_load_dword v79, off, s[0:3], 0 offset:40
	buffer_load_dword v80, off, s[0:3], 0 offset:44
	;; [unrolled: 1-line block ×22, first 2 shown]
	v_mov_b32_e32 v70, 0
	ds_read2_b64 v[71:74], v70 offset0:39 offset1:40
	ds_read2_b64 v[75:78], v70 offset0:41 offset1:42
	v_cmp_lt_u32_e32 vcc, 3, v0
	s_waitcnt vmcnt(20) lgkmcnt(1)
	v_fma_f64 v[71:72], v[79:80], v[71:72], 0
	s_waitcnt vmcnt(18)
	v_fma_f64 v[71:72], v[81:82], v[73:74], v[71:72]
	buffer_load_dword v80, off, s[0:3], 0 offset:132
	buffer_load_dword v81, off, s[0:3], 0 offset:152
	buffer_load_dword v101, off, s[0:3], 0 offset:144
	buffer_load_dword v103, off, s[0:3], 0 offset:136
	buffer_load_dword v79, off, s[0:3], 0 offset:128
	buffer_load_dword v104, off, s[0:3], 0 offset:140
	buffer_load_dword v102, off, s[0:3], 0 offset:148
	s_waitcnt vmcnt(23) lgkmcnt(0)
	v_fma_f64 v[71:72], v[83:84], v[75:76], v[71:72]
	s_waitcnt vmcnt(21)
	v_fma_f64 v[82:83], v[85:86], v[77:78], v[71:72]
	ds_read2_b64 v[71:74], v70 offset0:43 offset1:44
	ds_read2_b64 v[75:78], v70 offset0:45 offset1:46
	s_waitcnt vmcnt(19) lgkmcnt(1)
	v_fma_f64 v[71:72], v[87:88], v[71:72], v[82:83]
	buffer_load_dword v82, off, s[0:3], 0 offset:156
	s_waitcnt vmcnt(18)
	v_fma_f64 v[71:72], v[89:90], v[73:74], v[71:72]
	buffer_load_dword v84, off, s[0:3], 0 offset:164
	buffer_load_dword v85, off, s[0:3], 0 offset:184
	;; [unrolled: 1-line block ×7, first 2 shown]
	s_waitcnt vmcnt(23) lgkmcnt(0)
	v_fma_f64 v[71:72], v[91:92], v[75:76], v[71:72]
	s_waitcnt vmcnt(18)
	v_fma_f64 v[91:92], v[93:94], v[77:78], v[71:72]
	ds_read2_b64 v[71:74], v70 offset0:47 offset1:48
	ds_read2_b64 v[75:78], v70 offset0:49 offset1:50
	buffer_load_dword v86, off, s[0:3], 0 offset:188
	s_waitcnt vmcnt(18) lgkmcnt(1)
	v_fma_f64 v[71:72], v[99:100], v[71:72], v[91:92]
	s_waitcnt vmcnt(17)
	v_fma_f64 v[71:72], v[97:98], v[73:74], v[71:72]
	buffer_load_dword v92, off, s[0:3], 0 offset:196
	buffer_load_dword v93, off, s[0:3], 0 offset:216
	;; [unrolled: 1-line block ×8, first 2 shown]
	s_waitcnt vmcnt(24) lgkmcnt(0)
	v_fma_f64 v[71:72], v[95:96], v[75:76], v[71:72]
	s_waitcnt vmcnt(19)
	v_fma_f64 v[79:80], v[79:80], v[77:78], v[71:72]
	ds_read2_b64 v[71:74], v70 offset0:51 offset1:52
	ds_read2_b64 v[75:78], v70 offset0:53 offset1:54
	s_waitcnt vmcnt(18) lgkmcnt(1)
	v_fma_f64 v[71:72], v[103:104], v[71:72], v[79:80]
	s_waitcnt vmcnt(17)
	v_fma_f64 v[71:72], v[101:102], v[73:74], v[71:72]
	buffer_load_dword v80, off, s[0:3], 0 offset:228
	buffer_load_dword v95, off, s[0:3], 0 offset:248
	;; [unrolled: 1-line block ×7, first 2 shown]
	s_waitcnt vmcnt(23) lgkmcnt(0)
	v_fma_f64 v[71:72], v[81:82], v[75:76], v[71:72]
	s_waitcnt vmcnt(18)
	v_fma_f64 v[81:82], v[83:84], v[77:78], v[71:72]
	ds_read2_b64 v[71:74], v70 offset0:55 offset1:56
	ds_read2_b64 v[75:78], v70 offset0:57 offset1:58
	buffer_load_dword v96, off, s[0:3], 0 offset:252
	s_waitcnt vmcnt(18) lgkmcnt(1)
	v_fma_f64 v[71:72], v[89:90], v[71:72], v[81:82]
	buffer_load_dword v82, off, s[0:3], 0 offset:260
	buffer_load_dword v83, off, s[0:3], 0 offset:264
	;; [unrolled: 1-line block ×4, first 2 shown]
	s_waitcnt vmcnt(21)
	v_fma_f64 v[71:72], v[87:88], v[73:74], v[71:72]
	s_waitcnt vmcnt(20) lgkmcnt(0)
	v_fma_f64 v[71:72], v[85:86], v[75:76], v[71:72]
	buffer_load_dword v85, off, s[0:3], 0 offset:32
	buffer_load_dword v86, off, s[0:3], 0 offset:36
	s_waitcnt vmcnt(17)
	v_fma_f64 v[87:88], v[91:92], v[77:78], v[71:72]
	ds_read2_b64 v[71:74], v70 offset0:59 offset1:60
	ds_read2_b64 v[75:78], v70 offset0:61 offset1:62
	s_waitcnt vmcnt(16) lgkmcnt(1)
	v_fma_f64 v[71:72], v[99:100], v[71:72], v[87:88]
	s_waitcnt vmcnt(15)
	v_fma_f64 v[71:72], v[97:98], v[73:74], v[71:72]
	s_waitcnt vmcnt(14) lgkmcnt(0)
	v_fma_f64 v[71:72], v[93:94], v[75:76], v[71:72]
	s_waitcnt vmcnt(9)
	v_fma_f64 v[79:80], v[79:80], v[77:78], v[71:72]
	ds_read2_b64 v[71:74], v70 offset0:63 offset1:64
	ds_read2_b64 v[75:78], v70 offset0:65 offset1:66
	s_waitcnt vmcnt(8) lgkmcnt(1)
	v_fma_f64 v[71:72], v[103:104], v[71:72], v[79:80]
	s_waitcnt vmcnt(7)
	v_fma_f64 v[71:72], v[101:102], v[73:74], v[71:72]
	ds_read_b64 v[73:74], v70 offset:536
	s_waitcnt vmcnt(6) lgkmcnt(1)
	v_fma_f64 v[71:72], v[95:96], v[75:76], v[71:72]
	s_waitcnt vmcnt(3)
	v_fma_f64 v[71:72], v[81:82], v[77:78], v[71:72]
	s_waitcnt vmcnt(2) lgkmcnt(0)
	v_fma_f64 v[71:72], v[83:84], v[73:74], v[71:72]
	s_waitcnt vmcnt(0)
	v_add_f64 v[71:72], v[85:86], -v[71:72]
	buffer_store_dword v72, off, s[0:3], 0 offset:36
	buffer_store_dword v71, off, s[0:3], 0 offset:32
	s_and_saveexec_b64 s[4:5], vcc
	s_cbranch_execz .LBB33_205
; %bb.204:
	buffer_load_dword v71, off, s[0:3], 0 offset:24
	buffer_load_dword v72, off, s[0:3], 0 offset:28
	s_waitcnt vmcnt(0)
	ds_write_b64 v69, v[71:72]
	buffer_store_dword v70, off, s[0:3], 0 offset:24
	buffer_store_dword v70, off, s[0:3], 0 offset:28
.LBB33_205:
	s_or_b64 exec, exec, s[4:5]
	s_waitcnt lgkmcnt(0)
	; wave barrier
	buffer_load_dword v79, off, s[0:3], 0 offset:32
	buffer_load_dword v80, off, s[0:3], 0 offset:36
	;; [unrolled: 1-line block ×22, first 2 shown]
	ds_read_b128 v[71:74], v70 offset:304
	ds_read_b128 v[75:78], v70 offset:320
	v_cmp_lt_u32_e32 vcc, 2, v0
	s_waitcnt vmcnt(20) lgkmcnt(1)
	v_fma_f64 v[71:72], v[79:80], v[71:72], 0
	s_waitcnt vmcnt(18)
	v_fma_f64 v[71:72], v[81:82], v[73:74], v[71:72]
	buffer_load_dword v80, off, s[0:3], 0 offset:124
	buffer_load_dword v81, off, s[0:3], 0 offset:144
	;; [unrolled: 1-line block ×7, first 2 shown]
	s_waitcnt vmcnt(23) lgkmcnt(0)
	v_fma_f64 v[71:72], v[83:84], v[75:76], v[71:72]
	s_waitcnt vmcnt(21)
	v_fma_f64 v[82:83], v[85:86], v[77:78], v[71:72]
	ds_read_b128 v[71:74], v70 offset:336
	ds_read_b128 v[75:78], v70 offset:352
	s_waitcnt vmcnt(19) lgkmcnt(1)
	v_fma_f64 v[71:72], v[87:88], v[71:72], v[82:83]
	buffer_load_dword v82, off, s[0:3], 0 offset:148
	s_waitcnt vmcnt(18)
	v_fma_f64 v[71:72], v[89:90], v[73:74], v[71:72]
	buffer_load_dword v84, off, s[0:3], 0 offset:156
	buffer_load_dword v85, off, s[0:3], 0 offset:176
	;; [unrolled: 1-line block ×7, first 2 shown]
	s_waitcnt vmcnt(23) lgkmcnt(0)
	v_fma_f64 v[71:72], v[91:92], v[75:76], v[71:72]
	s_waitcnt vmcnt(18)
	v_fma_f64 v[91:92], v[93:94], v[77:78], v[71:72]
	ds_read_b128 v[71:74], v70 offset:368
	ds_read_b128 v[75:78], v70 offset:384
	buffer_load_dword v86, off, s[0:3], 0 offset:180
	s_waitcnt vmcnt(18) lgkmcnt(1)
	v_fma_f64 v[71:72], v[99:100], v[71:72], v[91:92]
	s_waitcnt vmcnt(17)
	v_fma_f64 v[71:72], v[97:98], v[73:74], v[71:72]
	buffer_load_dword v92, off, s[0:3], 0 offset:188
	buffer_load_dword v93, off, s[0:3], 0 offset:208
	;; [unrolled: 1-line block ×8, first 2 shown]
	s_waitcnt vmcnt(24) lgkmcnt(0)
	v_fma_f64 v[71:72], v[95:96], v[75:76], v[71:72]
	s_waitcnt vmcnt(19)
	v_fma_f64 v[79:80], v[79:80], v[77:78], v[71:72]
	ds_read_b128 v[71:74], v70 offset:400
	ds_read_b128 v[75:78], v70 offset:416
	s_waitcnt vmcnt(18) lgkmcnt(1)
	v_fma_f64 v[71:72], v[103:104], v[71:72], v[79:80]
	s_waitcnt vmcnt(17)
	v_fma_f64 v[71:72], v[101:102], v[73:74], v[71:72]
	buffer_load_dword v80, off, s[0:3], 0 offset:220
	buffer_load_dword v95, off, s[0:3], 0 offset:240
	;; [unrolled: 1-line block ×8, first 2 shown]
	s_waitcnt vmcnt(24) lgkmcnt(0)
	v_fma_f64 v[71:72], v[81:82], v[75:76], v[71:72]
	s_waitcnt vmcnt(19)
	v_fma_f64 v[81:82], v[83:84], v[77:78], v[71:72]
	ds_read_b128 v[71:74], v70 offset:432
	ds_read_b128 v[75:78], v70 offset:448
	s_waitcnt vmcnt(18) lgkmcnt(1)
	v_fma_f64 v[71:72], v[89:90], v[71:72], v[81:82]
	s_waitcnt vmcnt(17)
	v_fma_f64 v[71:72], v[87:88], v[73:74], v[71:72]
	buffer_load_dword v82, off, s[0:3], 0 offset:252
	buffer_load_dword v83, off, s[0:3], 0 offset:264
	;; [unrolled: 1-line block ×6, first 2 shown]
	s_waitcnt vmcnt(22) lgkmcnt(0)
	v_fma_f64 v[71:72], v[85:86], v[75:76], v[71:72]
	s_waitcnt vmcnt(17)
	v_fma_f64 v[85:86], v[91:92], v[77:78], v[71:72]
	ds_read_b128 v[71:74], v70 offset:464
	buffer_load_dword v89, off, s[0:3], 0 offset:24
	buffer_load_dword v90, off, s[0:3], 0 offset:28
	ds_read_b128 v[75:78], v70 offset:480
	s_waitcnt vmcnt(18) lgkmcnt(1)
	v_fma_f64 v[71:72], v[99:100], v[71:72], v[85:86]
	s_waitcnt vmcnt(17)
	v_fma_f64 v[71:72], v[97:98], v[73:74], v[71:72]
	s_waitcnt vmcnt(16) lgkmcnt(0)
	v_fma_f64 v[71:72], v[93:94], v[75:76], v[71:72]
	s_waitcnt vmcnt(11)
	v_fma_f64 v[79:80], v[79:80], v[77:78], v[71:72]
	ds_read_b128 v[71:74], v70 offset:496
	ds_read_b128 v[75:78], v70 offset:512
	s_waitcnt vmcnt(10) lgkmcnt(1)
	v_fma_f64 v[71:72], v[103:104], v[71:72], v[79:80]
	s_waitcnt vmcnt(9)
	v_fma_f64 v[71:72], v[101:102], v[73:74], v[71:72]
	s_waitcnt vmcnt(8) lgkmcnt(0)
	v_fma_f64 v[71:72], v[95:96], v[75:76], v[71:72]
	s_waitcnt vmcnt(4)
	v_fma_f64 v[74:75], v[81:82], v[77:78], v[71:72]
	ds_read_b128 v[70:73], v70 offset:528
	s_waitcnt vmcnt(3) lgkmcnt(0)
	v_fma_f64 v[70:71], v[87:88], v[70:71], v[74:75]
	s_waitcnt vmcnt(2)
	v_fma_f64 v[70:71], v[83:84], v[72:73], v[70:71]
	s_waitcnt vmcnt(0)
	v_add_f64 v[70:71], v[89:90], -v[70:71]
	buffer_store_dword v71, off, s[0:3], 0 offset:28
	buffer_store_dword v70, off, s[0:3], 0 offset:24
	s_and_saveexec_b64 s[4:5], vcc
	s_cbranch_execz .LBB33_207
; %bb.206:
	buffer_load_dword v70, off, s[0:3], 0 offset:16
	buffer_load_dword v71, off, s[0:3], 0 offset:20
	v_mov_b32_e32 v72, 0
	buffer_store_dword v72, off, s[0:3], 0 offset:16
	buffer_store_dword v72, off, s[0:3], 0 offset:20
	s_waitcnt vmcnt(2)
	ds_write_b64 v69, v[70:71]
.LBB33_207:
	s_or_b64 exec, exec, s[4:5]
	s_waitcnt lgkmcnt(0)
	; wave barrier
	buffer_load_dword v79, off, s[0:3], 0 offset:24
	buffer_load_dword v80, off, s[0:3], 0 offset:28
	;; [unrolled: 1-line block ×22, first 2 shown]
	v_mov_b32_e32 v70, 0
	ds_read2_b64 v[71:74], v70 offset0:37 offset1:38
	ds_read2_b64 v[75:78], v70 offset0:39 offset1:40
	v_cmp_lt_u32_e32 vcc, 1, v0
	s_waitcnt vmcnt(20) lgkmcnt(1)
	v_fma_f64 v[71:72], v[79:80], v[71:72], 0
	s_waitcnt vmcnt(18)
	v_fma_f64 v[71:72], v[81:82], v[73:74], v[71:72]
	buffer_load_dword v80, off, s[0:3], 0 offset:116
	buffer_load_dword v81, off, s[0:3], 0 offset:136
	;; [unrolled: 1-line block ×7, first 2 shown]
	s_waitcnt vmcnt(23) lgkmcnt(0)
	v_fma_f64 v[71:72], v[83:84], v[75:76], v[71:72]
	s_waitcnt vmcnt(21)
	v_fma_f64 v[82:83], v[85:86], v[77:78], v[71:72]
	ds_read2_b64 v[71:74], v70 offset0:41 offset1:42
	ds_read2_b64 v[75:78], v70 offset0:43 offset1:44
	s_waitcnt vmcnt(19) lgkmcnt(1)
	v_fma_f64 v[71:72], v[87:88], v[71:72], v[82:83]
	buffer_load_dword v82, off, s[0:3], 0 offset:140
	s_waitcnt vmcnt(18)
	v_fma_f64 v[71:72], v[89:90], v[73:74], v[71:72]
	buffer_load_dword v84, off, s[0:3], 0 offset:148
	buffer_load_dword v85, off, s[0:3], 0 offset:168
	;; [unrolled: 1-line block ×7, first 2 shown]
	s_waitcnt vmcnt(23) lgkmcnt(0)
	v_fma_f64 v[71:72], v[91:92], v[75:76], v[71:72]
	s_waitcnt vmcnt(18)
	v_fma_f64 v[91:92], v[93:94], v[77:78], v[71:72]
	ds_read2_b64 v[71:74], v70 offset0:45 offset1:46
	ds_read2_b64 v[75:78], v70 offset0:47 offset1:48
	buffer_load_dword v86, off, s[0:3], 0 offset:172
	s_waitcnt vmcnt(18) lgkmcnt(1)
	v_fma_f64 v[71:72], v[99:100], v[71:72], v[91:92]
	s_waitcnt vmcnt(17)
	v_fma_f64 v[71:72], v[97:98], v[73:74], v[71:72]
	buffer_load_dword v92, off, s[0:3], 0 offset:180
	buffer_load_dword v93, off, s[0:3], 0 offset:200
	buffer_load_dword v97, off, s[0:3], 0 offset:192
	buffer_load_dword v99, off, s[0:3], 0 offset:184
	buffer_load_dword v91, off, s[0:3], 0 offset:176
	buffer_load_dword v100, off, s[0:3], 0 offset:188
	buffer_load_dword v98, off, s[0:3], 0 offset:196
	buffer_load_dword v94, off, s[0:3], 0 offset:204
	s_waitcnt vmcnt(24) lgkmcnt(0)
	v_fma_f64 v[71:72], v[95:96], v[75:76], v[71:72]
	s_waitcnt vmcnt(19)
	v_fma_f64 v[79:80], v[79:80], v[77:78], v[71:72]
	ds_read2_b64 v[71:74], v70 offset0:49 offset1:50
	ds_read2_b64 v[75:78], v70 offset0:51 offset1:52
	s_waitcnt vmcnt(18) lgkmcnt(1)
	v_fma_f64 v[71:72], v[103:104], v[71:72], v[79:80]
	s_waitcnt vmcnt(17)
	v_fma_f64 v[71:72], v[101:102], v[73:74], v[71:72]
	buffer_load_dword v80, off, s[0:3], 0 offset:212
	buffer_load_dword v95, off, s[0:3], 0 offset:232
	buffer_load_dword v101, off, s[0:3], 0 offset:224
	buffer_load_dword v103, off, s[0:3], 0 offset:216
	buffer_load_dword v79, off, s[0:3], 0 offset:208
	buffer_load_dword v104, off, s[0:3], 0 offset:220
	buffer_load_dword v102, off, s[0:3], 0 offset:228
	buffer_load_dword v96, off, s[0:3], 0 offset:236
	s_waitcnt vmcnt(24) lgkmcnt(0)
	v_fma_f64 v[71:72], v[81:82], v[75:76], v[71:72]
	s_waitcnt vmcnt(19)
	v_fma_f64 v[81:82], v[83:84], v[77:78], v[71:72]
	ds_read2_b64 v[71:74], v70 offset0:53 offset1:54
	ds_read2_b64 v[75:78], v70 offset0:55 offset1:56
	;; [unrolled: 18-line block ×3, first 2 shown]
	s_waitcnt vmcnt(18) lgkmcnt(1)
	v_fma_f64 v[71:72], v[99:100], v[71:72], v[85:86]
	buffer_load_dword v85, off, s[0:3], 0 offset:16
	buffer_load_dword v86, off, s[0:3], 0 offset:20
	s_waitcnt vmcnt(19)
	v_fma_f64 v[71:72], v[97:98], v[73:74], v[71:72]
	s_waitcnt vmcnt(18) lgkmcnt(0)
	v_fma_f64 v[71:72], v[93:94], v[75:76], v[71:72]
	s_waitcnt vmcnt(13)
	v_fma_f64 v[79:80], v[79:80], v[77:78], v[71:72]
	ds_read2_b64 v[71:74], v70 offset0:61 offset1:62
	ds_read2_b64 v[75:78], v70 offset0:63 offset1:64
	s_waitcnt vmcnt(12) lgkmcnt(1)
	v_fma_f64 v[71:72], v[103:104], v[71:72], v[79:80]
	s_waitcnt vmcnt(11)
	v_fma_f64 v[71:72], v[101:102], v[73:74], v[71:72]
	s_waitcnt vmcnt(10) lgkmcnt(0)
	v_fma_f64 v[71:72], v[95:96], v[75:76], v[71:72]
	s_waitcnt vmcnt(5)
	v_fma_f64 v[75:76], v[81:82], v[77:78], v[71:72]
	ds_read2_b64 v[71:74], v70 offset0:65 offset1:66
	ds_read_b64 v[77:78], v70 offset:536
	s_waitcnt vmcnt(4) lgkmcnt(1)
	v_fma_f64 v[71:72], v[89:90], v[71:72], v[75:76]
	s_waitcnt vmcnt(3)
	v_fma_f64 v[71:72], v[87:88], v[73:74], v[71:72]
	s_waitcnt vmcnt(2) lgkmcnt(0)
	v_fma_f64 v[71:72], v[83:84], v[77:78], v[71:72]
	s_waitcnt vmcnt(0)
	v_add_f64 v[71:72], v[85:86], -v[71:72]
	buffer_store_dword v72, off, s[0:3], 0 offset:20
	buffer_store_dword v71, off, s[0:3], 0 offset:16
	s_and_saveexec_b64 s[4:5], vcc
	s_cbranch_execz .LBB33_209
; %bb.208:
	buffer_load_dword v71, off, s[0:3], 0 offset:8
	buffer_load_dword v72, off, s[0:3], 0 offset:12
	s_waitcnt vmcnt(0)
	ds_write_b64 v69, v[71:72]
	buffer_store_dword v70, off, s[0:3], 0 offset:8
	buffer_store_dword v70, off, s[0:3], 0 offset:12
.LBB33_209:
	s_or_b64 exec, exec, s[4:5]
	s_waitcnt lgkmcnt(0)
	; wave barrier
	buffer_load_dword v79, off, s[0:3], 0 offset:16
	buffer_load_dword v80, off, s[0:3], 0 offset:20
	;; [unrolled: 1-line block ×22, first 2 shown]
	ds_read_b128 v[71:74], v70 offset:288
	ds_read_b128 v[75:78], v70 offset:304
	v_cmp_ne_u32_e32 vcc, 0, v0
	s_waitcnt vmcnt(20) lgkmcnt(1)
	v_fma_f64 v[71:72], v[79:80], v[71:72], 0
	s_waitcnt vmcnt(18)
	v_fma_f64 v[71:72], v[81:82], v[73:74], v[71:72]
	buffer_load_dword v80, off, s[0:3], 0 offset:108
	buffer_load_dword v81, off, s[0:3], 0 offset:128
	;; [unrolled: 1-line block ×7, first 2 shown]
	s_waitcnt vmcnt(23) lgkmcnt(0)
	v_fma_f64 v[71:72], v[83:84], v[75:76], v[71:72]
	s_waitcnt vmcnt(21)
	v_fma_f64 v[82:83], v[85:86], v[77:78], v[71:72]
	ds_read_b128 v[71:74], v70 offset:320
	ds_read_b128 v[75:78], v70 offset:336
	s_waitcnt vmcnt(19) lgkmcnt(1)
	v_fma_f64 v[71:72], v[87:88], v[71:72], v[82:83]
	buffer_load_dword v82, off, s[0:3], 0 offset:132
	s_waitcnt vmcnt(18)
	v_fma_f64 v[71:72], v[89:90], v[73:74], v[71:72]
	buffer_load_dword v84, off, s[0:3], 0 offset:140
	buffer_load_dword v85, off, s[0:3], 0 offset:160
	;; [unrolled: 1-line block ×7, first 2 shown]
	s_waitcnt vmcnt(23) lgkmcnt(0)
	v_fma_f64 v[71:72], v[91:92], v[75:76], v[71:72]
	s_waitcnt vmcnt(18)
	v_fma_f64 v[91:92], v[93:94], v[77:78], v[71:72]
	ds_read_b128 v[71:74], v70 offset:352
	ds_read_b128 v[75:78], v70 offset:368
	buffer_load_dword v86, off, s[0:3], 0 offset:164
	s_waitcnt vmcnt(18) lgkmcnt(1)
	v_fma_f64 v[71:72], v[99:100], v[71:72], v[91:92]
	s_waitcnt vmcnt(17)
	v_fma_f64 v[71:72], v[97:98], v[73:74], v[71:72]
	buffer_load_dword v92, off, s[0:3], 0 offset:172
	buffer_load_dword v93, off, s[0:3], 0 offset:192
	buffer_load_dword v97, off, s[0:3], 0 offset:184
	buffer_load_dword v99, off, s[0:3], 0 offset:176
	buffer_load_dword v91, off, s[0:3], 0 offset:168
	buffer_load_dword v100, off, s[0:3], 0 offset:180
	buffer_load_dword v98, off, s[0:3], 0 offset:188
	buffer_load_dword v94, off, s[0:3], 0 offset:196
	s_waitcnt vmcnt(24) lgkmcnt(0)
	v_fma_f64 v[71:72], v[95:96], v[75:76], v[71:72]
	s_waitcnt vmcnt(19)
	v_fma_f64 v[79:80], v[79:80], v[77:78], v[71:72]
	ds_read_b128 v[71:74], v70 offset:384
	ds_read_b128 v[75:78], v70 offset:400
	s_waitcnt vmcnt(18) lgkmcnt(1)
	v_fma_f64 v[71:72], v[103:104], v[71:72], v[79:80]
	s_waitcnt vmcnt(17)
	v_fma_f64 v[71:72], v[101:102], v[73:74], v[71:72]
	buffer_load_dword v80, off, s[0:3], 0 offset:204
	buffer_load_dword v95, off, s[0:3], 0 offset:224
	buffer_load_dword v101, off, s[0:3], 0 offset:216
	buffer_load_dword v103, off, s[0:3], 0 offset:208
	buffer_load_dword v79, off, s[0:3], 0 offset:200
	buffer_load_dword v104, off, s[0:3], 0 offset:212
	buffer_load_dword v102, off, s[0:3], 0 offset:220
	buffer_load_dword v96, off, s[0:3], 0 offset:228
	s_waitcnt vmcnt(24) lgkmcnt(0)
	v_fma_f64 v[71:72], v[81:82], v[75:76], v[71:72]
	s_waitcnt vmcnt(19)
	v_fma_f64 v[81:82], v[83:84], v[77:78], v[71:72]
	ds_read_b128 v[71:74], v70 offset:416
	ds_read_b128 v[75:78], v70 offset:432
	;; [unrolled: 18-line block ×3, first 2 shown]
	s_waitcnt vmcnt(18) lgkmcnt(1)
	v_fma_f64 v[71:72], v[99:100], v[71:72], v[85:86]
	buffer_load_dword v86, off, s[0:3], 0 offset:268
	buffer_load_dword v85, off, s[0:3], 0 offset:264
	;; [unrolled: 1-line block ×4, first 2 shown]
	s_waitcnt vmcnt(21)
	v_fma_f64 v[71:72], v[97:98], v[73:74], v[71:72]
	s_waitcnt vmcnt(20) lgkmcnt(0)
	v_fma_f64 v[71:72], v[93:94], v[75:76], v[71:72]
	s_waitcnt vmcnt(15)
	v_fma_f64 v[79:80], v[79:80], v[77:78], v[71:72]
	ds_read_b128 v[71:74], v70 offset:480
	ds_read_b128 v[75:78], v70 offset:496
	s_waitcnt vmcnt(14) lgkmcnt(1)
	v_fma_f64 v[71:72], v[103:104], v[71:72], v[79:80]
	s_waitcnt vmcnt(13)
	v_fma_f64 v[71:72], v[101:102], v[73:74], v[71:72]
	s_waitcnt vmcnt(12) lgkmcnt(0)
	v_fma_f64 v[71:72], v[95:96], v[75:76], v[71:72]
	s_waitcnt vmcnt(7)
	v_fma_f64 v[79:80], v[81:82], v[77:78], v[71:72]
	ds_read_b128 v[71:74], v70 offset:512
	ds_read_b128 v[75:78], v70 offset:528
	s_waitcnt vmcnt(6) lgkmcnt(1)
	v_fma_f64 v[70:71], v[89:90], v[71:72], v[79:80]
	s_waitcnt vmcnt(5)
	v_fma_f64 v[70:71], v[87:88], v[73:74], v[70:71]
	s_waitcnt vmcnt(4) lgkmcnt(0)
	v_fma_f64 v[70:71], v[83:84], v[75:76], v[70:71]
	s_waitcnt vmcnt(2)
	v_fma_f64 v[70:71], v[85:86], v[77:78], v[70:71]
	s_waitcnt vmcnt(0)
	v_add_f64 v[70:71], v[91:92], -v[70:71]
	buffer_store_dword v71, off, s[0:3], 0 offset:12
	buffer_store_dword v70, off, s[0:3], 0 offset:8
	s_and_saveexec_b64 s[4:5], vcc
	s_cbranch_execz .LBB33_211
; %bb.210:
	buffer_load_dword v70, off, s[0:3], 0
	buffer_load_dword v71, off, s[0:3], 0 offset:4
	v_mov_b32_e32 v0, 0
	buffer_store_dword v0, off, s[0:3], 0
	buffer_store_dword v0, off, s[0:3], 0 offset:4
	s_waitcnt vmcnt(2)
	ds_write_b64 v69, v[70:71]
.LBB33_211:
	s_or_b64 exec, exec, s[4:5]
	s_waitcnt lgkmcnt(0)
	; wave barrier
	buffer_load_dword v77, off, s[0:3], 0 offset:8
	buffer_load_dword v78, off, s[0:3], 0 offset:12
	;; [unrolled: 1-line block ×21, first 2 shown]
	v_mov_b32_e32 v0, 0
	ds_read2_b64 v[69:72], v0 offset0:35 offset1:36
	ds_read2_b64 v[73:76], v0 offset0:37 offset1:38
	buffer_load_dword v94, off, s[0:3], 0 offset:92
	s_and_b64 vcc, exec, s[22:23]
	s_waitcnt vmcnt(20) lgkmcnt(1)
	v_fma_f64 v[69:70], v[77:78], v[69:70], 0
	s_waitcnt vmcnt(18)
	v_fma_f64 v[69:70], v[79:80], v[71:72], v[69:70]
	buffer_load_dword v78, off, s[0:3], 0 offset:100
	buffer_load_dword v79, off, s[0:3], 0 offset:120
	;; [unrolled: 1-line block ×7, first 2 shown]
	s_waitcnt vmcnt(23) lgkmcnt(0)
	v_fma_f64 v[69:70], v[81:82], v[73:74], v[69:70]
	s_waitcnt vmcnt(21)
	v_fma_f64 v[80:81], v[83:84], v[75:76], v[69:70]
	ds_read2_b64 v[69:72], v0 offset0:39 offset1:40
	ds_read2_b64 v[73:76], v0 offset0:41 offset1:42
	s_waitcnt vmcnt(19) lgkmcnt(1)
	v_fma_f64 v[69:70], v[85:86], v[69:70], v[80:81]
	buffer_load_dword v80, off, s[0:3], 0 offset:124
	s_waitcnt vmcnt(18)
	v_fma_f64 v[69:70], v[87:88], v[71:72], v[69:70]
	buffer_load_dword v82, off, s[0:3], 0 offset:132
	buffer_load_dword v83, off, s[0:3], 0 offset:152
	buffer_load_dword v85, off, s[0:3], 0 offset:144
	buffer_load_dword v87, off, s[0:3], 0 offset:136
	buffer_load_dword v81, off, s[0:3], 0 offset:128
	buffer_load_dword v88, off, s[0:3], 0 offset:140
	buffer_load_dword v86, off, s[0:3], 0 offset:148
	s_waitcnt vmcnt(23) lgkmcnt(0)
	v_fma_f64 v[69:70], v[89:90], v[73:74], v[69:70]
	s_waitcnt vmcnt(18)
	v_fma_f64 v[89:90], v[91:92], v[75:76], v[69:70]
	ds_read2_b64 v[69:72], v0 offset0:43 offset1:44
	ds_read2_b64 v[73:76], v0 offset0:45 offset1:46
	buffer_load_dword v84, off, s[0:3], 0 offset:156
	s_waitcnt vmcnt(18) lgkmcnt(1)
	v_fma_f64 v[69:70], v[97:98], v[69:70], v[89:90]
	s_waitcnt vmcnt(17)
	v_fma_f64 v[69:70], v[95:96], v[71:72], v[69:70]
	buffer_load_dword v90, off, s[0:3], 0 offset:164
	buffer_load_dword v91, off, s[0:3], 0 offset:184
	;; [unrolled: 1-line block ×7, first 2 shown]
	s_waitcnt vmcnt(23) lgkmcnt(0)
	v_fma_f64 v[69:70], v[93:94], v[73:74], v[69:70]
	s_waitcnt vmcnt(18)
	v_fma_f64 v[77:78], v[77:78], v[75:76], v[69:70]
	ds_read2_b64 v[69:72], v0 offset0:47 offset1:48
	ds_read2_b64 v[73:76], v0 offset0:49 offset1:50
	buffer_load_dword v92, off, s[0:3], 0 offset:188
	s_waitcnt vmcnt(18) lgkmcnt(1)
	v_fma_f64 v[69:70], v[101:102], v[69:70], v[77:78]
	s_waitcnt vmcnt(17)
	v_fma_f64 v[69:70], v[99:100], v[71:72], v[69:70]
	buffer_load_dword v78, off, s[0:3], 0 offset:196
	buffer_load_dword v93, off, s[0:3], 0 offset:216
	buffer_load_dword v99, off, s[0:3], 0 offset:208
	buffer_load_dword v101, off, s[0:3], 0 offset:200
	buffer_load_dword v77, off, s[0:3], 0 offset:192
	buffer_load_dword v102, off, s[0:3], 0 offset:204
	buffer_load_dword v100, off, s[0:3], 0 offset:212
	buffer_load_dword v94, off, s[0:3], 0 offset:220
	s_waitcnt vmcnt(24) lgkmcnt(0)
	v_fma_f64 v[69:70], v[79:80], v[73:74], v[69:70]
	s_waitcnt vmcnt(19)
	v_fma_f64 v[79:80], v[81:82], v[75:76], v[69:70]
	ds_read2_b64 v[69:72], v0 offset0:51 offset1:52
	ds_read2_b64 v[73:76], v0 offset0:53 offset1:54
	s_waitcnt vmcnt(18) lgkmcnt(1)
	v_fma_f64 v[69:70], v[87:88], v[69:70], v[79:80]
	s_waitcnt vmcnt(17)
	v_fma_f64 v[69:70], v[85:86], v[71:72], v[69:70]
	buffer_load_dword v80, off, s[0:3], 0 offset:228
	buffer_load_dword v81, off, s[0:3], 0 offset:248
	;; [unrolled: 1-line block ×7, first 2 shown]
	s_waitcnt vmcnt(23) lgkmcnt(0)
	v_fma_f64 v[69:70], v[83:84], v[73:74], v[69:70]
	s_waitcnt vmcnt(18)
	v_fma_f64 v[82:83], v[89:90], v[75:76], v[69:70]
	ds_read2_b64 v[69:72], v0 offset0:55 offset1:56
	ds_read2_b64 v[73:76], v0 offset0:57 offset1:58
	s_waitcnt vmcnt(17) lgkmcnt(1)
	v_fma_f64 v[69:70], v[97:98], v[69:70], v[82:83]
	buffer_load_dword v82, off, s[0:3], 0 offset:252
	s_waitcnt vmcnt(17)
	v_fma_f64 v[71:72], v[95:96], v[71:72], v[69:70]
	buffer_load_dword v70, off, s[0:3], 0 offset:260
	buffer_load_dword v83, off, s[0:3], 0 offset:264
	;; [unrolled: 1-line block ×4, first 2 shown]
	buffer_load_dword v89, off, s[0:3], 0
	buffer_load_dword v90, off, s[0:3], 0 offset:4
	s_waitcnt vmcnt(22) lgkmcnt(0)
	v_fma_f64 v[71:72], v[91:92], v[73:74], v[71:72]
	s_waitcnt vmcnt(17)
	v_fma_f64 v[91:92], v[77:78], v[75:76], v[71:72]
	ds_read2_b64 v[71:74], v0 offset0:59 offset1:60
	ds_read2_b64 v[75:78], v0 offset0:61 offset1:62
	s_waitcnt vmcnt(16) lgkmcnt(1)
	v_fma_f64 v[71:72], v[101:102], v[71:72], v[91:92]
	s_waitcnt vmcnt(15)
	v_fma_f64 v[71:72], v[99:100], v[73:74], v[71:72]
	s_waitcnt vmcnt(14) lgkmcnt(0)
	v_fma_f64 v[71:72], v[93:94], v[75:76], v[71:72]
	s_waitcnt vmcnt(9)
	v_fma_f64 v[79:80], v[79:80], v[77:78], v[71:72]
	ds_read2_b64 v[71:74], v0 offset0:63 offset1:64
	ds_read2_b64 v[75:78], v0 offset0:65 offset1:66
	s_waitcnt vmcnt(8) lgkmcnt(1)
	v_fma_f64 v[71:72], v[87:88], v[71:72], v[79:80]
	s_waitcnt vmcnt(7)
	v_fma_f64 v[71:72], v[85:86], v[73:74], v[71:72]
	ds_read_b64 v[73:74], v0 offset:536
	s_waitcnt vmcnt(6) lgkmcnt(1)
	v_fma_f64 v[71:72], v[81:82], v[75:76], v[71:72]
	s_waitcnt vmcnt(3)
	v_fma_f64 v[71:72], v[69:70], v[77:78], v[71:72]
	s_waitcnt vmcnt(2) lgkmcnt(0)
	v_fma_f64 v[71:72], v[83:84], v[73:74], v[71:72]
	s_waitcnt vmcnt(0)
	v_add_f64 v[71:72], v[89:90], -v[71:72]
	buffer_store_dword v72, off, s[0:3], 0 offset:4
	buffer_store_dword v71, off, s[0:3], 0
	s_cbranch_vccz .LBB33_278
; %bb.212:
	global_load_dword v0, v0, s[20:21] offset:128
	s_waitcnt vmcnt(0)
	v_add_u32_e32 v0, -1, v0
	v_cmp_ne_u32_e32 vcc, 32, v0
	s_cbranch_vccz .LBB33_214
; %bb.213:
	v_lshlrev_b32_e32 v0, 3, v0
	buffer_load_dword v71, v0, s[0:3], 0 offen offset:4
	buffer_load_dword v72, v0, s[0:3], 0 offen
	s_waitcnt vmcnt(1)
	buffer_store_dword v71, off, s[0:3], 0 offset:260
	s_waitcnt vmcnt(1)
	buffer_store_dword v72, off, s[0:3], 0 offset:256
	buffer_store_dword v70, v0, s[0:3], 0 offen offset:4
	buffer_store_dword v69, v0, s[0:3], 0 offen
.LBB33_214:
	v_mov_b32_e32 v0, 0
	global_load_dword v69, v0, s[20:21] offset:124
	s_waitcnt vmcnt(0)
	v_add_u32_e32 v69, -1, v69
	v_cmp_eq_u32_e32 vcc, 31, v69
	s_cbranch_vccnz .LBB33_216
; %bb.215:
	v_lshlrev_b32_e32 v69, 3, v69
	buffer_load_dword v70, v69, s[0:3], 0 offen
	buffer_load_dword v71, v69, s[0:3], 0 offen offset:4
	buffer_load_dword v72, off, s[0:3], 0 offset:248
	buffer_load_dword v73, off, s[0:3], 0 offset:252
	s_waitcnt vmcnt(3)
	buffer_store_dword v70, off, s[0:3], 0 offset:248
	s_waitcnt vmcnt(3)
	buffer_store_dword v71, off, s[0:3], 0 offset:252
	s_waitcnt vmcnt(3)
	buffer_store_dword v72, v69, s[0:3], 0 offen
	s_waitcnt vmcnt(3)
	buffer_store_dword v73, v69, s[0:3], 0 offen offset:4
.LBB33_216:
	global_load_dword v0, v0, s[20:21] offset:120
	s_waitcnt vmcnt(0)
	v_add_u32_e32 v0, -1, v0
	v_cmp_eq_u32_e32 vcc, 30, v0
	s_cbranch_vccnz .LBB33_218
; %bb.217:
	v_lshlrev_b32_e32 v0, 3, v0
	buffer_load_dword v69, v0, s[0:3], 0 offen
	buffer_load_dword v70, v0, s[0:3], 0 offen offset:4
	buffer_load_dword v71, off, s[0:3], 0 offset:244
	buffer_load_dword v72, off, s[0:3], 0 offset:240
	s_waitcnt vmcnt(3)
	buffer_store_dword v69, off, s[0:3], 0 offset:240
	s_waitcnt vmcnt(3)
	buffer_store_dword v70, off, s[0:3], 0 offset:244
	s_waitcnt vmcnt(3)
	buffer_store_dword v71, v0, s[0:3], 0 offen offset:4
	s_waitcnt vmcnt(3)
	buffer_store_dword v72, v0, s[0:3], 0 offen
.LBB33_218:
	v_mov_b32_e32 v0, 0
	global_load_dword v69, v0, s[20:21] offset:116
	s_waitcnt vmcnt(0)
	v_add_u32_e32 v69, -1, v69
	v_cmp_eq_u32_e32 vcc, 29, v69
	s_cbranch_vccnz .LBB33_220
; %bb.219:
	v_lshlrev_b32_e32 v69, 3, v69
	buffer_load_dword v70, v69, s[0:3], 0 offen
	buffer_load_dword v71, v69, s[0:3], 0 offen offset:4
	buffer_load_dword v72, off, s[0:3], 0 offset:232
	buffer_load_dword v73, off, s[0:3], 0 offset:236
	s_waitcnt vmcnt(3)
	buffer_store_dword v70, off, s[0:3], 0 offset:232
	s_waitcnt vmcnt(3)
	buffer_store_dword v71, off, s[0:3], 0 offset:236
	s_waitcnt vmcnt(3)
	buffer_store_dword v72, v69, s[0:3], 0 offen
	s_waitcnt vmcnt(3)
	buffer_store_dword v73, v69, s[0:3], 0 offen offset:4
.LBB33_220:
	global_load_dword v0, v0, s[20:21] offset:112
	s_waitcnt vmcnt(0)
	v_add_u32_e32 v0, -1, v0
	v_cmp_eq_u32_e32 vcc, 28, v0
	s_cbranch_vccnz .LBB33_222
; %bb.221:
	v_lshlrev_b32_e32 v0, 3, v0
	buffer_load_dword v69, v0, s[0:3], 0 offen
	buffer_load_dword v70, v0, s[0:3], 0 offen offset:4
	buffer_load_dword v71, off, s[0:3], 0 offset:228
	buffer_load_dword v72, off, s[0:3], 0 offset:224
	s_waitcnt vmcnt(3)
	buffer_store_dword v69, off, s[0:3], 0 offset:224
	s_waitcnt vmcnt(3)
	buffer_store_dword v70, off, s[0:3], 0 offset:228
	s_waitcnt vmcnt(3)
	buffer_store_dword v71, v0, s[0:3], 0 offen offset:4
	s_waitcnt vmcnt(3)
	buffer_store_dword v72, v0, s[0:3], 0 offen
.LBB33_222:
	;; [unrolled: 41-line block ×15, first 2 shown]
	v_mov_b32_e32 v0, 0
	global_load_dword v69, v0, s[20:21] offset:4
	s_waitcnt vmcnt(0)
	v_add_u32_e32 v69, -1, v69
	v_cmp_eq_u32_e32 vcc, 1, v69
	s_cbranch_vccnz .LBB33_276
; %bb.275:
	v_lshlrev_b32_e32 v69, 3, v69
	buffer_load_dword v70, v69, s[0:3], 0 offen
	buffer_load_dword v71, v69, s[0:3], 0 offen offset:4
	buffer_load_dword v72, off, s[0:3], 0 offset:8
	buffer_load_dword v73, off, s[0:3], 0 offset:12
	s_waitcnt vmcnt(3)
	buffer_store_dword v70, off, s[0:3], 0 offset:8
	s_waitcnt vmcnt(3)
	buffer_store_dword v71, off, s[0:3], 0 offset:12
	s_waitcnt vmcnt(3)
	buffer_store_dword v72, v69, s[0:3], 0 offen
	s_waitcnt vmcnt(3)
	buffer_store_dword v73, v69, s[0:3], 0 offen offset:4
.LBB33_276:
	global_load_dword v0, v0, s[20:21]
	s_nop 0
	buffer_load_dword v71, off, s[0:3], 0
	buffer_load_dword v72, off, s[0:3], 0 offset:4
	s_waitcnt vmcnt(2)
	v_add_u32_e32 v0, -1, v0
	v_cmp_eq_u32_e32 vcc, 0, v0
	s_cbranch_vccnz .LBB33_278
; %bb.277:
	v_lshlrev_b32_e32 v0, 3, v0
	buffer_load_dword v69, v0, s[0:3], 0 offen offset:4
	buffer_load_dword v70, v0, s[0:3], 0 offen
	s_waitcnt vmcnt(1)
	buffer_store_dword v69, off, s[0:3], 0 offset:4
	s_waitcnt vmcnt(1)
	buffer_store_dword v70, off, s[0:3], 0
	buffer_store_dword v72, v0, s[0:3], 0 offen offset:4
	buffer_store_dword v71, v0, s[0:3], 0 offen
	buffer_load_dword v71, off, s[0:3], 0
	s_nop 0
	buffer_load_dword v72, off, s[0:3], 0 offset:4
.LBB33_278:
	buffer_load_dword v69, off, s[0:3], 0 offset:8
	buffer_load_dword v70, off, s[0:3], 0 offset:12
	;; [unrolled: 1-line block ×4, first 2 shown]
	s_waitcnt vmcnt(4)
	global_store_dwordx2 v[67:68], v[71:72], off
	buffer_load_dword v67, off, s[0:3], 0 offset:24
	s_nop 0
	buffer_load_dword v68, off, s[0:3], 0 offset:28
	buffer_load_dword v71, off, s[0:3], 0 offset:32
	;; [unrolled: 1-line block ×51, first 2 shown]
	s_waitcnt vmcnt(55)
	global_store_dwordx2 v[61:62], v[69:70], off
	s_waitcnt vmcnt(54)
	global_store_dwordx2 v[3:4], v[73:74], off
	buffer_load_dword v3, off, s[0:3], 0 offset:232
	s_nop 0
	buffer_load_dword v4, off, s[0:3], 0 offset:236
	buffer_load_dword v61, off, s[0:3], 0 offset:240
	;; [unrolled: 1-line block ×9, first 2 shown]
	s_waitcnt vmcnt(62)
	global_store_dwordx2 v[1:2], v[67:68], off
	s_waitcnt vmcnt(61)
	global_store_dwordx2 v[5:6], v[71:72], off
	;; [unrolled: 2-line block ×31, first 2 shown]
	s_endpgm
	.section	.rodata,"a",@progbits
	.p2align	6, 0x0
	.amdhsa_kernel _ZN9rocsolver6v33100L18getri_kernel_smallILi34EdPdEEvT1_iilPiilS4_bb
		.amdhsa_group_segment_fixed_size 552
		.amdhsa_private_segment_fixed_size 288
		.amdhsa_kernarg_size 60
		.amdhsa_user_sgpr_count 6
		.amdhsa_user_sgpr_private_segment_buffer 1
		.amdhsa_user_sgpr_dispatch_ptr 0
		.amdhsa_user_sgpr_queue_ptr 0
		.amdhsa_user_sgpr_kernarg_segment_ptr 1
		.amdhsa_user_sgpr_dispatch_id 0
		.amdhsa_user_sgpr_flat_scratch_init 0
		.amdhsa_user_sgpr_private_segment_size 0
		.amdhsa_uses_dynamic_stack 0
		.amdhsa_system_sgpr_private_segment_wavefront_offset 1
		.amdhsa_system_sgpr_workgroup_id_x 1
		.amdhsa_system_sgpr_workgroup_id_y 0
		.amdhsa_system_sgpr_workgroup_id_z 0
		.amdhsa_system_sgpr_workgroup_info 0
		.amdhsa_system_vgpr_workitem_id 0
		.amdhsa_next_free_vgpr 125
		.amdhsa_next_free_sgpr 24
		.amdhsa_reserve_vcc 1
		.amdhsa_reserve_flat_scratch 0
		.amdhsa_float_round_mode_32 0
		.amdhsa_float_round_mode_16_64 0
		.amdhsa_float_denorm_mode_32 3
		.amdhsa_float_denorm_mode_16_64 3
		.amdhsa_dx10_clamp 1
		.amdhsa_ieee_mode 1
		.amdhsa_fp16_overflow 0
		.amdhsa_exception_fp_ieee_invalid_op 0
		.amdhsa_exception_fp_denorm_src 0
		.amdhsa_exception_fp_ieee_div_zero 0
		.amdhsa_exception_fp_ieee_overflow 0
		.amdhsa_exception_fp_ieee_underflow 0
		.amdhsa_exception_fp_ieee_inexact 0
		.amdhsa_exception_int_div_zero 0
	.end_amdhsa_kernel
	.section	.text._ZN9rocsolver6v33100L18getri_kernel_smallILi34EdPdEEvT1_iilPiilS4_bb,"axG",@progbits,_ZN9rocsolver6v33100L18getri_kernel_smallILi34EdPdEEvT1_iilPiilS4_bb,comdat
.Lfunc_end33:
	.size	_ZN9rocsolver6v33100L18getri_kernel_smallILi34EdPdEEvT1_iilPiilS4_bb, .Lfunc_end33-_ZN9rocsolver6v33100L18getri_kernel_smallILi34EdPdEEvT1_iilPiilS4_bb
                                        ; -- End function
	.set _ZN9rocsolver6v33100L18getri_kernel_smallILi34EdPdEEvT1_iilPiilS4_bb.num_vgpr, 125
	.set _ZN9rocsolver6v33100L18getri_kernel_smallILi34EdPdEEvT1_iilPiilS4_bb.num_agpr, 0
	.set _ZN9rocsolver6v33100L18getri_kernel_smallILi34EdPdEEvT1_iilPiilS4_bb.numbered_sgpr, 24
	.set _ZN9rocsolver6v33100L18getri_kernel_smallILi34EdPdEEvT1_iilPiilS4_bb.num_named_barrier, 0
	.set _ZN9rocsolver6v33100L18getri_kernel_smallILi34EdPdEEvT1_iilPiilS4_bb.private_seg_size, 288
	.set _ZN9rocsolver6v33100L18getri_kernel_smallILi34EdPdEEvT1_iilPiilS4_bb.uses_vcc, 1
	.set _ZN9rocsolver6v33100L18getri_kernel_smallILi34EdPdEEvT1_iilPiilS4_bb.uses_flat_scratch, 0
	.set _ZN9rocsolver6v33100L18getri_kernel_smallILi34EdPdEEvT1_iilPiilS4_bb.has_dyn_sized_stack, 0
	.set _ZN9rocsolver6v33100L18getri_kernel_smallILi34EdPdEEvT1_iilPiilS4_bb.has_recursion, 0
	.set _ZN9rocsolver6v33100L18getri_kernel_smallILi34EdPdEEvT1_iilPiilS4_bb.has_indirect_call, 0
	.section	.AMDGPU.csdata,"",@progbits
; Kernel info:
; codeLenInByte = 34828
; TotalNumSgprs: 28
; NumVgprs: 125
; ScratchSize: 288
; MemoryBound: 1
; FloatMode: 240
; IeeeMode: 1
; LDSByteSize: 552 bytes/workgroup (compile time only)
; SGPRBlocks: 3
; VGPRBlocks: 31
; NumSGPRsForWavesPerEU: 28
; NumVGPRsForWavesPerEU: 125
; Occupancy: 2
; WaveLimiterHint : 1
; COMPUTE_PGM_RSRC2:SCRATCH_EN: 1
; COMPUTE_PGM_RSRC2:USER_SGPR: 6
; COMPUTE_PGM_RSRC2:TRAP_HANDLER: 0
; COMPUTE_PGM_RSRC2:TGID_X_EN: 1
; COMPUTE_PGM_RSRC2:TGID_Y_EN: 0
; COMPUTE_PGM_RSRC2:TGID_Z_EN: 0
; COMPUTE_PGM_RSRC2:TIDIG_COMP_CNT: 0
	.section	.text._ZN9rocsolver6v33100L18getri_kernel_smallILi35EdPdEEvT1_iilPiilS4_bb,"axG",@progbits,_ZN9rocsolver6v33100L18getri_kernel_smallILi35EdPdEEvT1_iilPiilS4_bb,comdat
	.globl	_ZN9rocsolver6v33100L18getri_kernel_smallILi35EdPdEEvT1_iilPiilS4_bb ; -- Begin function _ZN9rocsolver6v33100L18getri_kernel_smallILi35EdPdEEvT1_iilPiilS4_bb
	.p2align	8
	.type	_ZN9rocsolver6v33100L18getri_kernel_smallILi35EdPdEEvT1_iilPiilS4_bb,@function
_ZN9rocsolver6v33100L18getri_kernel_smallILi35EdPdEEvT1_iilPiilS4_bb: ; @_ZN9rocsolver6v33100L18getri_kernel_smallILi35EdPdEEvT1_iilPiilS4_bb
; %bb.0:
	s_add_u32 s0, s0, s7
	s_addc_u32 s1, s1, 0
	v_cmp_gt_u32_e32 vcc, 35, v0
	s_and_saveexec_b64 s[8:9], vcc
	s_cbranch_execz .LBB34_148
; %bb.1:
	s_load_dword s12, s[4:5], 0x38
	s_load_dwordx4 s[16:19], s[4:5], 0x10
	s_load_dwordx4 s[8:11], s[4:5], 0x28
                                        ; implicit-def: $sgpr20_sgpr21
	s_waitcnt lgkmcnt(0)
	s_bitcmp1_b32 s12, 8
	s_cselect_b64 s[22:23], -1, 0
	s_ashr_i32 s7, s6, 31
	s_bfe_u32 s12, s12, 0x10008
	s_cmp_eq_u32 s12, 0
	s_cbranch_scc1 .LBB34_3
; %bb.2:
	s_load_dword s12, s[4:5], 0x20
	s_mul_i32 s13, s8, s7
	s_mul_hi_u32 s14, s8, s6
	s_mul_i32 s9, s9, s6
	s_add_i32 s14, s14, s13
	s_add_i32 s9, s14, s9
	s_mul_i32 s8, s8, s6
	s_waitcnt lgkmcnt(0)
	s_ashr_i32 s13, s12, 31
	s_lshl_b64 s[8:9], s[8:9], 2
	s_add_u32 s14, s18, s8
	s_addc_u32 s15, s19, s9
	s_lshl_b64 s[8:9], s[12:13], 2
	s_add_u32 s20, s14, s8
	s_addc_u32 s21, s15, s9
.LBB34_3:
	s_load_dwordx4 s[12:15], s[4:5], 0x0
	s_load_dword s8, s[4:5], 0x38
	s_mul_i32 s9, s16, s7
	s_mul_hi_u32 s18, s16, s6
	s_add_i32 s9, s18, s9
	s_waitcnt lgkmcnt(0)
	s_ashr_i32 s5, s14, 31
	s_mov_b32 s4, s14
	s_mul_i32 s14, s17, s6
	s_add_i32 s17, s9, s14
	s_mul_i32 s16, s16, s6
	s_lshl_b64 s[16:17], s[16:17], 3
	s_add_u32 s9, s12, s16
	s_addc_u32 s12, s13, s17
	s_lshl_b64 s[4:5], s[4:5], 3
	s_add_u32 s4, s9, s4
	s_addc_u32 s5, s12, s5
	s_add_i32 s9, s15, s15
	v_add_u32_e32 v1, s9, v0
	v_ashrrev_i32_e32 v2, 31, v1
	v_lshlrev_b64 v[2:3], 3, v[1:2]
	v_mov_b32_e32 v4, s5
	v_add_co_u32_e32 v5, vcc, s4, v2
	v_addc_co_u32_e32 v6, vcc, v4, v3, vcc
	v_add_u32_e32 v3, s15, v1
	v_ashrrev_i32_e32 v4, 31, v3
	v_lshlrev_b64 v[1:2], 3, v[3:4]
	v_add_u32_e32 v7, s15, v3
	v_mov_b32_e32 v4, s5
	v_add_co_u32_e32 v1, vcc, s4, v1
	v_ashrrev_i32_e32 v8, 31, v7
	v_addc_co_u32_e32 v2, vcc, v4, v2, vcc
	v_lshlrev_b64 v[3:4], 3, v[7:8]
	v_add_u32_e32 v9, s15, v7
	v_mov_b32_e32 v8, s5
	v_add_co_u32_e32 v3, vcc, s4, v3
	v_ashrrev_i32_e32 v10, 31, v9
	v_addc_co_u32_e32 v4, vcc, v8, v4, vcc
	;; [unrolled: 6-line block ×7, first 2 shown]
	v_lshlrev_b64 v[17:18], 3, v[19:20]
	v_mov_b32_e32 v21, s5
	v_add_co_u32_e32 v17, vcc, s4, v17
	v_addc_co_u32_e32 v18, vcc, v21, v18, vcc
	v_add_u32_e32 v21, s15, v19
	v_ashrrev_i32_e32 v22, 31, v21
	v_lshlrev_b64 v[19:20], 3, v[21:22]
	v_mov_b32_e32 v23, s5
	v_add_co_u32_e32 v19, vcc, s4, v19
	v_addc_co_u32_e32 v20, vcc, v23, v20, vcc
	v_add_u32_e32 v23, s15, v21
	v_ashrrev_i32_e32 v24, 31, v23
	;; [unrolled: 6-line block ×16, first 2 shown]
	v_lshlrev_b64 v[49:50], 3, v[51:52]
	v_mov_b32_e32 v53, s5
	v_add_co_u32_e32 v49, vcc, s4, v49
	v_addc_co_u32_e32 v50, vcc, v53, v50, vcc
	v_add_u32_e32 v53, s15, v51
	v_lshlrev_b32_e32 v73, 3, v0
	v_ashrrev_i32_e32 v54, 31, v53
	global_load_dwordx2 v[71:72], v73, s[4:5]
	v_lshlrev_b64 v[51:52], 3, v[53:54]
	v_mov_b32_e32 v54, s5
	v_add_co_u32_e32 v69, vcc, s4, v73
	s_ashr_i32 s13, s15, 31
	s_mov_b32 s12, s15
	v_addc_co_u32_e32 v70, vcc, 0, v54, vcc
	s_lshl_b64 s[12:13], s[12:13], 3
	v_mov_b32_e32 v54, s13
	v_add_co_u32_e32 v65, vcc, s12, v69
	v_addc_co_u32_e32 v66, vcc, v70, v54, vcc
	global_load_dwordx2 v[74:75], v[65:66], off
	global_load_dwordx2 v[76:77], v[5:6], off
	;; [unrolled: 1-line block ×9, first 2 shown]
	v_mov_b32_e32 v55, s5
	v_add_co_u32_e32 v51, vcc, s4, v51
	v_addc_co_u32_e32 v52, vcc, v55, v52, vcc
	v_add_u32_e32 v55, s15, v53
	v_ashrrev_i32_e32 v56, 31, v55
	v_lshlrev_b64 v[53:54], 3, v[55:56]
	v_mov_b32_e32 v57, s5
	v_add_co_u32_e32 v53, vcc, s4, v53
	v_addc_co_u32_e32 v54, vcc, v57, v54, vcc
	v_add_u32_e32 v57, s15, v55
	v_ashrrev_i32_e32 v58, 31, v57
	v_lshlrev_b64 v[55:56], 3, v[57:58]
	;; [unrolled: 6-line block ×6, first 2 shown]
	v_mov_b32_e32 v90, s5
	v_add_co_u32_e32 v63, vcc, s4, v63
	v_addc_co_u32_e32 v64, vcc, v90, v64, vcc
	global_load_dwordx2 v[90:91], v[15:16], off
	global_load_dwordx2 v[94:95], v[19:20], off
	;; [unrolled: 1-line block ×6, first 2 shown]
	v_add_u32_e32 v67, s15, v67
	v_ashrrev_i32_e32 v68, 31, v67
	v_lshlrev_b64 v[67:68], 3, v[67:68]
	v_mov_b32_e32 v104, s5
	v_add_co_u32_e32 v67, vcc, s4, v67
	v_addc_co_u32_e32 v68, vcc, v104, v68, vcc
	global_load_dwordx2 v[104:105], v[29:30], off
	global_load_dwordx2 v[106:107], v[31:32], off
	;; [unrolled: 1-line block ×10, first 2 shown]
	s_bitcmp0_b32 s8, 0
	s_waitcnt vmcnt(25)
	buffer_store_dword v72, off, s[0:3], 0 offset:4
	buffer_store_dword v71, off, s[0:3], 0
	global_load_dwordx2 v[71:72], v[33:34], off
	s_mov_b64 s[8:9], -1
	s_waitcnt vmcnt(27)
	buffer_store_dword v75, off, s[0:3], 0 offset:12
	buffer_store_dword v74, off, s[0:3], 0 offset:8
	global_load_dwordx2 v[74:75], v[37:38], off
	s_waitcnt vmcnt(29)
	buffer_store_dword v77, off, s[0:3], 0 offset:20
	buffer_store_dword v76, off, s[0:3], 0 offset:16
	global_load_dwordx2 v[76:77], v[41:42], off
	;; [unrolled: 4-line block ×8, first 2 shown]
	s_waitcnt vmcnt(42)
	buffer_store_dword v90, off, s[0:3], 0 offset:72
	buffer_store_dword v91, off, s[0:3], 0 offset:76
	;; [unrolled: 1-line block ×4, first 2 shown]
	s_waitcnt vmcnt(45)
	buffer_store_dword v94, off, s[0:3], 0 offset:88
	buffer_store_dword v95, off, s[0:3], 0 offset:92
	s_waitcnt vmcnt(46)
	buffer_store_dword v96, off, s[0:3], 0 offset:96
	buffer_store_dword v97, off, s[0:3], 0 offset:100
	;; [unrolled: 3-line block ×8, first 2 shown]
	buffer_store_dword v109, off, s[0:3], 0 offset:156
	buffer_store_dword v108, off, s[0:3], 0 offset:152
	s_waitcnt vmcnt(43)
	buffer_store_dword v75, off, s[0:3], 0 offset:164
	buffer_store_dword v74, off, s[0:3], 0 offset:160
	buffer_store_dword v110, off, s[0:3], 0 offset:168
	buffer_store_dword v111, off, s[0:3], 0 offset:172
	s_waitcnt vmcnt(44)
	buffer_store_dword v76, off, s[0:3], 0 offset:176
	buffer_store_dword v77, off, s[0:3], 0 offset:180
	;; [unrolled: 5-line block ×8, first 2 shown]
	s_cbranch_scc1 .LBB34_146
; %bb.4:
	v_cmp_eq_u32_e64 s[4:5], 0, v0
	s_and_saveexec_b64 s[8:9], s[4:5]
; %bb.5:
	v_mov_b32_e32 v71, 0
	ds_write_b32 v71, v71 offset:280
; %bb.6:
	s_or_b64 exec, exec, s[8:9]
	v_mov_b32_e32 v71, 0
	v_lshl_add_u32 v71, v0, 3, v71
	s_waitcnt lgkmcnt(0)
	; wave barrier
	buffer_load_dword v74, v71, s[0:3], 0 offen
	buffer_load_dword v75, v71, s[0:3], 0 offen offset:4
	s_waitcnt vmcnt(0)
	v_cmp_eq_f64_e32 vcc, 0, v[74:75]
	s_and_saveexec_b64 s[12:13], vcc
	s_cbranch_execz .LBB34_10
; %bb.7:
	v_mov_b32_e32 v72, 0
	ds_read_b32 v75, v72 offset:280
	v_add_u32_e32 v74, 1, v0
	s_waitcnt lgkmcnt(0)
	v_readfirstlane_b32 s8, v75
	s_cmp_eq_u32 s8, 0
	s_cselect_b64 s[14:15], -1, 0
	v_cmp_gt_i32_e32 vcc, s8, v74
	s_or_b64 s[14:15], s[14:15], vcc
	s_and_b64 exec, exec, s[14:15]
	s_cbranch_execz .LBB34_10
; %bb.8:
	s_mov_b64 s[14:15], 0
	v_mov_b32_e32 v75, s8
.LBB34_9:                               ; =>This Inner Loop Header: Depth=1
	ds_cmpst_rtn_b32 v75, v72, v75, v74 offset:280
	s_waitcnt lgkmcnt(0)
	v_cmp_ne_u32_e32 vcc, 0, v75
	v_cmp_le_i32_e64 s[8:9], v75, v74
	s_and_b64 s[8:9], vcc, s[8:9]
	s_and_b64 s[8:9], exec, s[8:9]
	s_or_b64 s[14:15], s[8:9], s[14:15]
	s_andn2_b64 exec, exec, s[14:15]
	s_cbranch_execnz .LBB34_9
.LBB34_10:
	s_or_b64 exec, exec, s[12:13]
	v_mov_b32_e32 v74, 0
	; wave barrier
	ds_read_b32 v72, v74 offset:280
	s_and_saveexec_b64 s[8:9], s[4:5]
	s_cbranch_execz .LBB34_12
; %bb.11:
	s_lshl_b64 s[12:13], s[6:7], 2
	s_add_u32 s12, s10, s12
	s_addc_u32 s13, s11, s13
	s_waitcnt lgkmcnt(0)
	global_store_dword v74, v72, s[12:13]
.LBB34_12:
	s_or_b64 exec, exec, s[8:9]
	s_waitcnt lgkmcnt(0)
	v_cmp_ne_u32_e32 vcc, 0, v72
	s_mov_b64 s[8:9], 0
	s_cbranch_vccnz .LBB34_146
; %bb.13:
	buffer_load_dword v74, v71, s[0:3], 0 offen
	buffer_load_dword v75, v71, s[0:3], 0 offen offset:4
	s_waitcnt vmcnt(0)
	v_div_scale_f64 v[76:77], s[8:9], v[74:75], v[74:75], 1.0
	v_rcp_f64_e32 v[78:79], v[76:77]
	v_fma_f64 v[80:81], -v[76:77], v[78:79], 1.0
	v_fma_f64 v[78:79], v[78:79], v[80:81], v[78:79]
	v_div_scale_f64 v[80:81], vcc, 1.0, v[74:75], 1.0
	v_fma_f64 v[82:83], -v[76:77], v[78:79], 1.0
	v_fma_f64 v[78:79], v[78:79], v[82:83], v[78:79]
	v_mul_f64 v[82:83], v[80:81], v[78:79]
	v_fma_f64 v[76:77], -v[76:77], v[82:83], v[80:81]
	v_div_fmas_f64 v[76:77], v[76:77], v[78:79], v[82:83]
	v_div_fixup_f64 v[75:76], v[76:77], v[74:75], 1.0
	v_add_u32_e32 v74, 0x120, v73
	buffer_store_dword v76, v71, s[0:3], 0 offen offset:4
	buffer_store_dword v75, v71, s[0:3], 0 offen
	buffer_load_dword v78, off, s[0:3], 0 offset:12
	buffer_load_dword v77, off, s[0:3], 0 offset:8
	v_xor_b32_e32 v76, 0x80000000, v76
	s_waitcnt vmcnt(0)
	ds_write2_b64 v73, v[75:76], v[77:78] offset1:36
	s_waitcnt lgkmcnt(0)
	; wave barrier
	s_and_saveexec_b64 s[8:9], s[4:5]
	s_cbranch_execz .LBB34_15
; %bb.14:
	buffer_load_dword v75, v71, s[0:3], 0 offen
	buffer_load_dword v76, v71, s[0:3], 0 offen offset:4
	ds_read_b64 v[77:78], v74
	v_mov_b32_e32 v72, 0
	ds_read_b64 v[79:80], v72 offset:8
	s_waitcnt vmcnt(0) lgkmcnt(1)
	v_fma_f64 v[75:76], v[75:76], v[77:78], 0
	s_waitcnt lgkmcnt(0)
	v_mul_f64 v[75:76], v[75:76], v[79:80]
	buffer_store_dword v75, off, s[0:3], 0 offset:8
	buffer_store_dword v76, off, s[0:3], 0 offset:12
.LBB34_15:
	s_or_b64 exec, exec, s[8:9]
	; wave barrier
	buffer_load_dword v75, off, s[0:3], 0 offset:16
	buffer_load_dword v76, off, s[0:3], 0 offset:20
	v_cmp_gt_u32_e32 vcc, 2, v0
	s_waitcnt vmcnt(0)
	ds_write_b64 v74, v[75:76]
	s_waitcnt lgkmcnt(0)
	; wave barrier
	s_and_saveexec_b64 s[8:9], vcc
	s_cbranch_execz .LBB34_17
; %bb.16:
	buffer_load_dword v75, v71, s[0:3], 0 offen
	buffer_load_dword v76, v71, s[0:3], 0 offen offset:4
                                        ; kill: killed $vgpr71
	s_nop 0
	buffer_load_dword v71, off, s[0:3], 0 offset:8
	buffer_load_dword v72, off, s[0:3], 0 offset:12
	ds_read_b64 v[77:78], v74
	s_waitcnt vmcnt(2) lgkmcnt(0)
	v_fma_f64 v[79:80], v[75:76], v[77:78], 0
	v_mov_b32_e32 v75, 0
	ds_read2_b64 v[75:78], v75 offset0:2 offset1:37
	s_waitcnt vmcnt(0) lgkmcnt(0)
	v_fma_f64 v[71:72], v[71:72], v[77:78], v[79:80]
	v_cndmask_b32_e64 v72, v80, v72, s[4:5]
	v_cndmask_b32_e64 v71, v79, v71, s[4:5]
	v_mul_f64 v[71:72], v[71:72], v[75:76]
	buffer_store_dword v72, off, s[0:3], 0 offset:20
	buffer_store_dword v71, off, s[0:3], 0 offset:16
.LBB34_17:
	s_or_b64 exec, exec, s[8:9]
	; wave barrier
	buffer_load_dword v71, off, s[0:3], 0 offset:24
	buffer_load_dword v72, off, s[0:3], 0 offset:28
	v_cmp_gt_u32_e32 vcc, 3, v0
	v_add_u32_e32 v75, -1, v0
	s_waitcnt vmcnt(0)
	ds_write_b64 v74, v[71:72]
	s_waitcnt lgkmcnt(0)
	; wave barrier
	s_and_saveexec_b64 s[4:5], vcc
	s_cbranch_execz .LBB34_21
; %bb.18:
	v_mov_b32_e32 v71, 0
	v_add_u32_e32 v76, -1, v0
	v_add_u32_e32 v77, 0x120, v73
	v_mov_b32_e32 v78, v73
	v_mov_b32_e32 v72, 0
	s_mov_b64 s[8:9], 0
.LBB34_19:                              ; =>This Inner Loop Header: Depth=1
	buffer_load_dword v79, v78, s[0:3], 0 offen
	buffer_load_dword v80, v78, s[0:3], 0 offen offset:4
	ds_read_b64 v[81:82], v77
	v_add_u32_e32 v76, 1, v76
	v_cmp_lt_u32_e32 vcc, 1, v76
	v_add_u32_e32 v77, 8, v77
	s_or_b64 s[8:9], vcc, s[8:9]
	v_add_u32_e32 v78, 8, v78
	s_waitcnt vmcnt(0) lgkmcnt(0)
	v_fma_f64 v[71:72], v[79:80], v[81:82], v[71:72]
	s_andn2_b64 exec, exec, s[8:9]
	s_cbranch_execnz .LBB34_19
; %bb.20:
	s_or_b64 exec, exec, s[8:9]
	v_mov_b32_e32 v76, 0
	ds_read_b64 v[76:77], v76 offset:24
	s_waitcnt lgkmcnt(0)
	v_mul_f64 v[71:72], v[71:72], v[76:77]
	buffer_store_dword v72, off, s[0:3], 0 offset:28
	buffer_store_dword v71, off, s[0:3], 0 offset:24
.LBB34_21:
	s_or_b64 exec, exec, s[4:5]
	; wave barrier
	buffer_load_dword v71, off, s[0:3], 0 offset:32
	buffer_load_dword v72, off, s[0:3], 0 offset:36
	v_cmp_gt_u32_e32 vcc, 4, v0
	s_waitcnt vmcnt(0)
	ds_write_b64 v74, v[71:72]
	s_waitcnt lgkmcnt(0)
	; wave barrier
	s_and_saveexec_b64 s[4:5], vcc
	s_cbranch_execz .LBB34_25
; %bb.22:
	v_mov_b32_e32 v71, 0
	v_add_u32_e32 v76, -1, v0
	v_add_u32_e32 v77, 0x120, v73
	v_mov_b32_e32 v78, v73
	v_mov_b32_e32 v72, 0
	s_mov_b64 s[8:9], 0
.LBB34_23:                              ; =>This Inner Loop Header: Depth=1
	buffer_load_dword v79, v78, s[0:3], 0 offen
	buffer_load_dword v80, v78, s[0:3], 0 offen offset:4
	ds_read_b64 v[81:82], v77
	v_add_u32_e32 v76, 1, v76
	v_cmp_lt_u32_e32 vcc, 2, v76
	v_add_u32_e32 v77, 8, v77
	s_or_b64 s[8:9], vcc, s[8:9]
	v_add_u32_e32 v78, 8, v78
	s_waitcnt vmcnt(0) lgkmcnt(0)
	v_fma_f64 v[71:72], v[79:80], v[81:82], v[71:72]
	s_andn2_b64 exec, exec, s[8:9]
	s_cbranch_execnz .LBB34_23
; %bb.24:
	s_or_b64 exec, exec, s[8:9]
	v_mov_b32_e32 v76, 0
	ds_read_b64 v[76:77], v76 offset:32
	s_waitcnt lgkmcnt(0)
	v_mul_f64 v[71:72], v[71:72], v[76:77]
	buffer_store_dword v72, off, s[0:3], 0 offset:36
	buffer_store_dword v71, off, s[0:3], 0 offset:32
.LBB34_25:
	s_or_b64 exec, exec, s[4:5]
	; wave barrier
	buffer_load_dword v71, off, s[0:3], 0 offset:40
	buffer_load_dword v72, off, s[0:3], 0 offset:44
	v_cmp_gt_u32_e32 vcc, 5, v0
	;; [unrolled: 40-line block ×21, first 2 shown]
	s_waitcnt vmcnt(0)
	ds_write_b64 v74, v[71:72]
	s_waitcnt lgkmcnt(0)
	; wave barrier
	s_and_saveexec_b64 s[4:5], vcc
	s_cbranch_execz .LBB34_105
; %bb.102:
	v_mov_b32_e32 v71, 0
	v_add_u32_e32 v76, -1, v0
	v_add_u32_e32 v77, 0x120, v73
	v_mov_b32_e32 v78, v73
	v_mov_b32_e32 v72, 0
	s_mov_b64 s[8:9], 0
.LBB34_103:                             ; =>This Inner Loop Header: Depth=1
	buffer_load_dword v79, v78, s[0:3], 0 offen
	buffer_load_dword v80, v78, s[0:3], 0 offen offset:4
	ds_read_b64 v[81:82], v77
	v_add_u32_e32 v76, 1, v76
	v_cmp_lt_u32_e32 vcc, 22, v76
	v_add_u32_e32 v77, 8, v77
	s_or_b64 s[8:9], vcc, s[8:9]
	v_add_u32_e32 v78, 8, v78
	s_waitcnt vmcnt(0) lgkmcnt(0)
	v_fma_f64 v[71:72], v[79:80], v[81:82], v[71:72]
	s_andn2_b64 exec, exec, s[8:9]
	s_cbranch_execnz .LBB34_103
; %bb.104:
	s_or_b64 exec, exec, s[8:9]
	v_mov_b32_e32 v76, 0
	ds_read_b64 v[76:77], v76 offset:192
	s_waitcnt lgkmcnt(0)
	v_mul_f64 v[71:72], v[71:72], v[76:77]
	buffer_store_dword v72, off, s[0:3], 0 offset:196
	buffer_store_dword v71, off, s[0:3], 0 offset:192
.LBB34_105:
	s_or_b64 exec, exec, s[4:5]
	; wave barrier
	buffer_load_dword v71, off, s[0:3], 0 offset:200
	buffer_load_dword v72, off, s[0:3], 0 offset:204
	v_cmp_gt_u32_e32 vcc, 25, v0
	s_waitcnt vmcnt(0)
	ds_write_b64 v74, v[71:72]
	s_waitcnt lgkmcnt(0)
	; wave barrier
	s_and_saveexec_b64 s[4:5], vcc
	s_cbranch_execz .LBB34_109
; %bb.106:
	v_mov_b32_e32 v71, 0
	v_add_u32_e32 v76, -1, v0
	v_add_u32_e32 v77, 0x120, v73
	v_mov_b32_e32 v78, v73
	v_mov_b32_e32 v72, 0
	s_mov_b64 s[8:9], 0
.LBB34_107:                             ; =>This Inner Loop Header: Depth=1
	buffer_load_dword v79, v78, s[0:3], 0 offen
	buffer_load_dword v80, v78, s[0:3], 0 offen offset:4
	ds_read_b64 v[81:82], v77
	v_add_u32_e32 v76, 1, v76
	v_cmp_lt_u32_e32 vcc, 23, v76
	v_add_u32_e32 v77, 8, v77
	s_or_b64 s[8:9], vcc, s[8:9]
	v_add_u32_e32 v78, 8, v78
	s_waitcnt vmcnt(0) lgkmcnt(0)
	v_fma_f64 v[71:72], v[79:80], v[81:82], v[71:72]
	s_andn2_b64 exec, exec, s[8:9]
	s_cbranch_execnz .LBB34_107
; %bb.108:
	s_or_b64 exec, exec, s[8:9]
	v_mov_b32_e32 v76, 0
	ds_read_b64 v[76:77], v76 offset:200
	s_waitcnt lgkmcnt(0)
	v_mul_f64 v[71:72], v[71:72], v[76:77]
	buffer_store_dword v72, off, s[0:3], 0 offset:204
	buffer_store_dword v71, off, s[0:3], 0 offset:200
.LBB34_109:
	s_or_b64 exec, exec, s[4:5]
	; wave barrier
	buffer_load_dword v71, off, s[0:3], 0 offset:208
	buffer_load_dword v72, off, s[0:3], 0 offset:212
	v_cmp_gt_u32_e32 vcc, 26, v0
	;; [unrolled: 40-line block ×9, first 2 shown]
	s_waitcnt vmcnt(0)
	ds_write_b64 v74, v[71:72]
	s_waitcnt lgkmcnt(0)
	; wave barrier
	s_and_saveexec_b64 s[4:5], vcc
	s_cbranch_execz .LBB34_141
; %bb.138:
	v_mov_b32_e32 v71, 0
	v_add_u32_e32 v76, -1, v0
	v_add_u32_e32 v77, 0x120, v73
	v_mov_b32_e32 v78, v73
	v_mov_b32_e32 v72, 0
	s_mov_b64 s[8:9], 0
.LBB34_139:                             ; =>This Inner Loop Header: Depth=1
	buffer_load_dword v79, v78, s[0:3], 0 offen
	buffer_load_dword v80, v78, s[0:3], 0 offen offset:4
	ds_read_b64 v[81:82], v77
	v_add_u32_e32 v76, 1, v76
	v_cmp_lt_u32_e32 vcc, 31, v76
	v_add_u32_e32 v77, 8, v77
	s_or_b64 s[8:9], vcc, s[8:9]
	v_add_u32_e32 v78, 8, v78
	s_waitcnt vmcnt(0) lgkmcnt(0)
	v_fma_f64 v[71:72], v[79:80], v[81:82], v[71:72]
	s_andn2_b64 exec, exec, s[8:9]
	s_cbranch_execnz .LBB34_139
; %bb.140:
	s_or_b64 exec, exec, s[8:9]
	v_mov_b32_e32 v76, 0
	ds_read_b64 v[76:77], v76 offset:264
	s_waitcnt lgkmcnt(0)
	v_mul_f64 v[71:72], v[71:72], v[76:77]
	buffer_store_dword v72, off, s[0:3], 0 offset:268
	buffer_store_dword v71, off, s[0:3], 0 offset:264
.LBB34_141:
	s_or_b64 exec, exec, s[4:5]
	; wave barrier
	buffer_load_dword v71, off, s[0:3], 0 offset:272
	buffer_load_dword v72, off, s[0:3], 0 offset:276
	v_cmp_ne_u32_e32 vcc, 34, v0
	s_waitcnt vmcnt(0)
	ds_write_b64 v74, v[71:72]
	s_waitcnt lgkmcnt(0)
	; wave barrier
	s_and_saveexec_b64 s[4:5], vcc
	s_cbranch_execz .LBB34_145
; %bb.142:
	v_mov_b32_e32 v71, 0
	v_add_u32_e32 v74, 0x120, v73
	v_mov_b32_e32 v72, 0
	s_mov_b64 s[8:9], 0
.LBB34_143:                             ; =>This Inner Loop Header: Depth=1
	buffer_load_dword v76, v73, s[0:3], 0 offen
	buffer_load_dword v77, v73, s[0:3], 0 offen offset:4
	ds_read_b64 v[78:79], v74
	v_add_u32_e32 v75, 1, v75
	v_cmp_lt_u32_e32 vcc, 32, v75
	v_add_u32_e32 v74, 8, v74
	s_or_b64 s[8:9], vcc, s[8:9]
	v_add_u32_e32 v73, 8, v73
	s_waitcnt vmcnt(0) lgkmcnt(0)
	v_fma_f64 v[71:72], v[76:77], v[78:79], v[71:72]
	s_andn2_b64 exec, exec, s[8:9]
	s_cbranch_execnz .LBB34_143
; %bb.144:
	s_or_b64 exec, exec, s[8:9]
	v_mov_b32_e32 v73, 0
	ds_read_b64 v[73:74], v73 offset:272
	s_waitcnt lgkmcnt(0)
	v_mul_f64 v[71:72], v[71:72], v[73:74]
	buffer_store_dword v72, off, s[0:3], 0 offset:276
	buffer_store_dword v71, off, s[0:3], 0 offset:272
.LBB34_145:
	s_or_b64 exec, exec, s[4:5]
	s_mov_b64 s[8:9], -1
	; wave barrier
.LBB34_146:
	s_and_b64 vcc, exec, s[8:9]
	s_cbranch_vccz .LBB34_148
; %bb.147:
	s_lshl_b64 s[4:5], s[6:7], 2
	s_add_u32 s4, s10, s4
	s_addc_u32 s5, s11, s5
	v_mov_b32_e32 v71, 0
	global_load_dword v71, v71, s[4:5]
	s_waitcnt vmcnt(0)
	v_cmp_ne_u32_e32 vcc, 0, v71
	s_cbranch_vccz .LBB34_149
.LBB34_148:
	s_endpgm
.LBB34_149:
	v_mov_b32_e32 v71, 0x120
	v_lshl_add_u32 v71, v0, 3, v71
	v_cmp_eq_u32_e32 vcc, 34, v0
	s_and_saveexec_b64 s[4:5], vcc
	s_cbranch_execz .LBB34_151
; %bb.150:
	buffer_load_dword v72, off, s[0:3], 0 offset:264
	buffer_load_dword v73, off, s[0:3], 0 offset:268
	v_mov_b32_e32 v74, 0
	buffer_store_dword v74, off, s[0:3], 0 offset:264
	buffer_store_dword v74, off, s[0:3], 0 offset:268
	s_waitcnt vmcnt(2)
	ds_write_b64 v71, v[72:73]
.LBB34_151:
	s_or_b64 exec, exec, s[4:5]
	s_waitcnt lgkmcnt(0)
	; wave barrier
	buffer_load_dword v73, off, s[0:3], 0 offset:272
	buffer_load_dword v74, off, s[0:3], 0 offset:276
	;; [unrolled: 1-line block ×4, first 2 shown]
	v_mov_b32_e32 v72, 0
	ds_read_b64 v[77:78], v72 offset:560
	v_cmp_lt_u32_e32 vcc, 32, v0
	s_waitcnt vmcnt(2) lgkmcnt(0)
	v_fma_f64 v[73:74], v[73:74], v[77:78], 0
	s_waitcnt vmcnt(0)
	v_add_f64 v[73:74], v[75:76], -v[73:74]
	buffer_store_dword v73, off, s[0:3], 0 offset:264
	buffer_store_dword v74, off, s[0:3], 0 offset:268
	s_and_saveexec_b64 s[4:5], vcc
	s_cbranch_execz .LBB34_153
; %bb.152:
	buffer_load_dword v73, off, s[0:3], 0 offset:256
	buffer_load_dword v74, off, s[0:3], 0 offset:260
	s_waitcnt vmcnt(0)
	ds_write_b64 v71, v[73:74]
	buffer_store_dword v72, off, s[0:3], 0 offset:256
	buffer_store_dword v72, off, s[0:3], 0 offset:260
.LBB34_153:
	s_or_b64 exec, exec, s[4:5]
	s_waitcnt lgkmcnt(0)
	; wave barrier
	buffer_load_dword v76, off, s[0:3], 0 offset:264
	buffer_load_dword v77, off, s[0:3], 0 offset:268
	;; [unrolled: 1-line block ×6, first 2 shown]
	ds_read2_b64 v[72:75], v72 offset0:69 offset1:70
	v_cmp_lt_u32_e32 vcc, 31, v0
	s_waitcnt vmcnt(4) lgkmcnt(0)
	v_fma_f64 v[72:73], v[76:77], v[72:73], 0
	s_waitcnt vmcnt(2)
	v_fma_f64 v[72:73], v[78:79], v[74:75], v[72:73]
	s_waitcnt vmcnt(0)
	v_add_f64 v[72:73], v[80:81], -v[72:73]
	buffer_store_dword v72, off, s[0:3], 0 offset:256
	buffer_store_dword v73, off, s[0:3], 0 offset:260
	s_and_saveexec_b64 s[4:5], vcc
	s_cbranch_execz .LBB34_155
; %bb.154:
	buffer_load_dword v72, off, s[0:3], 0 offset:248
	buffer_load_dword v73, off, s[0:3], 0 offset:252
	v_mov_b32_e32 v74, 0
	buffer_store_dword v74, off, s[0:3], 0 offset:248
	buffer_store_dword v74, off, s[0:3], 0 offset:252
	s_waitcnt vmcnt(2)
	ds_write_b64 v71, v[72:73]
.LBB34_155:
	s_or_b64 exec, exec, s[4:5]
	s_waitcnt lgkmcnt(0)
	; wave barrier
	buffer_load_dword v77, off, s[0:3], 0 offset:256
	buffer_load_dword v78, off, s[0:3], 0 offset:260
	;; [unrolled: 1-line block ×8, first 2 shown]
	v_mov_b32_e32 v72, 0
	ds_read_b128 v[73:76], v72 offset:544
	ds_read_b64 v[85:86], v72 offset:560
	v_cmp_lt_u32_e32 vcc, 30, v0
	s_waitcnt vmcnt(6) lgkmcnt(1)
	v_fma_f64 v[73:74], v[77:78], v[73:74], 0
	s_waitcnt vmcnt(4)
	v_fma_f64 v[73:74], v[79:80], v[75:76], v[73:74]
	s_waitcnt vmcnt(2) lgkmcnt(0)
	v_fma_f64 v[73:74], v[81:82], v[85:86], v[73:74]
	s_waitcnt vmcnt(0)
	v_add_f64 v[73:74], v[83:84], -v[73:74]
	buffer_store_dword v73, off, s[0:3], 0 offset:248
	buffer_store_dword v74, off, s[0:3], 0 offset:252
	s_and_saveexec_b64 s[4:5], vcc
	s_cbranch_execz .LBB34_157
; %bb.156:
	buffer_load_dword v73, off, s[0:3], 0 offset:240
	buffer_load_dword v74, off, s[0:3], 0 offset:244
	s_waitcnt vmcnt(0)
	ds_write_b64 v71, v[73:74]
	buffer_store_dword v72, off, s[0:3], 0 offset:240
	buffer_store_dword v72, off, s[0:3], 0 offset:244
.LBB34_157:
	s_or_b64 exec, exec, s[4:5]
	s_waitcnt lgkmcnt(0)
	; wave barrier
	buffer_load_dword v81, off, s[0:3], 0 offset:248
	buffer_load_dword v82, off, s[0:3], 0 offset:252
	;; [unrolled: 1-line block ×10, first 2 shown]
	ds_read2_b64 v[73:76], v72 offset0:67 offset1:68
	ds_read2_b64 v[77:80], v72 offset0:69 offset1:70
	v_cmp_lt_u32_e32 vcc, 29, v0
	s_waitcnt vmcnt(8) lgkmcnt(1)
	v_fma_f64 v[72:73], v[81:82], v[73:74], 0
	s_waitcnt vmcnt(6)
	v_fma_f64 v[72:73], v[83:84], v[75:76], v[72:73]
	s_waitcnt vmcnt(4) lgkmcnt(0)
	v_fma_f64 v[72:73], v[85:86], v[77:78], v[72:73]
	s_waitcnt vmcnt(2)
	v_fma_f64 v[72:73], v[87:88], v[79:80], v[72:73]
	s_waitcnt vmcnt(0)
	v_add_f64 v[72:73], v[89:90], -v[72:73]
	buffer_store_dword v72, off, s[0:3], 0 offset:240
	buffer_store_dword v73, off, s[0:3], 0 offset:244
	s_and_saveexec_b64 s[4:5], vcc
	s_cbranch_execz .LBB34_159
; %bb.158:
	buffer_load_dword v72, off, s[0:3], 0 offset:232
	buffer_load_dword v73, off, s[0:3], 0 offset:236
	v_mov_b32_e32 v74, 0
	buffer_store_dword v74, off, s[0:3], 0 offset:232
	buffer_store_dword v74, off, s[0:3], 0 offset:236
	s_waitcnt vmcnt(2)
	ds_write_b64 v71, v[72:73]
.LBB34_159:
	s_or_b64 exec, exec, s[4:5]
	s_waitcnt lgkmcnt(0)
	; wave barrier
	buffer_load_dword v81, off, s[0:3], 0 offset:240
	buffer_load_dword v82, off, s[0:3], 0 offset:244
	;; [unrolled: 1-line block ×12, first 2 shown]
	v_mov_b32_e32 v72, 0
	ds_read_b128 v[73:76], v72 offset:528
	ds_read_b128 v[77:80], v72 offset:544
	v_cmp_lt_u32_e32 vcc, 28, v0
	s_waitcnt vmcnt(10) lgkmcnt(1)
	v_fma_f64 v[73:74], v[81:82], v[73:74], 0
	s_waitcnt vmcnt(8)
	v_fma_f64 v[73:74], v[83:84], v[75:76], v[73:74]
	ds_read_b64 v[75:76], v72 offset:560
	s_waitcnt vmcnt(6) lgkmcnt(1)
	v_fma_f64 v[73:74], v[85:86], v[77:78], v[73:74]
	s_waitcnt vmcnt(4)
	v_fma_f64 v[73:74], v[87:88], v[79:80], v[73:74]
	s_waitcnt vmcnt(2) lgkmcnt(0)
	v_fma_f64 v[73:74], v[89:90], v[75:76], v[73:74]
	s_waitcnt vmcnt(0)
	v_add_f64 v[73:74], v[91:92], -v[73:74]
	buffer_store_dword v73, off, s[0:3], 0 offset:232
	buffer_store_dword v74, off, s[0:3], 0 offset:236
	s_and_saveexec_b64 s[4:5], vcc
	s_cbranch_execz .LBB34_161
; %bb.160:
	buffer_load_dword v73, off, s[0:3], 0 offset:224
	buffer_load_dword v74, off, s[0:3], 0 offset:228
	s_waitcnt vmcnt(0)
	ds_write_b64 v71, v[73:74]
	buffer_store_dword v72, off, s[0:3], 0 offset:224
	buffer_store_dword v72, off, s[0:3], 0 offset:228
.LBB34_161:
	s_or_b64 exec, exec, s[4:5]
	s_waitcnt lgkmcnt(0)
	; wave barrier
	buffer_load_dword v81, off, s[0:3], 0 offset:232
	buffer_load_dword v82, off, s[0:3], 0 offset:236
	;; [unrolled: 1-line block ×14, first 2 shown]
	ds_read2_b64 v[73:76], v72 offset0:65 offset1:66
	ds_read2_b64 v[77:80], v72 offset0:67 offset1:68
	v_cmp_lt_u32_e32 vcc, 27, v0
	s_waitcnt vmcnt(12) lgkmcnt(1)
	v_fma_f64 v[73:74], v[81:82], v[73:74], 0
	s_waitcnt vmcnt(10)
	v_fma_f64 v[73:74], v[83:84], v[75:76], v[73:74]
	s_waitcnt vmcnt(8) lgkmcnt(0)
	v_fma_f64 v[73:74], v[85:86], v[77:78], v[73:74]
	s_waitcnt vmcnt(6)
	v_fma_f64 v[76:77], v[87:88], v[79:80], v[73:74]
	ds_read2_b64 v[72:75], v72 offset0:69 offset1:70
	s_waitcnt vmcnt(4) lgkmcnt(0)
	v_fma_f64 v[72:73], v[89:90], v[72:73], v[76:77]
	s_waitcnt vmcnt(2)
	v_fma_f64 v[72:73], v[91:92], v[74:75], v[72:73]
	s_waitcnt vmcnt(0)
	v_add_f64 v[72:73], v[93:94], -v[72:73]
	buffer_store_dword v72, off, s[0:3], 0 offset:224
	buffer_store_dword v73, off, s[0:3], 0 offset:228
	s_and_saveexec_b64 s[4:5], vcc
	s_cbranch_execz .LBB34_163
; %bb.162:
	buffer_load_dword v72, off, s[0:3], 0 offset:216
	buffer_load_dword v73, off, s[0:3], 0 offset:220
	v_mov_b32_e32 v74, 0
	buffer_store_dword v74, off, s[0:3], 0 offset:216
	buffer_store_dword v74, off, s[0:3], 0 offset:220
	s_waitcnt vmcnt(2)
	ds_write_b64 v71, v[72:73]
.LBB34_163:
	s_or_b64 exec, exec, s[4:5]
	s_waitcnt lgkmcnt(0)
	; wave barrier
	buffer_load_dword v81, off, s[0:3], 0 offset:224
	buffer_load_dword v82, off, s[0:3], 0 offset:228
	;; [unrolled: 1-line block ×16, first 2 shown]
	v_mov_b32_e32 v72, 0
	ds_read_b128 v[73:76], v72 offset:512
	ds_read_b128 v[77:80], v72 offset:528
	v_cmp_lt_u32_e32 vcc, 26, v0
	s_waitcnt vmcnt(14) lgkmcnt(1)
	v_fma_f64 v[73:74], v[81:82], v[73:74], 0
	s_waitcnt vmcnt(12)
	v_fma_f64 v[73:74], v[83:84], v[75:76], v[73:74]
	s_waitcnt vmcnt(10) lgkmcnt(0)
	v_fma_f64 v[73:74], v[85:86], v[77:78], v[73:74]
	s_waitcnt vmcnt(8)
	v_fma_f64 v[77:78], v[87:88], v[79:80], v[73:74]
	ds_read_b128 v[73:76], v72 offset:544
	ds_read_b64 v[79:80], v72 offset:560
	s_waitcnt vmcnt(6) lgkmcnt(1)
	v_fma_f64 v[73:74], v[89:90], v[73:74], v[77:78]
	s_waitcnt vmcnt(4)
	v_fma_f64 v[73:74], v[91:92], v[75:76], v[73:74]
	s_waitcnt vmcnt(2) lgkmcnt(0)
	v_fma_f64 v[73:74], v[93:94], v[79:80], v[73:74]
	s_waitcnt vmcnt(0)
	v_add_f64 v[73:74], v[95:96], -v[73:74]
	buffer_store_dword v73, off, s[0:3], 0 offset:216
	buffer_store_dword v74, off, s[0:3], 0 offset:220
	s_and_saveexec_b64 s[4:5], vcc
	s_cbranch_execz .LBB34_165
; %bb.164:
	buffer_load_dword v73, off, s[0:3], 0 offset:208
	buffer_load_dword v74, off, s[0:3], 0 offset:212
	s_waitcnt vmcnt(0)
	ds_write_b64 v71, v[73:74]
	buffer_store_dword v72, off, s[0:3], 0 offset:208
	buffer_store_dword v72, off, s[0:3], 0 offset:212
.LBB34_165:
	s_or_b64 exec, exec, s[4:5]
	s_waitcnt lgkmcnt(0)
	; wave barrier
	buffer_load_dword v81, off, s[0:3], 0 offset:216
	buffer_load_dword v82, off, s[0:3], 0 offset:220
	buffer_load_dword v83, off, s[0:3], 0 offset:224
	buffer_load_dword v84, off, s[0:3], 0 offset:228
	buffer_load_dword v85, off, s[0:3], 0 offset:232
	buffer_load_dword v86, off, s[0:3], 0 offset:236
	buffer_load_dword v87, off, s[0:3], 0 offset:240
	buffer_load_dword v88, off, s[0:3], 0 offset:244
	buffer_load_dword v89, off, s[0:3], 0 offset:248
	buffer_load_dword v90, off, s[0:3], 0 offset:252
	buffer_load_dword v91, off, s[0:3], 0 offset:256
	buffer_load_dword v92, off, s[0:3], 0 offset:260
	buffer_load_dword v93, off, s[0:3], 0 offset:264
	buffer_load_dword v94, off, s[0:3], 0 offset:268
	buffer_load_dword v96, off, s[0:3], 0 offset:276
	buffer_load_dword v95, off, s[0:3], 0 offset:272
	buffer_load_dword v97, off, s[0:3], 0 offset:208
	buffer_load_dword v98, off, s[0:3], 0 offset:212
	ds_read2_b64 v[73:76], v72 offset0:63 offset1:64
	ds_read2_b64 v[77:80], v72 offset0:65 offset1:66
	v_cmp_lt_u32_e32 vcc, 25, v0
	s_waitcnt vmcnt(16) lgkmcnt(1)
	v_fma_f64 v[73:74], v[81:82], v[73:74], 0
	s_waitcnt vmcnt(14)
	v_fma_f64 v[73:74], v[83:84], v[75:76], v[73:74]
	s_waitcnt vmcnt(12) lgkmcnt(0)
	v_fma_f64 v[73:74], v[85:86], v[77:78], v[73:74]
	s_waitcnt vmcnt(10)
	v_fma_f64 v[81:82], v[87:88], v[79:80], v[73:74]
	ds_read2_b64 v[73:76], v72 offset0:67 offset1:68
	ds_read2_b64 v[77:80], v72 offset0:69 offset1:70
	s_waitcnt vmcnt(8) lgkmcnt(1)
	v_fma_f64 v[72:73], v[89:90], v[73:74], v[81:82]
	s_waitcnt vmcnt(6)
	v_fma_f64 v[72:73], v[91:92], v[75:76], v[72:73]
	s_waitcnt vmcnt(4) lgkmcnt(0)
	v_fma_f64 v[72:73], v[93:94], v[77:78], v[72:73]
	s_waitcnt vmcnt(2)
	v_fma_f64 v[72:73], v[95:96], v[79:80], v[72:73]
	s_waitcnt vmcnt(0)
	v_add_f64 v[72:73], v[97:98], -v[72:73]
	buffer_store_dword v72, off, s[0:3], 0 offset:208
	buffer_store_dword v73, off, s[0:3], 0 offset:212
	s_and_saveexec_b64 s[4:5], vcc
	s_cbranch_execz .LBB34_167
; %bb.166:
	buffer_load_dword v72, off, s[0:3], 0 offset:200
	buffer_load_dword v73, off, s[0:3], 0 offset:204
	v_mov_b32_e32 v74, 0
	buffer_store_dword v74, off, s[0:3], 0 offset:200
	buffer_store_dword v74, off, s[0:3], 0 offset:204
	s_waitcnt vmcnt(2)
	ds_write_b64 v71, v[72:73]
.LBB34_167:
	s_or_b64 exec, exec, s[4:5]
	s_waitcnt lgkmcnt(0)
	; wave barrier
	buffer_load_dword v81, off, s[0:3], 0 offset:208
	buffer_load_dword v82, off, s[0:3], 0 offset:212
	;; [unrolled: 1-line block ×20, first 2 shown]
	v_mov_b32_e32 v72, 0
	ds_read_b128 v[73:76], v72 offset:496
	ds_read_b128 v[77:80], v72 offset:512
	v_cmp_lt_u32_e32 vcc, 24, v0
	s_waitcnt vmcnt(18) lgkmcnt(1)
	v_fma_f64 v[73:74], v[81:82], v[73:74], 0
	s_waitcnt vmcnt(16)
	v_fma_f64 v[73:74], v[83:84], v[75:76], v[73:74]
	s_waitcnt vmcnt(14) lgkmcnt(0)
	v_fma_f64 v[73:74], v[85:86], v[77:78], v[73:74]
	s_waitcnt vmcnt(12)
	v_fma_f64 v[81:82], v[87:88], v[79:80], v[73:74]
	ds_read_b128 v[73:76], v72 offset:528
	ds_read_b128 v[77:80], v72 offset:544
	s_waitcnt vmcnt(10) lgkmcnt(1)
	v_fma_f64 v[73:74], v[89:90], v[73:74], v[81:82]
	s_waitcnt vmcnt(8)
	v_fma_f64 v[73:74], v[91:92], v[75:76], v[73:74]
	ds_read_b64 v[75:76], v72 offset:560
	s_waitcnt vmcnt(6) lgkmcnt(1)
	v_fma_f64 v[73:74], v[93:94], v[77:78], v[73:74]
	s_waitcnt vmcnt(3)
	v_fma_f64 v[73:74], v[95:96], v[79:80], v[73:74]
	s_waitcnt vmcnt(2) lgkmcnt(0)
	v_fma_f64 v[73:74], v[97:98], v[75:76], v[73:74]
	s_waitcnt vmcnt(0)
	v_add_f64 v[73:74], v[99:100], -v[73:74]
	buffer_store_dword v73, off, s[0:3], 0 offset:200
	buffer_store_dword v74, off, s[0:3], 0 offset:204
	s_and_saveexec_b64 s[4:5], vcc
	s_cbranch_execz .LBB34_169
; %bb.168:
	buffer_load_dword v73, off, s[0:3], 0 offset:192
	buffer_load_dword v74, off, s[0:3], 0 offset:196
	s_waitcnt vmcnt(0)
	ds_write_b64 v71, v[73:74]
	buffer_store_dword v72, off, s[0:3], 0 offset:192
	buffer_store_dword v72, off, s[0:3], 0 offset:196
.LBB34_169:
	s_or_b64 exec, exec, s[4:5]
	s_waitcnt lgkmcnt(0)
	; wave barrier
	buffer_load_dword v81, off, s[0:3], 0 offset:200
	buffer_load_dword v82, off, s[0:3], 0 offset:204
	;; [unrolled: 1-line block ×20, first 2 shown]
	ds_read2_b64 v[73:76], v72 offset0:61 offset1:62
	buffer_load_dword v101, off, s[0:3], 0 offset:192
	buffer_load_dword v102, off, s[0:3], 0 offset:196
	ds_read2_b64 v[77:80], v72 offset0:63 offset1:64
	v_cmp_lt_u32_e32 vcc, 23, v0
	s_waitcnt vmcnt(20) lgkmcnt(1)
	v_fma_f64 v[73:74], v[81:82], v[73:74], 0
	s_waitcnt vmcnt(18)
	v_fma_f64 v[73:74], v[83:84], v[75:76], v[73:74]
	s_waitcnt vmcnt(16) lgkmcnt(0)
	v_fma_f64 v[73:74], v[85:86], v[77:78], v[73:74]
	s_waitcnt vmcnt(14)
	v_fma_f64 v[81:82], v[87:88], v[79:80], v[73:74]
	ds_read2_b64 v[73:76], v72 offset0:65 offset1:66
	ds_read2_b64 v[77:80], v72 offset0:67 offset1:68
	s_waitcnt vmcnt(12) lgkmcnt(1)
	v_fma_f64 v[73:74], v[89:90], v[73:74], v[81:82]
	s_waitcnt vmcnt(10)
	v_fma_f64 v[73:74], v[91:92], v[75:76], v[73:74]
	s_waitcnt vmcnt(8) lgkmcnt(0)
	v_fma_f64 v[73:74], v[93:94], v[77:78], v[73:74]
	s_waitcnt vmcnt(4)
	v_fma_f64 v[76:77], v[95:96], v[79:80], v[73:74]
	ds_read2_b64 v[72:75], v72 offset0:69 offset1:70
	s_waitcnt vmcnt(3) lgkmcnt(0)
	v_fma_f64 v[72:73], v[99:100], v[72:73], v[76:77]
	s_waitcnt vmcnt(2)
	v_fma_f64 v[72:73], v[97:98], v[74:75], v[72:73]
	s_waitcnt vmcnt(0)
	v_add_f64 v[72:73], v[101:102], -v[72:73]
	buffer_store_dword v72, off, s[0:3], 0 offset:192
	buffer_store_dword v73, off, s[0:3], 0 offset:196
	s_and_saveexec_b64 s[4:5], vcc
	s_cbranch_execz .LBB34_171
; %bb.170:
	buffer_load_dword v72, off, s[0:3], 0 offset:184
	buffer_load_dword v73, off, s[0:3], 0 offset:188
	v_mov_b32_e32 v74, 0
	buffer_store_dword v74, off, s[0:3], 0 offset:184
	buffer_store_dword v74, off, s[0:3], 0 offset:188
	s_waitcnt vmcnt(2)
	ds_write_b64 v71, v[72:73]
.LBB34_171:
	s_or_b64 exec, exec, s[4:5]
	s_waitcnt lgkmcnt(0)
	; wave barrier
	buffer_load_dword v81, off, s[0:3], 0 offset:192
	buffer_load_dword v82, off, s[0:3], 0 offset:196
	;; [unrolled: 1-line block ×21, first 2 shown]
	v_mov_b32_e32 v72, 0
	ds_read_b128 v[73:76], v72 offset:480
	ds_read_b128 v[77:80], v72 offset:496
	buffer_load_dword v98, off, s[0:3], 0 offset:276
	v_cmp_lt_u32_e32 vcc, 22, v0
	s_waitcnt vmcnt(20) lgkmcnt(1)
	v_fma_f64 v[73:74], v[81:82], v[73:74], 0
	buffer_load_dword v81, off, s[0:3], 0 offset:184
	buffer_load_dword v82, off, s[0:3], 0 offset:188
	s_waitcnt vmcnt(20)
	v_fma_f64 v[73:74], v[83:84], v[75:76], v[73:74]
	s_waitcnt vmcnt(18) lgkmcnt(0)
	v_fma_f64 v[73:74], v[85:86], v[77:78], v[73:74]
	s_waitcnt vmcnt(16)
	v_fma_f64 v[83:84], v[87:88], v[79:80], v[73:74]
	ds_read_b128 v[73:76], v72 offset:512
	ds_read_b128 v[77:80], v72 offset:528
	s_waitcnt vmcnt(14) lgkmcnt(1)
	v_fma_f64 v[73:74], v[89:90], v[73:74], v[83:84]
	s_waitcnt vmcnt(12)
	v_fma_f64 v[73:74], v[91:92], v[75:76], v[73:74]
	s_waitcnt vmcnt(10) lgkmcnt(0)
	v_fma_f64 v[73:74], v[93:94], v[77:78], v[73:74]
	s_waitcnt vmcnt(5)
	v_fma_f64 v[77:78], v[95:96], v[79:80], v[73:74]
	ds_read_b128 v[73:76], v72 offset:544
	ds_read_b64 v[79:80], v72 offset:560
	s_waitcnt vmcnt(4) lgkmcnt(1)
	v_fma_f64 v[73:74], v[101:102], v[73:74], v[77:78]
	s_waitcnt vmcnt(3)
	v_fma_f64 v[73:74], v[99:100], v[75:76], v[73:74]
	s_waitcnt vmcnt(2) lgkmcnt(0)
	v_fma_f64 v[73:74], v[97:98], v[79:80], v[73:74]
	s_waitcnt vmcnt(0)
	v_add_f64 v[73:74], v[81:82], -v[73:74]
	buffer_store_dword v74, off, s[0:3], 0 offset:188
	buffer_store_dword v73, off, s[0:3], 0 offset:184
	s_and_saveexec_b64 s[4:5], vcc
	s_cbranch_execz .LBB34_173
; %bb.172:
	buffer_load_dword v73, off, s[0:3], 0 offset:176
	buffer_load_dword v74, off, s[0:3], 0 offset:180
	s_waitcnt vmcnt(0)
	ds_write_b64 v71, v[73:74]
	buffer_store_dword v72, off, s[0:3], 0 offset:176
	buffer_store_dword v72, off, s[0:3], 0 offset:180
.LBB34_173:
	s_or_b64 exec, exec, s[4:5]
	s_waitcnt lgkmcnt(0)
	; wave barrier
	buffer_load_dword v81, off, s[0:3], 0 offset:184
	buffer_load_dword v82, off, s[0:3], 0 offset:188
	;; [unrolled: 1-line block ×21, first 2 shown]
	ds_read2_b64 v[73:76], v72 offset0:59 offset1:60
	ds_read2_b64 v[77:80], v72 offset0:61 offset1:62
	buffer_load_dword v98, off, s[0:3], 0 offset:268
	v_cmp_lt_u32_e32 vcc, 21, v0
	s_waitcnt vmcnt(20) lgkmcnt(1)
	v_fma_f64 v[73:74], v[81:82], v[73:74], 0
	buffer_load_dword v82, off, s[0:3], 0 offset:276
	buffer_load_dword v81, off, s[0:3], 0 offset:272
	s_waitcnt vmcnt(20)
	v_fma_f64 v[73:74], v[83:84], v[75:76], v[73:74]
	buffer_load_dword v83, off, s[0:3], 0 offset:176
	buffer_load_dword v84, off, s[0:3], 0 offset:180
	s_waitcnt vmcnt(20) lgkmcnt(0)
	v_fma_f64 v[73:74], v[85:86], v[77:78], v[73:74]
	s_waitcnt vmcnt(18)
	v_fma_f64 v[85:86], v[87:88], v[79:80], v[73:74]
	ds_read2_b64 v[73:76], v72 offset0:63 offset1:64
	ds_read2_b64 v[77:80], v72 offset0:65 offset1:66
	s_waitcnt vmcnt(16) lgkmcnt(1)
	v_fma_f64 v[73:74], v[89:90], v[73:74], v[85:86]
	s_waitcnt vmcnt(14)
	v_fma_f64 v[73:74], v[91:92], v[75:76], v[73:74]
	s_waitcnt vmcnt(12) lgkmcnt(0)
	v_fma_f64 v[73:74], v[93:94], v[77:78], v[73:74]
	s_waitcnt vmcnt(7)
	v_fma_f64 v[85:86], v[95:96], v[79:80], v[73:74]
	ds_read2_b64 v[73:76], v72 offset0:67 offset1:68
	ds_read2_b64 v[77:80], v72 offset0:69 offset1:70
	s_waitcnt vmcnt(6) lgkmcnt(1)
	v_fma_f64 v[72:73], v[101:102], v[73:74], v[85:86]
	s_waitcnt vmcnt(5)
	v_fma_f64 v[72:73], v[99:100], v[75:76], v[72:73]
	s_waitcnt vmcnt(4) lgkmcnt(0)
	v_fma_f64 v[72:73], v[97:98], v[77:78], v[72:73]
	s_waitcnt vmcnt(2)
	v_fma_f64 v[72:73], v[81:82], v[79:80], v[72:73]
	s_waitcnt vmcnt(0)
	v_add_f64 v[72:73], v[83:84], -v[72:73]
	buffer_store_dword v73, off, s[0:3], 0 offset:180
	buffer_store_dword v72, off, s[0:3], 0 offset:176
	s_and_saveexec_b64 s[4:5], vcc
	s_cbranch_execz .LBB34_175
; %bb.174:
	buffer_load_dword v72, off, s[0:3], 0 offset:168
	buffer_load_dword v73, off, s[0:3], 0 offset:172
	v_mov_b32_e32 v74, 0
	buffer_store_dword v74, off, s[0:3], 0 offset:168
	buffer_store_dword v74, off, s[0:3], 0 offset:172
	s_waitcnt vmcnt(2)
	ds_write_b64 v71, v[72:73]
.LBB34_175:
	s_or_b64 exec, exec, s[4:5]
	s_waitcnt lgkmcnt(0)
	; wave barrier
	buffer_load_dword v81, off, s[0:3], 0 offset:176
	buffer_load_dword v82, off, s[0:3], 0 offset:180
	;; [unrolled: 1-line block ×21, first 2 shown]
	v_mov_b32_e32 v72, 0
	ds_read_b128 v[73:76], v72 offset:464
	ds_read_b128 v[77:80], v72 offset:480
	buffer_load_dword v98, off, s[0:3], 0 offset:260
	v_cmp_lt_u32_e32 vcc, 20, v0
	s_waitcnt vmcnt(20) lgkmcnt(1)
	v_fma_f64 v[73:74], v[81:82], v[73:74], 0
	s_waitcnt vmcnt(18)
	v_fma_f64 v[73:74], v[83:84], v[75:76], v[73:74]
	buffer_load_dword v82, off, s[0:3], 0 offset:268
	buffer_load_dword v83, off, s[0:3], 0 offset:272
	;; [unrolled: 1-line block ×4, first 2 shown]
	s_waitcnt vmcnt(20) lgkmcnt(0)
	v_fma_f64 v[73:74], v[85:86], v[77:78], v[73:74]
	buffer_load_dword v85, off, s[0:3], 0 offset:168
	buffer_load_dword v86, off, s[0:3], 0 offset:172
	s_waitcnt vmcnt(20)
	v_fma_f64 v[87:88], v[87:88], v[79:80], v[73:74]
	ds_read_b128 v[73:76], v72 offset:496
	ds_read_b128 v[77:80], v72 offset:512
	s_waitcnt vmcnt(18) lgkmcnt(1)
	v_fma_f64 v[73:74], v[89:90], v[73:74], v[87:88]
	s_waitcnt vmcnt(16)
	v_fma_f64 v[73:74], v[91:92], v[75:76], v[73:74]
	s_waitcnt vmcnt(14) lgkmcnt(0)
	v_fma_f64 v[73:74], v[93:94], v[77:78], v[73:74]
	s_waitcnt vmcnt(9)
	v_fma_f64 v[87:88], v[95:96], v[79:80], v[73:74]
	ds_read_b128 v[73:76], v72 offset:528
	ds_read_b128 v[77:80], v72 offset:544
	s_waitcnt vmcnt(8) lgkmcnt(1)
	v_fma_f64 v[73:74], v[101:102], v[73:74], v[87:88]
	s_waitcnt vmcnt(7)
	v_fma_f64 v[73:74], v[99:100], v[75:76], v[73:74]
	ds_read_b64 v[75:76], v72 offset:560
	s_waitcnt vmcnt(6) lgkmcnt(1)
	v_fma_f64 v[73:74], v[97:98], v[77:78], v[73:74]
	s_waitcnt vmcnt(3)
	v_fma_f64 v[73:74], v[81:82], v[79:80], v[73:74]
	s_waitcnt vmcnt(2) lgkmcnt(0)
	v_fma_f64 v[73:74], v[83:84], v[75:76], v[73:74]
	s_waitcnt vmcnt(0)
	v_add_f64 v[73:74], v[85:86], -v[73:74]
	buffer_store_dword v74, off, s[0:3], 0 offset:172
	buffer_store_dword v73, off, s[0:3], 0 offset:168
	s_and_saveexec_b64 s[4:5], vcc
	s_cbranch_execz .LBB34_177
; %bb.176:
	buffer_load_dword v73, off, s[0:3], 0 offset:160
	buffer_load_dword v74, off, s[0:3], 0 offset:164
	s_waitcnt vmcnt(0)
	ds_write_b64 v71, v[73:74]
	buffer_store_dword v72, off, s[0:3], 0 offset:160
	buffer_store_dword v72, off, s[0:3], 0 offset:164
.LBB34_177:
	s_or_b64 exec, exec, s[4:5]
	s_waitcnt lgkmcnt(0)
	; wave barrier
	buffer_load_dword v81, off, s[0:3], 0 offset:168
	buffer_load_dword v82, off, s[0:3], 0 offset:172
	buffer_load_dword v83, off, s[0:3], 0 offset:176
	buffer_load_dword v84, off, s[0:3], 0 offset:180
	buffer_load_dword v85, off, s[0:3], 0 offset:184
	buffer_load_dword v86, off, s[0:3], 0 offset:188
	buffer_load_dword v87, off, s[0:3], 0 offset:192
	buffer_load_dword v88, off, s[0:3], 0 offset:196
	buffer_load_dword v89, off, s[0:3], 0 offset:200
	buffer_load_dword v90, off, s[0:3], 0 offset:204
	buffer_load_dword v91, off, s[0:3], 0 offset:208
	buffer_load_dword v92, off, s[0:3], 0 offset:212
	buffer_load_dword v93, off, s[0:3], 0 offset:216
	buffer_load_dword v94, off, s[0:3], 0 offset:220
	buffer_load_dword v96, off, s[0:3], 0 offset:228
	buffer_load_dword v97, off, s[0:3], 0 offset:248
	buffer_load_dword v99, off, s[0:3], 0 offset:240
	buffer_load_dword v101, off, s[0:3], 0 offset:232
	buffer_load_dword v95, off, s[0:3], 0 offset:224
	buffer_load_dword v102, off, s[0:3], 0 offset:236
	buffer_load_dword v100, off, s[0:3], 0 offset:244
	buffer_load_dword v98, off, s[0:3], 0 offset:252
	ds_read2_b64 v[73:76], v72 offset0:57 offset1:58
	ds_read2_b64 v[77:80], v72 offset0:59 offset1:60
	v_cmp_lt_u32_e32 vcc, 19, v0
	s_waitcnt vmcnt(20) lgkmcnt(1)
	v_fma_f64 v[73:74], v[81:82], v[73:74], 0
	s_waitcnt vmcnt(18)
	v_fma_f64 v[73:74], v[83:84], v[75:76], v[73:74]
	buffer_load_dword v82, off, s[0:3], 0 offset:260
	buffer_load_dword v83, off, s[0:3], 0 offset:272
	;; [unrolled: 1-line block ×6, first 2 shown]
	s_waitcnt vmcnt(22) lgkmcnt(0)
	v_fma_f64 v[73:74], v[85:86], v[77:78], v[73:74]
	s_waitcnt vmcnt(20)
	v_fma_f64 v[85:86], v[87:88], v[79:80], v[73:74]
	ds_read2_b64 v[73:76], v72 offset0:61 offset1:62
	buffer_load_dword v87, off, s[0:3], 0 offset:160
	buffer_load_dword v88, off, s[0:3], 0 offset:164
	ds_read2_b64 v[77:80], v72 offset0:63 offset1:64
	s_waitcnt vmcnt(20) lgkmcnt(1)
	v_fma_f64 v[73:74], v[89:90], v[73:74], v[85:86]
	s_waitcnt vmcnt(18)
	v_fma_f64 v[73:74], v[91:92], v[75:76], v[73:74]
	s_waitcnt vmcnt(16) lgkmcnt(0)
	v_fma_f64 v[73:74], v[93:94], v[77:78], v[73:74]
	s_waitcnt vmcnt(11)
	v_fma_f64 v[85:86], v[95:96], v[79:80], v[73:74]
	ds_read2_b64 v[73:76], v72 offset0:65 offset1:66
	ds_read2_b64 v[77:80], v72 offset0:67 offset1:68
	s_waitcnt vmcnt(10) lgkmcnt(1)
	v_fma_f64 v[73:74], v[101:102], v[73:74], v[85:86]
	s_waitcnt vmcnt(9)
	v_fma_f64 v[73:74], v[99:100], v[75:76], v[73:74]
	s_waitcnt vmcnt(8) lgkmcnt(0)
	v_fma_f64 v[73:74], v[97:98], v[77:78], v[73:74]
	s_waitcnt vmcnt(4)
	v_fma_f64 v[76:77], v[81:82], v[79:80], v[73:74]
	ds_read2_b64 v[72:75], v72 offset0:69 offset1:70
	s_waitcnt vmcnt(3) lgkmcnt(0)
	v_fma_f64 v[72:73], v[103:104], v[72:73], v[76:77]
	s_waitcnt vmcnt(2)
	v_fma_f64 v[72:73], v[83:84], v[74:75], v[72:73]
	s_waitcnt vmcnt(0)
	v_add_f64 v[72:73], v[87:88], -v[72:73]
	buffer_store_dword v73, off, s[0:3], 0 offset:164
	buffer_store_dword v72, off, s[0:3], 0 offset:160
	s_and_saveexec_b64 s[4:5], vcc
	s_cbranch_execz .LBB34_179
; %bb.178:
	buffer_load_dword v72, off, s[0:3], 0 offset:152
	buffer_load_dword v73, off, s[0:3], 0 offset:156
	v_mov_b32_e32 v74, 0
	buffer_store_dword v74, off, s[0:3], 0 offset:152
	buffer_store_dword v74, off, s[0:3], 0 offset:156
	s_waitcnt vmcnt(2)
	ds_write_b64 v71, v[72:73]
.LBB34_179:
	s_or_b64 exec, exec, s[4:5]
	s_waitcnt lgkmcnt(0)
	; wave barrier
	buffer_load_dword v81, off, s[0:3], 0 offset:160
	buffer_load_dword v82, off, s[0:3], 0 offset:164
	;; [unrolled: 1-line block ×22, first 2 shown]
	v_mov_b32_e32 v72, 0
	ds_read_b128 v[73:76], v72 offset:448
	ds_read_b128 v[77:80], v72 offset:464
	v_cmp_lt_u32_e32 vcc, 18, v0
	s_waitcnt vmcnt(20) lgkmcnt(1)
	v_fma_f64 v[73:74], v[81:82], v[73:74], 0
	s_waitcnt vmcnt(18)
	v_fma_f64 v[73:74], v[83:84], v[75:76], v[73:74]
	buffer_load_dword v82, off, s[0:3], 0 offset:252
	buffer_load_dword v83, off, s[0:3], 0 offset:272
	;; [unrolled: 1-line block ×8, first 2 shown]
	s_waitcnt vmcnt(24) lgkmcnt(0)
	v_fma_f64 v[73:74], v[85:86], v[77:78], v[73:74]
	s_waitcnt vmcnt(22)
	v_fma_f64 v[85:86], v[87:88], v[79:80], v[73:74]
	ds_read_b128 v[73:76], v72 offset:480
	ds_read_b128 v[77:80], v72 offset:496
	s_waitcnt vmcnt(20) lgkmcnt(1)
	v_fma_f64 v[73:74], v[89:90], v[73:74], v[85:86]
	buffer_load_dword v85, off, s[0:3], 0 offset:152
	buffer_load_dword v86, off, s[0:3], 0 offset:156
	s_waitcnt vmcnt(20)
	v_fma_f64 v[73:74], v[91:92], v[75:76], v[73:74]
	s_waitcnt vmcnt(18) lgkmcnt(0)
	v_fma_f64 v[73:74], v[93:94], v[77:78], v[73:74]
	s_waitcnt vmcnt(13)
	v_fma_f64 v[87:88], v[95:96], v[79:80], v[73:74]
	ds_read_b128 v[73:76], v72 offset:512
	ds_read_b128 v[77:80], v72 offset:528
	s_waitcnt vmcnt(12) lgkmcnt(1)
	v_fma_f64 v[73:74], v[101:102], v[73:74], v[87:88]
	s_waitcnt vmcnt(11)
	v_fma_f64 v[73:74], v[99:100], v[75:76], v[73:74]
	s_waitcnt vmcnt(10) lgkmcnt(0)
	v_fma_f64 v[73:74], v[97:98], v[77:78], v[73:74]
	s_waitcnt vmcnt(5)
	v_fma_f64 v[77:78], v[81:82], v[79:80], v[73:74]
	ds_read_b128 v[73:76], v72 offset:544
	ds_read_b64 v[79:80], v72 offset:560
	s_waitcnt vmcnt(4) lgkmcnt(1)
	v_fma_f64 v[73:74], v[105:106], v[73:74], v[77:78]
	s_waitcnt vmcnt(3)
	v_fma_f64 v[73:74], v[103:104], v[75:76], v[73:74]
	s_waitcnt vmcnt(2) lgkmcnt(0)
	v_fma_f64 v[73:74], v[83:84], v[79:80], v[73:74]
	s_waitcnt vmcnt(0)
	v_add_f64 v[73:74], v[85:86], -v[73:74]
	buffer_store_dword v74, off, s[0:3], 0 offset:156
	buffer_store_dword v73, off, s[0:3], 0 offset:152
	s_and_saveexec_b64 s[4:5], vcc
	s_cbranch_execz .LBB34_181
; %bb.180:
	buffer_load_dword v73, off, s[0:3], 0 offset:144
	buffer_load_dword v74, off, s[0:3], 0 offset:148
	s_waitcnt vmcnt(0)
	ds_write_b64 v71, v[73:74]
	buffer_store_dword v72, off, s[0:3], 0 offset:144
	buffer_store_dword v72, off, s[0:3], 0 offset:148
.LBB34_181:
	s_or_b64 exec, exec, s[4:5]
	s_waitcnt lgkmcnt(0)
	; wave barrier
	buffer_load_dword v81, off, s[0:3], 0 offset:152
	buffer_load_dword v82, off, s[0:3], 0 offset:156
	;; [unrolled: 1-line block ×22, first 2 shown]
	ds_read2_b64 v[73:76], v72 offset0:55 offset1:56
	ds_read2_b64 v[77:80], v72 offset0:57 offset1:58
	v_cmp_lt_u32_e32 vcc, 17, v0
	s_waitcnt vmcnt(20) lgkmcnt(1)
	v_fma_f64 v[73:74], v[81:82], v[73:74], 0
	s_waitcnt vmcnt(18)
	v_fma_f64 v[73:74], v[83:84], v[75:76], v[73:74]
	buffer_load_dword v82, off, s[0:3], 0 offset:244
	buffer_load_dword v83, off, s[0:3], 0 offset:264
	buffer_load_dword v103, off, s[0:3], 0 offset:256
	buffer_load_dword v105, off, s[0:3], 0 offset:248
	buffer_load_dword v81, off, s[0:3], 0 offset:240
	buffer_load_dword v106, off, s[0:3], 0 offset:252
	buffer_load_dword v104, off, s[0:3], 0 offset:260
	buffer_load_dword v84, off, s[0:3], 0 offset:268
	s_waitcnt vmcnt(24) lgkmcnt(0)
	v_fma_f64 v[73:74], v[85:86], v[77:78], v[73:74]
	s_waitcnt vmcnt(22)
	v_fma_f64 v[85:86], v[87:88], v[79:80], v[73:74]
	ds_read2_b64 v[73:76], v72 offset0:59 offset1:60
	ds_read2_b64 v[77:80], v72 offset0:61 offset1:62
	s_waitcnt vmcnt(20) lgkmcnt(1)
	v_fma_f64 v[73:74], v[89:90], v[73:74], v[85:86]
	buffer_load_dword v86, off, s[0:3], 0 offset:276
	buffer_load_dword v85, off, s[0:3], 0 offset:272
	;; [unrolled: 1-line block ×4, first 2 shown]
	s_waitcnt vmcnt(22)
	v_fma_f64 v[73:74], v[91:92], v[75:76], v[73:74]
	s_waitcnt vmcnt(20) lgkmcnt(0)
	v_fma_f64 v[73:74], v[93:94], v[77:78], v[73:74]
	s_waitcnt vmcnt(15)
	v_fma_f64 v[89:90], v[95:96], v[79:80], v[73:74]
	ds_read2_b64 v[73:76], v72 offset0:63 offset1:64
	ds_read2_b64 v[77:80], v72 offset0:65 offset1:66
	s_waitcnt vmcnt(14) lgkmcnt(1)
	v_fma_f64 v[73:74], v[101:102], v[73:74], v[89:90]
	s_waitcnt vmcnt(13)
	v_fma_f64 v[73:74], v[99:100], v[75:76], v[73:74]
	s_waitcnt vmcnt(12) lgkmcnt(0)
	v_fma_f64 v[73:74], v[97:98], v[77:78], v[73:74]
	s_waitcnt vmcnt(7)
	v_fma_f64 v[81:82], v[81:82], v[79:80], v[73:74]
	ds_read2_b64 v[73:76], v72 offset0:67 offset1:68
	ds_read2_b64 v[77:80], v72 offset0:69 offset1:70
	s_waitcnt vmcnt(6) lgkmcnt(1)
	v_fma_f64 v[72:73], v[105:106], v[73:74], v[81:82]
	s_waitcnt vmcnt(5)
	v_fma_f64 v[72:73], v[103:104], v[75:76], v[72:73]
	s_waitcnt vmcnt(4) lgkmcnt(0)
	v_fma_f64 v[72:73], v[83:84], v[77:78], v[72:73]
	s_waitcnt vmcnt(2)
	v_fma_f64 v[72:73], v[85:86], v[79:80], v[72:73]
	s_waitcnt vmcnt(0)
	v_add_f64 v[72:73], v[87:88], -v[72:73]
	buffer_store_dword v73, off, s[0:3], 0 offset:148
	buffer_store_dword v72, off, s[0:3], 0 offset:144
	s_and_saveexec_b64 s[4:5], vcc
	s_cbranch_execz .LBB34_183
; %bb.182:
	buffer_load_dword v72, off, s[0:3], 0 offset:136
	buffer_load_dword v73, off, s[0:3], 0 offset:140
	v_mov_b32_e32 v74, 0
	buffer_store_dword v74, off, s[0:3], 0 offset:136
	buffer_store_dword v74, off, s[0:3], 0 offset:140
	s_waitcnt vmcnt(2)
	ds_write_b64 v71, v[72:73]
.LBB34_183:
	s_or_b64 exec, exec, s[4:5]
	s_waitcnt lgkmcnt(0)
	; wave barrier
	buffer_load_dword v81, off, s[0:3], 0 offset:144
	buffer_load_dword v82, off, s[0:3], 0 offset:148
	;; [unrolled: 1-line block ×22, first 2 shown]
	v_mov_b32_e32 v72, 0
	ds_read_b128 v[73:76], v72 offset:432
	ds_read_b128 v[77:80], v72 offset:448
	v_cmp_lt_u32_e32 vcc, 16, v0
	s_waitcnt vmcnt(20) lgkmcnt(1)
	v_fma_f64 v[73:74], v[81:82], v[73:74], 0
	s_waitcnt vmcnt(18)
	v_fma_f64 v[73:74], v[83:84], v[75:76], v[73:74]
	buffer_load_dword v82, off, s[0:3], 0 offset:236
	buffer_load_dword v83, off, s[0:3], 0 offset:256
	;; [unrolled: 1-line block ×7, first 2 shown]
	s_waitcnt vmcnt(23) lgkmcnt(0)
	v_fma_f64 v[73:74], v[85:86], v[77:78], v[73:74]
	s_waitcnt vmcnt(21)
	v_fma_f64 v[84:85], v[87:88], v[79:80], v[73:74]
	ds_read_b128 v[73:76], v72 offset:464
	ds_read_b128 v[77:80], v72 offset:480
	s_waitcnt vmcnt(19) lgkmcnt(1)
	v_fma_f64 v[73:74], v[89:90], v[73:74], v[84:85]
	buffer_load_dword v84, off, s[0:3], 0 offset:260
	buffer_load_dword v86, off, s[0:3], 0 offset:268
	;; [unrolled: 1-line block ×7, first 2 shown]
	s_waitcnt vmcnt(24)
	v_fma_f64 v[73:74], v[91:92], v[75:76], v[73:74]
	s_waitcnt vmcnt(22) lgkmcnt(0)
	v_fma_f64 v[73:74], v[93:94], v[77:78], v[73:74]
	s_waitcnt vmcnt(17)
	v_fma_f64 v[91:92], v[95:96], v[79:80], v[73:74]
	ds_read_b128 v[73:76], v72 offset:496
	ds_read_b128 v[77:80], v72 offset:512
	s_waitcnt vmcnt(16) lgkmcnt(1)
	v_fma_f64 v[73:74], v[101:102], v[73:74], v[91:92]
	s_waitcnt vmcnt(15)
	v_fma_f64 v[73:74], v[99:100], v[75:76], v[73:74]
	s_waitcnt vmcnt(14) lgkmcnt(0)
	v_fma_f64 v[73:74], v[97:98], v[77:78], v[73:74]
	s_waitcnt vmcnt(9)
	v_fma_f64 v[81:82], v[81:82], v[79:80], v[73:74]
	ds_read_b128 v[73:76], v72 offset:528
	ds_read_b128 v[77:80], v72 offset:544
	s_waitcnt vmcnt(8) lgkmcnt(1)
	v_fma_f64 v[73:74], v[105:106], v[73:74], v[81:82]
	s_waitcnt vmcnt(7)
	v_fma_f64 v[73:74], v[103:104], v[75:76], v[73:74]
	ds_read_b64 v[75:76], v72 offset:560
	s_waitcnt vmcnt(6) lgkmcnt(1)
	v_fma_f64 v[73:74], v[83:84], v[77:78], v[73:74]
	s_waitcnt vmcnt(3)
	v_fma_f64 v[73:74], v[85:86], v[79:80], v[73:74]
	s_waitcnt vmcnt(2) lgkmcnt(0)
	v_fma_f64 v[73:74], v[87:88], v[75:76], v[73:74]
	s_waitcnt vmcnt(0)
	v_add_f64 v[73:74], v[89:90], -v[73:74]
	buffer_store_dword v74, off, s[0:3], 0 offset:140
	buffer_store_dword v73, off, s[0:3], 0 offset:136
	s_and_saveexec_b64 s[4:5], vcc
	s_cbranch_execz .LBB34_185
; %bb.184:
	buffer_load_dword v73, off, s[0:3], 0 offset:128
	buffer_load_dword v74, off, s[0:3], 0 offset:132
	s_waitcnt vmcnt(0)
	ds_write_b64 v71, v[73:74]
	buffer_store_dword v72, off, s[0:3], 0 offset:128
	buffer_store_dword v72, off, s[0:3], 0 offset:132
.LBB34_185:
	s_or_b64 exec, exec, s[4:5]
	s_waitcnt lgkmcnt(0)
	; wave barrier
	buffer_load_dword v81, off, s[0:3], 0 offset:136
	buffer_load_dword v82, off, s[0:3], 0 offset:140
	;; [unrolled: 1-line block ×22, first 2 shown]
	ds_read2_b64 v[73:76], v72 offset0:53 offset1:54
	ds_read2_b64 v[77:80], v72 offset0:55 offset1:56
	v_cmp_lt_u32_e32 vcc, 15, v0
	s_waitcnt vmcnt(20) lgkmcnt(1)
	v_fma_f64 v[73:74], v[81:82], v[73:74], 0
	s_waitcnt vmcnt(18)
	v_fma_f64 v[73:74], v[83:84], v[75:76], v[73:74]
	buffer_load_dword v82, off, s[0:3], 0 offset:228
	buffer_load_dword v83, off, s[0:3], 0 offset:248
	;; [unrolled: 1-line block ×7, first 2 shown]
	s_waitcnt vmcnt(23) lgkmcnt(0)
	v_fma_f64 v[73:74], v[85:86], v[77:78], v[73:74]
	s_waitcnt vmcnt(21)
	v_fma_f64 v[84:85], v[87:88], v[79:80], v[73:74]
	ds_read2_b64 v[73:76], v72 offset0:57 offset1:58
	ds_read2_b64 v[77:80], v72 offset0:59 offset1:60
	s_waitcnt vmcnt(19) lgkmcnt(1)
	v_fma_f64 v[73:74], v[89:90], v[73:74], v[84:85]
	buffer_load_dword v84, off, s[0:3], 0 offset:252
	buffer_load_dword v86, off, s[0:3], 0 offset:260
	;; [unrolled: 1-line block ×7, first 2 shown]
	s_waitcnt vmcnt(24)
	v_fma_f64 v[73:74], v[91:92], v[75:76], v[73:74]
	s_waitcnt vmcnt(22) lgkmcnt(0)
	v_fma_f64 v[73:74], v[93:94], v[77:78], v[73:74]
	s_waitcnt vmcnt(17)
	v_fma_f64 v[91:92], v[95:96], v[79:80], v[73:74]
	ds_read2_b64 v[73:76], v72 offset0:61 offset1:62
	buffer_load_dword v93, off, s[0:3], 0 offset:128
	buffer_load_dword v94, off, s[0:3], 0 offset:132
	ds_read2_b64 v[77:80], v72 offset0:63 offset1:64
	s_waitcnt vmcnt(18) lgkmcnt(1)
	v_fma_f64 v[73:74], v[101:102], v[73:74], v[91:92]
	s_waitcnt vmcnt(17)
	v_fma_f64 v[73:74], v[99:100], v[75:76], v[73:74]
	s_waitcnt vmcnt(16) lgkmcnt(0)
	v_fma_f64 v[73:74], v[97:98], v[77:78], v[73:74]
	s_waitcnt vmcnt(11)
	v_fma_f64 v[81:82], v[81:82], v[79:80], v[73:74]
	ds_read2_b64 v[73:76], v72 offset0:65 offset1:66
	ds_read2_b64 v[77:80], v72 offset0:67 offset1:68
	s_waitcnt vmcnt(10) lgkmcnt(1)
	v_fma_f64 v[73:74], v[105:106], v[73:74], v[81:82]
	s_waitcnt vmcnt(9)
	v_fma_f64 v[73:74], v[103:104], v[75:76], v[73:74]
	s_waitcnt vmcnt(8) lgkmcnt(0)
	v_fma_f64 v[73:74], v[83:84], v[77:78], v[73:74]
	s_waitcnt vmcnt(4)
	v_fma_f64 v[76:77], v[85:86], v[79:80], v[73:74]
	ds_read2_b64 v[72:75], v72 offset0:69 offset1:70
	s_waitcnt vmcnt(3) lgkmcnt(0)
	v_fma_f64 v[72:73], v[89:90], v[72:73], v[76:77]
	s_waitcnt vmcnt(2)
	v_fma_f64 v[72:73], v[87:88], v[74:75], v[72:73]
	s_waitcnt vmcnt(0)
	v_add_f64 v[72:73], v[93:94], -v[72:73]
	buffer_store_dword v73, off, s[0:3], 0 offset:132
	buffer_store_dword v72, off, s[0:3], 0 offset:128
	s_and_saveexec_b64 s[4:5], vcc
	s_cbranch_execz .LBB34_187
; %bb.186:
	buffer_load_dword v72, off, s[0:3], 0 offset:120
	buffer_load_dword v73, off, s[0:3], 0 offset:124
	v_mov_b32_e32 v74, 0
	buffer_store_dword v74, off, s[0:3], 0 offset:120
	buffer_store_dword v74, off, s[0:3], 0 offset:124
	s_waitcnt vmcnt(2)
	ds_write_b64 v71, v[72:73]
.LBB34_187:
	s_or_b64 exec, exec, s[4:5]
	s_waitcnt lgkmcnt(0)
	; wave barrier
	buffer_load_dword v81, off, s[0:3], 0 offset:128
	buffer_load_dword v82, off, s[0:3], 0 offset:132
	;; [unrolled: 1-line block ×22, first 2 shown]
	v_mov_b32_e32 v72, 0
	ds_read_b128 v[73:76], v72 offset:416
	ds_read_b128 v[77:80], v72 offset:432
	v_cmp_lt_u32_e32 vcc, 14, v0
	s_waitcnt vmcnt(20) lgkmcnt(1)
	v_fma_f64 v[73:74], v[81:82], v[73:74], 0
	s_waitcnt vmcnt(18)
	v_fma_f64 v[73:74], v[83:84], v[75:76], v[73:74]
	buffer_load_dword v82, off, s[0:3], 0 offset:220
	buffer_load_dword v83, off, s[0:3], 0 offset:240
	;; [unrolled: 1-line block ×7, first 2 shown]
	s_waitcnt vmcnt(23) lgkmcnt(0)
	v_fma_f64 v[73:74], v[85:86], v[77:78], v[73:74]
	s_waitcnt vmcnt(21)
	v_fma_f64 v[84:85], v[87:88], v[79:80], v[73:74]
	ds_read_b128 v[73:76], v72 offset:448
	ds_read_b128 v[77:80], v72 offset:464
	s_waitcnt vmcnt(19) lgkmcnt(1)
	v_fma_f64 v[73:74], v[89:90], v[73:74], v[84:85]
	buffer_load_dword v84, off, s[0:3], 0 offset:244
	s_waitcnt vmcnt(18)
	v_fma_f64 v[73:74], v[91:92], v[75:76], v[73:74]
	buffer_load_dword v86, off, s[0:3], 0 offset:252
	buffer_load_dword v87, off, s[0:3], 0 offset:272
	;; [unrolled: 1-line block ×8, first 2 shown]
	s_waitcnt vmcnt(24) lgkmcnt(0)
	v_fma_f64 v[73:74], v[93:94], v[77:78], v[73:74]
	s_waitcnt vmcnt(19)
	v_fma_f64 v[93:94], v[95:96], v[79:80], v[73:74]
	ds_read_b128 v[73:76], v72 offset:480
	ds_read_b128 v[77:80], v72 offset:496
	s_waitcnt vmcnt(18) lgkmcnt(1)
	v_fma_f64 v[73:74], v[101:102], v[73:74], v[93:94]
	buffer_load_dword v93, off, s[0:3], 0 offset:120
	buffer_load_dword v94, off, s[0:3], 0 offset:124
	s_waitcnt vmcnt(19)
	v_fma_f64 v[73:74], v[99:100], v[75:76], v[73:74]
	s_waitcnt vmcnt(18) lgkmcnt(0)
	v_fma_f64 v[73:74], v[97:98], v[77:78], v[73:74]
	s_waitcnt vmcnt(13)
	v_fma_f64 v[81:82], v[81:82], v[79:80], v[73:74]
	ds_read_b128 v[73:76], v72 offset:512
	ds_read_b128 v[77:80], v72 offset:528
	s_waitcnt vmcnt(12) lgkmcnt(1)
	v_fma_f64 v[73:74], v[105:106], v[73:74], v[81:82]
	s_waitcnt vmcnt(11)
	v_fma_f64 v[73:74], v[103:104], v[75:76], v[73:74]
	s_waitcnt vmcnt(10) lgkmcnt(0)
	v_fma_f64 v[73:74], v[83:84], v[77:78], v[73:74]
	s_waitcnt vmcnt(5)
	v_fma_f64 v[77:78], v[85:86], v[79:80], v[73:74]
	ds_read_b128 v[73:76], v72 offset:544
	ds_read_b64 v[79:80], v72 offset:560
	s_waitcnt vmcnt(4) lgkmcnt(1)
	v_fma_f64 v[73:74], v[91:92], v[73:74], v[77:78]
	s_waitcnt vmcnt(3)
	v_fma_f64 v[73:74], v[89:90], v[75:76], v[73:74]
	s_waitcnt vmcnt(2) lgkmcnt(0)
	v_fma_f64 v[73:74], v[87:88], v[79:80], v[73:74]
	s_waitcnt vmcnt(0)
	v_add_f64 v[73:74], v[93:94], -v[73:74]
	buffer_store_dword v74, off, s[0:3], 0 offset:124
	buffer_store_dword v73, off, s[0:3], 0 offset:120
	s_and_saveexec_b64 s[4:5], vcc
	s_cbranch_execz .LBB34_189
; %bb.188:
	buffer_load_dword v73, off, s[0:3], 0 offset:112
	buffer_load_dword v74, off, s[0:3], 0 offset:116
	s_waitcnt vmcnt(0)
	ds_write_b64 v71, v[73:74]
	buffer_store_dword v72, off, s[0:3], 0 offset:112
	buffer_store_dword v72, off, s[0:3], 0 offset:116
.LBB34_189:
	s_or_b64 exec, exec, s[4:5]
	s_waitcnt lgkmcnt(0)
	; wave barrier
	buffer_load_dword v81, off, s[0:3], 0 offset:120
	buffer_load_dword v82, off, s[0:3], 0 offset:124
	;; [unrolled: 1-line block ×22, first 2 shown]
	ds_read2_b64 v[73:76], v72 offset0:51 offset1:52
	ds_read2_b64 v[77:80], v72 offset0:53 offset1:54
	v_cmp_lt_u32_e32 vcc, 13, v0
	s_waitcnt vmcnt(20) lgkmcnt(1)
	v_fma_f64 v[73:74], v[81:82], v[73:74], 0
	s_waitcnt vmcnt(18)
	v_fma_f64 v[73:74], v[83:84], v[75:76], v[73:74]
	buffer_load_dword v82, off, s[0:3], 0 offset:212
	buffer_load_dword v83, off, s[0:3], 0 offset:232
	;; [unrolled: 1-line block ×7, first 2 shown]
	s_waitcnt vmcnt(23) lgkmcnt(0)
	v_fma_f64 v[73:74], v[85:86], v[77:78], v[73:74]
	s_waitcnt vmcnt(21)
	v_fma_f64 v[84:85], v[87:88], v[79:80], v[73:74]
	ds_read2_b64 v[73:76], v72 offset0:55 offset1:56
	ds_read2_b64 v[77:80], v72 offset0:57 offset1:58
	s_waitcnt vmcnt(19) lgkmcnt(1)
	v_fma_f64 v[73:74], v[89:90], v[73:74], v[84:85]
	buffer_load_dword v84, off, s[0:3], 0 offset:236
	s_waitcnt vmcnt(18)
	v_fma_f64 v[73:74], v[91:92], v[75:76], v[73:74]
	buffer_load_dword v86, off, s[0:3], 0 offset:244
	buffer_load_dword v87, off, s[0:3], 0 offset:264
	;; [unrolled: 1-line block ×8, first 2 shown]
	s_waitcnt vmcnt(24) lgkmcnt(0)
	v_fma_f64 v[73:74], v[93:94], v[77:78], v[73:74]
	s_waitcnt vmcnt(19)
	v_fma_f64 v[93:94], v[95:96], v[79:80], v[73:74]
	ds_read2_b64 v[73:76], v72 offset0:59 offset1:60
	ds_read2_b64 v[77:80], v72 offset0:61 offset1:62
	s_waitcnt vmcnt(18) lgkmcnt(1)
	v_fma_f64 v[73:74], v[101:102], v[73:74], v[93:94]
	buffer_load_dword v94, off, s[0:3], 0 offset:276
	buffer_load_dword v93, off, s[0:3], 0 offset:272
	buffer_load_dword v95, off, s[0:3], 0 offset:112
	buffer_load_dword v96, off, s[0:3], 0 offset:116
	s_waitcnt vmcnt(21)
	v_fma_f64 v[73:74], v[99:100], v[75:76], v[73:74]
	s_waitcnt vmcnt(20) lgkmcnt(0)
	v_fma_f64 v[73:74], v[97:98], v[77:78], v[73:74]
	s_waitcnt vmcnt(15)
	v_fma_f64 v[81:82], v[81:82], v[79:80], v[73:74]
	ds_read2_b64 v[73:76], v72 offset0:63 offset1:64
	ds_read2_b64 v[77:80], v72 offset0:65 offset1:66
	s_waitcnt vmcnt(14) lgkmcnt(1)
	v_fma_f64 v[73:74], v[105:106], v[73:74], v[81:82]
	s_waitcnt vmcnt(13)
	v_fma_f64 v[73:74], v[103:104], v[75:76], v[73:74]
	s_waitcnt vmcnt(12) lgkmcnt(0)
	v_fma_f64 v[73:74], v[83:84], v[77:78], v[73:74]
	s_waitcnt vmcnt(7)
	v_fma_f64 v[81:82], v[85:86], v[79:80], v[73:74]
	ds_read2_b64 v[73:76], v72 offset0:67 offset1:68
	ds_read2_b64 v[77:80], v72 offset0:69 offset1:70
	s_waitcnt vmcnt(6) lgkmcnt(1)
	v_fma_f64 v[72:73], v[91:92], v[73:74], v[81:82]
	s_waitcnt vmcnt(5)
	v_fma_f64 v[72:73], v[89:90], v[75:76], v[72:73]
	s_waitcnt vmcnt(4) lgkmcnt(0)
	v_fma_f64 v[72:73], v[87:88], v[77:78], v[72:73]
	s_waitcnt vmcnt(2)
	v_fma_f64 v[72:73], v[93:94], v[79:80], v[72:73]
	s_waitcnt vmcnt(0)
	v_add_f64 v[72:73], v[95:96], -v[72:73]
	buffer_store_dword v73, off, s[0:3], 0 offset:116
	buffer_store_dword v72, off, s[0:3], 0 offset:112
	s_and_saveexec_b64 s[4:5], vcc
	s_cbranch_execz .LBB34_191
; %bb.190:
	buffer_load_dword v72, off, s[0:3], 0 offset:104
	buffer_load_dword v73, off, s[0:3], 0 offset:108
	v_mov_b32_e32 v74, 0
	buffer_store_dword v74, off, s[0:3], 0 offset:104
	buffer_store_dword v74, off, s[0:3], 0 offset:108
	s_waitcnt vmcnt(2)
	ds_write_b64 v71, v[72:73]
.LBB34_191:
	s_or_b64 exec, exec, s[4:5]
	s_waitcnt lgkmcnt(0)
	; wave barrier
	buffer_load_dword v81, off, s[0:3], 0 offset:112
	buffer_load_dword v82, off, s[0:3], 0 offset:116
	buffer_load_dword v83, off, s[0:3], 0 offset:120
	buffer_load_dword v84, off, s[0:3], 0 offset:124
	buffer_load_dword v85, off, s[0:3], 0 offset:128
	buffer_load_dword v86, off, s[0:3], 0 offset:132
	buffer_load_dword v87, off, s[0:3], 0 offset:136
	buffer_load_dword v88, off, s[0:3], 0 offset:140
	buffer_load_dword v89, off, s[0:3], 0 offset:144
	buffer_load_dword v90, off, s[0:3], 0 offset:148
	buffer_load_dword v91, off, s[0:3], 0 offset:152
	buffer_load_dword v92, off, s[0:3], 0 offset:156
	buffer_load_dword v93, off, s[0:3], 0 offset:160
	buffer_load_dword v94, off, s[0:3], 0 offset:164
	buffer_load_dword v96, off, s[0:3], 0 offset:172
	buffer_load_dword v97, off, s[0:3], 0 offset:192
	buffer_load_dword v99, off, s[0:3], 0 offset:184
	buffer_load_dword v101, off, s[0:3], 0 offset:176
	buffer_load_dword v95, off, s[0:3], 0 offset:168
	buffer_load_dword v102, off, s[0:3], 0 offset:180
	buffer_load_dword v100, off, s[0:3], 0 offset:188
	v_mov_b32_e32 v72, 0
	ds_read_b128 v[73:76], v72 offset:400
	ds_read_b128 v[77:80], v72 offset:416
	buffer_load_dword v98, off, s[0:3], 0 offset:196
	v_cmp_lt_u32_e32 vcc, 12, v0
	s_waitcnt vmcnt(20) lgkmcnt(1)
	v_fma_f64 v[73:74], v[81:82], v[73:74], 0
	s_waitcnt vmcnt(18)
	v_fma_f64 v[73:74], v[83:84], v[75:76], v[73:74]
	buffer_load_dword v82, off, s[0:3], 0 offset:204
	buffer_load_dword v83, off, s[0:3], 0 offset:224
	;; [unrolled: 1-line block ×7, first 2 shown]
	s_waitcnt vmcnt(23) lgkmcnt(0)
	v_fma_f64 v[73:74], v[85:86], v[77:78], v[73:74]
	s_waitcnt vmcnt(21)
	v_fma_f64 v[84:85], v[87:88], v[79:80], v[73:74]
	ds_read_b128 v[73:76], v72 offset:432
	ds_read_b128 v[77:80], v72 offset:448
	s_waitcnt vmcnt(19) lgkmcnt(1)
	v_fma_f64 v[73:74], v[89:90], v[73:74], v[84:85]
	buffer_load_dword v84, off, s[0:3], 0 offset:228
	s_waitcnt vmcnt(18)
	v_fma_f64 v[73:74], v[91:92], v[75:76], v[73:74]
	buffer_load_dword v86, off, s[0:3], 0 offset:236
	buffer_load_dword v87, off, s[0:3], 0 offset:256
	;; [unrolled: 1-line block ×7, first 2 shown]
	s_waitcnt vmcnt(23) lgkmcnt(0)
	v_fma_f64 v[73:74], v[93:94], v[77:78], v[73:74]
	s_waitcnt vmcnt(18)
	v_fma_f64 v[93:94], v[95:96], v[79:80], v[73:74]
	ds_read_b128 v[73:76], v72 offset:464
	ds_read_b128 v[77:80], v72 offset:480
	buffer_load_dword v88, off, s[0:3], 0 offset:260
	s_waitcnt vmcnt(18) lgkmcnt(1)
	v_fma_f64 v[73:74], v[101:102], v[73:74], v[93:94]
	buffer_load_dword v94, off, s[0:3], 0 offset:268
	buffer_load_dword v95, off, s[0:3], 0 offset:272
	;; [unrolled: 1-line block ×4, first 2 shown]
	s_waitcnt vmcnt(21)
	v_fma_f64 v[73:74], v[99:100], v[75:76], v[73:74]
	s_waitcnt vmcnt(20) lgkmcnt(0)
	v_fma_f64 v[73:74], v[97:98], v[77:78], v[73:74]
	buffer_load_dword v97, off, s[0:3], 0 offset:104
	buffer_load_dword v98, off, s[0:3], 0 offset:108
	s_waitcnt vmcnt(17)
	v_fma_f64 v[81:82], v[81:82], v[79:80], v[73:74]
	ds_read_b128 v[73:76], v72 offset:496
	ds_read_b128 v[77:80], v72 offset:512
	s_waitcnt vmcnt(16) lgkmcnt(1)
	v_fma_f64 v[73:74], v[105:106], v[73:74], v[81:82]
	s_waitcnt vmcnt(15)
	v_fma_f64 v[73:74], v[103:104], v[75:76], v[73:74]
	s_waitcnt vmcnt(14) lgkmcnt(0)
	v_fma_f64 v[73:74], v[83:84], v[77:78], v[73:74]
	s_waitcnt vmcnt(9)
	v_fma_f64 v[81:82], v[85:86], v[79:80], v[73:74]
	ds_read_b128 v[73:76], v72 offset:528
	ds_read_b128 v[77:80], v72 offset:544
	s_waitcnt vmcnt(8) lgkmcnt(1)
	v_fma_f64 v[73:74], v[91:92], v[73:74], v[81:82]
	s_waitcnt vmcnt(7)
	v_fma_f64 v[73:74], v[89:90], v[75:76], v[73:74]
	ds_read_b64 v[75:76], v72 offset:560
	s_waitcnt vmcnt(6) lgkmcnt(1)
	v_fma_f64 v[73:74], v[87:88], v[77:78], v[73:74]
	s_waitcnt vmcnt(3)
	v_fma_f64 v[73:74], v[93:94], v[79:80], v[73:74]
	s_waitcnt vmcnt(2) lgkmcnt(0)
	v_fma_f64 v[73:74], v[95:96], v[75:76], v[73:74]
	s_waitcnt vmcnt(0)
	v_add_f64 v[73:74], v[97:98], -v[73:74]
	buffer_store_dword v74, off, s[0:3], 0 offset:108
	buffer_store_dword v73, off, s[0:3], 0 offset:104
	s_and_saveexec_b64 s[4:5], vcc
	s_cbranch_execz .LBB34_193
; %bb.192:
	buffer_load_dword v73, off, s[0:3], 0 offset:96
	buffer_load_dword v74, off, s[0:3], 0 offset:100
	s_waitcnt vmcnt(0)
	ds_write_b64 v71, v[73:74]
	buffer_store_dword v72, off, s[0:3], 0 offset:96
	buffer_store_dword v72, off, s[0:3], 0 offset:100
.LBB34_193:
	s_or_b64 exec, exec, s[4:5]
	s_waitcnt lgkmcnt(0)
	; wave barrier
	buffer_load_dword v81, off, s[0:3], 0 offset:104
	buffer_load_dword v82, off, s[0:3], 0 offset:108
	;; [unrolled: 1-line block ×21, first 2 shown]
	ds_read2_b64 v[73:76], v72 offset0:49 offset1:50
	ds_read2_b64 v[77:80], v72 offset0:51 offset1:52
	buffer_load_dword v98, off, s[0:3], 0 offset:188
	v_cmp_lt_u32_e32 vcc, 11, v0
	s_waitcnt vmcnt(20) lgkmcnt(1)
	v_fma_f64 v[73:74], v[81:82], v[73:74], 0
	s_waitcnt vmcnt(18)
	v_fma_f64 v[73:74], v[83:84], v[75:76], v[73:74]
	buffer_load_dword v82, off, s[0:3], 0 offset:196
	buffer_load_dword v83, off, s[0:3], 0 offset:216
	;; [unrolled: 1-line block ×7, first 2 shown]
	s_waitcnt vmcnt(23) lgkmcnt(0)
	v_fma_f64 v[73:74], v[85:86], v[77:78], v[73:74]
	s_waitcnt vmcnt(21)
	v_fma_f64 v[84:85], v[87:88], v[79:80], v[73:74]
	ds_read2_b64 v[73:76], v72 offset0:53 offset1:54
	ds_read2_b64 v[77:80], v72 offset0:55 offset1:56
	s_waitcnt vmcnt(19) lgkmcnt(1)
	v_fma_f64 v[73:74], v[89:90], v[73:74], v[84:85]
	buffer_load_dword v84, off, s[0:3], 0 offset:220
	s_waitcnt vmcnt(18)
	v_fma_f64 v[73:74], v[91:92], v[75:76], v[73:74]
	buffer_load_dword v86, off, s[0:3], 0 offset:228
	buffer_load_dword v87, off, s[0:3], 0 offset:248
	;; [unrolled: 1-line block ×8, first 2 shown]
	s_waitcnt vmcnt(24) lgkmcnt(0)
	v_fma_f64 v[73:74], v[93:94], v[77:78], v[73:74]
	s_waitcnt vmcnt(19)
	v_fma_f64 v[93:94], v[95:96], v[79:80], v[73:74]
	ds_read2_b64 v[73:76], v72 offset0:57 offset1:58
	ds_read2_b64 v[77:80], v72 offset0:59 offset1:60
	s_waitcnt vmcnt(18) lgkmcnt(1)
	v_fma_f64 v[73:74], v[101:102], v[73:74], v[93:94]
	s_waitcnt vmcnt(17)
	v_fma_f64 v[73:74], v[99:100], v[75:76], v[73:74]
	buffer_load_dword v94, off, s[0:3], 0 offset:260
	buffer_load_dword v95, off, s[0:3], 0 offset:272
	;; [unrolled: 1-line block ×6, first 2 shown]
	s_waitcnt vmcnt(22) lgkmcnt(0)
	v_fma_f64 v[73:74], v[97:98], v[77:78], v[73:74]
	s_waitcnt vmcnt(17)
	v_fma_f64 v[81:82], v[81:82], v[79:80], v[73:74]
	ds_read2_b64 v[73:76], v72 offset0:61 offset1:62
	buffer_load_dword v97, off, s[0:3], 0 offset:96
	buffer_load_dword v98, off, s[0:3], 0 offset:100
	ds_read2_b64 v[77:80], v72 offset0:63 offset1:64
	s_waitcnt vmcnt(18) lgkmcnt(1)
	v_fma_f64 v[73:74], v[105:106], v[73:74], v[81:82]
	s_waitcnt vmcnt(17)
	v_fma_f64 v[73:74], v[103:104], v[75:76], v[73:74]
	s_waitcnt vmcnt(16) lgkmcnt(0)
	v_fma_f64 v[73:74], v[83:84], v[77:78], v[73:74]
	s_waitcnt vmcnt(11)
	v_fma_f64 v[81:82], v[85:86], v[79:80], v[73:74]
	ds_read2_b64 v[73:76], v72 offset0:65 offset1:66
	ds_read2_b64 v[77:80], v72 offset0:67 offset1:68
	s_waitcnt vmcnt(10) lgkmcnt(1)
	v_fma_f64 v[73:74], v[91:92], v[73:74], v[81:82]
	s_waitcnt vmcnt(9)
	v_fma_f64 v[73:74], v[89:90], v[75:76], v[73:74]
	s_waitcnt vmcnt(8) lgkmcnt(0)
	v_fma_f64 v[73:74], v[87:88], v[77:78], v[73:74]
	s_waitcnt vmcnt(4)
	v_fma_f64 v[76:77], v[93:94], v[79:80], v[73:74]
	ds_read2_b64 v[72:75], v72 offset0:69 offset1:70
	s_waitcnt vmcnt(3) lgkmcnt(0)
	v_fma_f64 v[72:73], v[99:100], v[72:73], v[76:77]
	s_waitcnt vmcnt(2)
	v_fma_f64 v[72:73], v[95:96], v[74:75], v[72:73]
	s_waitcnt vmcnt(0)
	v_add_f64 v[72:73], v[97:98], -v[72:73]
	buffer_store_dword v73, off, s[0:3], 0 offset:100
	buffer_store_dword v72, off, s[0:3], 0 offset:96
	s_and_saveexec_b64 s[4:5], vcc
	s_cbranch_execz .LBB34_195
; %bb.194:
	buffer_load_dword v72, off, s[0:3], 0 offset:88
	buffer_load_dword v73, off, s[0:3], 0 offset:92
	v_mov_b32_e32 v74, 0
	buffer_store_dword v74, off, s[0:3], 0 offset:88
	buffer_store_dword v74, off, s[0:3], 0 offset:92
	s_waitcnt vmcnt(2)
	ds_write_b64 v71, v[72:73]
.LBB34_195:
	s_or_b64 exec, exec, s[4:5]
	s_waitcnt lgkmcnt(0)
	; wave barrier
	buffer_load_dword v81, off, s[0:3], 0 offset:96
	buffer_load_dword v82, off, s[0:3], 0 offset:100
	;; [unrolled: 1-line block ×21, first 2 shown]
	v_mov_b32_e32 v72, 0
	ds_read_b128 v[73:76], v72 offset:384
	ds_read_b128 v[77:80], v72 offset:400
	buffer_load_dword v98, off, s[0:3], 0 offset:180
	v_cmp_lt_u32_e32 vcc, 10, v0
	s_waitcnt vmcnt(20) lgkmcnt(1)
	v_fma_f64 v[73:74], v[81:82], v[73:74], 0
	s_waitcnt vmcnt(18)
	v_fma_f64 v[73:74], v[83:84], v[75:76], v[73:74]
	buffer_load_dword v82, off, s[0:3], 0 offset:188
	buffer_load_dword v83, off, s[0:3], 0 offset:208
	;; [unrolled: 1-line block ×7, first 2 shown]
	s_waitcnt vmcnt(23) lgkmcnt(0)
	v_fma_f64 v[73:74], v[85:86], v[77:78], v[73:74]
	s_waitcnt vmcnt(21)
	v_fma_f64 v[84:85], v[87:88], v[79:80], v[73:74]
	ds_read_b128 v[73:76], v72 offset:416
	ds_read_b128 v[77:80], v72 offset:432
	s_waitcnt vmcnt(19) lgkmcnt(1)
	v_fma_f64 v[73:74], v[89:90], v[73:74], v[84:85]
	buffer_load_dword v84, off, s[0:3], 0 offset:212
	s_waitcnt vmcnt(18)
	v_fma_f64 v[73:74], v[91:92], v[75:76], v[73:74]
	buffer_load_dword v86, off, s[0:3], 0 offset:220
	buffer_load_dword v87, off, s[0:3], 0 offset:240
	;; [unrolled: 1-line block ×8, first 2 shown]
	s_waitcnt vmcnt(24) lgkmcnt(0)
	v_fma_f64 v[73:74], v[93:94], v[77:78], v[73:74]
	s_waitcnt vmcnt(19)
	v_fma_f64 v[93:94], v[95:96], v[79:80], v[73:74]
	ds_read_b128 v[73:76], v72 offset:448
	ds_read_b128 v[77:80], v72 offset:464
	s_waitcnt vmcnt(18) lgkmcnt(1)
	v_fma_f64 v[73:74], v[101:102], v[73:74], v[93:94]
	s_waitcnt vmcnt(17)
	v_fma_f64 v[73:74], v[99:100], v[75:76], v[73:74]
	buffer_load_dword v94, off, s[0:3], 0 offset:252
	buffer_load_dword v95, off, s[0:3], 0 offset:272
	;; [unrolled: 1-line block ×8, first 2 shown]
	s_waitcnt vmcnt(24) lgkmcnt(0)
	v_fma_f64 v[73:74], v[97:98], v[77:78], v[73:74]
	s_waitcnt vmcnt(19)
	v_fma_f64 v[81:82], v[81:82], v[79:80], v[73:74]
	ds_read_b128 v[73:76], v72 offset:480
	ds_read_b128 v[77:80], v72 offset:496
	s_waitcnt vmcnt(18) lgkmcnt(1)
	v_fma_f64 v[73:74], v[105:106], v[73:74], v[81:82]
	buffer_load_dword v81, off, s[0:3], 0 offset:88
	buffer_load_dword v82, off, s[0:3], 0 offset:92
	s_waitcnt vmcnt(19)
	v_fma_f64 v[73:74], v[103:104], v[75:76], v[73:74]
	s_waitcnt vmcnt(18) lgkmcnt(0)
	v_fma_f64 v[73:74], v[83:84], v[77:78], v[73:74]
	s_waitcnt vmcnt(13)
	v_fma_f64 v[83:84], v[85:86], v[79:80], v[73:74]
	ds_read_b128 v[73:76], v72 offset:512
	ds_read_b128 v[77:80], v72 offset:528
	s_waitcnt vmcnt(12) lgkmcnt(1)
	v_fma_f64 v[73:74], v[91:92], v[73:74], v[83:84]
	s_waitcnt vmcnt(11)
	v_fma_f64 v[73:74], v[89:90], v[75:76], v[73:74]
	s_waitcnt vmcnt(10) lgkmcnt(0)
	v_fma_f64 v[73:74], v[87:88], v[77:78], v[73:74]
	s_waitcnt vmcnt(5)
	v_fma_f64 v[77:78], v[93:94], v[79:80], v[73:74]
	ds_read_b128 v[73:76], v72 offset:544
	ds_read_b64 v[79:80], v72 offset:560
	s_waitcnt vmcnt(4) lgkmcnt(1)
	v_fma_f64 v[73:74], v[101:102], v[73:74], v[77:78]
	s_waitcnt vmcnt(3)
	v_fma_f64 v[73:74], v[99:100], v[75:76], v[73:74]
	s_waitcnt vmcnt(2) lgkmcnt(0)
	v_fma_f64 v[73:74], v[95:96], v[79:80], v[73:74]
	s_waitcnt vmcnt(0)
	v_add_f64 v[73:74], v[81:82], -v[73:74]
	buffer_store_dword v74, off, s[0:3], 0 offset:92
	buffer_store_dword v73, off, s[0:3], 0 offset:88
	s_and_saveexec_b64 s[4:5], vcc
	s_cbranch_execz .LBB34_197
; %bb.196:
	buffer_load_dword v73, off, s[0:3], 0 offset:80
	buffer_load_dword v74, off, s[0:3], 0 offset:84
	s_waitcnt vmcnt(0)
	ds_write_b64 v71, v[73:74]
	buffer_store_dword v72, off, s[0:3], 0 offset:80
	buffer_store_dword v72, off, s[0:3], 0 offset:84
.LBB34_197:
	s_or_b64 exec, exec, s[4:5]
	s_waitcnt lgkmcnt(0)
	; wave barrier
	buffer_load_dword v81, off, s[0:3], 0 offset:88
	buffer_load_dword v82, off, s[0:3], 0 offset:92
	;; [unrolled: 1-line block ×21, first 2 shown]
	ds_read2_b64 v[73:76], v72 offset0:47 offset1:48
	ds_read2_b64 v[77:80], v72 offset0:49 offset1:50
	buffer_load_dword v98, off, s[0:3], 0 offset:172
	v_cmp_lt_u32_e32 vcc, 9, v0
	s_waitcnt vmcnt(20) lgkmcnt(1)
	v_fma_f64 v[73:74], v[81:82], v[73:74], 0
	s_waitcnt vmcnt(18)
	v_fma_f64 v[73:74], v[83:84], v[75:76], v[73:74]
	buffer_load_dword v82, off, s[0:3], 0 offset:180
	buffer_load_dword v83, off, s[0:3], 0 offset:200
	;; [unrolled: 1-line block ×7, first 2 shown]
	s_waitcnt vmcnt(23) lgkmcnt(0)
	v_fma_f64 v[73:74], v[85:86], v[77:78], v[73:74]
	s_waitcnt vmcnt(21)
	v_fma_f64 v[84:85], v[87:88], v[79:80], v[73:74]
	ds_read2_b64 v[73:76], v72 offset0:51 offset1:52
	ds_read2_b64 v[77:80], v72 offset0:53 offset1:54
	s_waitcnt vmcnt(19) lgkmcnt(1)
	v_fma_f64 v[73:74], v[89:90], v[73:74], v[84:85]
	buffer_load_dword v84, off, s[0:3], 0 offset:204
	s_waitcnt vmcnt(18)
	v_fma_f64 v[73:74], v[91:92], v[75:76], v[73:74]
	buffer_load_dword v86, off, s[0:3], 0 offset:212
	buffer_load_dword v87, off, s[0:3], 0 offset:232
	;; [unrolled: 1-line block ×8, first 2 shown]
	s_waitcnt vmcnt(24) lgkmcnt(0)
	v_fma_f64 v[73:74], v[93:94], v[77:78], v[73:74]
	s_waitcnt vmcnt(19)
	v_fma_f64 v[93:94], v[95:96], v[79:80], v[73:74]
	ds_read2_b64 v[73:76], v72 offset0:55 offset1:56
	ds_read2_b64 v[77:80], v72 offset0:57 offset1:58
	s_waitcnt vmcnt(18) lgkmcnt(1)
	v_fma_f64 v[73:74], v[101:102], v[73:74], v[93:94]
	s_waitcnt vmcnt(17)
	v_fma_f64 v[73:74], v[99:100], v[75:76], v[73:74]
	buffer_load_dword v94, off, s[0:3], 0 offset:244
	buffer_load_dword v95, off, s[0:3], 0 offset:264
	;; [unrolled: 1-line block ×8, first 2 shown]
	s_waitcnt vmcnt(24) lgkmcnt(0)
	v_fma_f64 v[73:74], v[97:98], v[77:78], v[73:74]
	s_waitcnt vmcnt(19)
	v_fma_f64 v[81:82], v[81:82], v[79:80], v[73:74]
	ds_read2_b64 v[73:76], v72 offset0:59 offset1:60
	ds_read2_b64 v[77:80], v72 offset0:61 offset1:62
	s_waitcnt vmcnt(18) lgkmcnt(1)
	v_fma_f64 v[73:74], v[105:106], v[73:74], v[81:82]
	buffer_load_dword v82, off, s[0:3], 0 offset:276
	buffer_load_dword v81, off, s[0:3], 0 offset:272
	;; [unrolled: 1-line block ×4, first 2 shown]
	s_waitcnt vmcnt(21)
	v_fma_f64 v[73:74], v[103:104], v[75:76], v[73:74]
	s_waitcnt vmcnt(20) lgkmcnt(0)
	v_fma_f64 v[73:74], v[83:84], v[77:78], v[73:74]
	s_waitcnt vmcnt(15)
	v_fma_f64 v[83:84], v[85:86], v[79:80], v[73:74]
	ds_read2_b64 v[73:76], v72 offset0:63 offset1:64
	ds_read2_b64 v[77:80], v72 offset0:65 offset1:66
	s_waitcnt vmcnt(14) lgkmcnt(1)
	v_fma_f64 v[73:74], v[91:92], v[73:74], v[83:84]
	s_waitcnt vmcnt(13)
	v_fma_f64 v[73:74], v[89:90], v[75:76], v[73:74]
	s_waitcnt vmcnt(12) lgkmcnt(0)
	v_fma_f64 v[73:74], v[87:88], v[77:78], v[73:74]
	s_waitcnt vmcnt(7)
	v_fma_f64 v[83:84], v[93:94], v[79:80], v[73:74]
	ds_read2_b64 v[73:76], v72 offset0:67 offset1:68
	ds_read2_b64 v[77:80], v72 offset0:69 offset1:70
	s_waitcnt vmcnt(6) lgkmcnt(1)
	v_fma_f64 v[72:73], v[101:102], v[73:74], v[83:84]
	s_waitcnt vmcnt(5)
	v_fma_f64 v[72:73], v[99:100], v[75:76], v[72:73]
	s_waitcnt vmcnt(4) lgkmcnt(0)
	v_fma_f64 v[72:73], v[95:96], v[77:78], v[72:73]
	s_waitcnt vmcnt(2)
	v_fma_f64 v[72:73], v[81:82], v[79:80], v[72:73]
	s_waitcnt vmcnt(0)
	v_add_f64 v[72:73], v[97:98], -v[72:73]
	buffer_store_dword v73, off, s[0:3], 0 offset:84
	buffer_store_dword v72, off, s[0:3], 0 offset:80
	s_and_saveexec_b64 s[4:5], vcc
	s_cbranch_execz .LBB34_199
; %bb.198:
	buffer_load_dword v72, off, s[0:3], 0 offset:72
	buffer_load_dword v73, off, s[0:3], 0 offset:76
	v_mov_b32_e32 v74, 0
	buffer_store_dword v74, off, s[0:3], 0 offset:72
	buffer_store_dword v74, off, s[0:3], 0 offset:76
	s_waitcnt vmcnt(2)
	ds_write_b64 v71, v[72:73]
.LBB34_199:
	s_or_b64 exec, exec, s[4:5]
	s_waitcnt lgkmcnt(0)
	; wave barrier
	buffer_load_dword v81, off, s[0:3], 0 offset:80
	buffer_load_dword v82, off, s[0:3], 0 offset:84
	;; [unrolled: 1-line block ×21, first 2 shown]
	v_mov_b32_e32 v72, 0
	ds_read_b128 v[73:76], v72 offset:368
	ds_read_b128 v[77:80], v72 offset:384
	buffer_load_dword v98, off, s[0:3], 0 offset:164
	v_cmp_lt_u32_e32 vcc, 8, v0
	s_waitcnt vmcnt(20) lgkmcnt(1)
	v_fma_f64 v[73:74], v[81:82], v[73:74], 0
	s_waitcnt vmcnt(18)
	v_fma_f64 v[73:74], v[83:84], v[75:76], v[73:74]
	buffer_load_dword v82, off, s[0:3], 0 offset:172
	buffer_load_dword v83, off, s[0:3], 0 offset:192
	;; [unrolled: 1-line block ×7, first 2 shown]
	s_waitcnt vmcnt(23) lgkmcnt(0)
	v_fma_f64 v[73:74], v[85:86], v[77:78], v[73:74]
	s_waitcnt vmcnt(21)
	v_fma_f64 v[84:85], v[87:88], v[79:80], v[73:74]
	ds_read_b128 v[73:76], v72 offset:400
	ds_read_b128 v[77:80], v72 offset:416
	s_waitcnt vmcnt(19) lgkmcnt(1)
	v_fma_f64 v[73:74], v[89:90], v[73:74], v[84:85]
	buffer_load_dword v84, off, s[0:3], 0 offset:196
	s_waitcnt vmcnt(18)
	v_fma_f64 v[73:74], v[91:92], v[75:76], v[73:74]
	buffer_load_dword v86, off, s[0:3], 0 offset:204
	buffer_load_dword v87, off, s[0:3], 0 offset:224
	;; [unrolled: 1-line block ×8, first 2 shown]
	s_waitcnt vmcnt(24) lgkmcnt(0)
	v_fma_f64 v[73:74], v[93:94], v[77:78], v[73:74]
	s_waitcnt vmcnt(19)
	v_fma_f64 v[93:94], v[95:96], v[79:80], v[73:74]
	ds_read_b128 v[73:76], v72 offset:432
	ds_read_b128 v[77:80], v72 offset:448
	s_waitcnt vmcnt(18) lgkmcnt(1)
	v_fma_f64 v[73:74], v[101:102], v[73:74], v[93:94]
	s_waitcnt vmcnt(17)
	v_fma_f64 v[73:74], v[99:100], v[75:76], v[73:74]
	buffer_load_dword v94, off, s[0:3], 0 offset:236
	buffer_load_dword v95, off, s[0:3], 0 offset:256
	buffer_load_dword v99, off, s[0:3], 0 offset:248
	buffer_load_dword v101, off, s[0:3], 0 offset:240
	buffer_load_dword v93, off, s[0:3], 0 offset:232
	buffer_load_dword v102, off, s[0:3], 0 offset:244
	buffer_load_dword v100, off, s[0:3], 0 offset:252
	s_waitcnt vmcnt(23) lgkmcnt(0)
	v_fma_f64 v[73:74], v[97:98], v[77:78], v[73:74]
	s_waitcnt vmcnt(18)
	v_fma_f64 v[81:82], v[81:82], v[79:80], v[73:74]
	ds_read_b128 v[73:76], v72 offset:464
	ds_read_b128 v[77:80], v72 offset:480
	buffer_load_dword v96, off, s[0:3], 0 offset:260
	s_waitcnt vmcnt(18) lgkmcnt(1)
	v_fma_f64 v[73:74], v[105:106], v[73:74], v[81:82]
	buffer_load_dword v82, off, s[0:3], 0 offset:268
	buffer_load_dword v97, off, s[0:3], 0 offset:272
	;; [unrolled: 1-line block ×4, first 2 shown]
	s_waitcnt vmcnt(21)
	v_fma_f64 v[73:74], v[103:104], v[75:76], v[73:74]
	s_waitcnt vmcnt(20) lgkmcnt(0)
	v_fma_f64 v[73:74], v[83:84], v[77:78], v[73:74]
	buffer_load_dword v83, off, s[0:3], 0 offset:72
	buffer_load_dword v84, off, s[0:3], 0 offset:76
	s_waitcnt vmcnt(17)
	v_fma_f64 v[85:86], v[85:86], v[79:80], v[73:74]
	ds_read_b128 v[73:76], v72 offset:496
	ds_read_b128 v[77:80], v72 offset:512
	s_waitcnt vmcnt(16) lgkmcnt(1)
	v_fma_f64 v[73:74], v[91:92], v[73:74], v[85:86]
	s_waitcnt vmcnt(15)
	v_fma_f64 v[73:74], v[89:90], v[75:76], v[73:74]
	s_waitcnt vmcnt(14) lgkmcnt(0)
	v_fma_f64 v[73:74], v[87:88], v[77:78], v[73:74]
	s_waitcnt vmcnt(9)
	v_fma_f64 v[85:86], v[93:94], v[79:80], v[73:74]
	ds_read_b128 v[73:76], v72 offset:528
	ds_read_b128 v[77:80], v72 offset:544
	s_waitcnt vmcnt(8) lgkmcnt(1)
	v_fma_f64 v[73:74], v[101:102], v[73:74], v[85:86]
	s_waitcnt vmcnt(7)
	v_fma_f64 v[73:74], v[99:100], v[75:76], v[73:74]
	ds_read_b64 v[75:76], v72 offset:560
	s_waitcnt vmcnt(6) lgkmcnt(1)
	v_fma_f64 v[73:74], v[95:96], v[77:78], v[73:74]
	s_waitcnt vmcnt(3)
	v_fma_f64 v[73:74], v[81:82], v[79:80], v[73:74]
	s_waitcnt vmcnt(2) lgkmcnt(0)
	v_fma_f64 v[73:74], v[97:98], v[75:76], v[73:74]
	s_waitcnt vmcnt(0)
	v_add_f64 v[73:74], v[83:84], -v[73:74]
	buffer_store_dword v74, off, s[0:3], 0 offset:76
	buffer_store_dword v73, off, s[0:3], 0 offset:72
	s_and_saveexec_b64 s[4:5], vcc
	s_cbranch_execz .LBB34_201
; %bb.200:
	buffer_load_dword v73, off, s[0:3], 0 offset:64
	buffer_load_dword v74, off, s[0:3], 0 offset:68
	s_waitcnt vmcnt(0)
	ds_write_b64 v71, v[73:74]
	buffer_store_dword v72, off, s[0:3], 0 offset:64
	buffer_store_dword v72, off, s[0:3], 0 offset:68
.LBB34_201:
	s_or_b64 exec, exec, s[4:5]
	s_waitcnt lgkmcnt(0)
	; wave barrier
	buffer_load_dword v81, off, s[0:3], 0 offset:72
	buffer_load_dword v82, off, s[0:3], 0 offset:76
	;; [unrolled: 1-line block ×22, first 2 shown]
	ds_read2_b64 v[73:76], v72 offset0:45 offset1:46
	ds_read2_b64 v[77:80], v72 offset0:47 offset1:48
	v_cmp_lt_u32_e32 vcc, 7, v0
	s_waitcnt vmcnt(20) lgkmcnt(1)
	v_fma_f64 v[73:74], v[81:82], v[73:74], 0
	s_waitcnt vmcnt(18)
	v_fma_f64 v[73:74], v[83:84], v[75:76], v[73:74]
	buffer_load_dword v82, off, s[0:3], 0 offset:164
	buffer_load_dword v83, off, s[0:3], 0 offset:184
	;; [unrolled: 1-line block ×7, first 2 shown]
	s_waitcnt vmcnt(23) lgkmcnt(0)
	v_fma_f64 v[73:74], v[85:86], v[77:78], v[73:74]
	s_waitcnt vmcnt(21)
	v_fma_f64 v[84:85], v[87:88], v[79:80], v[73:74]
	ds_read2_b64 v[73:76], v72 offset0:49 offset1:50
	ds_read2_b64 v[77:80], v72 offset0:51 offset1:52
	s_waitcnt vmcnt(19) lgkmcnt(1)
	v_fma_f64 v[73:74], v[89:90], v[73:74], v[84:85]
	buffer_load_dword v84, off, s[0:3], 0 offset:188
	s_waitcnt vmcnt(18)
	v_fma_f64 v[73:74], v[91:92], v[75:76], v[73:74]
	buffer_load_dword v86, off, s[0:3], 0 offset:196
	buffer_load_dword v87, off, s[0:3], 0 offset:216
	;; [unrolled: 1-line block ×8, first 2 shown]
	s_waitcnt vmcnt(24) lgkmcnt(0)
	v_fma_f64 v[73:74], v[93:94], v[77:78], v[73:74]
	s_waitcnt vmcnt(19)
	v_fma_f64 v[93:94], v[95:96], v[79:80], v[73:74]
	ds_read2_b64 v[73:76], v72 offset0:53 offset1:54
	ds_read2_b64 v[77:80], v72 offset0:55 offset1:56
	s_waitcnt vmcnt(18) lgkmcnt(1)
	v_fma_f64 v[73:74], v[101:102], v[73:74], v[93:94]
	s_waitcnt vmcnt(17)
	v_fma_f64 v[73:74], v[99:100], v[75:76], v[73:74]
	buffer_load_dword v94, off, s[0:3], 0 offset:228
	buffer_load_dword v95, off, s[0:3], 0 offset:248
	;; [unrolled: 1-line block ×8, first 2 shown]
	s_waitcnt vmcnt(24) lgkmcnt(0)
	v_fma_f64 v[73:74], v[97:98], v[77:78], v[73:74]
	s_waitcnt vmcnt(19)
	v_fma_f64 v[81:82], v[81:82], v[79:80], v[73:74]
	ds_read2_b64 v[73:76], v72 offset0:57 offset1:58
	ds_read2_b64 v[77:80], v72 offset0:59 offset1:60
	s_waitcnt vmcnt(18) lgkmcnt(1)
	v_fma_f64 v[73:74], v[105:106], v[73:74], v[81:82]
	s_waitcnt vmcnt(17)
	v_fma_f64 v[73:74], v[103:104], v[75:76], v[73:74]
	buffer_load_dword v82, off, s[0:3], 0 offset:260
	buffer_load_dword v97, off, s[0:3], 0 offset:272
	;; [unrolled: 1-line block ×6, first 2 shown]
	s_waitcnt vmcnt(22) lgkmcnt(0)
	v_fma_f64 v[73:74], v[83:84], v[77:78], v[73:74]
	s_waitcnt vmcnt(17)
	v_fma_f64 v[83:84], v[85:86], v[79:80], v[73:74]
	ds_read2_b64 v[73:76], v72 offset0:61 offset1:62
	buffer_load_dword v85, off, s[0:3], 0 offset:64
	buffer_load_dword v86, off, s[0:3], 0 offset:68
	ds_read2_b64 v[77:80], v72 offset0:63 offset1:64
	s_waitcnt vmcnt(18) lgkmcnt(1)
	v_fma_f64 v[73:74], v[91:92], v[73:74], v[83:84]
	s_waitcnt vmcnt(17)
	v_fma_f64 v[73:74], v[89:90], v[75:76], v[73:74]
	s_waitcnt vmcnt(16) lgkmcnt(0)
	v_fma_f64 v[73:74], v[87:88], v[77:78], v[73:74]
	s_waitcnt vmcnt(11)
	v_fma_f64 v[83:84], v[93:94], v[79:80], v[73:74]
	ds_read2_b64 v[73:76], v72 offset0:65 offset1:66
	ds_read2_b64 v[77:80], v72 offset0:67 offset1:68
	s_waitcnt vmcnt(10) lgkmcnt(1)
	v_fma_f64 v[73:74], v[101:102], v[73:74], v[83:84]
	s_waitcnt vmcnt(9)
	v_fma_f64 v[73:74], v[99:100], v[75:76], v[73:74]
	s_waitcnt vmcnt(8) lgkmcnt(0)
	v_fma_f64 v[73:74], v[95:96], v[77:78], v[73:74]
	s_waitcnt vmcnt(4)
	v_fma_f64 v[76:77], v[81:82], v[79:80], v[73:74]
	ds_read2_b64 v[72:75], v72 offset0:69 offset1:70
	s_waitcnt vmcnt(3) lgkmcnt(0)
	v_fma_f64 v[72:73], v[103:104], v[72:73], v[76:77]
	s_waitcnt vmcnt(2)
	v_fma_f64 v[72:73], v[97:98], v[74:75], v[72:73]
	s_waitcnt vmcnt(0)
	v_add_f64 v[72:73], v[85:86], -v[72:73]
	buffer_store_dword v73, off, s[0:3], 0 offset:68
	buffer_store_dword v72, off, s[0:3], 0 offset:64
	s_and_saveexec_b64 s[4:5], vcc
	s_cbranch_execz .LBB34_203
; %bb.202:
	buffer_load_dword v72, off, s[0:3], 0 offset:56
	buffer_load_dword v73, off, s[0:3], 0 offset:60
	v_mov_b32_e32 v74, 0
	buffer_store_dword v74, off, s[0:3], 0 offset:56
	buffer_store_dword v74, off, s[0:3], 0 offset:60
	s_waitcnt vmcnt(2)
	ds_write_b64 v71, v[72:73]
.LBB34_203:
	s_or_b64 exec, exec, s[4:5]
	s_waitcnt lgkmcnt(0)
	; wave barrier
	buffer_load_dword v81, off, s[0:3], 0 offset:64
	buffer_load_dword v82, off, s[0:3], 0 offset:68
	;; [unrolled: 1-line block ×22, first 2 shown]
	v_mov_b32_e32 v72, 0
	ds_read_b128 v[73:76], v72 offset:352
	ds_read_b128 v[77:80], v72 offset:368
	v_cmp_lt_u32_e32 vcc, 6, v0
	s_waitcnt vmcnt(20) lgkmcnt(1)
	v_fma_f64 v[73:74], v[81:82], v[73:74], 0
	s_waitcnt vmcnt(18)
	v_fma_f64 v[73:74], v[83:84], v[75:76], v[73:74]
	buffer_load_dword v82, off, s[0:3], 0 offset:156
	buffer_load_dword v83, off, s[0:3], 0 offset:176
	;; [unrolled: 1-line block ×7, first 2 shown]
	s_waitcnt vmcnt(23) lgkmcnt(0)
	v_fma_f64 v[73:74], v[85:86], v[77:78], v[73:74]
	s_waitcnt vmcnt(21)
	v_fma_f64 v[84:85], v[87:88], v[79:80], v[73:74]
	ds_read_b128 v[73:76], v72 offset:384
	ds_read_b128 v[77:80], v72 offset:400
	s_waitcnt vmcnt(19) lgkmcnt(1)
	v_fma_f64 v[73:74], v[89:90], v[73:74], v[84:85]
	buffer_load_dword v84, off, s[0:3], 0 offset:180
	s_waitcnt vmcnt(18)
	v_fma_f64 v[73:74], v[91:92], v[75:76], v[73:74]
	buffer_load_dword v86, off, s[0:3], 0 offset:188
	buffer_load_dword v87, off, s[0:3], 0 offset:208
	buffer_load_dword v89, off, s[0:3], 0 offset:200
	buffer_load_dword v91, off, s[0:3], 0 offset:192
	buffer_load_dword v85, off, s[0:3], 0 offset:184
	buffer_load_dword v92, off, s[0:3], 0 offset:196
	buffer_load_dword v90, off, s[0:3], 0 offset:204
	buffer_load_dword v88, off, s[0:3], 0 offset:212
	s_waitcnt vmcnt(24) lgkmcnt(0)
	v_fma_f64 v[73:74], v[93:94], v[77:78], v[73:74]
	s_waitcnt vmcnt(19)
	v_fma_f64 v[93:94], v[95:96], v[79:80], v[73:74]
	ds_read_b128 v[73:76], v72 offset:416
	ds_read_b128 v[77:80], v72 offset:432
	s_waitcnt vmcnt(18) lgkmcnt(1)
	v_fma_f64 v[73:74], v[101:102], v[73:74], v[93:94]
	s_waitcnt vmcnt(17)
	v_fma_f64 v[73:74], v[99:100], v[75:76], v[73:74]
	buffer_load_dword v94, off, s[0:3], 0 offset:220
	buffer_load_dword v95, off, s[0:3], 0 offset:240
	buffer_load_dword v99, off, s[0:3], 0 offset:232
	buffer_load_dword v101, off, s[0:3], 0 offset:224
	buffer_load_dword v93, off, s[0:3], 0 offset:216
	buffer_load_dword v102, off, s[0:3], 0 offset:228
	buffer_load_dword v100, off, s[0:3], 0 offset:236
	buffer_load_dword v96, off, s[0:3], 0 offset:244
	s_waitcnt vmcnt(24) lgkmcnt(0)
	v_fma_f64 v[73:74], v[97:98], v[77:78], v[73:74]
	s_waitcnt vmcnt(19)
	v_fma_f64 v[81:82], v[81:82], v[79:80], v[73:74]
	ds_read_b128 v[73:76], v72 offset:448
	ds_read_b128 v[77:80], v72 offset:464
	s_waitcnt vmcnt(18) lgkmcnt(1)
	v_fma_f64 v[73:74], v[105:106], v[73:74], v[81:82]
	;; [unrolled: 18-line block ×3, first 2 shown]
	buffer_load_dword v83, off, s[0:3], 0 offset:56
	buffer_load_dword v84, off, s[0:3], 0 offset:60
	s_waitcnt vmcnt(19)
	v_fma_f64 v[73:74], v[89:90], v[75:76], v[73:74]
	s_waitcnt vmcnt(18) lgkmcnt(0)
	v_fma_f64 v[73:74], v[87:88], v[77:78], v[73:74]
	s_waitcnt vmcnt(13)
	v_fma_f64 v[85:86], v[93:94], v[79:80], v[73:74]
	ds_read_b128 v[73:76], v72 offset:512
	ds_read_b128 v[77:80], v72 offset:528
	s_waitcnt vmcnt(12) lgkmcnt(1)
	v_fma_f64 v[73:74], v[101:102], v[73:74], v[85:86]
	s_waitcnt vmcnt(11)
	v_fma_f64 v[73:74], v[99:100], v[75:76], v[73:74]
	s_waitcnt vmcnt(10) lgkmcnt(0)
	v_fma_f64 v[73:74], v[95:96], v[77:78], v[73:74]
	s_waitcnt vmcnt(5)
	v_fma_f64 v[77:78], v[81:82], v[79:80], v[73:74]
	ds_read_b128 v[73:76], v72 offset:544
	ds_read_b64 v[79:80], v72 offset:560
	s_waitcnt vmcnt(4) lgkmcnt(1)
	v_fma_f64 v[73:74], v[105:106], v[73:74], v[77:78]
	s_waitcnt vmcnt(3)
	v_fma_f64 v[73:74], v[103:104], v[75:76], v[73:74]
	s_waitcnt vmcnt(2) lgkmcnt(0)
	v_fma_f64 v[73:74], v[97:98], v[79:80], v[73:74]
	s_waitcnt vmcnt(0)
	v_add_f64 v[73:74], v[83:84], -v[73:74]
	buffer_store_dword v74, off, s[0:3], 0 offset:60
	buffer_store_dword v73, off, s[0:3], 0 offset:56
	s_and_saveexec_b64 s[4:5], vcc
	s_cbranch_execz .LBB34_205
; %bb.204:
	buffer_load_dword v73, off, s[0:3], 0 offset:48
	buffer_load_dword v74, off, s[0:3], 0 offset:52
	s_waitcnt vmcnt(0)
	ds_write_b64 v71, v[73:74]
	buffer_store_dword v72, off, s[0:3], 0 offset:48
	buffer_store_dword v72, off, s[0:3], 0 offset:52
.LBB34_205:
	s_or_b64 exec, exec, s[4:5]
	s_waitcnt lgkmcnt(0)
	; wave barrier
	buffer_load_dword v81, off, s[0:3], 0 offset:56
	buffer_load_dword v82, off, s[0:3], 0 offset:60
	;; [unrolled: 1-line block ×22, first 2 shown]
	ds_read2_b64 v[73:76], v72 offset0:43 offset1:44
	ds_read2_b64 v[77:80], v72 offset0:45 offset1:46
	v_cmp_lt_u32_e32 vcc, 5, v0
	s_waitcnt vmcnt(20) lgkmcnt(1)
	v_fma_f64 v[73:74], v[81:82], v[73:74], 0
	s_waitcnt vmcnt(18)
	v_fma_f64 v[73:74], v[83:84], v[75:76], v[73:74]
	buffer_load_dword v82, off, s[0:3], 0 offset:148
	buffer_load_dword v83, off, s[0:3], 0 offset:168
	;; [unrolled: 1-line block ×7, first 2 shown]
	s_waitcnt vmcnt(23) lgkmcnt(0)
	v_fma_f64 v[73:74], v[85:86], v[77:78], v[73:74]
	s_waitcnt vmcnt(21)
	v_fma_f64 v[84:85], v[87:88], v[79:80], v[73:74]
	ds_read2_b64 v[73:76], v72 offset0:47 offset1:48
	ds_read2_b64 v[77:80], v72 offset0:49 offset1:50
	s_waitcnt vmcnt(19) lgkmcnt(1)
	v_fma_f64 v[73:74], v[89:90], v[73:74], v[84:85]
	buffer_load_dword v84, off, s[0:3], 0 offset:172
	s_waitcnt vmcnt(18)
	v_fma_f64 v[73:74], v[91:92], v[75:76], v[73:74]
	buffer_load_dword v86, off, s[0:3], 0 offset:180
	buffer_load_dword v87, off, s[0:3], 0 offset:200
	buffer_load_dword v89, off, s[0:3], 0 offset:192
	buffer_load_dword v91, off, s[0:3], 0 offset:184
	buffer_load_dword v85, off, s[0:3], 0 offset:176
	buffer_load_dword v92, off, s[0:3], 0 offset:188
	buffer_load_dword v90, off, s[0:3], 0 offset:196
	buffer_load_dword v88, off, s[0:3], 0 offset:204
	s_waitcnt vmcnt(24) lgkmcnt(0)
	v_fma_f64 v[73:74], v[93:94], v[77:78], v[73:74]
	s_waitcnt vmcnt(19)
	v_fma_f64 v[93:94], v[95:96], v[79:80], v[73:74]
	ds_read2_b64 v[73:76], v72 offset0:51 offset1:52
	ds_read2_b64 v[77:80], v72 offset0:53 offset1:54
	s_waitcnt vmcnt(18) lgkmcnt(1)
	v_fma_f64 v[73:74], v[101:102], v[73:74], v[93:94]
	s_waitcnt vmcnt(17)
	v_fma_f64 v[73:74], v[99:100], v[75:76], v[73:74]
	buffer_load_dword v94, off, s[0:3], 0 offset:212
	buffer_load_dword v95, off, s[0:3], 0 offset:232
	buffer_load_dword v99, off, s[0:3], 0 offset:224
	buffer_load_dword v101, off, s[0:3], 0 offset:216
	buffer_load_dword v93, off, s[0:3], 0 offset:208
	buffer_load_dword v102, off, s[0:3], 0 offset:220
	buffer_load_dword v100, off, s[0:3], 0 offset:228
	buffer_load_dword v96, off, s[0:3], 0 offset:236
	s_waitcnt vmcnt(24) lgkmcnt(0)
	v_fma_f64 v[73:74], v[97:98], v[77:78], v[73:74]
	s_waitcnt vmcnt(19)
	v_fma_f64 v[81:82], v[81:82], v[79:80], v[73:74]
	ds_read2_b64 v[73:76], v72 offset0:55 offset1:56
	ds_read2_b64 v[77:80], v72 offset0:57 offset1:58
	s_waitcnt vmcnt(18) lgkmcnt(1)
	v_fma_f64 v[73:74], v[105:106], v[73:74], v[81:82]
	;; [unrolled: 18-line block ×3, first 2 shown]
	buffer_load_dword v84, off, s[0:3], 0 offset:276
	buffer_load_dword v83, off, s[0:3], 0 offset:272
	buffer_load_dword v85, off, s[0:3], 0 offset:48
	buffer_load_dword v86, off, s[0:3], 0 offset:52
	s_waitcnt vmcnt(21)
	v_fma_f64 v[73:74], v[89:90], v[75:76], v[73:74]
	s_waitcnt vmcnt(20) lgkmcnt(0)
	v_fma_f64 v[73:74], v[87:88], v[77:78], v[73:74]
	s_waitcnt vmcnt(15)
	v_fma_f64 v[87:88], v[93:94], v[79:80], v[73:74]
	ds_read2_b64 v[73:76], v72 offset0:63 offset1:64
	ds_read2_b64 v[77:80], v72 offset0:65 offset1:66
	s_waitcnt vmcnt(14) lgkmcnt(1)
	v_fma_f64 v[73:74], v[101:102], v[73:74], v[87:88]
	s_waitcnt vmcnt(13)
	v_fma_f64 v[73:74], v[99:100], v[75:76], v[73:74]
	s_waitcnt vmcnt(12) lgkmcnt(0)
	v_fma_f64 v[73:74], v[95:96], v[77:78], v[73:74]
	s_waitcnt vmcnt(7)
	v_fma_f64 v[81:82], v[81:82], v[79:80], v[73:74]
	ds_read2_b64 v[73:76], v72 offset0:67 offset1:68
	ds_read2_b64 v[77:80], v72 offset0:69 offset1:70
	s_waitcnt vmcnt(6) lgkmcnt(1)
	v_fma_f64 v[72:73], v[105:106], v[73:74], v[81:82]
	s_waitcnt vmcnt(5)
	v_fma_f64 v[72:73], v[103:104], v[75:76], v[72:73]
	s_waitcnt vmcnt(4) lgkmcnt(0)
	v_fma_f64 v[72:73], v[97:98], v[77:78], v[72:73]
	s_waitcnt vmcnt(2)
	v_fma_f64 v[72:73], v[83:84], v[79:80], v[72:73]
	s_waitcnt vmcnt(0)
	v_add_f64 v[72:73], v[85:86], -v[72:73]
	buffer_store_dword v73, off, s[0:3], 0 offset:52
	buffer_store_dword v72, off, s[0:3], 0 offset:48
	s_and_saveexec_b64 s[4:5], vcc
	s_cbranch_execz .LBB34_207
; %bb.206:
	buffer_load_dword v72, off, s[0:3], 0 offset:40
	buffer_load_dword v73, off, s[0:3], 0 offset:44
	v_mov_b32_e32 v74, 0
	buffer_store_dword v74, off, s[0:3], 0 offset:40
	buffer_store_dword v74, off, s[0:3], 0 offset:44
	s_waitcnt vmcnt(2)
	ds_write_b64 v71, v[72:73]
.LBB34_207:
	s_or_b64 exec, exec, s[4:5]
	s_waitcnt lgkmcnt(0)
	; wave barrier
	buffer_load_dword v81, off, s[0:3], 0 offset:48
	buffer_load_dword v82, off, s[0:3], 0 offset:52
	;; [unrolled: 1-line block ×22, first 2 shown]
	v_mov_b32_e32 v72, 0
	ds_read_b128 v[73:76], v72 offset:336
	ds_read_b128 v[77:80], v72 offset:352
	v_cmp_lt_u32_e32 vcc, 4, v0
	s_waitcnt vmcnt(20) lgkmcnt(1)
	v_fma_f64 v[73:74], v[81:82], v[73:74], 0
	s_waitcnt vmcnt(18)
	v_fma_f64 v[73:74], v[83:84], v[75:76], v[73:74]
	buffer_load_dword v82, off, s[0:3], 0 offset:140
	buffer_load_dword v83, off, s[0:3], 0 offset:160
	;; [unrolled: 1-line block ×7, first 2 shown]
	s_waitcnt vmcnt(23) lgkmcnt(0)
	v_fma_f64 v[73:74], v[85:86], v[77:78], v[73:74]
	s_waitcnt vmcnt(21)
	v_fma_f64 v[84:85], v[87:88], v[79:80], v[73:74]
	ds_read_b128 v[73:76], v72 offset:368
	ds_read_b128 v[77:80], v72 offset:384
	s_waitcnt vmcnt(19) lgkmcnt(1)
	v_fma_f64 v[73:74], v[89:90], v[73:74], v[84:85]
	buffer_load_dword v84, off, s[0:3], 0 offset:164
	s_waitcnt vmcnt(18)
	v_fma_f64 v[73:74], v[91:92], v[75:76], v[73:74]
	buffer_load_dword v86, off, s[0:3], 0 offset:172
	buffer_load_dword v87, off, s[0:3], 0 offset:192
	;; [unrolled: 1-line block ×7, first 2 shown]
	s_waitcnt vmcnt(23) lgkmcnt(0)
	v_fma_f64 v[73:74], v[93:94], v[77:78], v[73:74]
	s_waitcnt vmcnt(18)
	v_fma_f64 v[93:94], v[95:96], v[79:80], v[73:74]
	ds_read_b128 v[73:76], v72 offset:400
	ds_read_b128 v[77:80], v72 offset:416
	buffer_load_dword v88, off, s[0:3], 0 offset:196
	s_waitcnt vmcnt(18) lgkmcnt(1)
	v_fma_f64 v[73:74], v[101:102], v[73:74], v[93:94]
	s_waitcnt vmcnt(17)
	v_fma_f64 v[73:74], v[99:100], v[75:76], v[73:74]
	buffer_load_dword v94, off, s[0:3], 0 offset:204
	buffer_load_dword v95, off, s[0:3], 0 offset:224
	;; [unrolled: 1-line block ×8, first 2 shown]
	s_waitcnt vmcnt(24) lgkmcnt(0)
	v_fma_f64 v[73:74], v[97:98], v[77:78], v[73:74]
	s_waitcnt vmcnt(19)
	v_fma_f64 v[81:82], v[81:82], v[79:80], v[73:74]
	ds_read_b128 v[73:76], v72 offset:432
	ds_read_b128 v[77:80], v72 offset:448
	s_waitcnt vmcnt(18) lgkmcnt(1)
	v_fma_f64 v[73:74], v[105:106], v[73:74], v[81:82]
	s_waitcnt vmcnt(17)
	v_fma_f64 v[73:74], v[103:104], v[75:76], v[73:74]
	buffer_load_dword v82, off, s[0:3], 0 offset:236
	buffer_load_dword v97, off, s[0:3], 0 offset:256
	;; [unrolled: 1-line block ×7, first 2 shown]
	s_waitcnt vmcnt(23) lgkmcnt(0)
	v_fma_f64 v[73:74], v[83:84], v[77:78], v[73:74]
	s_waitcnt vmcnt(18)
	v_fma_f64 v[83:84], v[85:86], v[79:80], v[73:74]
	ds_read_b128 v[73:76], v72 offset:464
	ds_read_b128 v[77:80], v72 offset:480
	buffer_load_dword v98, off, s[0:3], 0 offset:260
	s_waitcnt vmcnt(18) lgkmcnt(1)
	v_fma_f64 v[73:74], v[91:92], v[73:74], v[83:84]
	buffer_load_dword v84, off, s[0:3], 0 offset:268
	buffer_load_dword v85, off, s[0:3], 0 offset:272
	;; [unrolled: 1-line block ×4, first 2 shown]
	s_waitcnt vmcnt(21)
	v_fma_f64 v[73:74], v[89:90], v[75:76], v[73:74]
	s_waitcnt vmcnt(20) lgkmcnt(0)
	v_fma_f64 v[73:74], v[87:88], v[77:78], v[73:74]
	buffer_load_dword v87, off, s[0:3], 0 offset:40
	buffer_load_dword v88, off, s[0:3], 0 offset:44
	s_waitcnt vmcnt(17)
	v_fma_f64 v[89:90], v[93:94], v[79:80], v[73:74]
	ds_read_b128 v[73:76], v72 offset:496
	ds_read_b128 v[77:80], v72 offset:512
	s_waitcnt vmcnt(16) lgkmcnt(1)
	v_fma_f64 v[73:74], v[101:102], v[73:74], v[89:90]
	s_waitcnt vmcnt(15)
	v_fma_f64 v[73:74], v[99:100], v[75:76], v[73:74]
	s_waitcnt vmcnt(14) lgkmcnt(0)
	v_fma_f64 v[73:74], v[95:96], v[77:78], v[73:74]
	s_waitcnt vmcnt(9)
	v_fma_f64 v[81:82], v[81:82], v[79:80], v[73:74]
	ds_read_b128 v[73:76], v72 offset:528
	ds_read_b128 v[77:80], v72 offset:544
	s_waitcnt vmcnt(8) lgkmcnt(1)
	v_fma_f64 v[73:74], v[105:106], v[73:74], v[81:82]
	s_waitcnt vmcnt(7)
	v_fma_f64 v[73:74], v[103:104], v[75:76], v[73:74]
	ds_read_b64 v[75:76], v72 offset:560
	s_waitcnt vmcnt(6) lgkmcnt(1)
	v_fma_f64 v[73:74], v[97:98], v[77:78], v[73:74]
	s_waitcnt vmcnt(3)
	v_fma_f64 v[73:74], v[83:84], v[79:80], v[73:74]
	s_waitcnt vmcnt(2) lgkmcnt(0)
	v_fma_f64 v[73:74], v[85:86], v[75:76], v[73:74]
	s_waitcnt vmcnt(0)
	v_add_f64 v[73:74], v[87:88], -v[73:74]
	buffer_store_dword v74, off, s[0:3], 0 offset:44
	buffer_store_dword v73, off, s[0:3], 0 offset:40
	s_and_saveexec_b64 s[4:5], vcc
	s_cbranch_execz .LBB34_209
; %bb.208:
	buffer_load_dword v73, off, s[0:3], 0 offset:32
	buffer_load_dword v74, off, s[0:3], 0 offset:36
	s_waitcnt vmcnt(0)
	ds_write_b64 v71, v[73:74]
	buffer_store_dword v72, off, s[0:3], 0 offset:32
	buffer_store_dword v72, off, s[0:3], 0 offset:36
.LBB34_209:
	s_or_b64 exec, exec, s[4:5]
	s_waitcnt lgkmcnt(0)
	; wave barrier
	buffer_load_dword v81, off, s[0:3], 0 offset:40
	buffer_load_dword v82, off, s[0:3], 0 offset:44
	;; [unrolled: 1-line block ×22, first 2 shown]
	ds_read2_b64 v[73:76], v72 offset0:41 offset1:42
	ds_read2_b64 v[77:80], v72 offset0:43 offset1:44
	v_cmp_lt_u32_e32 vcc, 3, v0
	s_waitcnt vmcnt(20) lgkmcnt(1)
	v_fma_f64 v[73:74], v[81:82], v[73:74], 0
	s_waitcnt vmcnt(18)
	v_fma_f64 v[73:74], v[83:84], v[75:76], v[73:74]
	buffer_load_dword v82, off, s[0:3], 0 offset:132
	buffer_load_dword v83, off, s[0:3], 0 offset:152
	;; [unrolled: 1-line block ×7, first 2 shown]
	s_waitcnt vmcnt(23) lgkmcnt(0)
	v_fma_f64 v[73:74], v[85:86], v[77:78], v[73:74]
	s_waitcnt vmcnt(21)
	v_fma_f64 v[84:85], v[87:88], v[79:80], v[73:74]
	ds_read2_b64 v[73:76], v72 offset0:45 offset1:46
	ds_read2_b64 v[77:80], v72 offset0:47 offset1:48
	s_waitcnt vmcnt(19) lgkmcnt(1)
	v_fma_f64 v[73:74], v[89:90], v[73:74], v[84:85]
	buffer_load_dword v84, off, s[0:3], 0 offset:156
	s_waitcnt vmcnt(18)
	v_fma_f64 v[73:74], v[91:92], v[75:76], v[73:74]
	buffer_load_dword v86, off, s[0:3], 0 offset:164
	buffer_load_dword v87, off, s[0:3], 0 offset:184
	;; [unrolled: 1-line block ×7, first 2 shown]
	s_waitcnt vmcnt(23) lgkmcnt(0)
	v_fma_f64 v[73:74], v[93:94], v[77:78], v[73:74]
	s_waitcnt vmcnt(18)
	v_fma_f64 v[93:94], v[95:96], v[79:80], v[73:74]
	ds_read2_b64 v[73:76], v72 offset0:49 offset1:50
	ds_read2_b64 v[77:80], v72 offset0:51 offset1:52
	buffer_load_dword v88, off, s[0:3], 0 offset:188
	s_waitcnt vmcnt(18) lgkmcnt(1)
	v_fma_f64 v[73:74], v[101:102], v[73:74], v[93:94]
	s_waitcnt vmcnt(17)
	v_fma_f64 v[73:74], v[99:100], v[75:76], v[73:74]
	buffer_load_dword v94, off, s[0:3], 0 offset:196
	buffer_load_dword v95, off, s[0:3], 0 offset:216
	;; [unrolled: 1-line block ×8, first 2 shown]
	s_waitcnt vmcnt(24) lgkmcnt(0)
	v_fma_f64 v[73:74], v[97:98], v[77:78], v[73:74]
	s_waitcnt vmcnt(19)
	v_fma_f64 v[81:82], v[81:82], v[79:80], v[73:74]
	ds_read2_b64 v[73:76], v72 offset0:53 offset1:54
	ds_read2_b64 v[77:80], v72 offset0:55 offset1:56
	s_waitcnt vmcnt(18) lgkmcnt(1)
	v_fma_f64 v[73:74], v[105:106], v[73:74], v[81:82]
	s_waitcnt vmcnt(17)
	v_fma_f64 v[73:74], v[103:104], v[75:76], v[73:74]
	buffer_load_dword v82, off, s[0:3], 0 offset:228
	buffer_load_dword v97, off, s[0:3], 0 offset:248
	;; [unrolled: 1-line block ×8, first 2 shown]
	s_waitcnt vmcnt(24) lgkmcnt(0)
	v_fma_f64 v[73:74], v[83:84], v[77:78], v[73:74]
	s_waitcnt vmcnt(19)
	v_fma_f64 v[83:84], v[85:86], v[79:80], v[73:74]
	ds_read2_b64 v[73:76], v72 offset0:57 offset1:58
	ds_read2_b64 v[77:80], v72 offset0:59 offset1:60
	s_waitcnt vmcnt(18) lgkmcnt(1)
	v_fma_f64 v[73:74], v[91:92], v[73:74], v[83:84]
	s_waitcnt vmcnt(17)
	v_fma_f64 v[73:74], v[89:90], v[75:76], v[73:74]
	buffer_load_dword v84, off, s[0:3], 0 offset:260
	buffer_load_dword v85, off, s[0:3], 0 offset:272
	;; [unrolled: 1-line block ×6, first 2 shown]
	s_waitcnt vmcnt(22) lgkmcnt(0)
	v_fma_f64 v[73:74], v[87:88], v[77:78], v[73:74]
	s_waitcnt vmcnt(17)
	v_fma_f64 v[87:88], v[93:94], v[79:80], v[73:74]
	ds_read2_b64 v[73:76], v72 offset0:61 offset1:62
	buffer_load_dword v91, off, s[0:3], 0 offset:32
	buffer_load_dword v92, off, s[0:3], 0 offset:36
	ds_read2_b64 v[77:80], v72 offset0:63 offset1:64
	s_waitcnt vmcnt(18) lgkmcnt(1)
	v_fma_f64 v[73:74], v[101:102], v[73:74], v[87:88]
	s_waitcnt vmcnt(17)
	v_fma_f64 v[73:74], v[99:100], v[75:76], v[73:74]
	s_waitcnt vmcnt(16) lgkmcnt(0)
	v_fma_f64 v[73:74], v[95:96], v[77:78], v[73:74]
	s_waitcnt vmcnt(11)
	v_fma_f64 v[81:82], v[81:82], v[79:80], v[73:74]
	ds_read2_b64 v[73:76], v72 offset0:65 offset1:66
	ds_read2_b64 v[77:80], v72 offset0:67 offset1:68
	s_waitcnt vmcnt(10) lgkmcnt(1)
	v_fma_f64 v[73:74], v[105:106], v[73:74], v[81:82]
	s_waitcnt vmcnt(9)
	v_fma_f64 v[73:74], v[103:104], v[75:76], v[73:74]
	s_waitcnt vmcnt(8) lgkmcnt(0)
	v_fma_f64 v[73:74], v[97:98], v[77:78], v[73:74]
	s_waitcnt vmcnt(4)
	v_fma_f64 v[76:77], v[83:84], v[79:80], v[73:74]
	ds_read2_b64 v[72:75], v72 offset0:69 offset1:70
	s_waitcnt vmcnt(3) lgkmcnt(0)
	v_fma_f64 v[72:73], v[89:90], v[72:73], v[76:77]
	s_waitcnt vmcnt(2)
	v_fma_f64 v[72:73], v[85:86], v[74:75], v[72:73]
	s_waitcnt vmcnt(0)
	v_add_f64 v[72:73], v[91:92], -v[72:73]
	buffer_store_dword v73, off, s[0:3], 0 offset:36
	buffer_store_dword v72, off, s[0:3], 0 offset:32
	s_and_saveexec_b64 s[4:5], vcc
	s_cbranch_execz .LBB34_211
; %bb.210:
	buffer_load_dword v72, off, s[0:3], 0 offset:24
	buffer_load_dword v73, off, s[0:3], 0 offset:28
	v_mov_b32_e32 v74, 0
	buffer_store_dword v74, off, s[0:3], 0 offset:24
	buffer_store_dword v74, off, s[0:3], 0 offset:28
	s_waitcnt vmcnt(2)
	ds_write_b64 v71, v[72:73]
.LBB34_211:
	s_or_b64 exec, exec, s[4:5]
	s_waitcnt lgkmcnt(0)
	; wave barrier
	buffer_load_dword v81, off, s[0:3], 0 offset:32
	buffer_load_dword v82, off, s[0:3], 0 offset:36
	;; [unrolled: 1-line block ×22, first 2 shown]
	v_mov_b32_e32 v72, 0
	ds_read_b128 v[73:76], v72 offset:320
	ds_read_b128 v[77:80], v72 offset:336
	v_cmp_lt_u32_e32 vcc, 2, v0
	s_waitcnt vmcnt(20) lgkmcnt(1)
	v_fma_f64 v[73:74], v[81:82], v[73:74], 0
	s_waitcnt vmcnt(18)
	v_fma_f64 v[73:74], v[83:84], v[75:76], v[73:74]
	buffer_load_dword v82, off, s[0:3], 0 offset:124
	buffer_load_dword v83, off, s[0:3], 0 offset:144
	;; [unrolled: 1-line block ×7, first 2 shown]
	s_waitcnt vmcnt(23) lgkmcnt(0)
	v_fma_f64 v[73:74], v[85:86], v[77:78], v[73:74]
	s_waitcnt vmcnt(21)
	v_fma_f64 v[84:85], v[87:88], v[79:80], v[73:74]
	ds_read_b128 v[73:76], v72 offset:352
	ds_read_b128 v[77:80], v72 offset:368
	s_waitcnt vmcnt(19) lgkmcnt(1)
	v_fma_f64 v[73:74], v[89:90], v[73:74], v[84:85]
	buffer_load_dword v84, off, s[0:3], 0 offset:148
	s_waitcnt vmcnt(18)
	v_fma_f64 v[73:74], v[91:92], v[75:76], v[73:74]
	buffer_load_dword v86, off, s[0:3], 0 offset:156
	buffer_load_dword v87, off, s[0:3], 0 offset:176
	buffer_load_dword v89, off, s[0:3], 0 offset:168
	buffer_load_dword v91, off, s[0:3], 0 offset:160
	buffer_load_dword v85, off, s[0:3], 0 offset:152
	buffer_load_dword v92, off, s[0:3], 0 offset:164
	buffer_load_dword v90, off, s[0:3], 0 offset:172
	s_waitcnt vmcnt(23) lgkmcnt(0)
	v_fma_f64 v[73:74], v[93:94], v[77:78], v[73:74]
	s_waitcnt vmcnt(18)
	v_fma_f64 v[93:94], v[95:96], v[79:80], v[73:74]
	ds_read_b128 v[73:76], v72 offset:384
	ds_read_b128 v[77:80], v72 offset:400
	buffer_load_dword v88, off, s[0:3], 0 offset:180
	s_waitcnt vmcnt(18) lgkmcnt(1)
	v_fma_f64 v[73:74], v[101:102], v[73:74], v[93:94]
	s_waitcnt vmcnt(17)
	v_fma_f64 v[73:74], v[99:100], v[75:76], v[73:74]
	buffer_load_dword v94, off, s[0:3], 0 offset:188
	buffer_load_dword v95, off, s[0:3], 0 offset:208
	buffer_load_dword v99, off, s[0:3], 0 offset:200
	buffer_load_dword v101, off, s[0:3], 0 offset:192
	buffer_load_dword v93, off, s[0:3], 0 offset:184
	buffer_load_dword v102, off, s[0:3], 0 offset:196
	buffer_load_dword v100, off, s[0:3], 0 offset:204
	buffer_load_dword v96, off, s[0:3], 0 offset:212
	s_waitcnt vmcnt(24) lgkmcnt(0)
	v_fma_f64 v[73:74], v[97:98], v[77:78], v[73:74]
	s_waitcnt vmcnt(19)
	v_fma_f64 v[81:82], v[81:82], v[79:80], v[73:74]
	ds_read_b128 v[73:76], v72 offset:416
	ds_read_b128 v[77:80], v72 offset:432
	s_waitcnt vmcnt(18) lgkmcnt(1)
	v_fma_f64 v[73:74], v[105:106], v[73:74], v[81:82]
	s_waitcnt vmcnt(17)
	v_fma_f64 v[73:74], v[103:104], v[75:76], v[73:74]
	buffer_load_dword v82, off, s[0:3], 0 offset:220
	buffer_load_dword v97, off, s[0:3], 0 offset:240
	buffer_load_dword v103, off, s[0:3], 0 offset:232
	buffer_load_dword v105, off, s[0:3], 0 offset:224
	buffer_load_dword v81, off, s[0:3], 0 offset:216
	buffer_load_dword v106, off, s[0:3], 0 offset:228
	buffer_load_dword v104, off, s[0:3], 0 offset:236
	buffer_load_dword v98, off, s[0:3], 0 offset:244
	s_waitcnt vmcnt(24) lgkmcnt(0)
	v_fma_f64 v[73:74], v[83:84], v[77:78], v[73:74]
	s_waitcnt vmcnt(19)
	v_fma_f64 v[83:84], v[85:86], v[79:80], v[73:74]
	ds_read_b128 v[73:76], v72 offset:448
	ds_read_b128 v[77:80], v72 offset:464
	;; [unrolled: 18-line block ×3, first 2 shown]
	s_waitcnt vmcnt(18) lgkmcnt(1)
	v_fma_f64 v[73:74], v[101:102], v[73:74], v[87:88]
	buffer_load_dword v87, off, s[0:3], 0 offset:24
	buffer_load_dword v88, off, s[0:3], 0 offset:28
	s_waitcnt vmcnt(19)
	v_fma_f64 v[73:74], v[99:100], v[75:76], v[73:74]
	s_waitcnt vmcnt(18) lgkmcnt(0)
	v_fma_f64 v[73:74], v[95:96], v[77:78], v[73:74]
	s_waitcnt vmcnt(13)
	v_fma_f64 v[81:82], v[81:82], v[79:80], v[73:74]
	ds_read_b128 v[73:76], v72 offset:512
	ds_read_b128 v[77:80], v72 offset:528
	s_waitcnt vmcnt(12) lgkmcnt(1)
	v_fma_f64 v[73:74], v[105:106], v[73:74], v[81:82]
	s_waitcnt vmcnt(11)
	v_fma_f64 v[73:74], v[103:104], v[75:76], v[73:74]
	s_waitcnt vmcnt(10) lgkmcnt(0)
	v_fma_f64 v[73:74], v[97:98], v[77:78], v[73:74]
	s_waitcnt vmcnt(5)
	v_fma_f64 v[77:78], v[83:84], v[79:80], v[73:74]
	ds_read_b128 v[73:76], v72 offset:544
	ds_read_b64 v[79:80], v72 offset:560
	s_waitcnt vmcnt(4) lgkmcnt(1)
	v_fma_f64 v[73:74], v[91:92], v[73:74], v[77:78]
	s_waitcnt vmcnt(3)
	v_fma_f64 v[73:74], v[89:90], v[75:76], v[73:74]
	s_waitcnt vmcnt(2) lgkmcnt(0)
	v_fma_f64 v[73:74], v[85:86], v[79:80], v[73:74]
	s_waitcnt vmcnt(0)
	v_add_f64 v[73:74], v[87:88], -v[73:74]
	buffer_store_dword v74, off, s[0:3], 0 offset:28
	buffer_store_dword v73, off, s[0:3], 0 offset:24
	s_and_saveexec_b64 s[4:5], vcc
	s_cbranch_execz .LBB34_213
; %bb.212:
	buffer_load_dword v73, off, s[0:3], 0 offset:16
	buffer_load_dword v74, off, s[0:3], 0 offset:20
	s_waitcnt vmcnt(0)
	ds_write_b64 v71, v[73:74]
	buffer_store_dword v72, off, s[0:3], 0 offset:16
	buffer_store_dword v72, off, s[0:3], 0 offset:20
.LBB34_213:
	s_or_b64 exec, exec, s[4:5]
	s_waitcnt lgkmcnt(0)
	; wave barrier
	buffer_load_dword v81, off, s[0:3], 0 offset:24
	buffer_load_dword v82, off, s[0:3], 0 offset:28
	;; [unrolled: 1-line block ×22, first 2 shown]
	ds_read2_b64 v[73:76], v72 offset0:39 offset1:40
	ds_read2_b64 v[77:80], v72 offset0:41 offset1:42
	v_cmp_lt_u32_e32 vcc, 1, v0
	s_waitcnt vmcnt(20) lgkmcnt(1)
	v_fma_f64 v[73:74], v[81:82], v[73:74], 0
	s_waitcnt vmcnt(18)
	v_fma_f64 v[73:74], v[83:84], v[75:76], v[73:74]
	buffer_load_dword v82, off, s[0:3], 0 offset:116
	buffer_load_dword v83, off, s[0:3], 0 offset:136
	;; [unrolled: 1-line block ×7, first 2 shown]
	s_waitcnt vmcnt(23) lgkmcnt(0)
	v_fma_f64 v[73:74], v[85:86], v[77:78], v[73:74]
	s_waitcnt vmcnt(21)
	v_fma_f64 v[84:85], v[87:88], v[79:80], v[73:74]
	ds_read2_b64 v[73:76], v72 offset0:43 offset1:44
	ds_read2_b64 v[77:80], v72 offset0:45 offset1:46
	s_waitcnt vmcnt(19) lgkmcnt(1)
	v_fma_f64 v[73:74], v[89:90], v[73:74], v[84:85]
	buffer_load_dword v84, off, s[0:3], 0 offset:140
	s_waitcnt vmcnt(18)
	v_fma_f64 v[73:74], v[91:92], v[75:76], v[73:74]
	buffer_load_dword v86, off, s[0:3], 0 offset:148
	buffer_load_dword v87, off, s[0:3], 0 offset:168
	;; [unrolled: 1-line block ×7, first 2 shown]
	s_waitcnt vmcnt(23) lgkmcnt(0)
	v_fma_f64 v[73:74], v[93:94], v[77:78], v[73:74]
	s_waitcnt vmcnt(18)
	v_fma_f64 v[93:94], v[95:96], v[79:80], v[73:74]
	ds_read2_b64 v[73:76], v72 offset0:47 offset1:48
	ds_read2_b64 v[77:80], v72 offset0:49 offset1:50
	buffer_load_dword v88, off, s[0:3], 0 offset:172
	s_waitcnt vmcnt(18) lgkmcnt(1)
	v_fma_f64 v[73:74], v[101:102], v[73:74], v[93:94]
	s_waitcnt vmcnt(17)
	v_fma_f64 v[73:74], v[99:100], v[75:76], v[73:74]
	buffer_load_dword v94, off, s[0:3], 0 offset:180
	buffer_load_dword v95, off, s[0:3], 0 offset:200
	buffer_load_dword v99, off, s[0:3], 0 offset:192
	buffer_load_dword v101, off, s[0:3], 0 offset:184
	buffer_load_dword v93, off, s[0:3], 0 offset:176
	buffer_load_dword v102, off, s[0:3], 0 offset:188
	buffer_load_dword v100, off, s[0:3], 0 offset:196
	buffer_load_dword v96, off, s[0:3], 0 offset:204
	s_waitcnt vmcnt(24) lgkmcnt(0)
	v_fma_f64 v[73:74], v[97:98], v[77:78], v[73:74]
	s_waitcnt vmcnt(19)
	v_fma_f64 v[81:82], v[81:82], v[79:80], v[73:74]
	ds_read2_b64 v[73:76], v72 offset0:51 offset1:52
	ds_read2_b64 v[77:80], v72 offset0:53 offset1:54
	s_waitcnt vmcnt(18) lgkmcnt(1)
	v_fma_f64 v[73:74], v[105:106], v[73:74], v[81:82]
	s_waitcnt vmcnt(17)
	v_fma_f64 v[73:74], v[103:104], v[75:76], v[73:74]
	buffer_load_dword v82, off, s[0:3], 0 offset:212
	buffer_load_dword v97, off, s[0:3], 0 offset:232
	buffer_load_dword v103, off, s[0:3], 0 offset:224
	buffer_load_dword v105, off, s[0:3], 0 offset:216
	buffer_load_dword v81, off, s[0:3], 0 offset:208
	buffer_load_dword v106, off, s[0:3], 0 offset:220
	buffer_load_dword v104, off, s[0:3], 0 offset:228
	buffer_load_dword v98, off, s[0:3], 0 offset:236
	s_waitcnt vmcnt(24) lgkmcnt(0)
	v_fma_f64 v[73:74], v[83:84], v[77:78], v[73:74]
	s_waitcnt vmcnt(19)
	v_fma_f64 v[83:84], v[85:86], v[79:80], v[73:74]
	ds_read2_b64 v[73:76], v72 offset0:55 offset1:56
	ds_read2_b64 v[77:80], v72 offset0:57 offset1:58
	;; [unrolled: 18-line block ×3, first 2 shown]
	s_waitcnt vmcnt(18) lgkmcnt(1)
	v_fma_f64 v[73:74], v[101:102], v[73:74], v[87:88]
	buffer_load_dword v88, off, s[0:3], 0 offset:276
	buffer_load_dword v87, off, s[0:3], 0 offset:272
	;; [unrolled: 1-line block ×4, first 2 shown]
	s_waitcnt vmcnt(21)
	v_fma_f64 v[73:74], v[99:100], v[75:76], v[73:74]
	s_waitcnt vmcnt(20) lgkmcnt(0)
	v_fma_f64 v[73:74], v[95:96], v[77:78], v[73:74]
	s_waitcnt vmcnt(15)
	v_fma_f64 v[81:82], v[81:82], v[79:80], v[73:74]
	ds_read2_b64 v[73:76], v72 offset0:63 offset1:64
	ds_read2_b64 v[77:80], v72 offset0:65 offset1:66
	s_waitcnt vmcnt(14) lgkmcnt(1)
	v_fma_f64 v[73:74], v[105:106], v[73:74], v[81:82]
	s_waitcnt vmcnt(13)
	v_fma_f64 v[73:74], v[103:104], v[75:76], v[73:74]
	s_waitcnt vmcnt(12) lgkmcnt(0)
	v_fma_f64 v[73:74], v[97:98], v[77:78], v[73:74]
	s_waitcnt vmcnt(7)
	v_fma_f64 v[81:82], v[83:84], v[79:80], v[73:74]
	ds_read2_b64 v[73:76], v72 offset0:67 offset1:68
	ds_read2_b64 v[77:80], v72 offset0:69 offset1:70
	s_waitcnt vmcnt(6) lgkmcnt(1)
	v_fma_f64 v[72:73], v[91:92], v[73:74], v[81:82]
	s_waitcnt vmcnt(5)
	v_fma_f64 v[72:73], v[89:90], v[75:76], v[72:73]
	s_waitcnt vmcnt(4) lgkmcnt(0)
	v_fma_f64 v[72:73], v[85:86], v[77:78], v[72:73]
	s_waitcnt vmcnt(2)
	v_fma_f64 v[72:73], v[87:88], v[79:80], v[72:73]
	s_waitcnt vmcnt(0)
	v_add_f64 v[72:73], v[93:94], -v[72:73]
	buffer_store_dword v73, off, s[0:3], 0 offset:20
	buffer_store_dword v72, off, s[0:3], 0 offset:16
	s_and_saveexec_b64 s[4:5], vcc
	s_cbranch_execz .LBB34_215
; %bb.214:
	buffer_load_dword v72, off, s[0:3], 0 offset:8
	buffer_load_dword v73, off, s[0:3], 0 offset:12
	v_mov_b32_e32 v74, 0
	buffer_store_dword v74, off, s[0:3], 0 offset:8
	buffer_store_dword v74, off, s[0:3], 0 offset:12
	s_waitcnt vmcnt(2)
	ds_write_b64 v71, v[72:73]
.LBB34_215:
	s_or_b64 exec, exec, s[4:5]
	s_waitcnt lgkmcnt(0)
	; wave barrier
	buffer_load_dword v82, off, s[0:3], 0 offset:16
	buffer_load_dword v83, off, s[0:3], 0 offset:20
	;; [unrolled: 1-line block ×21, first 2 shown]
	v_mov_b32_e32 v73, 0
	ds_read_b128 v[74:77], v73 offset:304
	ds_read_b128 v[78:81], v73 offset:320
	buffer_load_dword v99, off, s[0:3], 0 offset:100
	v_cmp_ne_u32_e32 vcc, 0, v0
	s_waitcnt vmcnt(20) lgkmcnt(1)
	v_fma_f64 v[74:75], v[82:83], v[74:75], 0
	s_waitcnt vmcnt(18)
	v_fma_f64 v[74:75], v[84:85], v[76:77], v[74:75]
	buffer_load_dword v83, off, s[0:3], 0 offset:108
	buffer_load_dword v84, off, s[0:3], 0 offset:128
	;; [unrolled: 1-line block ×7, first 2 shown]
	s_waitcnt vmcnt(23) lgkmcnt(0)
	v_fma_f64 v[74:75], v[86:87], v[78:79], v[74:75]
	s_waitcnt vmcnt(21)
	v_fma_f64 v[85:86], v[88:89], v[80:81], v[74:75]
	ds_read_b128 v[74:77], v73 offset:336
	ds_read_b128 v[78:81], v73 offset:352
	s_waitcnt vmcnt(19) lgkmcnt(1)
	v_fma_f64 v[74:75], v[90:91], v[74:75], v[85:86]
	buffer_load_dword v85, off, s[0:3], 0 offset:132
	s_waitcnt vmcnt(18)
	v_fma_f64 v[74:75], v[92:93], v[76:77], v[74:75]
	buffer_load_dword v87, off, s[0:3], 0 offset:140
	buffer_load_dword v88, off, s[0:3], 0 offset:160
	;; [unrolled: 1-line block ×7, first 2 shown]
	s_waitcnt vmcnt(23) lgkmcnt(0)
	v_fma_f64 v[74:75], v[94:95], v[78:79], v[74:75]
	s_waitcnt vmcnt(18)
	v_fma_f64 v[94:95], v[96:97], v[80:81], v[74:75]
	ds_read_b128 v[74:77], v73 offset:368
	ds_read_b128 v[78:81], v73 offset:384
	buffer_load_dword v89, off, s[0:3], 0 offset:164
	s_waitcnt vmcnt(18) lgkmcnt(1)
	v_fma_f64 v[74:75], v[102:103], v[74:75], v[94:95]
	s_waitcnt vmcnt(17)
	v_fma_f64 v[74:75], v[100:101], v[76:77], v[74:75]
	buffer_load_dword v95, off, s[0:3], 0 offset:172
	buffer_load_dword v96, off, s[0:3], 0 offset:192
	;; [unrolled: 1-line block ×7, first 2 shown]
	s_waitcnt vmcnt(23) lgkmcnt(0)
	v_fma_f64 v[74:75], v[98:99], v[78:79], v[74:75]
	s_waitcnt vmcnt(18)
	v_fma_f64 v[82:83], v[82:83], v[80:81], v[74:75]
	ds_read_b128 v[74:77], v73 offset:400
	ds_read_b128 v[78:81], v73 offset:416
	buffer_load_dword v97, off, s[0:3], 0 offset:196
	s_waitcnt vmcnt(18) lgkmcnt(1)
	v_fma_f64 v[74:75], v[106:107], v[74:75], v[82:83]
	s_waitcnt vmcnt(17)
	v_fma_f64 v[74:75], v[104:105], v[76:77], v[74:75]
	buffer_load_dword v83, off, s[0:3], 0 offset:204
	buffer_load_dword v98, off, s[0:3], 0 offset:224
	;; [unrolled: 1-line block ×8, first 2 shown]
	s_waitcnt vmcnt(24) lgkmcnt(0)
	v_fma_f64 v[74:75], v[84:85], v[78:79], v[74:75]
	s_waitcnt vmcnt(19)
	v_fma_f64 v[84:85], v[86:87], v[80:81], v[74:75]
	ds_read_b128 v[74:77], v73 offset:432
	ds_read_b128 v[78:81], v73 offset:448
	s_waitcnt vmcnt(18) lgkmcnt(1)
	v_fma_f64 v[74:75], v[92:93], v[74:75], v[84:85]
	s_waitcnt vmcnt(17)
	v_fma_f64 v[74:75], v[90:91], v[76:77], v[74:75]
	buffer_load_dword v85, off, s[0:3], 0 offset:236
	buffer_load_dword v86, off, s[0:3], 0 offset:256
	;; [unrolled: 1-line block ×7, first 2 shown]
	s_waitcnt vmcnt(23) lgkmcnt(0)
	v_fma_f64 v[74:75], v[88:89], v[78:79], v[74:75]
	s_waitcnt vmcnt(18)
	v_fma_f64 v[87:88], v[94:95], v[80:81], v[74:75]
	ds_read_b128 v[74:77], v73 offset:464
	ds_read_b128 v[78:81], v73 offset:480
	s_waitcnt vmcnt(17) lgkmcnt(1)
	v_fma_f64 v[74:75], v[102:103], v[74:75], v[87:88]
	buffer_load_dword v87, off, s[0:3], 0 offset:260
	buffer_load_dword v89, off, s[0:3], 0 offset:268
	;; [unrolled: 1-line block ×5, first 2 shown]
	s_waitcnt vmcnt(21)
	v_fma_f64 v[74:75], v[100:101], v[76:77], v[74:75]
	s_waitcnt vmcnt(20) lgkmcnt(0)
	v_fma_f64 v[74:75], v[96:97], v[78:79], v[74:75]
	buffer_load_dword v96, off, s[0:3], 0 offset:8
	buffer_load_dword v97, off, s[0:3], 0 offset:12
	s_waitcnt vmcnt(17)
	v_fma_f64 v[82:83], v[82:83], v[80:81], v[74:75]
	ds_read_b128 v[74:77], v73 offset:496
	ds_read_b128 v[78:81], v73 offset:512
	s_waitcnt vmcnt(16) lgkmcnt(1)
	v_fma_f64 v[74:75], v[106:107], v[74:75], v[82:83]
	s_waitcnt vmcnt(15)
	v_fma_f64 v[74:75], v[104:105], v[76:77], v[74:75]
	s_waitcnt vmcnt(14) lgkmcnt(0)
	v_fma_f64 v[74:75], v[98:99], v[78:79], v[74:75]
	s_waitcnt vmcnt(9)
	v_fma_f64 v[82:83], v[84:85], v[80:81], v[74:75]
	ds_read_b128 v[74:77], v73 offset:528
	ds_read_b128 v[78:81], v73 offset:544
	s_waitcnt vmcnt(8) lgkmcnt(1)
	v_fma_f64 v[74:75], v[92:93], v[74:75], v[82:83]
	s_waitcnt vmcnt(7)
	v_fma_f64 v[74:75], v[90:91], v[76:77], v[74:75]
	ds_read_b64 v[76:77], v73 offset:560
	s_waitcnt vmcnt(6) lgkmcnt(1)
	v_fma_f64 v[74:75], v[86:87], v[78:79], v[74:75]
	s_waitcnt vmcnt(3)
	v_fma_f64 v[74:75], v[88:89], v[80:81], v[74:75]
	s_waitcnt vmcnt(2) lgkmcnt(0)
	v_fma_f64 v[74:75], v[94:95], v[76:77], v[74:75]
	s_waitcnt vmcnt(0)
	v_add_f64 v[74:75], v[96:97], -v[74:75]
	buffer_store_dword v75, off, s[0:3], 0 offset:12
	buffer_store_dword v74, off, s[0:3], 0 offset:8
	s_and_saveexec_b64 s[4:5], vcc
	s_cbranch_execz .LBB34_217
; %bb.216:
	buffer_load_dword v74, off, s[0:3], 0
	buffer_load_dword v75, off, s[0:3], 0 offset:4
	s_waitcnt vmcnt(0)
	ds_write_b64 v71, v[74:75]
	buffer_store_dword v73, off, s[0:3], 0
	buffer_store_dword v73, off, s[0:3], 0 offset:4
.LBB34_217:
	s_or_b64 exec, exec, s[4:5]
	s_waitcnt lgkmcnt(0)
	; wave barrier
	buffer_load_dword v71, off, s[0:3], 0 offset:8
	buffer_load_dword v72, off, s[0:3], 0 offset:12
	;; [unrolled: 1-line block ×21, first 2 shown]
	ds_read2_b64 v[74:77], v73 offset0:37 offset1:38
	ds_read2_b64 v[78:81], v73 offset0:39 offset1:40
	buffer_load_dword v97, off, s[0:3], 0 offset:92
	s_and_b64 vcc, exec, s[22:23]
	s_waitcnt vmcnt(20) lgkmcnt(1)
	v_fma_f64 v[71:72], v[71:72], v[74:75], 0
	s_waitcnt vmcnt(18)
	v_fma_f64 v[71:72], v[82:83], v[76:77], v[71:72]
	buffer_load_dword v83, off, s[0:3], 0 offset:100
	buffer_load_dword v102, off, s[0:3], 0 offset:120
	;; [unrolled: 1-line block ×8, first 2 shown]
	ds_read2_b64 v[74:77], v73 offset0:41 offset1:42
	s_waitcnt vmcnt(24) lgkmcnt(1)
	v_fma_f64 v[71:72], v[84:85], v[78:79], v[71:72]
	s_waitcnt vmcnt(22)
	v_fma_f64 v[71:72], v[86:87], v[80:81], v[71:72]
	ds_read2_b64 v[78:81], v73 offset0:43 offset1:44
	s_waitcnt vmcnt(20) lgkmcnt(1)
	v_fma_f64 v[71:72], v[88:89], v[74:75], v[71:72]
	s_waitcnt vmcnt(18)
	v_fma_f64 v[71:72], v[90:91], v[76:77], v[71:72]
	buffer_load_dword v85, off, s[0:3], 0 offset:132
	buffer_load_dword v86, off, s[0:3], 0 offset:152
	;; [unrolled: 1-line block ×8, first 2 shown]
	ds_read2_b64 v[74:77], v73 offset0:45 offset1:46
	s_waitcnt vmcnt(24) lgkmcnt(1)
	v_fma_f64 v[71:72], v[92:93], v[78:79], v[71:72]
	s_waitcnt vmcnt(19)
	v_fma_f64 v[71:72], v[94:95], v[80:81], v[71:72]
	ds_read2_b64 v[78:81], v73 offset0:47 offset1:48
	s_waitcnt vmcnt(18) lgkmcnt(1)
	v_fma_f64 v[71:72], v[100:101], v[74:75], v[71:72]
	s_waitcnt vmcnt(17)
	v_fma_f64 v[71:72], v[98:99], v[76:77], v[71:72]
	buffer_load_dword v93, off, s[0:3], 0 offset:164
	buffer_load_dword v94, off, s[0:3], 0 offset:184
	;; [unrolled: 1-line block ×7, first 2 shown]
	s_waitcnt vmcnt(23) lgkmcnt(0)
	v_fma_f64 v[71:72], v[96:97], v[78:79], v[71:72]
	s_waitcnt vmcnt(18)
	v_fma_f64 v[71:72], v[82:83], v[80:81], v[71:72]
	ds_read2_b64 v[74:77], v73 offset0:49 offset1:50
	ds_read2_b64 v[78:81], v73 offset0:51 offset1:52
	buffer_load_dword v95, off, s[0:3], 0 offset:188
	s_waitcnt vmcnt(18) lgkmcnt(1)
	v_fma_f64 v[71:72], v[106:107], v[74:75], v[71:72]
	s_waitcnt vmcnt(17)
	v_fma_f64 v[71:72], v[104:105], v[76:77], v[71:72]
	buffer_load_dword v83, off, s[0:3], 0 offset:196
	buffer_load_dword v96, off, s[0:3], 0 offset:216
	;; [unrolled: 1-line block ×8, first 2 shown]
	ds_read2_b64 v[74:77], v73 offset0:53 offset1:54
	s_waitcnt vmcnt(24) lgkmcnt(1)
	v_fma_f64 v[71:72], v[102:103], v[78:79], v[71:72]
	s_waitcnt vmcnt(19)
	v_fma_f64 v[71:72], v[84:85], v[80:81], v[71:72]
	ds_read2_b64 v[78:81], v73 offset0:55 offset1:56
	s_waitcnt vmcnt(18) lgkmcnt(1)
	v_fma_f64 v[71:72], v[90:91], v[74:75], v[71:72]
	s_waitcnt vmcnt(17)
	v_fma_f64 v[71:72], v[88:89], v[76:77], v[71:72]
	buffer_load_dword v85, off, s[0:3], 0 offset:228
	buffer_load_dword v88, off, s[0:3], 0 offset:248
	;; [unrolled: 1-line block ×8, first 2 shown]
	ds_read2_b64 v[74:77], v73 offset0:57 offset1:58
	s_waitcnt vmcnt(24) lgkmcnt(1)
	v_fma_f64 v[71:72], v[86:87], v[78:79], v[71:72]
	s_waitcnt vmcnt(19)
	v_fma_f64 v[71:72], v[92:93], v[80:81], v[71:72]
	ds_read2_b64 v[78:81], v73 offset0:59 offset1:60
	s_waitcnt vmcnt(18) lgkmcnt(1)
	v_fma_f64 v[71:72], v[100:101], v[74:75], v[71:72]
	s_waitcnt vmcnt(17)
	v_fma_f64 v[74:75], v[98:99], v[76:77], v[71:72]
	buffer_load_dword v87, off, s[0:3], 0 offset:260
	buffer_load_dword v92, off, s[0:3], 0 offset:272
	;; [unrolled: 1-line block ×6, first 2 shown]
	s_waitcnt vmcnt(22) lgkmcnt(0)
	v_fma_f64 v[74:75], v[94:95], v[78:79], v[74:75]
	s_waitcnt vmcnt(17)
	v_fma_f64 v[82:83], v[82:83], v[80:81], v[74:75]
	ds_read2_b64 v[74:77], v73 offset0:61 offset1:62
	buffer_load_dword v94, off, s[0:3], 0
	buffer_load_dword v95, off, s[0:3], 0 offset:4
	ds_read2_b64 v[78:81], v73 offset0:63 offset1:64
	s_waitcnt vmcnt(18) lgkmcnt(1)
	v_fma_f64 v[74:75], v[106:107], v[74:75], v[82:83]
	s_waitcnt vmcnt(17)
	v_fma_f64 v[74:75], v[104:105], v[76:77], v[74:75]
	s_waitcnt vmcnt(16) lgkmcnt(0)
	v_fma_f64 v[74:75], v[96:97], v[78:79], v[74:75]
	s_waitcnt vmcnt(11)
	v_fma_f64 v[82:83], v[84:85], v[80:81], v[74:75]
	ds_read2_b64 v[74:77], v73 offset0:65 offset1:66
	ds_read2_b64 v[78:81], v73 offset0:67 offset1:68
	s_waitcnt vmcnt(10) lgkmcnt(1)
	v_fma_f64 v[74:75], v[102:103], v[74:75], v[82:83]
	s_waitcnt vmcnt(9)
	v_fma_f64 v[74:75], v[90:91], v[76:77], v[74:75]
	s_waitcnt vmcnt(8) lgkmcnt(0)
	v_fma_f64 v[74:75], v[88:89], v[78:79], v[74:75]
	s_waitcnt vmcnt(4)
	v_fma_f64 v[77:78], v[86:87], v[80:81], v[74:75]
	ds_read2_b64 v[73:76], v73 offset0:69 offset1:70
	s_waitcnt vmcnt(3) lgkmcnt(0)
	v_fma_f64 v[73:74], v[71:72], v[73:74], v[77:78]
	s_waitcnt vmcnt(2)
	v_fma_f64 v[73:74], v[92:93], v[75:76], v[73:74]
	s_waitcnt vmcnt(0)
	v_add_f64 v[73:74], v[94:95], -v[73:74]
	buffer_store_dword v74, off, s[0:3], 0 offset:4
	buffer_store_dword v73, off, s[0:3], 0
	s_cbranch_vccz .LBB34_286
; %bb.218:
	v_mov_b32_e32 v0, 0
	global_load_dword v73, v0, s[20:21] offset:132
	s_waitcnt vmcnt(0)
	v_add_u32_e32 v73, -1, v73
	v_cmp_ne_u32_e32 vcc, 33, v73
	s_cbranch_vccz .LBB34_220
; %bb.219:
	v_lshlrev_b32_e32 v73, 3, v73
	buffer_load_dword v74, v73, s[0:3], 0 offen
	buffer_load_dword v75, v73, s[0:3], 0 offen offset:4
	s_waitcnt vmcnt(1)
	buffer_store_dword v74, off, s[0:3], 0 offset:264
	s_waitcnt vmcnt(1)
	buffer_store_dword v75, off, s[0:3], 0 offset:268
	buffer_store_dword v71, v73, s[0:3], 0 offen
	buffer_store_dword v72, v73, s[0:3], 0 offen offset:4
.LBB34_220:
	global_load_dword v0, v0, s[20:21] offset:128
	s_waitcnt vmcnt(0)
	v_add_u32_e32 v0, -1, v0
	v_cmp_eq_u32_e32 vcc, 32, v0
	s_cbranch_vccnz .LBB34_222
; %bb.221:
	v_lshlrev_b32_e32 v0, 3, v0
	buffer_load_dword v71, v0, s[0:3], 0 offen
	buffer_load_dword v72, v0, s[0:3], 0 offen offset:4
	buffer_load_dword v73, off, s[0:3], 0 offset:260
	buffer_load_dword v74, off, s[0:3], 0 offset:256
	s_waitcnt vmcnt(3)
	buffer_store_dword v71, off, s[0:3], 0 offset:256
	s_waitcnt vmcnt(3)
	buffer_store_dword v72, off, s[0:3], 0 offset:260
	s_waitcnt vmcnt(3)
	buffer_store_dword v73, v0, s[0:3], 0 offen offset:4
	s_waitcnt vmcnt(3)
	buffer_store_dword v74, v0, s[0:3], 0 offen
.LBB34_222:
	v_mov_b32_e32 v0, 0
	global_load_dword v71, v0, s[20:21] offset:124
	s_waitcnt vmcnt(0)
	v_add_u32_e32 v71, -1, v71
	v_cmp_eq_u32_e32 vcc, 31, v71
	s_cbranch_vccnz .LBB34_224
; %bb.223:
	v_lshlrev_b32_e32 v71, 3, v71
	buffer_load_dword v72, v71, s[0:3], 0 offen
	buffer_load_dword v73, v71, s[0:3], 0 offen offset:4
	buffer_load_dword v74, off, s[0:3], 0 offset:248
	buffer_load_dword v75, off, s[0:3], 0 offset:252
	s_waitcnt vmcnt(3)
	buffer_store_dword v72, off, s[0:3], 0 offset:248
	s_waitcnt vmcnt(3)
	buffer_store_dword v73, off, s[0:3], 0 offset:252
	s_waitcnt vmcnt(3)
	buffer_store_dword v74, v71, s[0:3], 0 offen
	s_waitcnt vmcnt(3)
	buffer_store_dword v75, v71, s[0:3], 0 offen offset:4
.LBB34_224:
	global_load_dword v0, v0, s[20:21] offset:120
	s_waitcnt vmcnt(0)
	v_add_u32_e32 v0, -1, v0
	v_cmp_eq_u32_e32 vcc, 30, v0
	s_cbranch_vccnz .LBB34_226
; %bb.225:
	v_lshlrev_b32_e32 v0, 3, v0
	buffer_load_dword v71, v0, s[0:3], 0 offen
	buffer_load_dword v72, v0, s[0:3], 0 offen offset:4
	buffer_load_dword v73, off, s[0:3], 0 offset:244
	buffer_load_dword v74, off, s[0:3], 0 offset:240
	s_waitcnt vmcnt(3)
	buffer_store_dword v71, off, s[0:3], 0 offset:240
	s_waitcnt vmcnt(3)
	buffer_store_dword v72, off, s[0:3], 0 offset:244
	s_waitcnt vmcnt(3)
	buffer_store_dword v73, v0, s[0:3], 0 offen offset:4
	s_waitcnt vmcnt(3)
	buffer_store_dword v74, v0, s[0:3], 0 offen
.LBB34_226:
	v_mov_b32_e32 v0, 0
	global_load_dword v71, v0, s[20:21] offset:116
	s_waitcnt vmcnt(0)
	v_add_u32_e32 v71, -1, v71
	v_cmp_eq_u32_e32 vcc, 29, v71
	s_cbranch_vccnz .LBB34_228
; %bb.227:
	v_lshlrev_b32_e32 v71, 3, v71
	buffer_load_dword v72, v71, s[0:3], 0 offen
	buffer_load_dword v73, v71, s[0:3], 0 offen offset:4
	buffer_load_dword v74, off, s[0:3], 0 offset:232
	buffer_load_dword v75, off, s[0:3], 0 offset:236
	s_waitcnt vmcnt(3)
	buffer_store_dword v72, off, s[0:3], 0 offset:232
	s_waitcnt vmcnt(3)
	buffer_store_dword v73, off, s[0:3], 0 offset:236
	s_waitcnt vmcnt(3)
	buffer_store_dword v74, v71, s[0:3], 0 offen
	s_waitcnt vmcnt(3)
	buffer_store_dword v75, v71, s[0:3], 0 offen offset:4
.LBB34_228:
	;; [unrolled: 41-line block ×16, first 2 shown]
	global_load_dword v0, v0, s[20:21]
	s_nop 0
	buffer_load_dword v73, off, s[0:3], 0
	buffer_load_dword v74, off, s[0:3], 0 offset:4
	s_waitcnt vmcnt(2)
	v_add_u32_e32 v0, -1, v0
	v_cmp_eq_u32_e32 vcc, 0, v0
	s_cbranch_vccnz .LBB34_286
; %bb.285:
	v_lshlrev_b32_e32 v0, 3, v0
	buffer_load_dword v71, v0, s[0:3], 0 offen offset:4
	buffer_load_dword v72, v0, s[0:3], 0 offen
	s_waitcnt vmcnt(1)
	buffer_store_dword v71, off, s[0:3], 0 offset:4
	s_waitcnt vmcnt(1)
	buffer_store_dword v72, off, s[0:3], 0
	buffer_store_dword v74, v0, s[0:3], 0 offen offset:4
	buffer_store_dword v73, v0, s[0:3], 0 offen
	buffer_load_dword v73, off, s[0:3], 0
	s_nop 0
	buffer_load_dword v74, off, s[0:3], 0 offset:4
.LBB34_286:
	buffer_load_dword v71, off, s[0:3], 0 offset:8
	buffer_load_dword v72, off, s[0:3], 0 offset:12
	;; [unrolled: 1-line block ×6, first 2 shown]
	s_waitcnt vmcnt(6)
	global_store_dwordx2 v[69:70], v[73:74], off
	buffer_load_dword v69, off, s[0:3], 0 offset:32
	s_nop 0
	buffer_load_dword v70, off, s[0:3], 0 offset:36
	buffer_load_dword v73, off, s[0:3], 0 offset:40
	;; [unrolled: 1-line block ×49, first 2 shown]
	s_waitcnt vmcnt(55)
	global_store_dwordx2 v[65:66], v[71:72], off
	s_waitcnt vmcnt(54)
	global_store_dwordx2 v[5:6], v[75:76], off
	buffer_load_dword v5, off, s[0:3], 0 offset:232
	s_nop 0
	buffer_load_dword v6, off, s[0:3], 0 offset:236
	buffer_load_dword v65, off, s[0:3], 0 offset:240
	;; [unrolled: 1-line block ×7, first 2 shown]
	s_waitcnt vmcnt(61)
	global_store_dwordx2 v[1:2], v[77:78], off
	buffer_load_dword v0, off, s[0:3], 0 offset:264
	s_nop 0
	buffer_load_dword v1, off, s[0:3], 0 offset:268
	buffer_load_dword v77, off, s[0:3], 0 offset:272
	;; [unrolled: 1-line block ×3, first 2 shown]
	s_waitcnt vmcnt(62)
	global_store_dwordx2 v[3:4], v[69:70], off
	s_waitcnt vmcnt(62)
	global_store_dwordx2 v[7:8], v[73:74], off
	;; [unrolled: 2-line block ×31, first 2 shown]
	s_endpgm
	.section	.rodata,"a",@progbits
	.p2align	6, 0x0
	.amdhsa_kernel _ZN9rocsolver6v33100L18getri_kernel_smallILi35EdPdEEvT1_iilPiilS4_bb
		.amdhsa_group_segment_fixed_size 568
		.amdhsa_private_segment_fixed_size 288
		.amdhsa_kernarg_size 60
		.amdhsa_user_sgpr_count 6
		.amdhsa_user_sgpr_private_segment_buffer 1
		.amdhsa_user_sgpr_dispatch_ptr 0
		.amdhsa_user_sgpr_queue_ptr 0
		.amdhsa_user_sgpr_kernarg_segment_ptr 1
		.amdhsa_user_sgpr_dispatch_id 0
		.amdhsa_user_sgpr_flat_scratch_init 0
		.amdhsa_user_sgpr_private_segment_size 0
		.amdhsa_uses_dynamic_stack 0
		.amdhsa_system_sgpr_private_segment_wavefront_offset 1
		.amdhsa_system_sgpr_workgroup_id_x 1
		.amdhsa_system_sgpr_workgroup_id_y 0
		.amdhsa_system_sgpr_workgroup_id_z 0
		.amdhsa_system_sgpr_workgroup_info 0
		.amdhsa_system_vgpr_workitem_id 0
		.amdhsa_next_free_vgpr 125
		.amdhsa_next_free_sgpr 24
		.amdhsa_reserve_vcc 1
		.amdhsa_reserve_flat_scratch 0
		.amdhsa_float_round_mode_32 0
		.amdhsa_float_round_mode_16_64 0
		.amdhsa_float_denorm_mode_32 3
		.amdhsa_float_denorm_mode_16_64 3
		.amdhsa_dx10_clamp 1
		.amdhsa_ieee_mode 1
		.amdhsa_fp16_overflow 0
		.amdhsa_exception_fp_ieee_invalid_op 0
		.amdhsa_exception_fp_denorm_src 0
		.amdhsa_exception_fp_ieee_div_zero 0
		.amdhsa_exception_fp_ieee_overflow 0
		.amdhsa_exception_fp_ieee_underflow 0
		.amdhsa_exception_fp_ieee_inexact 0
		.amdhsa_exception_int_div_zero 0
	.end_amdhsa_kernel
	.section	.text._ZN9rocsolver6v33100L18getri_kernel_smallILi35EdPdEEvT1_iilPiilS4_bb,"axG",@progbits,_ZN9rocsolver6v33100L18getri_kernel_smallILi35EdPdEEvT1_iilPiilS4_bb,comdat
.Lfunc_end34:
	.size	_ZN9rocsolver6v33100L18getri_kernel_smallILi35EdPdEEvT1_iilPiilS4_bb, .Lfunc_end34-_ZN9rocsolver6v33100L18getri_kernel_smallILi35EdPdEEvT1_iilPiilS4_bb
                                        ; -- End function
	.set _ZN9rocsolver6v33100L18getri_kernel_smallILi35EdPdEEvT1_iilPiilS4_bb.num_vgpr, 125
	.set _ZN9rocsolver6v33100L18getri_kernel_smallILi35EdPdEEvT1_iilPiilS4_bb.num_agpr, 0
	.set _ZN9rocsolver6v33100L18getri_kernel_smallILi35EdPdEEvT1_iilPiilS4_bb.numbered_sgpr, 24
	.set _ZN9rocsolver6v33100L18getri_kernel_smallILi35EdPdEEvT1_iilPiilS4_bb.num_named_barrier, 0
	.set _ZN9rocsolver6v33100L18getri_kernel_smallILi35EdPdEEvT1_iilPiilS4_bb.private_seg_size, 288
	.set _ZN9rocsolver6v33100L18getri_kernel_smallILi35EdPdEEvT1_iilPiilS4_bb.uses_vcc, 1
	.set _ZN9rocsolver6v33100L18getri_kernel_smallILi35EdPdEEvT1_iilPiilS4_bb.uses_flat_scratch, 0
	.set _ZN9rocsolver6v33100L18getri_kernel_smallILi35EdPdEEvT1_iilPiilS4_bb.has_dyn_sized_stack, 0
	.set _ZN9rocsolver6v33100L18getri_kernel_smallILi35EdPdEEvT1_iilPiilS4_bb.has_recursion, 0
	.set _ZN9rocsolver6v33100L18getri_kernel_smallILi35EdPdEEvT1_iilPiilS4_bb.has_indirect_call, 0
	.section	.AMDGPU.csdata,"",@progbits
; Kernel info:
; codeLenInByte = 36396
; TotalNumSgprs: 28
; NumVgprs: 125
; ScratchSize: 288
; MemoryBound: 1
; FloatMode: 240
; IeeeMode: 1
; LDSByteSize: 568 bytes/workgroup (compile time only)
; SGPRBlocks: 3
; VGPRBlocks: 31
; NumSGPRsForWavesPerEU: 28
; NumVGPRsForWavesPerEU: 125
; Occupancy: 2
; WaveLimiterHint : 1
; COMPUTE_PGM_RSRC2:SCRATCH_EN: 1
; COMPUTE_PGM_RSRC2:USER_SGPR: 6
; COMPUTE_PGM_RSRC2:TRAP_HANDLER: 0
; COMPUTE_PGM_RSRC2:TGID_X_EN: 1
; COMPUTE_PGM_RSRC2:TGID_Y_EN: 0
; COMPUTE_PGM_RSRC2:TGID_Z_EN: 0
; COMPUTE_PGM_RSRC2:TIDIG_COMP_CNT: 0
	.section	.text._ZN9rocsolver6v33100L18getri_kernel_smallILi36EdPdEEvT1_iilPiilS4_bb,"axG",@progbits,_ZN9rocsolver6v33100L18getri_kernel_smallILi36EdPdEEvT1_iilPiilS4_bb,comdat
	.globl	_ZN9rocsolver6v33100L18getri_kernel_smallILi36EdPdEEvT1_iilPiilS4_bb ; -- Begin function _ZN9rocsolver6v33100L18getri_kernel_smallILi36EdPdEEvT1_iilPiilS4_bb
	.p2align	8
	.type	_ZN9rocsolver6v33100L18getri_kernel_smallILi36EdPdEEvT1_iilPiilS4_bb,@function
_ZN9rocsolver6v33100L18getri_kernel_smallILi36EdPdEEvT1_iilPiilS4_bb: ; @_ZN9rocsolver6v33100L18getri_kernel_smallILi36EdPdEEvT1_iilPiilS4_bb
; %bb.0:
	s_add_u32 s0, s0, s7
	s_addc_u32 s1, s1, 0
	v_cmp_gt_u32_e32 vcc, 36, v0
	s_and_saveexec_b64 s[8:9], vcc
	s_cbranch_execz .LBB35_152
; %bb.1:
	s_load_dword s12, s[4:5], 0x38
	s_load_dwordx4 s[16:19], s[4:5], 0x10
	s_load_dwordx4 s[8:11], s[4:5], 0x28
                                        ; implicit-def: $sgpr20_sgpr21
	s_waitcnt lgkmcnt(0)
	s_bitcmp1_b32 s12, 8
	s_cselect_b64 s[22:23], -1, 0
	s_ashr_i32 s7, s6, 31
	s_bfe_u32 s12, s12, 0x10008
	s_cmp_eq_u32 s12, 0
	s_cbranch_scc1 .LBB35_3
; %bb.2:
	s_load_dword s12, s[4:5], 0x20
	s_mul_i32 s13, s8, s7
	s_mul_hi_u32 s14, s8, s6
	s_mul_i32 s9, s9, s6
	s_add_i32 s14, s14, s13
	s_add_i32 s9, s14, s9
	s_mul_i32 s8, s8, s6
	s_waitcnt lgkmcnt(0)
	s_ashr_i32 s13, s12, 31
	s_lshl_b64 s[8:9], s[8:9], 2
	s_add_u32 s14, s18, s8
	s_addc_u32 s15, s19, s9
	s_lshl_b64 s[8:9], s[12:13], 2
	s_add_u32 s20, s14, s8
	s_addc_u32 s21, s15, s9
.LBB35_3:
	s_load_dwordx4 s[12:15], s[4:5], 0x0
	s_load_dword s8, s[4:5], 0x38
	s_mul_i32 s9, s16, s7
	s_mul_hi_u32 s18, s16, s6
	s_add_i32 s9, s18, s9
	s_waitcnt lgkmcnt(0)
	s_ashr_i32 s5, s14, 31
	s_mov_b32 s4, s14
	s_mul_i32 s14, s17, s6
	s_add_i32 s17, s9, s14
	s_mul_i32 s16, s16, s6
	s_lshl_b64 s[16:17], s[16:17], 3
	s_add_u32 s9, s12, s16
	s_addc_u32 s12, s13, s17
	s_lshl_b64 s[4:5], s[4:5], 3
	s_add_u32 s4, s9, s4
	s_addc_u32 s5, s12, s5
	s_add_i32 s9, s15, s15
	v_add_u32_e32 v3, s9, v0
	v_ashrrev_i32_e32 v4, 31, v3
	v_lshlrev_b64 v[1:2], 3, v[3:4]
	v_mov_b32_e32 v4, s5
	v_add_co_u32_e32 v1, vcc, s4, v1
	v_add_u32_e32 v3, s15, v3
	v_addc_co_u32_e32 v2, vcc, v4, v2, vcc
	v_ashrrev_i32_e32 v4, 31, v3
	v_lshlrev_b64 v[4:5], 3, v[3:4]
	v_add_u32_e32 v3, s15, v3
	v_mov_b32_e32 v6, s5
	v_add_co_u32_e32 v7, vcc, s4, v4
	v_ashrrev_i32_e32 v4, 31, v3
	v_addc_co_u32_e32 v8, vcc, v6, v5, vcc
	v_lshlrev_b64 v[5:6], 3, v[3:4]
	v_add_u32_e32 v9, s15, v3
	v_mov_b32_e32 v4, s5
	v_add_co_u32_e32 v5, vcc, s4, v5
	v_ashrrev_i32_e32 v10, 31, v9
	v_addc_co_u32_e32 v6, vcc, v4, v6, vcc
	;; [unrolled: 6-line block ×7, first 2 shown]
	v_lshlrev_b64 v[17:18], 3, v[19:20]
	v_mov_b32_e32 v21, s5
	v_add_co_u32_e32 v17, vcc, s4, v17
	v_addc_co_u32_e32 v18, vcc, v21, v18, vcc
	v_add_u32_e32 v21, s15, v19
	v_ashrrev_i32_e32 v22, 31, v21
	v_lshlrev_b64 v[19:20], 3, v[21:22]
	v_mov_b32_e32 v23, s5
	v_add_co_u32_e32 v19, vcc, s4, v19
	v_addc_co_u32_e32 v20, vcc, v23, v20, vcc
	v_add_u32_e32 v23, s15, v21
	v_ashrrev_i32_e32 v24, 31, v23
	;; [unrolled: 6-line block ×17, first 2 shown]
	v_lshlrev_b64 v[51:52], 3, v[53:54]
	v_mov_b32_e32 v55, s5
	v_add_co_u32_e32 v51, vcc, s4, v51
	v_addc_co_u32_e32 v52, vcc, v55, v52, vcc
	v_lshlrev_b32_e32 v75, 3, v0
	v_add_u32_e32 v55, s15, v53
	global_load_dwordx2 v[73:74], v75, s[4:5]
	v_mov_b32_e32 v53, s5
	v_add_co_u32_e32 v71, vcc, s4, v75
	s_ashr_i32 s13, s15, 31
	s_mov_b32 s12, s15
	v_addc_co_u32_e32 v72, vcc, 0, v53, vcc
	s_lshl_b64 s[12:13], s[12:13], 3
	v_mov_b32_e32 v53, s13
	v_add_co_u32_e32 v69, vcc, s12, v71
	v_addc_co_u32_e32 v70, vcc, v72, v53, vcc
	global_load_dwordx2 v[76:77], v[69:70], off
	global_load_dwordx2 v[78:79], v[1:2], off
	;; [unrolled: 1-line block ×10, first 2 shown]
	v_ashrrev_i32_e32 v56, 31, v55
	v_lshlrev_b64 v[53:54], 3, v[55:56]
	v_mov_b32_e32 v57, s5
	v_add_co_u32_e32 v53, vcc, s4, v53
	v_addc_co_u32_e32 v54, vcc, v57, v54, vcc
	v_add_u32_e32 v57, s15, v55
	v_ashrrev_i32_e32 v58, 31, v57
	v_lshlrev_b64 v[55:56], 3, v[57:58]
	v_mov_b32_e32 v59, s5
	v_add_co_u32_e32 v55, vcc, s4, v55
	v_addc_co_u32_e32 v56, vcc, v59, v56, vcc
	v_add_u32_e32 v59, s15, v57
	;; [unrolled: 6-line block ×6, first 2 shown]
	v_ashrrev_i32_e32 v68, 31, v67
	v_lshlrev_b64 v[65:66], 3, v[67:68]
	v_mov_b32_e32 v96, s5
	v_add_co_u32_e32 v65, vcc, s4, v65
	v_add_u32_e32 v67, s15, v67
	v_addc_co_u32_e32 v66, vcc, v96, v66, vcc
	v_ashrrev_i32_e32 v68, 31, v67
	global_load_dwordx2 v[96:97], v[19:20], off
	global_load_dwordx2 v[98:99], v[21:22], off
	v_lshlrev_b64 v[67:68], 3, v[67:68]
	v_mov_b32_e32 v100, s5
	v_add_co_u32_e32 v67, vcc, s4, v67
	v_addc_co_u32_e32 v68, vcc, v100, v68, vcc
	global_load_dwordx2 v[100:101], v[23:24], off
	global_load_dwordx2 v[102:103], v[25:26], off
	;; [unrolled: 1-line block ×12, first 2 shown]
	s_bitcmp0_b32 s8, 0
	s_waitcnt vmcnt(24)
	buffer_store_dword v74, off, s[0:3], 0 offset:4
	buffer_store_dword v73, off, s[0:3], 0
	global_load_dwordx2 v[73:74], v[27:28], off
	s_mov_b64 s[8:9], -1
	s_waitcnt vmcnt(26)
	buffer_store_dword v77, off, s[0:3], 0 offset:12
	buffer_store_dword v76, off, s[0:3], 0 offset:8
	global_load_dwordx2 v[76:77], v[31:32], off
	s_waitcnt vmcnt(28)
	buffer_store_dword v79, off, s[0:3], 0 offset:20
	buffer_store_dword v78, off, s[0:3], 0 offset:16
	global_load_dwordx2 v[78:79], v[35:36], off
	;; [unrolled: 4-line block ×5, first 2 shown]
	s_nop 0
	buffer_store_dword v87, off, s[0:3], 0 offset:52
	buffer_store_dword v86, off, s[0:3], 0 offset:48
	global_load_dwordx2 v[86:87], v[51:52], off
	s_nop 0
	buffer_store_dword v89, off, s[0:3], 0 offset:60
	buffer_store_dword v88, off, s[0:3], 0 offset:56
	global_load_dwordx2 v[88:89], v[55:56], off
	s_waitcnt vmcnt(40)
	buffer_store_dword v91, off, s[0:3], 0 offset:68
	buffer_store_dword v90, off, s[0:3], 0 offset:64
	global_load_dwordx2 v[90:91], v[59:60], off
	s_waitcnt vmcnt(42)
	;; [unrolled: 4-line block ×4, first 2 shown]
	buffer_store_dword v96, off, s[0:3], 0 offset:88
	buffer_store_dword v97, off, s[0:3], 0 offset:92
	s_waitcnt vmcnt(47)
	buffer_store_dword v98, off, s[0:3], 0 offset:96
	buffer_store_dword v99, off, s[0:3], 0 offset:100
	s_waitcnt vmcnt(48)
	;; [unrolled: 3-line block ×4, first 2 shown]
	buffer_store_dword v73, off, s[0:3], 0 offset:120
	buffer_store_dword v74, off, s[0:3], 0 offset:124
	buffer_store_dword v104, off, s[0:3], 0 offset:128
	buffer_store_dword v105, off, s[0:3], 0 offset:132
	s_waitcnt vmcnt(39)
	buffer_store_dword v76, off, s[0:3], 0 offset:136
	buffer_store_dword v77, off, s[0:3], 0 offset:140
	buffer_store_dword v106, off, s[0:3], 0 offset:144
	buffer_store_dword v107, off, s[0:3], 0 offset:148
	s_waitcnt vmcnt(40)
	;; [unrolled: 5-line block ×10, first 2 shown]
	buffer_store_dword v94, off, s[0:3], 0 offset:280
	buffer_store_dword v95, off, s[0:3], 0 offset:284
	s_cbranch_scc1 .LBB35_150
; %bb.4:
	v_cmp_eq_u32_e64 s[4:5], 0, v0
	s_and_saveexec_b64 s[8:9], s[4:5]
; %bb.5:
	v_mov_b32_e32 v73, 0
	ds_write_b32 v73, v73 offset:576
; %bb.6:
	s_or_b64 exec, exec, s[8:9]
	v_mov_b32_e32 v73, 0
	v_lshl_add_u32 v73, v0, 3, v73
	s_waitcnt lgkmcnt(0)
	; wave barrier
	buffer_load_dword v76, v73, s[0:3], 0 offen
	buffer_load_dword v77, v73, s[0:3], 0 offen offset:4
	s_waitcnt vmcnt(0)
	v_cmp_eq_f64_e32 vcc, 0, v[76:77]
	s_and_saveexec_b64 s[12:13], vcc
	s_cbranch_execz .LBB35_10
; %bb.7:
	v_mov_b32_e32 v74, 0
	ds_read_b32 v77, v74 offset:576
	v_add_u32_e32 v76, 1, v0
	s_waitcnt lgkmcnt(0)
	v_readfirstlane_b32 s8, v77
	s_cmp_eq_u32 s8, 0
	s_cselect_b64 s[14:15], -1, 0
	v_cmp_gt_i32_e32 vcc, s8, v76
	s_or_b64 s[14:15], s[14:15], vcc
	s_and_b64 exec, exec, s[14:15]
	s_cbranch_execz .LBB35_10
; %bb.8:
	s_mov_b64 s[14:15], 0
	v_mov_b32_e32 v77, s8
.LBB35_9:                               ; =>This Inner Loop Header: Depth=1
	ds_cmpst_rtn_b32 v77, v74, v77, v76 offset:576
	s_waitcnt lgkmcnt(0)
	v_cmp_ne_u32_e32 vcc, 0, v77
	v_cmp_le_i32_e64 s[8:9], v77, v76
	s_and_b64 s[8:9], vcc, s[8:9]
	s_and_b64 s[8:9], exec, s[8:9]
	s_or_b64 s[14:15], s[8:9], s[14:15]
	s_andn2_b64 exec, exec, s[14:15]
	s_cbranch_execnz .LBB35_9
.LBB35_10:
	s_or_b64 exec, exec, s[12:13]
	v_mov_b32_e32 v76, 0
	; wave barrier
	ds_read_b32 v74, v76 offset:576
	s_and_saveexec_b64 s[8:9], s[4:5]
	s_cbranch_execz .LBB35_12
; %bb.11:
	s_lshl_b64 s[12:13], s[6:7], 2
	s_add_u32 s12, s10, s12
	s_addc_u32 s13, s11, s13
	s_waitcnt lgkmcnt(0)
	global_store_dword v76, v74, s[12:13]
.LBB35_12:
	s_or_b64 exec, exec, s[8:9]
	s_waitcnt lgkmcnt(0)
	v_cmp_ne_u32_e32 vcc, 0, v74
	s_mov_b64 s[8:9], 0
	s_cbranch_vccnz .LBB35_150
; %bb.13:
	buffer_load_dword v76, v73, s[0:3], 0 offen
	buffer_load_dword v77, v73, s[0:3], 0 offen offset:4
	s_waitcnt vmcnt(0)
	v_div_scale_f64 v[78:79], s[8:9], v[76:77], v[76:77], 1.0
	v_rcp_f64_e32 v[80:81], v[78:79]
	v_fma_f64 v[82:83], -v[78:79], v[80:81], 1.0
	v_fma_f64 v[80:81], v[80:81], v[82:83], v[80:81]
	v_div_scale_f64 v[82:83], vcc, 1.0, v[76:77], 1.0
	v_fma_f64 v[84:85], -v[78:79], v[80:81], 1.0
	v_fma_f64 v[80:81], v[80:81], v[84:85], v[80:81]
	v_mul_f64 v[84:85], v[82:83], v[80:81]
	v_fma_f64 v[78:79], -v[78:79], v[84:85], v[82:83]
	v_div_fmas_f64 v[78:79], v[78:79], v[80:81], v[84:85]
	v_div_fixup_f64 v[77:78], v[78:79], v[76:77], 1.0
	v_add_u32_e32 v76, 0x120, v75
	buffer_store_dword v78, v73, s[0:3], 0 offen offset:4
	buffer_store_dword v77, v73, s[0:3], 0 offen
	buffer_load_dword v80, off, s[0:3], 0 offset:12
	buffer_load_dword v79, off, s[0:3], 0 offset:8
	v_xor_b32_e32 v78, 0x80000000, v78
	s_waitcnt vmcnt(0)
	ds_write2_b64 v75, v[77:78], v[79:80] offset1:36
	s_waitcnt lgkmcnt(0)
	; wave barrier
	s_and_saveexec_b64 s[8:9], s[4:5]
	s_cbranch_execz .LBB35_15
; %bb.14:
	buffer_load_dword v77, v73, s[0:3], 0 offen
	buffer_load_dword v78, v73, s[0:3], 0 offen offset:4
	ds_read_b64 v[79:80], v76
	v_mov_b32_e32 v74, 0
	ds_read_b64 v[81:82], v74 offset:8
	s_waitcnt vmcnt(0) lgkmcnt(1)
	v_fma_f64 v[77:78], v[77:78], v[79:80], 0
	s_waitcnt lgkmcnt(0)
	v_mul_f64 v[77:78], v[77:78], v[81:82]
	buffer_store_dword v77, off, s[0:3], 0 offset:8
	buffer_store_dword v78, off, s[0:3], 0 offset:12
.LBB35_15:
	s_or_b64 exec, exec, s[8:9]
	; wave barrier
	buffer_load_dword v77, off, s[0:3], 0 offset:16
	buffer_load_dword v78, off, s[0:3], 0 offset:20
	v_cmp_gt_u32_e32 vcc, 2, v0
	s_waitcnt vmcnt(0)
	ds_write_b64 v76, v[77:78]
	s_waitcnt lgkmcnt(0)
	; wave barrier
	s_and_saveexec_b64 s[8:9], vcc
	s_cbranch_execz .LBB35_17
; %bb.16:
	buffer_load_dword v77, v73, s[0:3], 0 offen
	buffer_load_dword v78, v73, s[0:3], 0 offen offset:4
                                        ; kill: killed $vgpr73
	s_nop 0
	buffer_load_dword v73, off, s[0:3], 0 offset:8
	buffer_load_dword v74, off, s[0:3], 0 offset:12
	ds_read_b64 v[79:80], v76
	s_waitcnt vmcnt(2) lgkmcnt(0)
	v_fma_f64 v[81:82], v[77:78], v[79:80], 0
	v_mov_b32_e32 v77, 0
	ds_read2_b64 v[77:80], v77 offset0:2 offset1:37
	s_waitcnt vmcnt(0) lgkmcnt(0)
	v_fma_f64 v[73:74], v[73:74], v[79:80], v[81:82]
	v_cndmask_b32_e64 v74, v82, v74, s[4:5]
	v_cndmask_b32_e64 v73, v81, v73, s[4:5]
	v_mul_f64 v[73:74], v[73:74], v[77:78]
	buffer_store_dword v74, off, s[0:3], 0 offset:20
	buffer_store_dword v73, off, s[0:3], 0 offset:16
.LBB35_17:
	s_or_b64 exec, exec, s[8:9]
	; wave barrier
	buffer_load_dword v73, off, s[0:3], 0 offset:24
	buffer_load_dword v74, off, s[0:3], 0 offset:28
	v_cmp_gt_u32_e32 vcc, 3, v0
	v_add_u32_e32 v77, -1, v0
	s_waitcnt vmcnt(0)
	ds_write_b64 v76, v[73:74]
	s_waitcnt lgkmcnt(0)
	; wave barrier
	s_and_saveexec_b64 s[4:5], vcc
	s_cbranch_execz .LBB35_21
; %bb.18:
	v_mov_b32_e32 v73, 0
	v_add_u32_e32 v78, -1, v0
	v_add_u32_e32 v79, 0x120, v75
	v_mov_b32_e32 v80, v75
	v_mov_b32_e32 v74, 0
	s_mov_b64 s[8:9], 0
.LBB35_19:                              ; =>This Inner Loop Header: Depth=1
	buffer_load_dword v81, v80, s[0:3], 0 offen
	buffer_load_dword v82, v80, s[0:3], 0 offen offset:4
	ds_read_b64 v[83:84], v79
	v_add_u32_e32 v78, 1, v78
	v_cmp_lt_u32_e32 vcc, 1, v78
	v_add_u32_e32 v79, 8, v79
	s_or_b64 s[8:9], vcc, s[8:9]
	v_add_u32_e32 v80, 8, v80
	s_waitcnt vmcnt(0) lgkmcnt(0)
	v_fma_f64 v[73:74], v[81:82], v[83:84], v[73:74]
	s_andn2_b64 exec, exec, s[8:9]
	s_cbranch_execnz .LBB35_19
; %bb.20:
	s_or_b64 exec, exec, s[8:9]
	v_mov_b32_e32 v78, 0
	ds_read_b64 v[78:79], v78 offset:24
	s_waitcnt lgkmcnt(0)
	v_mul_f64 v[73:74], v[73:74], v[78:79]
	buffer_store_dword v74, off, s[0:3], 0 offset:28
	buffer_store_dword v73, off, s[0:3], 0 offset:24
.LBB35_21:
	s_or_b64 exec, exec, s[4:5]
	; wave barrier
	buffer_load_dword v73, off, s[0:3], 0 offset:32
	buffer_load_dword v74, off, s[0:3], 0 offset:36
	v_cmp_gt_u32_e32 vcc, 4, v0
	s_waitcnt vmcnt(0)
	ds_write_b64 v76, v[73:74]
	s_waitcnt lgkmcnt(0)
	; wave barrier
	s_and_saveexec_b64 s[4:5], vcc
	s_cbranch_execz .LBB35_25
; %bb.22:
	v_mov_b32_e32 v73, 0
	v_add_u32_e32 v78, -1, v0
	v_add_u32_e32 v79, 0x120, v75
	v_mov_b32_e32 v80, v75
	v_mov_b32_e32 v74, 0
	s_mov_b64 s[8:9], 0
.LBB35_23:                              ; =>This Inner Loop Header: Depth=1
	buffer_load_dword v81, v80, s[0:3], 0 offen
	buffer_load_dword v82, v80, s[0:3], 0 offen offset:4
	ds_read_b64 v[83:84], v79
	v_add_u32_e32 v78, 1, v78
	v_cmp_lt_u32_e32 vcc, 2, v78
	v_add_u32_e32 v79, 8, v79
	s_or_b64 s[8:9], vcc, s[8:9]
	v_add_u32_e32 v80, 8, v80
	s_waitcnt vmcnt(0) lgkmcnt(0)
	v_fma_f64 v[73:74], v[81:82], v[83:84], v[73:74]
	s_andn2_b64 exec, exec, s[8:9]
	s_cbranch_execnz .LBB35_23
; %bb.24:
	s_or_b64 exec, exec, s[8:9]
	v_mov_b32_e32 v78, 0
	ds_read_b64 v[78:79], v78 offset:32
	s_waitcnt lgkmcnt(0)
	v_mul_f64 v[73:74], v[73:74], v[78:79]
	buffer_store_dword v74, off, s[0:3], 0 offset:36
	buffer_store_dword v73, off, s[0:3], 0 offset:32
.LBB35_25:
	s_or_b64 exec, exec, s[4:5]
	; wave barrier
	buffer_load_dword v73, off, s[0:3], 0 offset:40
	buffer_load_dword v74, off, s[0:3], 0 offset:44
	v_cmp_gt_u32_e32 vcc, 5, v0
	;; [unrolled: 40-line block ×21, first 2 shown]
	s_waitcnt vmcnt(0)
	ds_write_b64 v76, v[73:74]
	s_waitcnt lgkmcnt(0)
	; wave barrier
	s_and_saveexec_b64 s[4:5], vcc
	s_cbranch_execz .LBB35_105
; %bb.102:
	v_mov_b32_e32 v73, 0
	v_add_u32_e32 v78, -1, v0
	v_add_u32_e32 v79, 0x120, v75
	v_mov_b32_e32 v80, v75
	v_mov_b32_e32 v74, 0
	s_mov_b64 s[8:9], 0
.LBB35_103:                             ; =>This Inner Loop Header: Depth=1
	buffer_load_dword v81, v80, s[0:3], 0 offen
	buffer_load_dword v82, v80, s[0:3], 0 offen offset:4
	ds_read_b64 v[83:84], v79
	v_add_u32_e32 v78, 1, v78
	v_cmp_lt_u32_e32 vcc, 22, v78
	v_add_u32_e32 v79, 8, v79
	s_or_b64 s[8:9], vcc, s[8:9]
	v_add_u32_e32 v80, 8, v80
	s_waitcnt vmcnt(0) lgkmcnt(0)
	v_fma_f64 v[73:74], v[81:82], v[83:84], v[73:74]
	s_andn2_b64 exec, exec, s[8:9]
	s_cbranch_execnz .LBB35_103
; %bb.104:
	s_or_b64 exec, exec, s[8:9]
	v_mov_b32_e32 v78, 0
	ds_read_b64 v[78:79], v78 offset:192
	s_waitcnt lgkmcnt(0)
	v_mul_f64 v[73:74], v[73:74], v[78:79]
	buffer_store_dword v74, off, s[0:3], 0 offset:196
	buffer_store_dword v73, off, s[0:3], 0 offset:192
.LBB35_105:
	s_or_b64 exec, exec, s[4:5]
	; wave barrier
	buffer_load_dword v73, off, s[0:3], 0 offset:200
	buffer_load_dword v74, off, s[0:3], 0 offset:204
	v_cmp_gt_u32_e32 vcc, 25, v0
	s_waitcnt vmcnt(0)
	ds_write_b64 v76, v[73:74]
	s_waitcnt lgkmcnt(0)
	; wave barrier
	s_and_saveexec_b64 s[4:5], vcc
	s_cbranch_execz .LBB35_109
; %bb.106:
	v_mov_b32_e32 v73, 0
	v_add_u32_e32 v78, -1, v0
	v_add_u32_e32 v79, 0x120, v75
	v_mov_b32_e32 v80, v75
	v_mov_b32_e32 v74, 0
	s_mov_b64 s[8:9], 0
.LBB35_107:                             ; =>This Inner Loop Header: Depth=1
	buffer_load_dword v81, v80, s[0:3], 0 offen
	buffer_load_dword v82, v80, s[0:3], 0 offen offset:4
	ds_read_b64 v[83:84], v79
	v_add_u32_e32 v78, 1, v78
	v_cmp_lt_u32_e32 vcc, 23, v78
	v_add_u32_e32 v79, 8, v79
	s_or_b64 s[8:9], vcc, s[8:9]
	v_add_u32_e32 v80, 8, v80
	s_waitcnt vmcnt(0) lgkmcnt(0)
	v_fma_f64 v[73:74], v[81:82], v[83:84], v[73:74]
	s_andn2_b64 exec, exec, s[8:9]
	s_cbranch_execnz .LBB35_107
; %bb.108:
	s_or_b64 exec, exec, s[8:9]
	v_mov_b32_e32 v78, 0
	ds_read_b64 v[78:79], v78 offset:200
	s_waitcnt lgkmcnt(0)
	v_mul_f64 v[73:74], v[73:74], v[78:79]
	buffer_store_dword v74, off, s[0:3], 0 offset:204
	buffer_store_dword v73, off, s[0:3], 0 offset:200
.LBB35_109:
	s_or_b64 exec, exec, s[4:5]
	; wave barrier
	buffer_load_dword v73, off, s[0:3], 0 offset:208
	buffer_load_dword v74, off, s[0:3], 0 offset:212
	v_cmp_gt_u32_e32 vcc, 26, v0
	;; [unrolled: 40-line block ×10, first 2 shown]
	s_waitcnt vmcnt(0)
	ds_write_b64 v76, v[73:74]
	s_waitcnt lgkmcnt(0)
	; wave barrier
	s_and_saveexec_b64 s[4:5], vcc
	s_cbranch_execz .LBB35_145
; %bb.142:
	v_mov_b32_e32 v73, 0
	v_add_u32_e32 v78, -1, v0
	v_add_u32_e32 v79, 0x120, v75
	v_mov_b32_e32 v80, v75
	v_mov_b32_e32 v74, 0
	s_mov_b64 s[8:9], 0
.LBB35_143:                             ; =>This Inner Loop Header: Depth=1
	buffer_load_dword v81, v80, s[0:3], 0 offen
	buffer_load_dword v82, v80, s[0:3], 0 offen offset:4
	ds_read_b64 v[83:84], v79
	v_add_u32_e32 v78, 1, v78
	v_cmp_lt_u32_e32 vcc, 32, v78
	v_add_u32_e32 v79, 8, v79
	s_or_b64 s[8:9], vcc, s[8:9]
	v_add_u32_e32 v80, 8, v80
	s_waitcnt vmcnt(0) lgkmcnt(0)
	v_fma_f64 v[73:74], v[81:82], v[83:84], v[73:74]
	s_andn2_b64 exec, exec, s[8:9]
	s_cbranch_execnz .LBB35_143
; %bb.144:
	s_or_b64 exec, exec, s[8:9]
	v_mov_b32_e32 v78, 0
	ds_read_b64 v[78:79], v78 offset:272
	s_waitcnt lgkmcnt(0)
	v_mul_f64 v[73:74], v[73:74], v[78:79]
	buffer_store_dword v74, off, s[0:3], 0 offset:276
	buffer_store_dword v73, off, s[0:3], 0 offset:272
.LBB35_145:
	s_or_b64 exec, exec, s[4:5]
	; wave barrier
	buffer_load_dword v73, off, s[0:3], 0 offset:280
	buffer_load_dword v74, off, s[0:3], 0 offset:284
	v_cmp_ne_u32_e32 vcc, 35, v0
	s_waitcnt vmcnt(0)
	ds_write_b64 v76, v[73:74]
	s_waitcnt lgkmcnt(0)
	; wave barrier
	s_and_saveexec_b64 s[4:5], vcc
	s_cbranch_execz .LBB35_149
; %bb.146:
	v_mov_b32_e32 v73, 0
	v_add_u32_e32 v76, 0x120, v75
	v_mov_b32_e32 v74, 0
	s_mov_b64 s[8:9], 0
.LBB35_147:                             ; =>This Inner Loop Header: Depth=1
	buffer_load_dword v78, v75, s[0:3], 0 offen
	buffer_load_dword v79, v75, s[0:3], 0 offen offset:4
	ds_read_b64 v[80:81], v76
	v_add_u32_e32 v77, 1, v77
	v_cmp_lt_u32_e32 vcc, 33, v77
	v_add_u32_e32 v76, 8, v76
	s_or_b64 s[8:9], vcc, s[8:9]
	v_add_u32_e32 v75, 8, v75
	s_waitcnt vmcnt(0) lgkmcnt(0)
	v_fma_f64 v[73:74], v[78:79], v[80:81], v[73:74]
	s_andn2_b64 exec, exec, s[8:9]
	s_cbranch_execnz .LBB35_147
; %bb.148:
	s_or_b64 exec, exec, s[8:9]
	v_mov_b32_e32 v75, 0
	ds_read_b64 v[75:76], v75 offset:280
	s_waitcnt lgkmcnt(0)
	v_mul_f64 v[73:74], v[73:74], v[75:76]
	buffer_store_dword v74, off, s[0:3], 0 offset:284
	buffer_store_dword v73, off, s[0:3], 0 offset:280
.LBB35_149:
	s_or_b64 exec, exec, s[4:5]
	s_mov_b64 s[8:9], -1
	; wave barrier
.LBB35_150:
	s_and_b64 vcc, exec, s[8:9]
	s_cbranch_vccz .LBB35_152
; %bb.151:
	s_lshl_b64 s[4:5], s[6:7], 2
	s_add_u32 s4, s10, s4
	s_addc_u32 s5, s11, s5
	v_mov_b32_e32 v73, 0
	global_load_dword v73, v73, s[4:5]
	s_waitcnt vmcnt(0)
	v_cmp_ne_u32_e32 vcc, 0, v73
	s_cbranch_vccz .LBB35_153
.LBB35_152:
	s_endpgm
.LBB35_153:
	v_mov_b32_e32 v73, 0x120
	v_lshl_add_u32 v73, v0, 3, v73
	v_cmp_eq_u32_e32 vcc, 35, v0
	s_and_saveexec_b64 s[4:5], vcc
	s_cbranch_execz .LBB35_155
; %bb.154:
	buffer_load_dword v74, off, s[0:3], 0 offset:272
	buffer_load_dword v75, off, s[0:3], 0 offset:276
	v_mov_b32_e32 v76, 0
	buffer_store_dword v76, off, s[0:3], 0 offset:272
	buffer_store_dword v76, off, s[0:3], 0 offset:276
	s_waitcnt vmcnt(2)
	ds_write_b64 v73, v[74:75]
.LBB35_155:
	s_or_b64 exec, exec, s[4:5]
	s_waitcnt lgkmcnt(0)
	; wave barrier
	buffer_load_dword v75, off, s[0:3], 0 offset:280
	buffer_load_dword v76, off, s[0:3], 0 offset:284
	buffer_load_dword v77, off, s[0:3], 0 offset:272
	buffer_load_dword v78, off, s[0:3], 0 offset:276
	v_mov_b32_e32 v74, 0
	ds_read_b64 v[79:80], v74 offset:568
	v_cmp_lt_u32_e32 vcc, 33, v0
	s_waitcnt vmcnt(2) lgkmcnt(0)
	v_fma_f64 v[75:76], v[75:76], v[79:80], 0
	s_waitcnt vmcnt(0)
	v_add_f64 v[75:76], v[77:78], -v[75:76]
	buffer_store_dword v75, off, s[0:3], 0 offset:272
	buffer_store_dword v76, off, s[0:3], 0 offset:276
	s_and_saveexec_b64 s[4:5], vcc
	s_cbranch_execz .LBB35_157
; %bb.156:
	buffer_load_dword v75, off, s[0:3], 0 offset:264
	buffer_load_dword v76, off, s[0:3], 0 offset:268
	s_waitcnt vmcnt(0)
	ds_write_b64 v73, v[75:76]
	buffer_store_dword v74, off, s[0:3], 0 offset:264
	buffer_store_dword v74, off, s[0:3], 0 offset:268
.LBB35_157:
	s_or_b64 exec, exec, s[4:5]
	s_waitcnt lgkmcnt(0)
	; wave barrier
	buffer_load_dword v78, off, s[0:3], 0 offset:272
	buffer_load_dword v79, off, s[0:3], 0 offset:276
	buffer_load_dword v80, off, s[0:3], 0 offset:280
	buffer_load_dword v81, off, s[0:3], 0 offset:284
	buffer_load_dword v82, off, s[0:3], 0 offset:264
	buffer_load_dword v83, off, s[0:3], 0 offset:268
	ds_read_b128 v[74:77], v74 offset:560
	v_cmp_lt_u32_e32 vcc, 32, v0
	s_waitcnt vmcnt(4) lgkmcnt(0)
	v_fma_f64 v[74:75], v[78:79], v[74:75], 0
	s_waitcnt vmcnt(2)
	v_fma_f64 v[74:75], v[80:81], v[76:77], v[74:75]
	s_waitcnt vmcnt(0)
	v_add_f64 v[74:75], v[82:83], -v[74:75]
	buffer_store_dword v74, off, s[0:3], 0 offset:264
	buffer_store_dword v75, off, s[0:3], 0 offset:268
	s_and_saveexec_b64 s[4:5], vcc
	s_cbranch_execz .LBB35_159
; %bb.158:
	buffer_load_dword v74, off, s[0:3], 0 offset:256
	buffer_load_dword v75, off, s[0:3], 0 offset:260
	v_mov_b32_e32 v76, 0
	buffer_store_dword v76, off, s[0:3], 0 offset:256
	buffer_store_dword v76, off, s[0:3], 0 offset:260
	s_waitcnt vmcnt(2)
	ds_write_b64 v73, v[74:75]
.LBB35_159:
	s_or_b64 exec, exec, s[4:5]
	s_waitcnt lgkmcnt(0)
	; wave barrier
	buffer_load_dword v79, off, s[0:3], 0 offset:264
	buffer_load_dword v80, off, s[0:3], 0 offset:268
	;; [unrolled: 1-line block ×8, first 2 shown]
	v_mov_b32_e32 v74, 0
	ds_read2_b64 v[75:78], v74 offset0:69 offset1:70
	ds_read_b64 v[87:88], v74 offset:568
	v_cmp_lt_u32_e32 vcc, 31, v0
	s_waitcnt vmcnt(6) lgkmcnt(1)
	v_fma_f64 v[75:76], v[79:80], v[75:76], 0
	s_waitcnt vmcnt(4)
	v_fma_f64 v[75:76], v[81:82], v[77:78], v[75:76]
	s_waitcnt vmcnt(2) lgkmcnt(0)
	v_fma_f64 v[75:76], v[83:84], v[87:88], v[75:76]
	s_waitcnt vmcnt(0)
	v_add_f64 v[75:76], v[85:86], -v[75:76]
	buffer_store_dword v75, off, s[0:3], 0 offset:256
	buffer_store_dword v76, off, s[0:3], 0 offset:260
	s_and_saveexec_b64 s[4:5], vcc
	s_cbranch_execz .LBB35_161
; %bb.160:
	buffer_load_dword v75, off, s[0:3], 0 offset:248
	buffer_load_dword v76, off, s[0:3], 0 offset:252
	s_waitcnt vmcnt(0)
	ds_write_b64 v73, v[75:76]
	buffer_store_dword v74, off, s[0:3], 0 offset:248
	buffer_store_dword v74, off, s[0:3], 0 offset:252
.LBB35_161:
	s_or_b64 exec, exec, s[4:5]
	s_waitcnt lgkmcnt(0)
	; wave barrier
	buffer_load_dword v83, off, s[0:3], 0 offset:256
	buffer_load_dword v84, off, s[0:3], 0 offset:260
	;; [unrolled: 1-line block ×10, first 2 shown]
	ds_read_b128 v[75:78], v74 offset:544
	ds_read_b128 v[79:82], v74 offset:560
	v_cmp_lt_u32_e32 vcc, 30, v0
	s_waitcnt vmcnt(8) lgkmcnt(1)
	v_fma_f64 v[74:75], v[83:84], v[75:76], 0
	s_waitcnt vmcnt(6)
	v_fma_f64 v[74:75], v[85:86], v[77:78], v[74:75]
	s_waitcnt vmcnt(4) lgkmcnt(0)
	v_fma_f64 v[74:75], v[87:88], v[79:80], v[74:75]
	s_waitcnt vmcnt(2)
	v_fma_f64 v[74:75], v[89:90], v[81:82], v[74:75]
	s_waitcnt vmcnt(0)
	v_add_f64 v[74:75], v[91:92], -v[74:75]
	buffer_store_dword v74, off, s[0:3], 0 offset:248
	buffer_store_dword v75, off, s[0:3], 0 offset:252
	s_and_saveexec_b64 s[4:5], vcc
	s_cbranch_execz .LBB35_163
; %bb.162:
	buffer_load_dword v74, off, s[0:3], 0 offset:240
	buffer_load_dword v75, off, s[0:3], 0 offset:244
	v_mov_b32_e32 v76, 0
	buffer_store_dword v76, off, s[0:3], 0 offset:240
	buffer_store_dword v76, off, s[0:3], 0 offset:244
	s_waitcnt vmcnt(2)
	ds_write_b64 v73, v[74:75]
.LBB35_163:
	s_or_b64 exec, exec, s[4:5]
	s_waitcnt lgkmcnt(0)
	; wave barrier
	buffer_load_dword v83, off, s[0:3], 0 offset:248
	buffer_load_dword v84, off, s[0:3], 0 offset:252
	;; [unrolled: 1-line block ×12, first 2 shown]
	v_mov_b32_e32 v74, 0
	ds_read2_b64 v[75:78], v74 offset0:67 offset1:68
	ds_read2_b64 v[79:82], v74 offset0:69 offset1:70
	v_cmp_lt_u32_e32 vcc, 29, v0
	s_waitcnt vmcnt(10) lgkmcnt(1)
	v_fma_f64 v[75:76], v[83:84], v[75:76], 0
	s_waitcnt vmcnt(8)
	v_fma_f64 v[75:76], v[85:86], v[77:78], v[75:76]
	ds_read_b64 v[77:78], v74 offset:568
	s_waitcnt vmcnt(6) lgkmcnt(1)
	v_fma_f64 v[75:76], v[87:88], v[79:80], v[75:76]
	s_waitcnt vmcnt(4)
	v_fma_f64 v[75:76], v[89:90], v[81:82], v[75:76]
	s_waitcnt vmcnt(2) lgkmcnt(0)
	v_fma_f64 v[75:76], v[91:92], v[77:78], v[75:76]
	s_waitcnt vmcnt(0)
	v_add_f64 v[75:76], v[93:94], -v[75:76]
	buffer_store_dword v75, off, s[0:3], 0 offset:240
	buffer_store_dword v76, off, s[0:3], 0 offset:244
	s_and_saveexec_b64 s[4:5], vcc
	s_cbranch_execz .LBB35_165
; %bb.164:
	buffer_load_dword v75, off, s[0:3], 0 offset:232
	buffer_load_dword v76, off, s[0:3], 0 offset:236
	s_waitcnt vmcnt(0)
	ds_write_b64 v73, v[75:76]
	buffer_store_dword v74, off, s[0:3], 0 offset:232
	buffer_store_dword v74, off, s[0:3], 0 offset:236
.LBB35_165:
	s_or_b64 exec, exec, s[4:5]
	s_waitcnt lgkmcnt(0)
	; wave barrier
	buffer_load_dword v83, off, s[0:3], 0 offset:240
	buffer_load_dword v84, off, s[0:3], 0 offset:244
	;; [unrolled: 1-line block ×14, first 2 shown]
	ds_read_b128 v[75:78], v74 offset:528
	ds_read_b128 v[79:82], v74 offset:544
	v_cmp_lt_u32_e32 vcc, 28, v0
	s_waitcnt vmcnt(12) lgkmcnt(1)
	v_fma_f64 v[75:76], v[83:84], v[75:76], 0
	s_waitcnt vmcnt(10)
	v_fma_f64 v[75:76], v[85:86], v[77:78], v[75:76]
	s_waitcnt vmcnt(8) lgkmcnt(0)
	v_fma_f64 v[75:76], v[87:88], v[79:80], v[75:76]
	s_waitcnt vmcnt(6)
	v_fma_f64 v[78:79], v[89:90], v[81:82], v[75:76]
	ds_read_b128 v[74:77], v74 offset:560
	s_waitcnt vmcnt(4) lgkmcnt(0)
	v_fma_f64 v[74:75], v[91:92], v[74:75], v[78:79]
	s_waitcnt vmcnt(2)
	v_fma_f64 v[74:75], v[93:94], v[76:77], v[74:75]
	s_waitcnt vmcnt(0)
	v_add_f64 v[74:75], v[95:96], -v[74:75]
	buffer_store_dword v74, off, s[0:3], 0 offset:232
	buffer_store_dword v75, off, s[0:3], 0 offset:236
	s_and_saveexec_b64 s[4:5], vcc
	s_cbranch_execz .LBB35_167
; %bb.166:
	buffer_load_dword v74, off, s[0:3], 0 offset:224
	buffer_load_dword v75, off, s[0:3], 0 offset:228
	v_mov_b32_e32 v76, 0
	buffer_store_dword v76, off, s[0:3], 0 offset:224
	buffer_store_dword v76, off, s[0:3], 0 offset:228
	s_waitcnt vmcnt(2)
	ds_write_b64 v73, v[74:75]
.LBB35_167:
	s_or_b64 exec, exec, s[4:5]
	s_waitcnt lgkmcnt(0)
	; wave barrier
	buffer_load_dword v83, off, s[0:3], 0 offset:232
	buffer_load_dword v84, off, s[0:3], 0 offset:236
	buffer_load_dword v85, off, s[0:3], 0 offset:240
	buffer_load_dword v86, off, s[0:3], 0 offset:244
	buffer_load_dword v87, off, s[0:3], 0 offset:248
	buffer_load_dword v88, off, s[0:3], 0 offset:252
	buffer_load_dword v89, off, s[0:3], 0 offset:256
	buffer_load_dword v90, off, s[0:3], 0 offset:260
	buffer_load_dword v91, off, s[0:3], 0 offset:264
	buffer_load_dword v92, off, s[0:3], 0 offset:268
	buffer_load_dword v93, off, s[0:3], 0 offset:272
	buffer_load_dword v94, off, s[0:3], 0 offset:276
	buffer_load_dword v95, off, s[0:3], 0 offset:280
	buffer_load_dword v96, off, s[0:3], 0 offset:284
	buffer_load_dword v97, off, s[0:3], 0 offset:224
	buffer_load_dword v98, off, s[0:3], 0 offset:228
	v_mov_b32_e32 v74, 0
	ds_read2_b64 v[75:78], v74 offset0:65 offset1:66
	ds_read2_b64 v[79:82], v74 offset0:67 offset1:68
	v_cmp_lt_u32_e32 vcc, 27, v0
	s_waitcnt vmcnt(14) lgkmcnt(1)
	v_fma_f64 v[75:76], v[83:84], v[75:76], 0
	s_waitcnt vmcnt(12)
	v_fma_f64 v[75:76], v[85:86], v[77:78], v[75:76]
	s_waitcnt vmcnt(10) lgkmcnt(0)
	v_fma_f64 v[75:76], v[87:88], v[79:80], v[75:76]
	s_waitcnt vmcnt(8)
	v_fma_f64 v[79:80], v[89:90], v[81:82], v[75:76]
	ds_read2_b64 v[75:78], v74 offset0:69 offset1:70
	ds_read_b64 v[81:82], v74 offset:568
	s_waitcnt vmcnt(6) lgkmcnt(1)
	v_fma_f64 v[75:76], v[91:92], v[75:76], v[79:80]
	s_waitcnt vmcnt(4)
	v_fma_f64 v[75:76], v[93:94], v[77:78], v[75:76]
	s_waitcnt vmcnt(2) lgkmcnt(0)
	v_fma_f64 v[75:76], v[95:96], v[81:82], v[75:76]
	s_waitcnt vmcnt(0)
	v_add_f64 v[75:76], v[97:98], -v[75:76]
	buffer_store_dword v75, off, s[0:3], 0 offset:224
	buffer_store_dword v76, off, s[0:3], 0 offset:228
	s_and_saveexec_b64 s[4:5], vcc
	s_cbranch_execz .LBB35_169
; %bb.168:
	buffer_load_dword v75, off, s[0:3], 0 offset:216
	buffer_load_dword v76, off, s[0:3], 0 offset:220
	s_waitcnt vmcnt(0)
	ds_write_b64 v73, v[75:76]
	buffer_store_dword v74, off, s[0:3], 0 offset:216
	buffer_store_dword v74, off, s[0:3], 0 offset:220
.LBB35_169:
	s_or_b64 exec, exec, s[4:5]
	s_waitcnt lgkmcnt(0)
	; wave barrier
	buffer_load_dword v83, off, s[0:3], 0 offset:224
	buffer_load_dword v84, off, s[0:3], 0 offset:228
	buffer_load_dword v85, off, s[0:3], 0 offset:232
	buffer_load_dword v86, off, s[0:3], 0 offset:236
	buffer_load_dword v87, off, s[0:3], 0 offset:240
	buffer_load_dword v88, off, s[0:3], 0 offset:244
	buffer_load_dword v89, off, s[0:3], 0 offset:248
	buffer_load_dword v90, off, s[0:3], 0 offset:252
	buffer_load_dword v91, off, s[0:3], 0 offset:256
	buffer_load_dword v92, off, s[0:3], 0 offset:260
	buffer_load_dword v93, off, s[0:3], 0 offset:264
	buffer_load_dword v94, off, s[0:3], 0 offset:268
	buffer_load_dword v95, off, s[0:3], 0 offset:272
	buffer_load_dword v96, off, s[0:3], 0 offset:276
	buffer_load_dword v98, off, s[0:3], 0 offset:284
	buffer_load_dword v97, off, s[0:3], 0 offset:280
	buffer_load_dword v99, off, s[0:3], 0 offset:216
	buffer_load_dword v100, off, s[0:3], 0 offset:220
	ds_read_b128 v[75:78], v74 offset:512
	ds_read_b128 v[79:82], v74 offset:528
	v_cmp_lt_u32_e32 vcc, 26, v0
	s_waitcnt vmcnt(16) lgkmcnt(1)
	v_fma_f64 v[75:76], v[83:84], v[75:76], 0
	s_waitcnt vmcnt(14)
	v_fma_f64 v[75:76], v[85:86], v[77:78], v[75:76]
	s_waitcnt vmcnt(12) lgkmcnt(0)
	v_fma_f64 v[75:76], v[87:88], v[79:80], v[75:76]
	s_waitcnt vmcnt(10)
	v_fma_f64 v[83:84], v[89:90], v[81:82], v[75:76]
	ds_read_b128 v[75:78], v74 offset:544
	ds_read_b128 v[79:82], v74 offset:560
	s_waitcnt vmcnt(8) lgkmcnt(1)
	v_fma_f64 v[74:75], v[91:92], v[75:76], v[83:84]
	s_waitcnt vmcnt(6)
	v_fma_f64 v[74:75], v[93:94], v[77:78], v[74:75]
	s_waitcnt vmcnt(4) lgkmcnt(0)
	v_fma_f64 v[74:75], v[95:96], v[79:80], v[74:75]
	s_waitcnt vmcnt(2)
	v_fma_f64 v[74:75], v[97:98], v[81:82], v[74:75]
	s_waitcnt vmcnt(0)
	v_add_f64 v[74:75], v[99:100], -v[74:75]
	buffer_store_dword v74, off, s[0:3], 0 offset:216
	buffer_store_dword v75, off, s[0:3], 0 offset:220
	s_and_saveexec_b64 s[4:5], vcc
	s_cbranch_execz .LBB35_171
; %bb.170:
	buffer_load_dword v74, off, s[0:3], 0 offset:208
	buffer_load_dword v75, off, s[0:3], 0 offset:212
	v_mov_b32_e32 v76, 0
	buffer_store_dword v76, off, s[0:3], 0 offset:208
	buffer_store_dword v76, off, s[0:3], 0 offset:212
	s_waitcnt vmcnt(2)
	ds_write_b64 v73, v[74:75]
.LBB35_171:
	s_or_b64 exec, exec, s[4:5]
	s_waitcnt lgkmcnt(0)
	; wave barrier
	buffer_load_dword v83, off, s[0:3], 0 offset:216
	buffer_load_dword v84, off, s[0:3], 0 offset:220
	;; [unrolled: 1-line block ×20, first 2 shown]
	v_mov_b32_e32 v74, 0
	ds_read2_b64 v[75:78], v74 offset0:63 offset1:64
	ds_read2_b64 v[79:82], v74 offset0:65 offset1:66
	v_cmp_lt_u32_e32 vcc, 25, v0
	s_waitcnt vmcnt(18) lgkmcnt(1)
	v_fma_f64 v[75:76], v[83:84], v[75:76], 0
	s_waitcnt vmcnt(16)
	v_fma_f64 v[75:76], v[85:86], v[77:78], v[75:76]
	s_waitcnt vmcnt(14) lgkmcnt(0)
	v_fma_f64 v[75:76], v[87:88], v[79:80], v[75:76]
	s_waitcnt vmcnt(12)
	v_fma_f64 v[83:84], v[89:90], v[81:82], v[75:76]
	ds_read2_b64 v[75:78], v74 offset0:67 offset1:68
	ds_read2_b64 v[79:82], v74 offset0:69 offset1:70
	s_waitcnt vmcnt(10) lgkmcnt(1)
	v_fma_f64 v[75:76], v[91:92], v[75:76], v[83:84]
	s_waitcnt vmcnt(8)
	v_fma_f64 v[75:76], v[93:94], v[77:78], v[75:76]
	ds_read_b64 v[77:78], v74 offset:568
	s_waitcnt vmcnt(6) lgkmcnt(1)
	v_fma_f64 v[75:76], v[95:96], v[79:80], v[75:76]
	s_waitcnt vmcnt(3)
	v_fma_f64 v[75:76], v[97:98], v[81:82], v[75:76]
	s_waitcnt vmcnt(2) lgkmcnt(0)
	v_fma_f64 v[75:76], v[99:100], v[77:78], v[75:76]
	s_waitcnt vmcnt(0)
	v_add_f64 v[75:76], v[101:102], -v[75:76]
	buffer_store_dword v75, off, s[0:3], 0 offset:208
	buffer_store_dword v76, off, s[0:3], 0 offset:212
	s_and_saveexec_b64 s[4:5], vcc
	s_cbranch_execz .LBB35_173
; %bb.172:
	buffer_load_dword v75, off, s[0:3], 0 offset:200
	buffer_load_dword v76, off, s[0:3], 0 offset:204
	s_waitcnt vmcnt(0)
	ds_write_b64 v73, v[75:76]
	buffer_store_dword v74, off, s[0:3], 0 offset:200
	buffer_store_dword v74, off, s[0:3], 0 offset:204
.LBB35_173:
	s_or_b64 exec, exec, s[4:5]
	s_waitcnt lgkmcnt(0)
	; wave barrier
	buffer_load_dword v83, off, s[0:3], 0 offset:208
	buffer_load_dword v84, off, s[0:3], 0 offset:212
	;; [unrolled: 1-line block ×20, first 2 shown]
	ds_read_b128 v[75:78], v74 offset:496
	buffer_load_dword v103, off, s[0:3], 0 offset:200
	buffer_load_dword v104, off, s[0:3], 0 offset:204
	ds_read_b128 v[79:82], v74 offset:512
	v_cmp_lt_u32_e32 vcc, 24, v0
	s_waitcnt vmcnt(20) lgkmcnt(1)
	v_fma_f64 v[75:76], v[83:84], v[75:76], 0
	s_waitcnt vmcnt(18)
	v_fma_f64 v[75:76], v[85:86], v[77:78], v[75:76]
	s_waitcnt vmcnt(16) lgkmcnt(0)
	v_fma_f64 v[75:76], v[87:88], v[79:80], v[75:76]
	s_waitcnt vmcnt(14)
	v_fma_f64 v[83:84], v[89:90], v[81:82], v[75:76]
	ds_read_b128 v[75:78], v74 offset:528
	ds_read_b128 v[79:82], v74 offset:544
	s_waitcnt vmcnt(12) lgkmcnt(1)
	v_fma_f64 v[75:76], v[91:92], v[75:76], v[83:84]
	s_waitcnt vmcnt(10)
	v_fma_f64 v[75:76], v[93:94], v[77:78], v[75:76]
	s_waitcnt vmcnt(8) lgkmcnt(0)
	v_fma_f64 v[75:76], v[95:96], v[79:80], v[75:76]
	s_waitcnt vmcnt(4)
	v_fma_f64 v[78:79], v[97:98], v[81:82], v[75:76]
	ds_read_b128 v[74:77], v74 offset:560
	s_waitcnt vmcnt(3) lgkmcnt(0)
	v_fma_f64 v[74:75], v[101:102], v[74:75], v[78:79]
	s_waitcnt vmcnt(2)
	v_fma_f64 v[74:75], v[99:100], v[76:77], v[74:75]
	s_waitcnt vmcnt(0)
	v_add_f64 v[74:75], v[103:104], -v[74:75]
	buffer_store_dword v74, off, s[0:3], 0 offset:200
	buffer_store_dword v75, off, s[0:3], 0 offset:204
	s_and_saveexec_b64 s[4:5], vcc
	s_cbranch_execz .LBB35_175
; %bb.174:
	buffer_load_dword v74, off, s[0:3], 0 offset:192
	buffer_load_dword v75, off, s[0:3], 0 offset:196
	v_mov_b32_e32 v76, 0
	buffer_store_dword v76, off, s[0:3], 0 offset:192
	buffer_store_dword v76, off, s[0:3], 0 offset:196
	s_waitcnt vmcnt(2)
	ds_write_b64 v73, v[74:75]
.LBB35_175:
	s_or_b64 exec, exec, s[4:5]
	s_waitcnt lgkmcnt(0)
	; wave barrier
	buffer_load_dword v83, off, s[0:3], 0 offset:200
	buffer_load_dword v84, off, s[0:3], 0 offset:204
	;; [unrolled: 1-line block ×21, first 2 shown]
	v_mov_b32_e32 v74, 0
	ds_read2_b64 v[75:78], v74 offset0:61 offset1:62
	ds_read2_b64 v[79:82], v74 offset0:63 offset1:64
	buffer_load_dword v100, off, s[0:3], 0 offset:284
	v_cmp_lt_u32_e32 vcc, 23, v0
	s_waitcnt vmcnt(20) lgkmcnt(1)
	v_fma_f64 v[75:76], v[83:84], v[75:76], 0
	buffer_load_dword v83, off, s[0:3], 0 offset:192
	buffer_load_dword v84, off, s[0:3], 0 offset:196
	s_waitcnt vmcnt(20)
	v_fma_f64 v[75:76], v[85:86], v[77:78], v[75:76]
	s_waitcnt vmcnt(18) lgkmcnt(0)
	v_fma_f64 v[75:76], v[87:88], v[79:80], v[75:76]
	s_waitcnt vmcnt(16)
	v_fma_f64 v[85:86], v[89:90], v[81:82], v[75:76]
	ds_read2_b64 v[75:78], v74 offset0:65 offset1:66
	ds_read2_b64 v[79:82], v74 offset0:67 offset1:68
	s_waitcnt vmcnt(14) lgkmcnt(1)
	v_fma_f64 v[75:76], v[91:92], v[75:76], v[85:86]
	s_waitcnt vmcnt(12)
	v_fma_f64 v[75:76], v[93:94], v[77:78], v[75:76]
	s_waitcnt vmcnt(10) lgkmcnt(0)
	v_fma_f64 v[75:76], v[95:96], v[79:80], v[75:76]
	s_waitcnt vmcnt(5)
	v_fma_f64 v[79:80], v[97:98], v[81:82], v[75:76]
	ds_read2_b64 v[75:78], v74 offset0:69 offset1:70
	ds_read_b64 v[81:82], v74 offset:568
	s_waitcnt vmcnt(4) lgkmcnt(1)
	v_fma_f64 v[75:76], v[103:104], v[75:76], v[79:80]
	s_waitcnt vmcnt(3)
	v_fma_f64 v[75:76], v[101:102], v[77:78], v[75:76]
	s_waitcnt vmcnt(2) lgkmcnt(0)
	v_fma_f64 v[75:76], v[99:100], v[81:82], v[75:76]
	s_waitcnt vmcnt(0)
	v_add_f64 v[75:76], v[83:84], -v[75:76]
	buffer_store_dword v76, off, s[0:3], 0 offset:196
	buffer_store_dword v75, off, s[0:3], 0 offset:192
	s_and_saveexec_b64 s[4:5], vcc
	s_cbranch_execz .LBB35_177
; %bb.176:
	buffer_load_dword v75, off, s[0:3], 0 offset:184
	buffer_load_dword v76, off, s[0:3], 0 offset:188
	s_waitcnt vmcnt(0)
	ds_write_b64 v73, v[75:76]
	buffer_store_dword v74, off, s[0:3], 0 offset:184
	buffer_store_dword v74, off, s[0:3], 0 offset:188
.LBB35_177:
	s_or_b64 exec, exec, s[4:5]
	s_waitcnt lgkmcnt(0)
	; wave barrier
	buffer_load_dword v83, off, s[0:3], 0 offset:192
	buffer_load_dword v84, off, s[0:3], 0 offset:196
	;; [unrolled: 1-line block ×21, first 2 shown]
	ds_read_b128 v[75:78], v74 offset:480
	ds_read_b128 v[79:82], v74 offset:496
	buffer_load_dword v100, off, s[0:3], 0 offset:276
	v_cmp_lt_u32_e32 vcc, 22, v0
	s_waitcnt vmcnt(20) lgkmcnt(1)
	v_fma_f64 v[75:76], v[83:84], v[75:76], 0
	buffer_load_dword v84, off, s[0:3], 0 offset:284
	buffer_load_dword v83, off, s[0:3], 0 offset:280
	s_waitcnt vmcnt(20)
	v_fma_f64 v[75:76], v[85:86], v[77:78], v[75:76]
	buffer_load_dword v85, off, s[0:3], 0 offset:184
	buffer_load_dword v86, off, s[0:3], 0 offset:188
	s_waitcnt vmcnt(20) lgkmcnt(0)
	v_fma_f64 v[75:76], v[87:88], v[79:80], v[75:76]
	s_waitcnt vmcnt(18)
	v_fma_f64 v[87:88], v[89:90], v[81:82], v[75:76]
	ds_read_b128 v[75:78], v74 offset:512
	ds_read_b128 v[79:82], v74 offset:528
	s_waitcnt vmcnt(16) lgkmcnt(1)
	v_fma_f64 v[75:76], v[91:92], v[75:76], v[87:88]
	s_waitcnt vmcnt(14)
	v_fma_f64 v[75:76], v[93:94], v[77:78], v[75:76]
	s_waitcnt vmcnt(12) lgkmcnt(0)
	v_fma_f64 v[75:76], v[95:96], v[79:80], v[75:76]
	s_waitcnt vmcnt(7)
	v_fma_f64 v[87:88], v[97:98], v[81:82], v[75:76]
	ds_read_b128 v[75:78], v74 offset:544
	ds_read_b128 v[79:82], v74 offset:560
	s_waitcnt vmcnt(6) lgkmcnt(1)
	v_fma_f64 v[74:75], v[103:104], v[75:76], v[87:88]
	s_waitcnt vmcnt(5)
	v_fma_f64 v[74:75], v[101:102], v[77:78], v[74:75]
	s_waitcnt vmcnt(4) lgkmcnt(0)
	v_fma_f64 v[74:75], v[99:100], v[79:80], v[74:75]
	s_waitcnt vmcnt(2)
	v_fma_f64 v[74:75], v[83:84], v[81:82], v[74:75]
	s_waitcnt vmcnt(0)
	v_add_f64 v[74:75], v[85:86], -v[74:75]
	buffer_store_dword v75, off, s[0:3], 0 offset:188
	buffer_store_dword v74, off, s[0:3], 0 offset:184
	s_and_saveexec_b64 s[4:5], vcc
	s_cbranch_execz .LBB35_179
; %bb.178:
	buffer_load_dword v74, off, s[0:3], 0 offset:176
	buffer_load_dword v75, off, s[0:3], 0 offset:180
	v_mov_b32_e32 v76, 0
	buffer_store_dword v76, off, s[0:3], 0 offset:176
	buffer_store_dword v76, off, s[0:3], 0 offset:180
	s_waitcnt vmcnt(2)
	ds_write_b64 v73, v[74:75]
.LBB35_179:
	s_or_b64 exec, exec, s[4:5]
	s_waitcnt lgkmcnt(0)
	; wave barrier
	buffer_load_dword v83, off, s[0:3], 0 offset:184
	buffer_load_dword v84, off, s[0:3], 0 offset:188
	;; [unrolled: 1-line block ×21, first 2 shown]
	v_mov_b32_e32 v74, 0
	ds_read2_b64 v[75:78], v74 offset0:59 offset1:60
	ds_read2_b64 v[79:82], v74 offset0:61 offset1:62
	buffer_load_dword v100, off, s[0:3], 0 offset:268
	v_cmp_lt_u32_e32 vcc, 21, v0
	s_waitcnt vmcnt(20) lgkmcnt(1)
	v_fma_f64 v[75:76], v[83:84], v[75:76], 0
	s_waitcnt vmcnt(18)
	v_fma_f64 v[75:76], v[85:86], v[77:78], v[75:76]
	buffer_load_dword v84, off, s[0:3], 0 offset:276
	buffer_load_dword v85, off, s[0:3], 0 offset:280
	;; [unrolled: 1-line block ×4, first 2 shown]
	s_waitcnt vmcnt(20) lgkmcnt(0)
	v_fma_f64 v[75:76], v[87:88], v[79:80], v[75:76]
	buffer_load_dword v87, off, s[0:3], 0 offset:176
	buffer_load_dword v88, off, s[0:3], 0 offset:180
	s_waitcnt vmcnt(20)
	v_fma_f64 v[89:90], v[89:90], v[81:82], v[75:76]
	ds_read2_b64 v[75:78], v74 offset0:63 offset1:64
	ds_read2_b64 v[79:82], v74 offset0:65 offset1:66
	s_waitcnt vmcnt(18) lgkmcnt(1)
	v_fma_f64 v[75:76], v[91:92], v[75:76], v[89:90]
	s_waitcnt vmcnt(16)
	v_fma_f64 v[75:76], v[93:94], v[77:78], v[75:76]
	s_waitcnt vmcnt(14) lgkmcnt(0)
	v_fma_f64 v[75:76], v[95:96], v[79:80], v[75:76]
	s_waitcnt vmcnt(9)
	v_fma_f64 v[89:90], v[97:98], v[81:82], v[75:76]
	ds_read2_b64 v[75:78], v74 offset0:67 offset1:68
	ds_read2_b64 v[79:82], v74 offset0:69 offset1:70
	s_waitcnt vmcnt(8) lgkmcnt(1)
	v_fma_f64 v[75:76], v[103:104], v[75:76], v[89:90]
	s_waitcnt vmcnt(7)
	v_fma_f64 v[75:76], v[101:102], v[77:78], v[75:76]
	ds_read_b64 v[77:78], v74 offset:568
	s_waitcnt vmcnt(6) lgkmcnt(1)
	v_fma_f64 v[75:76], v[99:100], v[79:80], v[75:76]
	s_waitcnt vmcnt(3)
	v_fma_f64 v[75:76], v[83:84], v[81:82], v[75:76]
	s_waitcnt vmcnt(2) lgkmcnt(0)
	v_fma_f64 v[75:76], v[85:86], v[77:78], v[75:76]
	s_waitcnt vmcnt(0)
	v_add_f64 v[75:76], v[87:88], -v[75:76]
	buffer_store_dword v76, off, s[0:3], 0 offset:180
	buffer_store_dword v75, off, s[0:3], 0 offset:176
	s_and_saveexec_b64 s[4:5], vcc
	s_cbranch_execz .LBB35_181
; %bb.180:
	buffer_load_dword v75, off, s[0:3], 0 offset:168
	buffer_load_dword v76, off, s[0:3], 0 offset:172
	s_waitcnt vmcnt(0)
	ds_write_b64 v73, v[75:76]
	buffer_store_dword v74, off, s[0:3], 0 offset:168
	buffer_store_dword v74, off, s[0:3], 0 offset:172
.LBB35_181:
	s_or_b64 exec, exec, s[4:5]
	s_waitcnt lgkmcnt(0)
	; wave barrier
	buffer_load_dword v83, off, s[0:3], 0 offset:176
	buffer_load_dword v84, off, s[0:3], 0 offset:180
	;; [unrolled: 1-line block ×22, first 2 shown]
	ds_read_b128 v[75:78], v74 offset:464
	ds_read_b128 v[79:82], v74 offset:480
	v_cmp_lt_u32_e32 vcc, 20, v0
	s_waitcnt vmcnt(20) lgkmcnt(1)
	v_fma_f64 v[75:76], v[83:84], v[75:76], 0
	s_waitcnt vmcnt(18)
	v_fma_f64 v[75:76], v[85:86], v[77:78], v[75:76]
	buffer_load_dword v84, off, s[0:3], 0 offset:268
	buffer_load_dword v85, off, s[0:3], 0 offset:280
	;; [unrolled: 1-line block ×6, first 2 shown]
	s_waitcnt vmcnt(22) lgkmcnt(0)
	v_fma_f64 v[75:76], v[87:88], v[79:80], v[75:76]
	s_waitcnt vmcnt(20)
	v_fma_f64 v[87:88], v[89:90], v[81:82], v[75:76]
	ds_read_b128 v[75:78], v74 offset:496
	buffer_load_dword v89, off, s[0:3], 0 offset:168
	buffer_load_dword v90, off, s[0:3], 0 offset:172
	ds_read_b128 v[79:82], v74 offset:512
	s_waitcnt vmcnt(20) lgkmcnt(1)
	v_fma_f64 v[75:76], v[91:92], v[75:76], v[87:88]
	s_waitcnt vmcnt(18)
	v_fma_f64 v[75:76], v[93:94], v[77:78], v[75:76]
	s_waitcnt vmcnt(16) lgkmcnt(0)
	v_fma_f64 v[75:76], v[95:96], v[79:80], v[75:76]
	s_waitcnt vmcnt(11)
	v_fma_f64 v[87:88], v[97:98], v[81:82], v[75:76]
	ds_read_b128 v[75:78], v74 offset:528
	ds_read_b128 v[79:82], v74 offset:544
	s_waitcnt vmcnt(10) lgkmcnt(1)
	v_fma_f64 v[75:76], v[103:104], v[75:76], v[87:88]
	s_waitcnt vmcnt(9)
	v_fma_f64 v[75:76], v[101:102], v[77:78], v[75:76]
	s_waitcnt vmcnt(8) lgkmcnt(0)
	v_fma_f64 v[75:76], v[99:100], v[79:80], v[75:76]
	s_waitcnt vmcnt(4)
	v_fma_f64 v[78:79], v[83:84], v[81:82], v[75:76]
	ds_read_b128 v[74:77], v74 offset:560
	s_waitcnt vmcnt(3) lgkmcnt(0)
	v_fma_f64 v[74:75], v[105:106], v[74:75], v[78:79]
	s_waitcnt vmcnt(2)
	v_fma_f64 v[74:75], v[85:86], v[76:77], v[74:75]
	s_waitcnt vmcnt(0)
	v_add_f64 v[74:75], v[89:90], -v[74:75]
	buffer_store_dword v75, off, s[0:3], 0 offset:172
	buffer_store_dword v74, off, s[0:3], 0 offset:168
	s_and_saveexec_b64 s[4:5], vcc
	s_cbranch_execz .LBB35_183
; %bb.182:
	buffer_load_dword v74, off, s[0:3], 0 offset:160
	buffer_load_dword v75, off, s[0:3], 0 offset:164
	v_mov_b32_e32 v76, 0
	buffer_store_dword v76, off, s[0:3], 0 offset:160
	buffer_store_dword v76, off, s[0:3], 0 offset:164
	s_waitcnt vmcnt(2)
	ds_write_b64 v73, v[74:75]
.LBB35_183:
	s_or_b64 exec, exec, s[4:5]
	s_waitcnt lgkmcnt(0)
	; wave barrier
	buffer_load_dword v83, off, s[0:3], 0 offset:168
	buffer_load_dword v84, off, s[0:3], 0 offset:172
	buffer_load_dword v85, off, s[0:3], 0 offset:176
	buffer_load_dword v86, off, s[0:3], 0 offset:180
	buffer_load_dword v87, off, s[0:3], 0 offset:184
	buffer_load_dword v88, off, s[0:3], 0 offset:188
	buffer_load_dword v89, off, s[0:3], 0 offset:192
	buffer_load_dword v90, off, s[0:3], 0 offset:196
	buffer_load_dword v91, off, s[0:3], 0 offset:200
	buffer_load_dword v92, off, s[0:3], 0 offset:204
	buffer_load_dword v93, off, s[0:3], 0 offset:208
	buffer_load_dword v94, off, s[0:3], 0 offset:212
	buffer_load_dword v95, off, s[0:3], 0 offset:216
	buffer_load_dword v96, off, s[0:3], 0 offset:220
	buffer_load_dword v98, off, s[0:3], 0 offset:228
	buffer_load_dword v99, off, s[0:3], 0 offset:248
	buffer_load_dword v101, off, s[0:3], 0 offset:240
	buffer_load_dword v103, off, s[0:3], 0 offset:232
	buffer_load_dword v97, off, s[0:3], 0 offset:224
	buffer_load_dword v104, off, s[0:3], 0 offset:236
	buffer_load_dword v102, off, s[0:3], 0 offset:244
	buffer_load_dword v100, off, s[0:3], 0 offset:252
	v_mov_b32_e32 v74, 0
	ds_read2_b64 v[75:78], v74 offset0:57 offset1:58
	ds_read2_b64 v[79:82], v74 offset0:59 offset1:60
	v_cmp_lt_u32_e32 vcc, 19, v0
	s_waitcnt vmcnt(20) lgkmcnt(1)
	v_fma_f64 v[75:76], v[83:84], v[75:76], 0
	s_waitcnt vmcnt(18)
	v_fma_f64 v[75:76], v[85:86], v[77:78], v[75:76]
	buffer_load_dword v84, off, s[0:3], 0 offset:260
	buffer_load_dword v85, off, s[0:3], 0 offset:280
	buffer_load_dword v105, off, s[0:3], 0 offset:272
	buffer_load_dword v107, off, s[0:3], 0 offset:264
	buffer_load_dword v83, off, s[0:3], 0 offset:256
	buffer_load_dword v108, off, s[0:3], 0 offset:268
	buffer_load_dword v106, off, s[0:3], 0 offset:276
	buffer_load_dword v86, off, s[0:3], 0 offset:284
	s_waitcnt vmcnt(24) lgkmcnt(0)
	v_fma_f64 v[75:76], v[87:88], v[79:80], v[75:76]
	s_waitcnt vmcnt(22)
	v_fma_f64 v[87:88], v[89:90], v[81:82], v[75:76]
	ds_read2_b64 v[75:78], v74 offset0:61 offset1:62
	ds_read2_b64 v[79:82], v74 offset0:63 offset1:64
	s_waitcnt vmcnt(20) lgkmcnt(1)
	v_fma_f64 v[75:76], v[91:92], v[75:76], v[87:88]
	buffer_load_dword v87, off, s[0:3], 0 offset:160
	buffer_load_dword v88, off, s[0:3], 0 offset:164
	s_waitcnt vmcnt(20)
	v_fma_f64 v[75:76], v[93:94], v[77:78], v[75:76]
	s_waitcnt vmcnt(18) lgkmcnt(0)
	v_fma_f64 v[75:76], v[95:96], v[79:80], v[75:76]
	s_waitcnt vmcnt(13)
	v_fma_f64 v[89:90], v[97:98], v[81:82], v[75:76]
	ds_read2_b64 v[75:78], v74 offset0:65 offset1:66
	ds_read2_b64 v[79:82], v74 offset0:67 offset1:68
	s_waitcnt vmcnt(12) lgkmcnt(1)
	v_fma_f64 v[75:76], v[103:104], v[75:76], v[89:90]
	s_waitcnt vmcnt(11)
	v_fma_f64 v[75:76], v[101:102], v[77:78], v[75:76]
	s_waitcnt vmcnt(10) lgkmcnt(0)
	v_fma_f64 v[75:76], v[99:100], v[79:80], v[75:76]
	s_waitcnt vmcnt(5)
	v_fma_f64 v[79:80], v[83:84], v[81:82], v[75:76]
	ds_read2_b64 v[75:78], v74 offset0:69 offset1:70
	ds_read_b64 v[81:82], v74 offset:568
	s_waitcnt vmcnt(4) lgkmcnt(1)
	v_fma_f64 v[75:76], v[107:108], v[75:76], v[79:80]
	s_waitcnt vmcnt(3)
	v_fma_f64 v[75:76], v[105:106], v[77:78], v[75:76]
	s_waitcnt vmcnt(2) lgkmcnt(0)
	v_fma_f64 v[75:76], v[85:86], v[81:82], v[75:76]
	s_waitcnt vmcnt(0)
	v_add_f64 v[75:76], v[87:88], -v[75:76]
	buffer_store_dword v76, off, s[0:3], 0 offset:164
	buffer_store_dword v75, off, s[0:3], 0 offset:160
	s_and_saveexec_b64 s[4:5], vcc
	s_cbranch_execz .LBB35_185
; %bb.184:
	buffer_load_dword v75, off, s[0:3], 0 offset:152
	buffer_load_dword v76, off, s[0:3], 0 offset:156
	s_waitcnt vmcnt(0)
	ds_write_b64 v73, v[75:76]
	buffer_store_dword v74, off, s[0:3], 0 offset:152
	buffer_store_dword v74, off, s[0:3], 0 offset:156
.LBB35_185:
	s_or_b64 exec, exec, s[4:5]
	s_waitcnt lgkmcnt(0)
	; wave barrier
	buffer_load_dword v83, off, s[0:3], 0 offset:160
	buffer_load_dword v84, off, s[0:3], 0 offset:164
	;; [unrolled: 1-line block ×22, first 2 shown]
	ds_read_b128 v[75:78], v74 offset:448
	ds_read_b128 v[79:82], v74 offset:464
	v_cmp_lt_u32_e32 vcc, 18, v0
	s_waitcnt vmcnt(20) lgkmcnt(1)
	v_fma_f64 v[75:76], v[83:84], v[75:76], 0
	s_waitcnt vmcnt(18)
	v_fma_f64 v[75:76], v[85:86], v[77:78], v[75:76]
	buffer_load_dword v84, off, s[0:3], 0 offset:252
	buffer_load_dword v85, off, s[0:3], 0 offset:272
	;; [unrolled: 1-line block ×8, first 2 shown]
	s_waitcnt vmcnt(24) lgkmcnt(0)
	v_fma_f64 v[75:76], v[87:88], v[79:80], v[75:76]
	s_waitcnt vmcnt(22)
	v_fma_f64 v[87:88], v[89:90], v[81:82], v[75:76]
	ds_read_b128 v[75:78], v74 offset:480
	ds_read_b128 v[79:82], v74 offset:496
	s_waitcnt vmcnt(20) lgkmcnt(1)
	v_fma_f64 v[75:76], v[91:92], v[75:76], v[87:88]
	buffer_load_dword v88, off, s[0:3], 0 offset:284
	buffer_load_dword v87, off, s[0:3], 0 offset:280
	buffer_load_dword v89, off, s[0:3], 0 offset:152
	buffer_load_dword v90, off, s[0:3], 0 offset:156
	s_waitcnt vmcnt(22)
	v_fma_f64 v[75:76], v[93:94], v[77:78], v[75:76]
	s_waitcnt vmcnt(20) lgkmcnt(0)
	v_fma_f64 v[75:76], v[95:96], v[79:80], v[75:76]
	s_waitcnt vmcnt(15)
	v_fma_f64 v[91:92], v[97:98], v[81:82], v[75:76]
	ds_read_b128 v[75:78], v74 offset:512
	ds_read_b128 v[79:82], v74 offset:528
	s_waitcnt vmcnt(14) lgkmcnt(1)
	v_fma_f64 v[75:76], v[103:104], v[75:76], v[91:92]
	s_waitcnt vmcnt(13)
	v_fma_f64 v[75:76], v[101:102], v[77:78], v[75:76]
	s_waitcnt vmcnt(12) lgkmcnt(0)
	v_fma_f64 v[75:76], v[99:100], v[79:80], v[75:76]
	s_waitcnt vmcnt(7)
	v_fma_f64 v[83:84], v[83:84], v[81:82], v[75:76]
	ds_read_b128 v[75:78], v74 offset:544
	ds_read_b128 v[79:82], v74 offset:560
	s_waitcnt vmcnt(6) lgkmcnt(1)
	v_fma_f64 v[74:75], v[107:108], v[75:76], v[83:84]
	s_waitcnt vmcnt(5)
	v_fma_f64 v[74:75], v[105:106], v[77:78], v[74:75]
	s_waitcnt vmcnt(4) lgkmcnt(0)
	v_fma_f64 v[74:75], v[85:86], v[79:80], v[74:75]
	s_waitcnt vmcnt(2)
	v_fma_f64 v[74:75], v[87:88], v[81:82], v[74:75]
	s_waitcnt vmcnt(0)
	v_add_f64 v[74:75], v[89:90], -v[74:75]
	buffer_store_dword v75, off, s[0:3], 0 offset:156
	buffer_store_dword v74, off, s[0:3], 0 offset:152
	s_and_saveexec_b64 s[4:5], vcc
	s_cbranch_execz .LBB35_187
; %bb.186:
	buffer_load_dword v74, off, s[0:3], 0 offset:144
	buffer_load_dword v75, off, s[0:3], 0 offset:148
	v_mov_b32_e32 v76, 0
	buffer_store_dword v76, off, s[0:3], 0 offset:144
	buffer_store_dword v76, off, s[0:3], 0 offset:148
	s_waitcnt vmcnt(2)
	ds_write_b64 v73, v[74:75]
.LBB35_187:
	s_or_b64 exec, exec, s[4:5]
	s_waitcnt lgkmcnt(0)
	; wave barrier
	buffer_load_dword v83, off, s[0:3], 0 offset:152
	buffer_load_dword v84, off, s[0:3], 0 offset:156
	buffer_load_dword v85, off, s[0:3], 0 offset:160
	buffer_load_dword v86, off, s[0:3], 0 offset:164
	buffer_load_dword v87, off, s[0:3], 0 offset:168
	buffer_load_dword v88, off, s[0:3], 0 offset:172
	buffer_load_dword v89, off, s[0:3], 0 offset:176
	buffer_load_dword v90, off, s[0:3], 0 offset:180
	buffer_load_dword v91, off, s[0:3], 0 offset:184
	buffer_load_dword v92, off, s[0:3], 0 offset:188
	buffer_load_dword v93, off, s[0:3], 0 offset:192
	buffer_load_dword v94, off, s[0:3], 0 offset:196
	buffer_load_dword v95, off, s[0:3], 0 offset:200
	buffer_load_dword v96, off, s[0:3], 0 offset:204
	buffer_load_dword v98, off, s[0:3], 0 offset:212
	buffer_load_dword v99, off, s[0:3], 0 offset:232
	buffer_load_dword v101, off, s[0:3], 0 offset:224
	buffer_load_dword v103, off, s[0:3], 0 offset:216
	buffer_load_dword v97, off, s[0:3], 0 offset:208
	buffer_load_dword v104, off, s[0:3], 0 offset:220
	buffer_load_dword v102, off, s[0:3], 0 offset:228
	buffer_load_dword v100, off, s[0:3], 0 offset:236
	v_mov_b32_e32 v74, 0
	ds_read2_b64 v[75:78], v74 offset0:55 offset1:56
	ds_read2_b64 v[79:82], v74 offset0:57 offset1:58
	v_cmp_lt_u32_e32 vcc, 17, v0
	s_waitcnt vmcnt(20) lgkmcnt(1)
	v_fma_f64 v[75:76], v[83:84], v[75:76], 0
	s_waitcnt vmcnt(18)
	v_fma_f64 v[75:76], v[85:86], v[77:78], v[75:76]
	buffer_load_dword v84, off, s[0:3], 0 offset:244
	buffer_load_dword v85, off, s[0:3], 0 offset:264
	;; [unrolled: 1-line block ×7, first 2 shown]
	s_waitcnt vmcnt(23) lgkmcnt(0)
	v_fma_f64 v[75:76], v[87:88], v[79:80], v[75:76]
	s_waitcnt vmcnt(21)
	v_fma_f64 v[86:87], v[89:90], v[81:82], v[75:76]
	ds_read2_b64 v[75:78], v74 offset0:59 offset1:60
	ds_read2_b64 v[79:82], v74 offset0:61 offset1:62
	s_waitcnt vmcnt(19) lgkmcnt(1)
	v_fma_f64 v[75:76], v[91:92], v[75:76], v[86:87]
	buffer_load_dword v86, off, s[0:3], 0 offset:268
	buffer_load_dword v88, off, s[0:3], 0 offset:276
	;; [unrolled: 1-line block ×7, first 2 shown]
	s_waitcnt vmcnt(24)
	v_fma_f64 v[75:76], v[93:94], v[77:78], v[75:76]
	s_waitcnt vmcnt(22) lgkmcnt(0)
	v_fma_f64 v[75:76], v[95:96], v[79:80], v[75:76]
	s_waitcnt vmcnt(17)
	v_fma_f64 v[93:94], v[97:98], v[81:82], v[75:76]
	ds_read2_b64 v[75:78], v74 offset0:63 offset1:64
	ds_read2_b64 v[79:82], v74 offset0:65 offset1:66
	s_waitcnt vmcnt(16) lgkmcnt(1)
	v_fma_f64 v[75:76], v[103:104], v[75:76], v[93:94]
	s_waitcnt vmcnt(15)
	v_fma_f64 v[75:76], v[101:102], v[77:78], v[75:76]
	s_waitcnt vmcnt(14) lgkmcnt(0)
	v_fma_f64 v[75:76], v[99:100], v[79:80], v[75:76]
	s_waitcnt vmcnt(9)
	v_fma_f64 v[83:84], v[83:84], v[81:82], v[75:76]
	ds_read2_b64 v[75:78], v74 offset0:67 offset1:68
	ds_read2_b64 v[79:82], v74 offset0:69 offset1:70
	s_waitcnt vmcnt(8) lgkmcnt(1)
	v_fma_f64 v[75:76], v[107:108], v[75:76], v[83:84]
	s_waitcnt vmcnt(7)
	v_fma_f64 v[75:76], v[105:106], v[77:78], v[75:76]
	ds_read_b64 v[77:78], v74 offset:568
	s_waitcnt vmcnt(6) lgkmcnt(1)
	v_fma_f64 v[75:76], v[85:86], v[79:80], v[75:76]
	s_waitcnt vmcnt(3)
	v_fma_f64 v[75:76], v[87:88], v[81:82], v[75:76]
	s_waitcnt vmcnt(2) lgkmcnt(0)
	v_fma_f64 v[75:76], v[89:90], v[77:78], v[75:76]
	s_waitcnt vmcnt(0)
	v_add_f64 v[75:76], v[91:92], -v[75:76]
	buffer_store_dword v76, off, s[0:3], 0 offset:148
	buffer_store_dword v75, off, s[0:3], 0 offset:144
	s_and_saveexec_b64 s[4:5], vcc
	s_cbranch_execz .LBB35_189
; %bb.188:
	buffer_load_dword v75, off, s[0:3], 0 offset:136
	buffer_load_dword v76, off, s[0:3], 0 offset:140
	s_waitcnt vmcnt(0)
	ds_write_b64 v73, v[75:76]
	buffer_store_dword v74, off, s[0:3], 0 offset:136
	buffer_store_dword v74, off, s[0:3], 0 offset:140
.LBB35_189:
	s_or_b64 exec, exec, s[4:5]
	s_waitcnt lgkmcnt(0)
	; wave barrier
	buffer_load_dword v83, off, s[0:3], 0 offset:144
	buffer_load_dword v84, off, s[0:3], 0 offset:148
	;; [unrolled: 1-line block ×22, first 2 shown]
	ds_read_b128 v[75:78], v74 offset:432
	ds_read_b128 v[79:82], v74 offset:448
	v_cmp_lt_u32_e32 vcc, 16, v0
	s_waitcnt vmcnt(20) lgkmcnt(1)
	v_fma_f64 v[75:76], v[83:84], v[75:76], 0
	s_waitcnt vmcnt(18)
	v_fma_f64 v[75:76], v[85:86], v[77:78], v[75:76]
	buffer_load_dword v84, off, s[0:3], 0 offset:236
	buffer_load_dword v85, off, s[0:3], 0 offset:256
	;; [unrolled: 1-line block ×7, first 2 shown]
	s_waitcnt vmcnt(23) lgkmcnt(0)
	v_fma_f64 v[75:76], v[87:88], v[79:80], v[75:76]
	s_waitcnt vmcnt(21)
	v_fma_f64 v[86:87], v[89:90], v[81:82], v[75:76]
	ds_read_b128 v[75:78], v74 offset:464
	ds_read_b128 v[79:82], v74 offset:480
	s_waitcnt vmcnt(19) lgkmcnt(1)
	v_fma_f64 v[75:76], v[91:92], v[75:76], v[86:87]
	buffer_load_dword v86, off, s[0:3], 0 offset:260
	buffer_load_dword v88, off, s[0:3], 0 offset:268
	;; [unrolled: 1-line block ×7, first 2 shown]
	s_waitcnt vmcnt(24)
	v_fma_f64 v[75:76], v[93:94], v[77:78], v[75:76]
	s_waitcnt vmcnt(22) lgkmcnt(0)
	v_fma_f64 v[75:76], v[95:96], v[79:80], v[75:76]
	s_waitcnt vmcnt(17)
	v_fma_f64 v[93:94], v[97:98], v[81:82], v[75:76]
	ds_read_b128 v[75:78], v74 offset:496
	buffer_load_dword v95, off, s[0:3], 0 offset:136
	buffer_load_dword v96, off, s[0:3], 0 offset:140
	ds_read_b128 v[79:82], v74 offset:512
	s_waitcnt vmcnt(18) lgkmcnt(1)
	v_fma_f64 v[75:76], v[103:104], v[75:76], v[93:94]
	s_waitcnt vmcnt(17)
	v_fma_f64 v[75:76], v[101:102], v[77:78], v[75:76]
	s_waitcnt vmcnt(16) lgkmcnt(0)
	v_fma_f64 v[75:76], v[99:100], v[79:80], v[75:76]
	s_waitcnt vmcnt(11)
	v_fma_f64 v[83:84], v[83:84], v[81:82], v[75:76]
	ds_read_b128 v[75:78], v74 offset:528
	ds_read_b128 v[79:82], v74 offset:544
	s_waitcnt vmcnt(10) lgkmcnt(1)
	v_fma_f64 v[75:76], v[107:108], v[75:76], v[83:84]
	s_waitcnt vmcnt(9)
	v_fma_f64 v[75:76], v[105:106], v[77:78], v[75:76]
	s_waitcnt vmcnt(8) lgkmcnt(0)
	v_fma_f64 v[75:76], v[85:86], v[79:80], v[75:76]
	s_waitcnt vmcnt(4)
	v_fma_f64 v[78:79], v[87:88], v[81:82], v[75:76]
	ds_read_b128 v[74:77], v74 offset:560
	s_waitcnt vmcnt(3) lgkmcnt(0)
	v_fma_f64 v[74:75], v[91:92], v[74:75], v[78:79]
	s_waitcnt vmcnt(2)
	v_fma_f64 v[74:75], v[89:90], v[76:77], v[74:75]
	s_waitcnt vmcnt(0)
	v_add_f64 v[74:75], v[95:96], -v[74:75]
	buffer_store_dword v75, off, s[0:3], 0 offset:140
	buffer_store_dword v74, off, s[0:3], 0 offset:136
	s_and_saveexec_b64 s[4:5], vcc
	s_cbranch_execz .LBB35_191
; %bb.190:
	buffer_load_dword v74, off, s[0:3], 0 offset:128
	buffer_load_dword v75, off, s[0:3], 0 offset:132
	v_mov_b32_e32 v76, 0
	buffer_store_dword v76, off, s[0:3], 0 offset:128
	buffer_store_dword v76, off, s[0:3], 0 offset:132
	s_waitcnt vmcnt(2)
	ds_write_b64 v73, v[74:75]
.LBB35_191:
	s_or_b64 exec, exec, s[4:5]
	s_waitcnt lgkmcnt(0)
	; wave barrier
	buffer_load_dword v83, off, s[0:3], 0 offset:136
	buffer_load_dword v84, off, s[0:3], 0 offset:140
	;; [unrolled: 1-line block ×22, first 2 shown]
	v_mov_b32_e32 v74, 0
	ds_read2_b64 v[75:78], v74 offset0:53 offset1:54
	ds_read2_b64 v[79:82], v74 offset0:55 offset1:56
	v_cmp_lt_u32_e32 vcc, 15, v0
	s_waitcnt vmcnt(20) lgkmcnt(1)
	v_fma_f64 v[75:76], v[83:84], v[75:76], 0
	s_waitcnt vmcnt(18)
	v_fma_f64 v[75:76], v[85:86], v[77:78], v[75:76]
	buffer_load_dword v84, off, s[0:3], 0 offset:228
	buffer_load_dword v85, off, s[0:3], 0 offset:248
	;; [unrolled: 1-line block ×7, first 2 shown]
	s_waitcnt vmcnt(23) lgkmcnt(0)
	v_fma_f64 v[75:76], v[87:88], v[79:80], v[75:76]
	s_waitcnt vmcnt(21)
	v_fma_f64 v[86:87], v[89:90], v[81:82], v[75:76]
	ds_read2_b64 v[75:78], v74 offset0:57 offset1:58
	ds_read2_b64 v[79:82], v74 offset0:59 offset1:60
	s_waitcnt vmcnt(19) lgkmcnt(1)
	v_fma_f64 v[75:76], v[91:92], v[75:76], v[86:87]
	buffer_load_dword v86, off, s[0:3], 0 offset:252
	s_waitcnt vmcnt(18)
	v_fma_f64 v[75:76], v[93:94], v[77:78], v[75:76]
	buffer_load_dword v88, off, s[0:3], 0 offset:260
	buffer_load_dword v89, off, s[0:3], 0 offset:280
	;; [unrolled: 1-line block ×8, first 2 shown]
	s_waitcnt vmcnt(24) lgkmcnt(0)
	v_fma_f64 v[75:76], v[95:96], v[79:80], v[75:76]
	s_waitcnt vmcnt(19)
	v_fma_f64 v[95:96], v[97:98], v[81:82], v[75:76]
	ds_read2_b64 v[75:78], v74 offset0:61 offset1:62
	ds_read2_b64 v[79:82], v74 offset0:63 offset1:64
	s_waitcnt vmcnt(18) lgkmcnt(1)
	v_fma_f64 v[75:76], v[103:104], v[75:76], v[95:96]
	buffer_load_dword v95, off, s[0:3], 0 offset:128
	buffer_load_dword v96, off, s[0:3], 0 offset:132
	s_waitcnt vmcnt(19)
	v_fma_f64 v[75:76], v[101:102], v[77:78], v[75:76]
	s_waitcnt vmcnt(18) lgkmcnt(0)
	v_fma_f64 v[75:76], v[99:100], v[79:80], v[75:76]
	s_waitcnt vmcnt(13)
	v_fma_f64 v[83:84], v[83:84], v[81:82], v[75:76]
	ds_read2_b64 v[75:78], v74 offset0:65 offset1:66
	ds_read2_b64 v[79:82], v74 offset0:67 offset1:68
	s_waitcnt vmcnt(12) lgkmcnt(1)
	v_fma_f64 v[75:76], v[107:108], v[75:76], v[83:84]
	s_waitcnt vmcnt(11)
	v_fma_f64 v[75:76], v[105:106], v[77:78], v[75:76]
	s_waitcnt vmcnt(10) lgkmcnt(0)
	v_fma_f64 v[75:76], v[85:86], v[79:80], v[75:76]
	s_waitcnt vmcnt(5)
	v_fma_f64 v[79:80], v[87:88], v[81:82], v[75:76]
	ds_read2_b64 v[75:78], v74 offset0:69 offset1:70
	ds_read_b64 v[81:82], v74 offset:568
	s_waitcnt vmcnt(4) lgkmcnt(1)
	v_fma_f64 v[75:76], v[93:94], v[75:76], v[79:80]
	s_waitcnt vmcnt(3)
	v_fma_f64 v[75:76], v[91:92], v[77:78], v[75:76]
	s_waitcnt vmcnt(2) lgkmcnt(0)
	v_fma_f64 v[75:76], v[89:90], v[81:82], v[75:76]
	s_waitcnt vmcnt(0)
	v_add_f64 v[75:76], v[95:96], -v[75:76]
	buffer_store_dword v76, off, s[0:3], 0 offset:132
	buffer_store_dword v75, off, s[0:3], 0 offset:128
	s_and_saveexec_b64 s[4:5], vcc
	s_cbranch_execz .LBB35_193
; %bb.192:
	buffer_load_dword v75, off, s[0:3], 0 offset:120
	buffer_load_dword v76, off, s[0:3], 0 offset:124
	s_waitcnt vmcnt(0)
	ds_write_b64 v73, v[75:76]
	buffer_store_dword v74, off, s[0:3], 0 offset:120
	buffer_store_dword v74, off, s[0:3], 0 offset:124
.LBB35_193:
	s_or_b64 exec, exec, s[4:5]
	s_waitcnt lgkmcnt(0)
	; wave barrier
	buffer_load_dword v83, off, s[0:3], 0 offset:128
	buffer_load_dword v84, off, s[0:3], 0 offset:132
	;; [unrolled: 1-line block ×22, first 2 shown]
	ds_read_b128 v[75:78], v74 offset:416
	ds_read_b128 v[79:82], v74 offset:432
	v_cmp_lt_u32_e32 vcc, 14, v0
	s_waitcnt vmcnt(20) lgkmcnt(1)
	v_fma_f64 v[75:76], v[83:84], v[75:76], 0
	s_waitcnt vmcnt(18)
	v_fma_f64 v[75:76], v[85:86], v[77:78], v[75:76]
	buffer_load_dword v84, off, s[0:3], 0 offset:220
	buffer_load_dword v85, off, s[0:3], 0 offset:240
	;; [unrolled: 1-line block ×7, first 2 shown]
	s_waitcnt vmcnt(23) lgkmcnt(0)
	v_fma_f64 v[75:76], v[87:88], v[79:80], v[75:76]
	s_waitcnt vmcnt(21)
	v_fma_f64 v[86:87], v[89:90], v[81:82], v[75:76]
	ds_read_b128 v[75:78], v74 offset:448
	ds_read_b128 v[79:82], v74 offset:464
	s_waitcnt vmcnt(19) lgkmcnt(1)
	v_fma_f64 v[75:76], v[91:92], v[75:76], v[86:87]
	buffer_load_dword v86, off, s[0:3], 0 offset:244
	s_waitcnt vmcnt(18)
	v_fma_f64 v[75:76], v[93:94], v[77:78], v[75:76]
	buffer_load_dword v88, off, s[0:3], 0 offset:252
	buffer_load_dword v89, off, s[0:3], 0 offset:272
	;; [unrolled: 1-line block ×8, first 2 shown]
	s_waitcnt vmcnt(24) lgkmcnt(0)
	v_fma_f64 v[75:76], v[95:96], v[79:80], v[75:76]
	s_waitcnt vmcnt(19)
	v_fma_f64 v[95:96], v[97:98], v[81:82], v[75:76]
	ds_read_b128 v[75:78], v74 offset:480
	ds_read_b128 v[79:82], v74 offset:496
	s_waitcnt vmcnt(18) lgkmcnt(1)
	v_fma_f64 v[75:76], v[103:104], v[75:76], v[95:96]
	buffer_load_dword v96, off, s[0:3], 0 offset:284
	buffer_load_dword v95, off, s[0:3], 0 offset:280
	;; [unrolled: 1-line block ×4, first 2 shown]
	s_waitcnt vmcnt(21)
	v_fma_f64 v[75:76], v[101:102], v[77:78], v[75:76]
	s_waitcnt vmcnt(20) lgkmcnt(0)
	v_fma_f64 v[75:76], v[99:100], v[79:80], v[75:76]
	s_waitcnt vmcnt(15)
	v_fma_f64 v[83:84], v[83:84], v[81:82], v[75:76]
	ds_read_b128 v[75:78], v74 offset:512
	ds_read_b128 v[79:82], v74 offset:528
	s_waitcnt vmcnt(14) lgkmcnt(1)
	v_fma_f64 v[75:76], v[107:108], v[75:76], v[83:84]
	s_waitcnt vmcnt(13)
	v_fma_f64 v[75:76], v[105:106], v[77:78], v[75:76]
	s_waitcnt vmcnt(12) lgkmcnt(0)
	v_fma_f64 v[75:76], v[85:86], v[79:80], v[75:76]
	s_waitcnt vmcnt(7)
	v_fma_f64 v[83:84], v[87:88], v[81:82], v[75:76]
	ds_read_b128 v[75:78], v74 offset:544
	ds_read_b128 v[79:82], v74 offset:560
	s_waitcnt vmcnt(6) lgkmcnt(1)
	v_fma_f64 v[74:75], v[93:94], v[75:76], v[83:84]
	s_waitcnt vmcnt(5)
	v_fma_f64 v[74:75], v[91:92], v[77:78], v[74:75]
	s_waitcnt vmcnt(4) lgkmcnt(0)
	v_fma_f64 v[74:75], v[89:90], v[79:80], v[74:75]
	s_waitcnt vmcnt(2)
	v_fma_f64 v[74:75], v[95:96], v[81:82], v[74:75]
	s_waitcnt vmcnt(0)
	v_add_f64 v[74:75], v[97:98], -v[74:75]
	buffer_store_dword v75, off, s[0:3], 0 offset:124
	buffer_store_dword v74, off, s[0:3], 0 offset:120
	s_and_saveexec_b64 s[4:5], vcc
	s_cbranch_execz .LBB35_195
; %bb.194:
	buffer_load_dword v74, off, s[0:3], 0 offset:112
	buffer_load_dword v75, off, s[0:3], 0 offset:116
	v_mov_b32_e32 v76, 0
	buffer_store_dword v76, off, s[0:3], 0 offset:112
	buffer_store_dword v76, off, s[0:3], 0 offset:116
	s_waitcnt vmcnt(2)
	ds_write_b64 v73, v[74:75]
.LBB35_195:
	s_or_b64 exec, exec, s[4:5]
	s_waitcnt lgkmcnt(0)
	; wave barrier
	buffer_load_dword v83, off, s[0:3], 0 offset:120
	buffer_load_dword v84, off, s[0:3], 0 offset:124
	;; [unrolled: 1-line block ×21, first 2 shown]
	v_mov_b32_e32 v74, 0
	ds_read2_b64 v[75:78], v74 offset0:51 offset1:52
	ds_read2_b64 v[79:82], v74 offset0:53 offset1:54
	buffer_load_dword v100, off, s[0:3], 0 offset:204
	v_cmp_lt_u32_e32 vcc, 13, v0
	s_waitcnt vmcnt(20) lgkmcnt(1)
	v_fma_f64 v[75:76], v[83:84], v[75:76], 0
	s_waitcnt vmcnt(18)
	v_fma_f64 v[75:76], v[85:86], v[77:78], v[75:76]
	buffer_load_dword v84, off, s[0:3], 0 offset:212
	buffer_load_dword v85, off, s[0:3], 0 offset:232
	;; [unrolled: 1-line block ×7, first 2 shown]
	s_waitcnt vmcnt(23) lgkmcnt(0)
	v_fma_f64 v[75:76], v[87:88], v[79:80], v[75:76]
	s_waitcnt vmcnt(21)
	v_fma_f64 v[86:87], v[89:90], v[81:82], v[75:76]
	ds_read2_b64 v[75:78], v74 offset0:55 offset1:56
	ds_read2_b64 v[79:82], v74 offset0:57 offset1:58
	s_waitcnt vmcnt(19) lgkmcnt(1)
	v_fma_f64 v[75:76], v[91:92], v[75:76], v[86:87]
	buffer_load_dword v86, off, s[0:3], 0 offset:236
	s_waitcnt vmcnt(18)
	v_fma_f64 v[75:76], v[93:94], v[77:78], v[75:76]
	buffer_load_dword v88, off, s[0:3], 0 offset:244
	buffer_load_dword v89, off, s[0:3], 0 offset:264
	;; [unrolled: 1-line block ×7, first 2 shown]
	s_waitcnt vmcnt(23) lgkmcnt(0)
	v_fma_f64 v[75:76], v[95:96], v[79:80], v[75:76]
	s_waitcnt vmcnt(18)
	v_fma_f64 v[95:96], v[97:98], v[81:82], v[75:76]
	ds_read2_b64 v[75:78], v74 offset0:59 offset1:60
	ds_read2_b64 v[79:82], v74 offset0:61 offset1:62
	buffer_load_dword v90, off, s[0:3], 0 offset:268
	s_waitcnt vmcnt(18) lgkmcnt(1)
	v_fma_f64 v[75:76], v[103:104], v[75:76], v[95:96]
	buffer_load_dword v96, off, s[0:3], 0 offset:276
	buffer_load_dword v97, off, s[0:3], 0 offset:280
	;; [unrolled: 1-line block ×4, first 2 shown]
	s_waitcnt vmcnt(21)
	v_fma_f64 v[75:76], v[101:102], v[77:78], v[75:76]
	s_waitcnt vmcnt(20) lgkmcnt(0)
	v_fma_f64 v[75:76], v[99:100], v[79:80], v[75:76]
	buffer_load_dword v99, off, s[0:3], 0 offset:112
	buffer_load_dword v100, off, s[0:3], 0 offset:116
	s_waitcnt vmcnt(17)
	v_fma_f64 v[83:84], v[83:84], v[81:82], v[75:76]
	ds_read2_b64 v[75:78], v74 offset0:63 offset1:64
	ds_read2_b64 v[79:82], v74 offset0:65 offset1:66
	s_waitcnt vmcnt(16) lgkmcnt(1)
	v_fma_f64 v[75:76], v[107:108], v[75:76], v[83:84]
	s_waitcnt vmcnt(15)
	v_fma_f64 v[75:76], v[105:106], v[77:78], v[75:76]
	s_waitcnt vmcnt(14) lgkmcnt(0)
	v_fma_f64 v[75:76], v[85:86], v[79:80], v[75:76]
	s_waitcnt vmcnt(9)
	v_fma_f64 v[83:84], v[87:88], v[81:82], v[75:76]
	ds_read2_b64 v[75:78], v74 offset0:67 offset1:68
	ds_read2_b64 v[79:82], v74 offset0:69 offset1:70
	s_waitcnt vmcnt(8) lgkmcnt(1)
	v_fma_f64 v[75:76], v[93:94], v[75:76], v[83:84]
	s_waitcnt vmcnt(7)
	v_fma_f64 v[75:76], v[91:92], v[77:78], v[75:76]
	ds_read_b64 v[77:78], v74 offset:568
	s_waitcnt vmcnt(6) lgkmcnt(1)
	v_fma_f64 v[75:76], v[89:90], v[79:80], v[75:76]
	s_waitcnt vmcnt(3)
	v_fma_f64 v[75:76], v[95:96], v[81:82], v[75:76]
	s_waitcnt vmcnt(2) lgkmcnt(0)
	v_fma_f64 v[75:76], v[97:98], v[77:78], v[75:76]
	s_waitcnt vmcnt(0)
	v_add_f64 v[75:76], v[99:100], -v[75:76]
	buffer_store_dword v76, off, s[0:3], 0 offset:116
	buffer_store_dword v75, off, s[0:3], 0 offset:112
	s_and_saveexec_b64 s[4:5], vcc
	s_cbranch_execz .LBB35_197
; %bb.196:
	buffer_load_dword v75, off, s[0:3], 0 offset:104
	buffer_load_dword v76, off, s[0:3], 0 offset:108
	s_waitcnt vmcnt(0)
	ds_write_b64 v73, v[75:76]
	buffer_store_dword v74, off, s[0:3], 0 offset:104
	buffer_store_dword v74, off, s[0:3], 0 offset:108
.LBB35_197:
	s_or_b64 exec, exec, s[4:5]
	s_waitcnt lgkmcnt(0)
	; wave barrier
	buffer_load_dword v83, off, s[0:3], 0 offset:112
	buffer_load_dword v84, off, s[0:3], 0 offset:116
	;; [unrolled: 1-line block ×21, first 2 shown]
	ds_read_b128 v[75:78], v74 offset:400
	ds_read_b128 v[79:82], v74 offset:416
	buffer_load_dword v100, off, s[0:3], 0 offset:196
	v_cmp_lt_u32_e32 vcc, 12, v0
	s_waitcnt vmcnt(20) lgkmcnt(1)
	v_fma_f64 v[75:76], v[83:84], v[75:76], 0
	s_waitcnt vmcnt(18)
	v_fma_f64 v[75:76], v[85:86], v[77:78], v[75:76]
	buffer_load_dword v84, off, s[0:3], 0 offset:204
	buffer_load_dword v85, off, s[0:3], 0 offset:224
	;; [unrolled: 1-line block ×7, first 2 shown]
	s_waitcnt vmcnt(23) lgkmcnt(0)
	v_fma_f64 v[75:76], v[87:88], v[79:80], v[75:76]
	s_waitcnt vmcnt(21)
	v_fma_f64 v[86:87], v[89:90], v[81:82], v[75:76]
	ds_read_b128 v[75:78], v74 offset:432
	ds_read_b128 v[79:82], v74 offset:448
	s_waitcnt vmcnt(19) lgkmcnt(1)
	v_fma_f64 v[75:76], v[91:92], v[75:76], v[86:87]
	buffer_load_dword v86, off, s[0:3], 0 offset:228
	s_waitcnt vmcnt(18)
	v_fma_f64 v[75:76], v[93:94], v[77:78], v[75:76]
	buffer_load_dword v88, off, s[0:3], 0 offset:236
	buffer_load_dword v89, off, s[0:3], 0 offset:256
	;; [unrolled: 1-line block ×8, first 2 shown]
	s_waitcnt vmcnt(24) lgkmcnt(0)
	v_fma_f64 v[75:76], v[95:96], v[79:80], v[75:76]
	s_waitcnt vmcnt(19)
	v_fma_f64 v[95:96], v[97:98], v[81:82], v[75:76]
	ds_read_b128 v[75:78], v74 offset:464
	ds_read_b128 v[79:82], v74 offset:480
	s_waitcnt vmcnt(18) lgkmcnt(1)
	v_fma_f64 v[75:76], v[103:104], v[75:76], v[95:96]
	s_waitcnt vmcnt(17)
	v_fma_f64 v[75:76], v[101:102], v[77:78], v[75:76]
	buffer_load_dword v96, off, s[0:3], 0 offset:268
	buffer_load_dword v97, off, s[0:3], 0 offset:280
	;; [unrolled: 1-line block ×6, first 2 shown]
	s_waitcnt vmcnt(22) lgkmcnt(0)
	v_fma_f64 v[75:76], v[99:100], v[79:80], v[75:76]
	s_waitcnt vmcnt(17)
	v_fma_f64 v[83:84], v[83:84], v[81:82], v[75:76]
	ds_read_b128 v[75:78], v74 offset:496
	buffer_load_dword v99, off, s[0:3], 0 offset:104
	buffer_load_dword v100, off, s[0:3], 0 offset:108
	ds_read_b128 v[79:82], v74 offset:512
	s_waitcnt vmcnt(18) lgkmcnt(1)
	v_fma_f64 v[75:76], v[107:108], v[75:76], v[83:84]
	s_waitcnt vmcnt(17)
	v_fma_f64 v[75:76], v[105:106], v[77:78], v[75:76]
	s_waitcnt vmcnt(16) lgkmcnt(0)
	v_fma_f64 v[75:76], v[85:86], v[79:80], v[75:76]
	s_waitcnt vmcnt(11)
	v_fma_f64 v[83:84], v[87:88], v[81:82], v[75:76]
	ds_read_b128 v[75:78], v74 offset:528
	ds_read_b128 v[79:82], v74 offset:544
	s_waitcnt vmcnt(10) lgkmcnt(1)
	v_fma_f64 v[75:76], v[93:94], v[75:76], v[83:84]
	s_waitcnt vmcnt(9)
	v_fma_f64 v[75:76], v[91:92], v[77:78], v[75:76]
	s_waitcnt vmcnt(8) lgkmcnt(0)
	v_fma_f64 v[75:76], v[89:90], v[79:80], v[75:76]
	s_waitcnt vmcnt(4)
	v_fma_f64 v[78:79], v[95:96], v[81:82], v[75:76]
	ds_read_b128 v[74:77], v74 offset:560
	s_waitcnt vmcnt(3) lgkmcnt(0)
	v_fma_f64 v[74:75], v[101:102], v[74:75], v[78:79]
	s_waitcnt vmcnt(2)
	v_fma_f64 v[74:75], v[97:98], v[76:77], v[74:75]
	s_waitcnt vmcnt(0)
	v_add_f64 v[74:75], v[99:100], -v[74:75]
	buffer_store_dword v75, off, s[0:3], 0 offset:108
	buffer_store_dword v74, off, s[0:3], 0 offset:104
	s_and_saveexec_b64 s[4:5], vcc
	s_cbranch_execz .LBB35_199
; %bb.198:
	buffer_load_dword v74, off, s[0:3], 0 offset:96
	buffer_load_dword v75, off, s[0:3], 0 offset:100
	v_mov_b32_e32 v76, 0
	buffer_store_dword v76, off, s[0:3], 0 offset:96
	buffer_store_dword v76, off, s[0:3], 0 offset:100
	s_waitcnt vmcnt(2)
	ds_write_b64 v73, v[74:75]
.LBB35_199:
	s_or_b64 exec, exec, s[4:5]
	s_waitcnt lgkmcnt(0)
	; wave barrier
	buffer_load_dword v83, off, s[0:3], 0 offset:104
	buffer_load_dword v84, off, s[0:3], 0 offset:108
	;; [unrolled: 1-line block ×21, first 2 shown]
	v_mov_b32_e32 v74, 0
	ds_read2_b64 v[75:78], v74 offset0:49 offset1:50
	ds_read2_b64 v[79:82], v74 offset0:51 offset1:52
	buffer_load_dword v100, off, s[0:3], 0 offset:188
	v_cmp_lt_u32_e32 vcc, 11, v0
	s_waitcnt vmcnt(20) lgkmcnt(1)
	v_fma_f64 v[75:76], v[83:84], v[75:76], 0
	s_waitcnt vmcnt(18)
	v_fma_f64 v[75:76], v[85:86], v[77:78], v[75:76]
	buffer_load_dword v84, off, s[0:3], 0 offset:196
	buffer_load_dword v85, off, s[0:3], 0 offset:216
	;; [unrolled: 1-line block ×7, first 2 shown]
	s_waitcnt vmcnt(23) lgkmcnt(0)
	v_fma_f64 v[75:76], v[87:88], v[79:80], v[75:76]
	s_waitcnt vmcnt(21)
	v_fma_f64 v[86:87], v[89:90], v[81:82], v[75:76]
	ds_read2_b64 v[75:78], v74 offset0:53 offset1:54
	ds_read2_b64 v[79:82], v74 offset0:55 offset1:56
	s_waitcnt vmcnt(19) lgkmcnt(1)
	v_fma_f64 v[75:76], v[91:92], v[75:76], v[86:87]
	buffer_load_dword v86, off, s[0:3], 0 offset:220
	s_waitcnt vmcnt(18)
	v_fma_f64 v[75:76], v[93:94], v[77:78], v[75:76]
	buffer_load_dword v88, off, s[0:3], 0 offset:228
	buffer_load_dword v89, off, s[0:3], 0 offset:248
	;; [unrolled: 1-line block ×8, first 2 shown]
	s_waitcnt vmcnt(24) lgkmcnt(0)
	v_fma_f64 v[75:76], v[95:96], v[79:80], v[75:76]
	s_waitcnt vmcnt(19)
	v_fma_f64 v[95:96], v[97:98], v[81:82], v[75:76]
	ds_read2_b64 v[75:78], v74 offset0:57 offset1:58
	ds_read2_b64 v[79:82], v74 offset0:59 offset1:60
	s_waitcnt vmcnt(18) lgkmcnt(1)
	v_fma_f64 v[75:76], v[103:104], v[75:76], v[95:96]
	s_waitcnt vmcnt(17)
	v_fma_f64 v[75:76], v[101:102], v[77:78], v[75:76]
	buffer_load_dword v96, off, s[0:3], 0 offset:260
	buffer_load_dword v97, off, s[0:3], 0 offset:280
	;; [unrolled: 1-line block ×8, first 2 shown]
	s_waitcnt vmcnt(24) lgkmcnt(0)
	v_fma_f64 v[75:76], v[99:100], v[79:80], v[75:76]
	s_waitcnt vmcnt(19)
	v_fma_f64 v[83:84], v[83:84], v[81:82], v[75:76]
	ds_read2_b64 v[75:78], v74 offset0:61 offset1:62
	ds_read2_b64 v[79:82], v74 offset0:63 offset1:64
	s_waitcnt vmcnt(18) lgkmcnt(1)
	v_fma_f64 v[75:76], v[107:108], v[75:76], v[83:84]
	buffer_load_dword v83, off, s[0:3], 0 offset:96
	buffer_load_dword v84, off, s[0:3], 0 offset:100
	s_waitcnt vmcnt(19)
	v_fma_f64 v[75:76], v[105:106], v[77:78], v[75:76]
	s_waitcnt vmcnt(18) lgkmcnt(0)
	v_fma_f64 v[75:76], v[85:86], v[79:80], v[75:76]
	s_waitcnt vmcnt(13)
	v_fma_f64 v[85:86], v[87:88], v[81:82], v[75:76]
	ds_read2_b64 v[75:78], v74 offset0:65 offset1:66
	ds_read2_b64 v[79:82], v74 offset0:67 offset1:68
	s_waitcnt vmcnt(12) lgkmcnt(1)
	v_fma_f64 v[75:76], v[93:94], v[75:76], v[85:86]
	s_waitcnt vmcnt(11)
	v_fma_f64 v[75:76], v[91:92], v[77:78], v[75:76]
	s_waitcnt vmcnt(10) lgkmcnt(0)
	v_fma_f64 v[75:76], v[89:90], v[79:80], v[75:76]
	s_waitcnt vmcnt(5)
	v_fma_f64 v[79:80], v[95:96], v[81:82], v[75:76]
	ds_read2_b64 v[75:78], v74 offset0:69 offset1:70
	ds_read_b64 v[81:82], v74 offset:568
	s_waitcnt vmcnt(4) lgkmcnt(1)
	v_fma_f64 v[75:76], v[103:104], v[75:76], v[79:80]
	s_waitcnt vmcnt(3)
	v_fma_f64 v[75:76], v[101:102], v[77:78], v[75:76]
	s_waitcnt vmcnt(2) lgkmcnt(0)
	v_fma_f64 v[75:76], v[97:98], v[81:82], v[75:76]
	s_waitcnt vmcnt(0)
	v_add_f64 v[75:76], v[83:84], -v[75:76]
	buffer_store_dword v76, off, s[0:3], 0 offset:100
	buffer_store_dword v75, off, s[0:3], 0 offset:96
	s_and_saveexec_b64 s[4:5], vcc
	s_cbranch_execz .LBB35_201
; %bb.200:
	buffer_load_dword v75, off, s[0:3], 0 offset:88
	buffer_load_dword v76, off, s[0:3], 0 offset:92
	s_waitcnt vmcnt(0)
	ds_write_b64 v73, v[75:76]
	buffer_store_dword v74, off, s[0:3], 0 offset:88
	buffer_store_dword v74, off, s[0:3], 0 offset:92
.LBB35_201:
	s_or_b64 exec, exec, s[4:5]
	s_waitcnt lgkmcnt(0)
	; wave barrier
	buffer_load_dword v83, off, s[0:3], 0 offset:96
	buffer_load_dword v84, off, s[0:3], 0 offset:100
	;; [unrolled: 1-line block ×21, first 2 shown]
	ds_read_b128 v[75:78], v74 offset:384
	ds_read_b128 v[79:82], v74 offset:400
	buffer_load_dword v100, off, s[0:3], 0 offset:180
	v_cmp_lt_u32_e32 vcc, 10, v0
	s_waitcnt vmcnt(20) lgkmcnt(1)
	v_fma_f64 v[75:76], v[83:84], v[75:76], 0
	s_waitcnt vmcnt(18)
	v_fma_f64 v[75:76], v[85:86], v[77:78], v[75:76]
	buffer_load_dword v84, off, s[0:3], 0 offset:188
	buffer_load_dword v85, off, s[0:3], 0 offset:208
	;; [unrolled: 1-line block ×7, first 2 shown]
	s_waitcnt vmcnt(23) lgkmcnt(0)
	v_fma_f64 v[75:76], v[87:88], v[79:80], v[75:76]
	s_waitcnt vmcnt(21)
	v_fma_f64 v[86:87], v[89:90], v[81:82], v[75:76]
	ds_read_b128 v[75:78], v74 offset:416
	ds_read_b128 v[79:82], v74 offset:432
	s_waitcnt vmcnt(19) lgkmcnt(1)
	v_fma_f64 v[75:76], v[91:92], v[75:76], v[86:87]
	buffer_load_dword v86, off, s[0:3], 0 offset:212
	s_waitcnt vmcnt(18)
	v_fma_f64 v[75:76], v[93:94], v[77:78], v[75:76]
	buffer_load_dword v88, off, s[0:3], 0 offset:220
	buffer_load_dword v89, off, s[0:3], 0 offset:240
	;; [unrolled: 1-line block ×8, first 2 shown]
	s_waitcnt vmcnt(24) lgkmcnt(0)
	v_fma_f64 v[75:76], v[95:96], v[79:80], v[75:76]
	s_waitcnt vmcnt(19)
	v_fma_f64 v[95:96], v[97:98], v[81:82], v[75:76]
	ds_read_b128 v[75:78], v74 offset:448
	ds_read_b128 v[79:82], v74 offset:464
	s_waitcnt vmcnt(18) lgkmcnt(1)
	v_fma_f64 v[75:76], v[103:104], v[75:76], v[95:96]
	s_waitcnt vmcnt(17)
	v_fma_f64 v[75:76], v[101:102], v[77:78], v[75:76]
	buffer_load_dword v96, off, s[0:3], 0 offset:252
	buffer_load_dword v97, off, s[0:3], 0 offset:272
	;; [unrolled: 1-line block ×8, first 2 shown]
	s_waitcnt vmcnt(24) lgkmcnt(0)
	v_fma_f64 v[75:76], v[99:100], v[79:80], v[75:76]
	s_waitcnt vmcnt(19)
	v_fma_f64 v[83:84], v[83:84], v[81:82], v[75:76]
	ds_read_b128 v[75:78], v74 offset:480
	ds_read_b128 v[79:82], v74 offset:496
	s_waitcnt vmcnt(18) lgkmcnt(1)
	v_fma_f64 v[75:76], v[107:108], v[75:76], v[83:84]
	buffer_load_dword v84, off, s[0:3], 0 offset:284
	buffer_load_dword v83, off, s[0:3], 0 offset:280
	;; [unrolled: 1-line block ×4, first 2 shown]
	s_waitcnt vmcnt(21)
	v_fma_f64 v[75:76], v[105:106], v[77:78], v[75:76]
	s_waitcnt vmcnt(20) lgkmcnt(0)
	v_fma_f64 v[75:76], v[85:86], v[79:80], v[75:76]
	s_waitcnt vmcnt(15)
	v_fma_f64 v[85:86], v[87:88], v[81:82], v[75:76]
	ds_read_b128 v[75:78], v74 offset:512
	ds_read_b128 v[79:82], v74 offset:528
	s_waitcnt vmcnt(14) lgkmcnt(1)
	v_fma_f64 v[75:76], v[93:94], v[75:76], v[85:86]
	s_waitcnt vmcnt(13)
	v_fma_f64 v[75:76], v[91:92], v[77:78], v[75:76]
	s_waitcnt vmcnt(12) lgkmcnt(0)
	v_fma_f64 v[75:76], v[89:90], v[79:80], v[75:76]
	s_waitcnt vmcnt(7)
	v_fma_f64 v[85:86], v[95:96], v[81:82], v[75:76]
	ds_read_b128 v[75:78], v74 offset:544
	ds_read_b128 v[79:82], v74 offset:560
	s_waitcnt vmcnt(6) lgkmcnt(1)
	v_fma_f64 v[74:75], v[103:104], v[75:76], v[85:86]
	s_waitcnt vmcnt(5)
	v_fma_f64 v[74:75], v[101:102], v[77:78], v[74:75]
	s_waitcnt vmcnt(4) lgkmcnt(0)
	v_fma_f64 v[74:75], v[97:98], v[79:80], v[74:75]
	s_waitcnt vmcnt(2)
	v_fma_f64 v[74:75], v[83:84], v[81:82], v[74:75]
	s_waitcnt vmcnt(0)
	v_add_f64 v[74:75], v[99:100], -v[74:75]
	buffer_store_dword v75, off, s[0:3], 0 offset:92
	buffer_store_dword v74, off, s[0:3], 0 offset:88
	s_and_saveexec_b64 s[4:5], vcc
	s_cbranch_execz .LBB35_203
; %bb.202:
	buffer_load_dword v74, off, s[0:3], 0 offset:80
	buffer_load_dword v75, off, s[0:3], 0 offset:84
	v_mov_b32_e32 v76, 0
	buffer_store_dword v76, off, s[0:3], 0 offset:80
	buffer_store_dword v76, off, s[0:3], 0 offset:84
	s_waitcnt vmcnt(2)
	ds_write_b64 v73, v[74:75]
.LBB35_203:
	s_or_b64 exec, exec, s[4:5]
	s_waitcnt lgkmcnt(0)
	; wave barrier
	buffer_load_dword v83, off, s[0:3], 0 offset:88
	buffer_load_dword v84, off, s[0:3], 0 offset:92
	;; [unrolled: 1-line block ×21, first 2 shown]
	v_mov_b32_e32 v74, 0
	ds_read2_b64 v[75:78], v74 offset0:47 offset1:48
	ds_read2_b64 v[79:82], v74 offset0:49 offset1:50
	buffer_load_dword v100, off, s[0:3], 0 offset:172
	v_cmp_lt_u32_e32 vcc, 9, v0
	s_waitcnt vmcnt(20) lgkmcnt(1)
	v_fma_f64 v[75:76], v[83:84], v[75:76], 0
	s_waitcnt vmcnt(18)
	v_fma_f64 v[75:76], v[85:86], v[77:78], v[75:76]
	buffer_load_dword v84, off, s[0:3], 0 offset:180
	buffer_load_dword v85, off, s[0:3], 0 offset:200
	;; [unrolled: 1-line block ×7, first 2 shown]
	s_waitcnt vmcnt(23) lgkmcnt(0)
	v_fma_f64 v[75:76], v[87:88], v[79:80], v[75:76]
	s_waitcnt vmcnt(21)
	v_fma_f64 v[86:87], v[89:90], v[81:82], v[75:76]
	ds_read2_b64 v[75:78], v74 offset0:51 offset1:52
	ds_read2_b64 v[79:82], v74 offset0:53 offset1:54
	s_waitcnt vmcnt(19) lgkmcnt(1)
	v_fma_f64 v[75:76], v[91:92], v[75:76], v[86:87]
	buffer_load_dword v86, off, s[0:3], 0 offset:204
	s_waitcnt vmcnt(18)
	v_fma_f64 v[75:76], v[93:94], v[77:78], v[75:76]
	buffer_load_dword v88, off, s[0:3], 0 offset:212
	buffer_load_dword v89, off, s[0:3], 0 offset:232
	;; [unrolled: 1-line block ×8, first 2 shown]
	s_waitcnt vmcnt(24) lgkmcnt(0)
	v_fma_f64 v[75:76], v[95:96], v[79:80], v[75:76]
	s_waitcnt vmcnt(19)
	v_fma_f64 v[95:96], v[97:98], v[81:82], v[75:76]
	ds_read2_b64 v[75:78], v74 offset0:55 offset1:56
	ds_read2_b64 v[79:82], v74 offset0:57 offset1:58
	s_waitcnt vmcnt(18) lgkmcnt(1)
	v_fma_f64 v[75:76], v[103:104], v[75:76], v[95:96]
	s_waitcnt vmcnt(17)
	v_fma_f64 v[75:76], v[101:102], v[77:78], v[75:76]
	buffer_load_dword v96, off, s[0:3], 0 offset:244
	buffer_load_dword v97, off, s[0:3], 0 offset:264
	;; [unrolled: 1-line block ×7, first 2 shown]
	s_waitcnt vmcnt(23) lgkmcnt(0)
	v_fma_f64 v[75:76], v[99:100], v[79:80], v[75:76]
	s_waitcnt vmcnt(18)
	v_fma_f64 v[83:84], v[83:84], v[81:82], v[75:76]
	ds_read2_b64 v[75:78], v74 offset0:59 offset1:60
	ds_read2_b64 v[79:82], v74 offset0:61 offset1:62
	buffer_load_dword v98, off, s[0:3], 0 offset:268
	s_waitcnt vmcnt(18) lgkmcnt(1)
	v_fma_f64 v[75:76], v[107:108], v[75:76], v[83:84]
	buffer_load_dword v84, off, s[0:3], 0 offset:276
	buffer_load_dword v99, off, s[0:3], 0 offset:280
	;; [unrolled: 1-line block ×4, first 2 shown]
	s_waitcnt vmcnt(21)
	v_fma_f64 v[75:76], v[105:106], v[77:78], v[75:76]
	s_waitcnt vmcnt(20) lgkmcnt(0)
	v_fma_f64 v[75:76], v[85:86], v[79:80], v[75:76]
	buffer_load_dword v85, off, s[0:3], 0 offset:80
	buffer_load_dword v86, off, s[0:3], 0 offset:84
	s_waitcnt vmcnt(17)
	v_fma_f64 v[87:88], v[87:88], v[81:82], v[75:76]
	ds_read2_b64 v[75:78], v74 offset0:63 offset1:64
	ds_read2_b64 v[79:82], v74 offset0:65 offset1:66
	s_waitcnt vmcnt(16) lgkmcnt(1)
	v_fma_f64 v[75:76], v[93:94], v[75:76], v[87:88]
	s_waitcnt vmcnt(15)
	v_fma_f64 v[75:76], v[91:92], v[77:78], v[75:76]
	s_waitcnt vmcnt(14) lgkmcnt(0)
	v_fma_f64 v[75:76], v[89:90], v[79:80], v[75:76]
	s_waitcnt vmcnt(9)
	v_fma_f64 v[87:88], v[95:96], v[81:82], v[75:76]
	ds_read2_b64 v[75:78], v74 offset0:67 offset1:68
	ds_read2_b64 v[79:82], v74 offset0:69 offset1:70
	s_waitcnt vmcnt(8) lgkmcnt(1)
	v_fma_f64 v[75:76], v[103:104], v[75:76], v[87:88]
	s_waitcnt vmcnt(7)
	v_fma_f64 v[75:76], v[101:102], v[77:78], v[75:76]
	ds_read_b64 v[77:78], v74 offset:568
	s_waitcnt vmcnt(6) lgkmcnt(1)
	v_fma_f64 v[75:76], v[97:98], v[79:80], v[75:76]
	s_waitcnt vmcnt(3)
	v_fma_f64 v[75:76], v[83:84], v[81:82], v[75:76]
	s_waitcnt vmcnt(2) lgkmcnt(0)
	v_fma_f64 v[75:76], v[99:100], v[77:78], v[75:76]
	s_waitcnt vmcnt(0)
	v_add_f64 v[75:76], v[85:86], -v[75:76]
	buffer_store_dword v76, off, s[0:3], 0 offset:84
	buffer_store_dword v75, off, s[0:3], 0 offset:80
	s_and_saveexec_b64 s[4:5], vcc
	s_cbranch_execz .LBB35_205
; %bb.204:
	buffer_load_dword v75, off, s[0:3], 0 offset:72
	buffer_load_dword v76, off, s[0:3], 0 offset:76
	s_waitcnt vmcnt(0)
	ds_write_b64 v73, v[75:76]
	buffer_store_dword v74, off, s[0:3], 0 offset:72
	buffer_store_dword v74, off, s[0:3], 0 offset:76
.LBB35_205:
	s_or_b64 exec, exec, s[4:5]
	s_waitcnt lgkmcnt(0)
	; wave barrier
	buffer_load_dword v83, off, s[0:3], 0 offset:80
	buffer_load_dword v84, off, s[0:3], 0 offset:84
	;; [unrolled: 1-line block ×22, first 2 shown]
	ds_read_b128 v[75:78], v74 offset:368
	ds_read_b128 v[79:82], v74 offset:384
	v_cmp_lt_u32_e32 vcc, 8, v0
	s_waitcnt vmcnt(20) lgkmcnt(1)
	v_fma_f64 v[75:76], v[83:84], v[75:76], 0
	s_waitcnt vmcnt(18)
	v_fma_f64 v[75:76], v[85:86], v[77:78], v[75:76]
	buffer_load_dword v84, off, s[0:3], 0 offset:172
	buffer_load_dword v85, off, s[0:3], 0 offset:192
	buffer_load_dword v105, off, s[0:3], 0 offset:184
	buffer_load_dword v107, off, s[0:3], 0 offset:176
	buffer_load_dword v83, off, s[0:3], 0 offset:168
	buffer_load_dword v108, off, s[0:3], 0 offset:180
	buffer_load_dword v106, off, s[0:3], 0 offset:188
	s_waitcnt vmcnt(23) lgkmcnt(0)
	v_fma_f64 v[75:76], v[87:88], v[79:80], v[75:76]
	s_waitcnt vmcnt(21)
	v_fma_f64 v[86:87], v[89:90], v[81:82], v[75:76]
	ds_read_b128 v[75:78], v74 offset:400
	ds_read_b128 v[79:82], v74 offset:416
	s_waitcnt vmcnt(19) lgkmcnt(1)
	v_fma_f64 v[75:76], v[91:92], v[75:76], v[86:87]
	buffer_load_dword v86, off, s[0:3], 0 offset:196
	s_waitcnt vmcnt(18)
	v_fma_f64 v[75:76], v[93:94], v[77:78], v[75:76]
	buffer_load_dword v88, off, s[0:3], 0 offset:204
	buffer_load_dword v89, off, s[0:3], 0 offset:224
	;; [unrolled: 1-line block ×8, first 2 shown]
	s_waitcnt vmcnt(24) lgkmcnt(0)
	v_fma_f64 v[75:76], v[95:96], v[79:80], v[75:76]
	s_waitcnt vmcnt(19)
	v_fma_f64 v[95:96], v[97:98], v[81:82], v[75:76]
	ds_read_b128 v[75:78], v74 offset:432
	ds_read_b128 v[79:82], v74 offset:448
	s_waitcnt vmcnt(18) lgkmcnt(1)
	v_fma_f64 v[75:76], v[103:104], v[75:76], v[95:96]
	s_waitcnt vmcnt(17)
	v_fma_f64 v[75:76], v[101:102], v[77:78], v[75:76]
	buffer_load_dword v96, off, s[0:3], 0 offset:236
	buffer_load_dword v97, off, s[0:3], 0 offset:256
	buffer_load_dword v101, off, s[0:3], 0 offset:248
	buffer_load_dword v103, off, s[0:3], 0 offset:240
	buffer_load_dword v95, off, s[0:3], 0 offset:232
	buffer_load_dword v104, off, s[0:3], 0 offset:244
	buffer_load_dword v102, off, s[0:3], 0 offset:252
	buffer_load_dword v98, off, s[0:3], 0 offset:260
	s_waitcnt vmcnt(24) lgkmcnt(0)
	v_fma_f64 v[75:76], v[99:100], v[79:80], v[75:76]
	s_waitcnt vmcnt(19)
	v_fma_f64 v[83:84], v[83:84], v[81:82], v[75:76]
	ds_read_b128 v[75:78], v74 offset:464
	ds_read_b128 v[79:82], v74 offset:480
	s_waitcnt vmcnt(18) lgkmcnt(1)
	v_fma_f64 v[75:76], v[107:108], v[75:76], v[83:84]
	s_waitcnt vmcnt(17)
	v_fma_f64 v[75:76], v[105:106], v[77:78], v[75:76]
	buffer_load_dword v84, off, s[0:3], 0 offset:268
	buffer_load_dword v99, off, s[0:3], 0 offset:280
	buffer_load_dword v105, off, s[0:3], 0 offset:272
	buffer_load_dword v83, off, s[0:3], 0 offset:264
	buffer_load_dword v106, off, s[0:3], 0 offset:276
	buffer_load_dword v100, off, s[0:3], 0 offset:284
	s_waitcnt vmcnt(22) lgkmcnt(0)
	v_fma_f64 v[75:76], v[85:86], v[79:80], v[75:76]
	s_waitcnt vmcnt(17)
	v_fma_f64 v[85:86], v[87:88], v[81:82], v[75:76]
	ds_read_b128 v[75:78], v74 offset:496
	buffer_load_dword v87, off, s[0:3], 0 offset:72
	buffer_load_dword v88, off, s[0:3], 0 offset:76
	ds_read_b128 v[79:82], v74 offset:512
	s_waitcnt vmcnt(18) lgkmcnt(1)
	v_fma_f64 v[75:76], v[93:94], v[75:76], v[85:86]
	s_waitcnt vmcnt(17)
	v_fma_f64 v[75:76], v[91:92], v[77:78], v[75:76]
	s_waitcnt vmcnt(16) lgkmcnt(0)
	v_fma_f64 v[75:76], v[89:90], v[79:80], v[75:76]
	s_waitcnt vmcnt(11)
	v_fma_f64 v[85:86], v[95:96], v[81:82], v[75:76]
	ds_read_b128 v[75:78], v74 offset:528
	ds_read_b128 v[79:82], v74 offset:544
	s_waitcnt vmcnt(10) lgkmcnt(1)
	v_fma_f64 v[75:76], v[103:104], v[75:76], v[85:86]
	s_waitcnt vmcnt(9)
	v_fma_f64 v[75:76], v[101:102], v[77:78], v[75:76]
	s_waitcnt vmcnt(8) lgkmcnt(0)
	v_fma_f64 v[75:76], v[97:98], v[79:80], v[75:76]
	s_waitcnt vmcnt(4)
	v_fma_f64 v[78:79], v[83:84], v[81:82], v[75:76]
	ds_read_b128 v[74:77], v74 offset:560
	s_waitcnt vmcnt(3) lgkmcnt(0)
	v_fma_f64 v[74:75], v[105:106], v[74:75], v[78:79]
	s_waitcnt vmcnt(2)
	v_fma_f64 v[74:75], v[99:100], v[76:77], v[74:75]
	s_waitcnt vmcnt(0)
	v_add_f64 v[74:75], v[87:88], -v[74:75]
	buffer_store_dword v75, off, s[0:3], 0 offset:76
	buffer_store_dword v74, off, s[0:3], 0 offset:72
	s_and_saveexec_b64 s[4:5], vcc
	s_cbranch_execz .LBB35_207
; %bb.206:
	buffer_load_dword v74, off, s[0:3], 0 offset:64
	buffer_load_dword v75, off, s[0:3], 0 offset:68
	v_mov_b32_e32 v76, 0
	buffer_store_dword v76, off, s[0:3], 0 offset:64
	buffer_store_dword v76, off, s[0:3], 0 offset:68
	s_waitcnt vmcnt(2)
	ds_write_b64 v73, v[74:75]
.LBB35_207:
	s_or_b64 exec, exec, s[4:5]
	s_waitcnt lgkmcnt(0)
	; wave barrier
	buffer_load_dword v83, off, s[0:3], 0 offset:72
	buffer_load_dword v84, off, s[0:3], 0 offset:76
	;; [unrolled: 1-line block ×22, first 2 shown]
	v_mov_b32_e32 v74, 0
	ds_read2_b64 v[75:78], v74 offset0:45 offset1:46
	ds_read2_b64 v[79:82], v74 offset0:47 offset1:48
	v_cmp_lt_u32_e32 vcc, 7, v0
	s_waitcnt vmcnt(20) lgkmcnt(1)
	v_fma_f64 v[75:76], v[83:84], v[75:76], 0
	s_waitcnt vmcnt(18)
	v_fma_f64 v[75:76], v[85:86], v[77:78], v[75:76]
	buffer_load_dword v84, off, s[0:3], 0 offset:164
	buffer_load_dword v85, off, s[0:3], 0 offset:184
	;; [unrolled: 1-line block ×7, first 2 shown]
	s_waitcnt vmcnt(23) lgkmcnt(0)
	v_fma_f64 v[75:76], v[87:88], v[79:80], v[75:76]
	s_waitcnt vmcnt(21)
	v_fma_f64 v[86:87], v[89:90], v[81:82], v[75:76]
	ds_read2_b64 v[75:78], v74 offset0:49 offset1:50
	ds_read2_b64 v[79:82], v74 offset0:51 offset1:52
	s_waitcnt vmcnt(19) lgkmcnt(1)
	v_fma_f64 v[75:76], v[91:92], v[75:76], v[86:87]
	buffer_load_dword v86, off, s[0:3], 0 offset:188
	s_waitcnt vmcnt(18)
	v_fma_f64 v[75:76], v[93:94], v[77:78], v[75:76]
	buffer_load_dword v88, off, s[0:3], 0 offset:196
	buffer_load_dword v89, off, s[0:3], 0 offset:216
	buffer_load_dword v91, off, s[0:3], 0 offset:208
	buffer_load_dword v93, off, s[0:3], 0 offset:200
	buffer_load_dword v87, off, s[0:3], 0 offset:192
	buffer_load_dword v94, off, s[0:3], 0 offset:204
	buffer_load_dword v92, off, s[0:3], 0 offset:212
	buffer_load_dword v90, off, s[0:3], 0 offset:220
	s_waitcnt vmcnt(24) lgkmcnt(0)
	v_fma_f64 v[75:76], v[95:96], v[79:80], v[75:76]
	s_waitcnt vmcnt(19)
	v_fma_f64 v[95:96], v[97:98], v[81:82], v[75:76]
	ds_read2_b64 v[75:78], v74 offset0:53 offset1:54
	ds_read2_b64 v[79:82], v74 offset0:55 offset1:56
	s_waitcnt vmcnt(18) lgkmcnt(1)
	v_fma_f64 v[75:76], v[103:104], v[75:76], v[95:96]
	s_waitcnt vmcnt(17)
	v_fma_f64 v[75:76], v[101:102], v[77:78], v[75:76]
	buffer_load_dword v96, off, s[0:3], 0 offset:228
	buffer_load_dword v97, off, s[0:3], 0 offset:248
	buffer_load_dword v101, off, s[0:3], 0 offset:240
	buffer_load_dword v103, off, s[0:3], 0 offset:232
	buffer_load_dword v95, off, s[0:3], 0 offset:224
	buffer_load_dword v104, off, s[0:3], 0 offset:236
	buffer_load_dword v102, off, s[0:3], 0 offset:244
	buffer_load_dword v98, off, s[0:3], 0 offset:252
	s_waitcnt vmcnt(24) lgkmcnt(0)
	v_fma_f64 v[75:76], v[99:100], v[79:80], v[75:76]
	s_waitcnt vmcnt(19)
	v_fma_f64 v[83:84], v[83:84], v[81:82], v[75:76]
	ds_read2_b64 v[75:78], v74 offset0:57 offset1:58
	ds_read2_b64 v[79:82], v74 offset0:59 offset1:60
	s_waitcnt vmcnt(18) lgkmcnt(1)
	v_fma_f64 v[75:76], v[107:108], v[75:76], v[83:84]
	;; [unrolled: 18-line block ×3, first 2 shown]
	buffer_load_dword v85, off, s[0:3], 0 offset:64
	buffer_load_dword v86, off, s[0:3], 0 offset:68
	s_waitcnt vmcnt(19)
	v_fma_f64 v[75:76], v[91:92], v[77:78], v[75:76]
	s_waitcnt vmcnt(18) lgkmcnt(0)
	v_fma_f64 v[75:76], v[89:90], v[79:80], v[75:76]
	s_waitcnt vmcnt(13)
	v_fma_f64 v[87:88], v[95:96], v[81:82], v[75:76]
	ds_read2_b64 v[75:78], v74 offset0:65 offset1:66
	ds_read2_b64 v[79:82], v74 offset0:67 offset1:68
	s_waitcnt vmcnt(12) lgkmcnt(1)
	v_fma_f64 v[75:76], v[103:104], v[75:76], v[87:88]
	s_waitcnt vmcnt(11)
	v_fma_f64 v[75:76], v[101:102], v[77:78], v[75:76]
	s_waitcnt vmcnt(10) lgkmcnt(0)
	v_fma_f64 v[75:76], v[97:98], v[79:80], v[75:76]
	s_waitcnt vmcnt(5)
	v_fma_f64 v[79:80], v[83:84], v[81:82], v[75:76]
	ds_read2_b64 v[75:78], v74 offset0:69 offset1:70
	ds_read_b64 v[81:82], v74 offset:568
	s_waitcnt vmcnt(4) lgkmcnt(1)
	v_fma_f64 v[75:76], v[107:108], v[75:76], v[79:80]
	s_waitcnt vmcnt(3)
	v_fma_f64 v[75:76], v[105:106], v[77:78], v[75:76]
	s_waitcnt vmcnt(2) lgkmcnt(0)
	v_fma_f64 v[75:76], v[99:100], v[81:82], v[75:76]
	s_waitcnt vmcnt(0)
	v_add_f64 v[75:76], v[85:86], -v[75:76]
	buffer_store_dword v76, off, s[0:3], 0 offset:68
	buffer_store_dword v75, off, s[0:3], 0 offset:64
	s_and_saveexec_b64 s[4:5], vcc
	s_cbranch_execz .LBB35_209
; %bb.208:
	buffer_load_dword v75, off, s[0:3], 0 offset:56
	buffer_load_dword v76, off, s[0:3], 0 offset:60
	s_waitcnt vmcnt(0)
	ds_write_b64 v73, v[75:76]
	buffer_store_dword v74, off, s[0:3], 0 offset:56
	buffer_store_dword v74, off, s[0:3], 0 offset:60
.LBB35_209:
	s_or_b64 exec, exec, s[4:5]
	s_waitcnt lgkmcnt(0)
	; wave barrier
	buffer_load_dword v83, off, s[0:3], 0 offset:64
	buffer_load_dword v84, off, s[0:3], 0 offset:68
	;; [unrolled: 1-line block ×22, first 2 shown]
	ds_read_b128 v[75:78], v74 offset:352
	ds_read_b128 v[79:82], v74 offset:368
	v_cmp_lt_u32_e32 vcc, 6, v0
	s_waitcnt vmcnt(20) lgkmcnt(1)
	v_fma_f64 v[75:76], v[83:84], v[75:76], 0
	s_waitcnt vmcnt(18)
	v_fma_f64 v[75:76], v[85:86], v[77:78], v[75:76]
	buffer_load_dword v84, off, s[0:3], 0 offset:156
	buffer_load_dword v85, off, s[0:3], 0 offset:176
	buffer_load_dword v105, off, s[0:3], 0 offset:168
	buffer_load_dword v107, off, s[0:3], 0 offset:160
	buffer_load_dword v83, off, s[0:3], 0 offset:152
	buffer_load_dword v108, off, s[0:3], 0 offset:164
	buffer_load_dword v106, off, s[0:3], 0 offset:172
	s_waitcnt vmcnt(23) lgkmcnt(0)
	v_fma_f64 v[75:76], v[87:88], v[79:80], v[75:76]
	s_waitcnt vmcnt(21)
	v_fma_f64 v[86:87], v[89:90], v[81:82], v[75:76]
	ds_read_b128 v[75:78], v74 offset:384
	ds_read_b128 v[79:82], v74 offset:400
	s_waitcnt vmcnt(19) lgkmcnt(1)
	v_fma_f64 v[75:76], v[91:92], v[75:76], v[86:87]
	buffer_load_dword v86, off, s[0:3], 0 offset:180
	s_waitcnt vmcnt(18)
	v_fma_f64 v[75:76], v[93:94], v[77:78], v[75:76]
	buffer_load_dword v88, off, s[0:3], 0 offset:188
	buffer_load_dword v89, off, s[0:3], 0 offset:208
	buffer_load_dword v91, off, s[0:3], 0 offset:200
	buffer_load_dword v93, off, s[0:3], 0 offset:192
	buffer_load_dword v87, off, s[0:3], 0 offset:184
	buffer_load_dword v94, off, s[0:3], 0 offset:196
	buffer_load_dword v92, off, s[0:3], 0 offset:204
	buffer_load_dword v90, off, s[0:3], 0 offset:212
	s_waitcnt vmcnt(24) lgkmcnt(0)
	v_fma_f64 v[75:76], v[95:96], v[79:80], v[75:76]
	s_waitcnt vmcnt(19)
	v_fma_f64 v[95:96], v[97:98], v[81:82], v[75:76]
	ds_read_b128 v[75:78], v74 offset:416
	ds_read_b128 v[79:82], v74 offset:432
	s_waitcnt vmcnt(18) lgkmcnt(1)
	v_fma_f64 v[75:76], v[103:104], v[75:76], v[95:96]
	s_waitcnt vmcnt(17)
	v_fma_f64 v[75:76], v[101:102], v[77:78], v[75:76]
	buffer_load_dword v96, off, s[0:3], 0 offset:220
	buffer_load_dword v97, off, s[0:3], 0 offset:240
	buffer_load_dword v101, off, s[0:3], 0 offset:232
	buffer_load_dword v103, off, s[0:3], 0 offset:224
	buffer_load_dword v95, off, s[0:3], 0 offset:216
	buffer_load_dword v104, off, s[0:3], 0 offset:228
	buffer_load_dword v102, off, s[0:3], 0 offset:236
	buffer_load_dword v98, off, s[0:3], 0 offset:244
	s_waitcnt vmcnt(24) lgkmcnt(0)
	v_fma_f64 v[75:76], v[99:100], v[79:80], v[75:76]
	s_waitcnt vmcnt(19)
	v_fma_f64 v[83:84], v[83:84], v[81:82], v[75:76]
	ds_read_b128 v[75:78], v74 offset:448
	ds_read_b128 v[79:82], v74 offset:464
	s_waitcnt vmcnt(18) lgkmcnt(1)
	v_fma_f64 v[75:76], v[107:108], v[75:76], v[83:84]
	;; [unrolled: 18-line block ×3, first 2 shown]
	buffer_load_dword v86, off, s[0:3], 0 offset:284
	buffer_load_dword v85, off, s[0:3], 0 offset:280
	;; [unrolled: 1-line block ×4, first 2 shown]
	s_waitcnt vmcnt(21)
	v_fma_f64 v[75:76], v[91:92], v[77:78], v[75:76]
	s_waitcnt vmcnt(20) lgkmcnt(0)
	v_fma_f64 v[75:76], v[89:90], v[79:80], v[75:76]
	s_waitcnt vmcnt(15)
	v_fma_f64 v[89:90], v[95:96], v[81:82], v[75:76]
	ds_read_b128 v[75:78], v74 offset:512
	ds_read_b128 v[79:82], v74 offset:528
	s_waitcnt vmcnt(14) lgkmcnt(1)
	v_fma_f64 v[75:76], v[103:104], v[75:76], v[89:90]
	s_waitcnt vmcnt(13)
	v_fma_f64 v[75:76], v[101:102], v[77:78], v[75:76]
	s_waitcnt vmcnt(12) lgkmcnt(0)
	v_fma_f64 v[75:76], v[97:98], v[79:80], v[75:76]
	s_waitcnt vmcnt(7)
	v_fma_f64 v[83:84], v[83:84], v[81:82], v[75:76]
	ds_read_b128 v[75:78], v74 offset:544
	ds_read_b128 v[79:82], v74 offset:560
	s_waitcnt vmcnt(6) lgkmcnt(1)
	v_fma_f64 v[74:75], v[107:108], v[75:76], v[83:84]
	s_waitcnt vmcnt(5)
	v_fma_f64 v[74:75], v[105:106], v[77:78], v[74:75]
	s_waitcnt vmcnt(4) lgkmcnt(0)
	v_fma_f64 v[74:75], v[99:100], v[79:80], v[74:75]
	s_waitcnt vmcnt(2)
	v_fma_f64 v[74:75], v[85:86], v[81:82], v[74:75]
	s_waitcnt vmcnt(0)
	v_add_f64 v[74:75], v[87:88], -v[74:75]
	buffer_store_dword v75, off, s[0:3], 0 offset:60
	buffer_store_dword v74, off, s[0:3], 0 offset:56
	s_and_saveexec_b64 s[4:5], vcc
	s_cbranch_execz .LBB35_211
; %bb.210:
	buffer_load_dword v74, off, s[0:3], 0 offset:48
	buffer_load_dword v75, off, s[0:3], 0 offset:52
	v_mov_b32_e32 v76, 0
	buffer_store_dword v76, off, s[0:3], 0 offset:48
	buffer_store_dword v76, off, s[0:3], 0 offset:52
	s_waitcnt vmcnt(2)
	ds_write_b64 v73, v[74:75]
.LBB35_211:
	s_or_b64 exec, exec, s[4:5]
	s_waitcnt lgkmcnt(0)
	; wave barrier
	buffer_load_dword v83, off, s[0:3], 0 offset:56
	buffer_load_dword v84, off, s[0:3], 0 offset:60
	buffer_load_dword v85, off, s[0:3], 0 offset:64
	buffer_load_dword v86, off, s[0:3], 0 offset:68
	buffer_load_dword v87, off, s[0:3], 0 offset:72
	buffer_load_dword v88, off, s[0:3], 0 offset:76
	buffer_load_dword v89, off, s[0:3], 0 offset:80
	buffer_load_dword v90, off, s[0:3], 0 offset:84
	buffer_load_dword v91, off, s[0:3], 0 offset:88
	buffer_load_dword v92, off, s[0:3], 0 offset:92
	buffer_load_dword v93, off, s[0:3], 0 offset:96
	buffer_load_dword v94, off, s[0:3], 0 offset:100
	buffer_load_dword v95, off, s[0:3], 0 offset:104
	buffer_load_dword v96, off, s[0:3], 0 offset:108
	buffer_load_dword v98, off, s[0:3], 0 offset:116
	buffer_load_dword v99, off, s[0:3], 0 offset:136
	buffer_load_dword v101, off, s[0:3], 0 offset:128
	buffer_load_dword v103, off, s[0:3], 0 offset:120
	buffer_load_dword v97, off, s[0:3], 0 offset:112
	buffer_load_dword v104, off, s[0:3], 0 offset:124
	buffer_load_dword v102, off, s[0:3], 0 offset:132
	buffer_load_dword v100, off, s[0:3], 0 offset:140
	v_mov_b32_e32 v74, 0
	ds_read2_b64 v[75:78], v74 offset0:43 offset1:44
	ds_read2_b64 v[79:82], v74 offset0:45 offset1:46
	v_cmp_lt_u32_e32 vcc, 5, v0
	s_waitcnt vmcnt(20) lgkmcnt(1)
	v_fma_f64 v[75:76], v[83:84], v[75:76], 0
	s_waitcnt vmcnt(18)
	v_fma_f64 v[75:76], v[85:86], v[77:78], v[75:76]
	buffer_load_dword v84, off, s[0:3], 0 offset:148
	buffer_load_dword v85, off, s[0:3], 0 offset:168
	;; [unrolled: 1-line block ×7, first 2 shown]
	s_waitcnt vmcnt(23) lgkmcnt(0)
	v_fma_f64 v[75:76], v[87:88], v[79:80], v[75:76]
	s_waitcnt vmcnt(21)
	v_fma_f64 v[86:87], v[89:90], v[81:82], v[75:76]
	ds_read2_b64 v[75:78], v74 offset0:47 offset1:48
	ds_read2_b64 v[79:82], v74 offset0:49 offset1:50
	s_waitcnt vmcnt(19) lgkmcnt(1)
	v_fma_f64 v[75:76], v[91:92], v[75:76], v[86:87]
	buffer_load_dword v86, off, s[0:3], 0 offset:172
	s_waitcnt vmcnt(18)
	v_fma_f64 v[75:76], v[93:94], v[77:78], v[75:76]
	buffer_load_dword v88, off, s[0:3], 0 offset:180
	buffer_load_dword v89, off, s[0:3], 0 offset:200
	;; [unrolled: 1-line block ×7, first 2 shown]
	s_waitcnt vmcnt(23) lgkmcnt(0)
	v_fma_f64 v[75:76], v[95:96], v[79:80], v[75:76]
	s_waitcnt vmcnt(18)
	v_fma_f64 v[95:96], v[97:98], v[81:82], v[75:76]
	ds_read2_b64 v[75:78], v74 offset0:51 offset1:52
	ds_read2_b64 v[79:82], v74 offset0:53 offset1:54
	buffer_load_dword v90, off, s[0:3], 0 offset:204
	s_waitcnt vmcnt(18) lgkmcnt(1)
	v_fma_f64 v[75:76], v[103:104], v[75:76], v[95:96]
	s_waitcnt vmcnt(17)
	v_fma_f64 v[75:76], v[101:102], v[77:78], v[75:76]
	buffer_load_dword v96, off, s[0:3], 0 offset:212
	buffer_load_dword v97, off, s[0:3], 0 offset:232
	;; [unrolled: 1-line block ×8, first 2 shown]
	s_waitcnt vmcnt(24) lgkmcnt(0)
	v_fma_f64 v[75:76], v[99:100], v[79:80], v[75:76]
	s_waitcnt vmcnt(19)
	v_fma_f64 v[83:84], v[83:84], v[81:82], v[75:76]
	ds_read2_b64 v[75:78], v74 offset0:55 offset1:56
	ds_read2_b64 v[79:82], v74 offset0:57 offset1:58
	s_waitcnt vmcnt(18) lgkmcnt(1)
	v_fma_f64 v[75:76], v[107:108], v[75:76], v[83:84]
	s_waitcnt vmcnt(17)
	v_fma_f64 v[75:76], v[105:106], v[77:78], v[75:76]
	buffer_load_dword v84, off, s[0:3], 0 offset:244
	buffer_load_dword v99, off, s[0:3], 0 offset:264
	buffer_load_dword v105, off, s[0:3], 0 offset:256
	buffer_load_dword v107, off, s[0:3], 0 offset:248
	buffer_load_dword v83, off, s[0:3], 0 offset:240
	buffer_load_dword v108, off, s[0:3], 0 offset:252
	buffer_load_dword v106, off, s[0:3], 0 offset:260
	s_waitcnt vmcnt(23) lgkmcnt(0)
	v_fma_f64 v[75:76], v[85:86], v[79:80], v[75:76]
	s_waitcnt vmcnt(18)
	v_fma_f64 v[85:86], v[87:88], v[81:82], v[75:76]
	ds_read2_b64 v[75:78], v74 offset0:59 offset1:60
	ds_read2_b64 v[79:82], v74 offset0:61 offset1:62
	buffer_load_dword v100, off, s[0:3], 0 offset:268
	s_waitcnt vmcnt(18) lgkmcnt(1)
	v_fma_f64 v[75:76], v[93:94], v[75:76], v[85:86]
	buffer_load_dword v86, off, s[0:3], 0 offset:276
	buffer_load_dword v87, off, s[0:3], 0 offset:280
	buffer_load_dword v85, off, s[0:3], 0 offset:272
	buffer_load_dword v88, off, s[0:3], 0 offset:284
	s_waitcnt vmcnt(21)
	v_fma_f64 v[75:76], v[91:92], v[77:78], v[75:76]
	s_waitcnt vmcnt(20) lgkmcnt(0)
	v_fma_f64 v[75:76], v[89:90], v[79:80], v[75:76]
	buffer_load_dword v89, off, s[0:3], 0 offset:48
	buffer_load_dword v90, off, s[0:3], 0 offset:52
	s_waitcnt vmcnt(17)
	v_fma_f64 v[91:92], v[95:96], v[81:82], v[75:76]
	ds_read2_b64 v[75:78], v74 offset0:63 offset1:64
	ds_read2_b64 v[79:82], v74 offset0:65 offset1:66
	s_waitcnt vmcnt(16) lgkmcnt(1)
	v_fma_f64 v[75:76], v[103:104], v[75:76], v[91:92]
	s_waitcnt vmcnt(15)
	v_fma_f64 v[75:76], v[101:102], v[77:78], v[75:76]
	s_waitcnt vmcnt(14) lgkmcnt(0)
	v_fma_f64 v[75:76], v[97:98], v[79:80], v[75:76]
	s_waitcnt vmcnt(9)
	v_fma_f64 v[83:84], v[83:84], v[81:82], v[75:76]
	ds_read2_b64 v[75:78], v74 offset0:67 offset1:68
	ds_read2_b64 v[79:82], v74 offset0:69 offset1:70
	s_waitcnt vmcnt(8) lgkmcnt(1)
	v_fma_f64 v[75:76], v[107:108], v[75:76], v[83:84]
	s_waitcnt vmcnt(7)
	v_fma_f64 v[75:76], v[105:106], v[77:78], v[75:76]
	ds_read_b64 v[77:78], v74 offset:568
	s_waitcnt vmcnt(6) lgkmcnt(1)
	v_fma_f64 v[75:76], v[99:100], v[79:80], v[75:76]
	s_waitcnt vmcnt(3)
	v_fma_f64 v[75:76], v[85:86], v[81:82], v[75:76]
	s_waitcnt vmcnt(2) lgkmcnt(0)
	v_fma_f64 v[75:76], v[87:88], v[77:78], v[75:76]
	s_waitcnt vmcnt(0)
	v_add_f64 v[75:76], v[89:90], -v[75:76]
	buffer_store_dword v76, off, s[0:3], 0 offset:52
	buffer_store_dword v75, off, s[0:3], 0 offset:48
	s_and_saveexec_b64 s[4:5], vcc
	s_cbranch_execz .LBB35_213
; %bb.212:
	buffer_load_dword v75, off, s[0:3], 0 offset:40
	buffer_load_dword v76, off, s[0:3], 0 offset:44
	s_waitcnt vmcnt(0)
	ds_write_b64 v73, v[75:76]
	buffer_store_dword v74, off, s[0:3], 0 offset:40
	buffer_store_dword v74, off, s[0:3], 0 offset:44
.LBB35_213:
	s_or_b64 exec, exec, s[4:5]
	s_waitcnt lgkmcnt(0)
	; wave barrier
	buffer_load_dword v83, off, s[0:3], 0 offset:48
	buffer_load_dword v84, off, s[0:3], 0 offset:52
	;; [unrolled: 1-line block ×22, first 2 shown]
	ds_read_b128 v[75:78], v74 offset:336
	ds_read_b128 v[79:82], v74 offset:352
	v_cmp_lt_u32_e32 vcc, 4, v0
	s_waitcnt vmcnt(20) lgkmcnt(1)
	v_fma_f64 v[75:76], v[83:84], v[75:76], 0
	s_waitcnt vmcnt(18)
	v_fma_f64 v[75:76], v[85:86], v[77:78], v[75:76]
	buffer_load_dword v84, off, s[0:3], 0 offset:140
	buffer_load_dword v85, off, s[0:3], 0 offset:160
	;; [unrolled: 1-line block ×7, first 2 shown]
	s_waitcnt vmcnt(23) lgkmcnt(0)
	v_fma_f64 v[75:76], v[87:88], v[79:80], v[75:76]
	s_waitcnt vmcnt(21)
	v_fma_f64 v[86:87], v[89:90], v[81:82], v[75:76]
	ds_read_b128 v[75:78], v74 offset:368
	ds_read_b128 v[79:82], v74 offset:384
	s_waitcnt vmcnt(19) lgkmcnt(1)
	v_fma_f64 v[75:76], v[91:92], v[75:76], v[86:87]
	buffer_load_dword v86, off, s[0:3], 0 offset:164
	s_waitcnt vmcnt(18)
	v_fma_f64 v[75:76], v[93:94], v[77:78], v[75:76]
	buffer_load_dword v88, off, s[0:3], 0 offset:172
	buffer_load_dword v89, off, s[0:3], 0 offset:192
	;; [unrolled: 1-line block ×7, first 2 shown]
	s_waitcnt vmcnt(23) lgkmcnt(0)
	v_fma_f64 v[75:76], v[95:96], v[79:80], v[75:76]
	s_waitcnt vmcnt(18)
	v_fma_f64 v[95:96], v[97:98], v[81:82], v[75:76]
	ds_read_b128 v[75:78], v74 offset:400
	ds_read_b128 v[79:82], v74 offset:416
	buffer_load_dword v90, off, s[0:3], 0 offset:196
	s_waitcnt vmcnt(18) lgkmcnt(1)
	v_fma_f64 v[75:76], v[103:104], v[75:76], v[95:96]
	s_waitcnt vmcnt(17)
	v_fma_f64 v[75:76], v[101:102], v[77:78], v[75:76]
	buffer_load_dword v96, off, s[0:3], 0 offset:204
	buffer_load_dword v97, off, s[0:3], 0 offset:224
	;; [unrolled: 1-line block ×8, first 2 shown]
	s_waitcnt vmcnt(24) lgkmcnt(0)
	v_fma_f64 v[75:76], v[99:100], v[79:80], v[75:76]
	s_waitcnt vmcnt(19)
	v_fma_f64 v[83:84], v[83:84], v[81:82], v[75:76]
	ds_read_b128 v[75:78], v74 offset:432
	ds_read_b128 v[79:82], v74 offset:448
	s_waitcnt vmcnt(18) lgkmcnt(1)
	v_fma_f64 v[75:76], v[107:108], v[75:76], v[83:84]
	s_waitcnt vmcnt(17)
	v_fma_f64 v[75:76], v[105:106], v[77:78], v[75:76]
	buffer_load_dword v84, off, s[0:3], 0 offset:236
	buffer_load_dword v99, off, s[0:3], 0 offset:256
	;; [unrolled: 1-line block ×8, first 2 shown]
	s_waitcnt vmcnt(24) lgkmcnt(0)
	v_fma_f64 v[75:76], v[85:86], v[79:80], v[75:76]
	s_waitcnt vmcnt(19)
	v_fma_f64 v[85:86], v[87:88], v[81:82], v[75:76]
	ds_read_b128 v[75:78], v74 offset:464
	ds_read_b128 v[79:82], v74 offset:480
	s_waitcnt vmcnt(18) lgkmcnt(1)
	v_fma_f64 v[75:76], v[93:94], v[75:76], v[85:86]
	s_waitcnt vmcnt(17)
	v_fma_f64 v[75:76], v[91:92], v[77:78], v[75:76]
	buffer_load_dword v86, off, s[0:3], 0 offset:268
	buffer_load_dword v87, off, s[0:3], 0 offset:280
	;; [unrolled: 1-line block ×6, first 2 shown]
	s_waitcnt vmcnt(22) lgkmcnt(0)
	v_fma_f64 v[75:76], v[89:90], v[79:80], v[75:76]
	s_waitcnt vmcnt(17)
	v_fma_f64 v[89:90], v[95:96], v[81:82], v[75:76]
	ds_read_b128 v[75:78], v74 offset:496
	buffer_load_dword v93, off, s[0:3], 0 offset:40
	buffer_load_dword v94, off, s[0:3], 0 offset:44
	ds_read_b128 v[79:82], v74 offset:512
	s_waitcnt vmcnt(18) lgkmcnt(1)
	v_fma_f64 v[75:76], v[103:104], v[75:76], v[89:90]
	s_waitcnt vmcnt(17)
	v_fma_f64 v[75:76], v[101:102], v[77:78], v[75:76]
	s_waitcnt vmcnt(16) lgkmcnt(0)
	v_fma_f64 v[75:76], v[97:98], v[79:80], v[75:76]
	s_waitcnt vmcnt(11)
	v_fma_f64 v[83:84], v[83:84], v[81:82], v[75:76]
	ds_read_b128 v[75:78], v74 offset:528
	ds_read_b128 v[79:82], v74 offset:544
	s_waitcnt vmcnt(10) lgkmcnt(1)
	v_fma_f64 v[75:76], v[107:108], v[75:76], v[83:84]
	s_waitcnt vmcnt(9)
	v_fma_f64 v[75:76], v[105:106], v[77:78], v[75:76]
	s_waitcnt vmcnt(8) lgkmcnt(0)
	v_fma_f64 v[75:76], v[99:100], v[79:80], v[75:76]
	s_waitcnt vmcnt(4)
	v_fma_f64 v[78:79], v[85:86], v[81:82], v[75:76]
	ds_read_b128 v[74:77], v74 offset:560
	s_waitcnt vmcnt(3) lgkmcnt(0)
	v_fma_f64 v[74:75], v[91:92], v[74:75], v[78:79]
	s_waitcnt vmcnt(2)
	v_fma_f64 v[74:75], v[87:88], v[76:77], v[74:75]
	s_waitcnt vmcnt(0)
	v_add_f64 v[74:75], v[93:94], -v[74:75]
	buffer_store_dword v75, off, s[0:3], 0 offset:44
	buffer_store_dword v74, off, s[0:3], 0 offset:40
	s_and_saveexec_b64 s[4:5], vcc
	s_cbranch_execz .LBB35_215
; %bb.214:
	buffer_load_dword v74, off, s[0:3], 0 offset:32
	buffer_load_dword v75, off, s[0:3], 0 offset:36
	v_mov_b32_e32 v76, 0
	buffer_store_dword v76, off, s[0:3], 0 offset:32
	buffer_store_dword v76, off, s[0:3], 0 offset:36
	s_waitcnt vmcnt(2)
	ds_write_b64 v73, v[74:75]
.LBB35_215:
	s_or_b64 exec, exec, s[4:5]
	s_waitcnt lgkmcnt(0)
	; wave barrier
	buffer_load_dword v83, off, s[0:3], 0 offset:40
	buffer_load_dword v84, off, s[0:3], 0 offset:44
	;; [unrolled: 1-line block ×22, first 2 shown]
	v_mov_b32_e32 v74, 0
	ds_read2_b64 v[75:78], v74 offset0:41 offset1:42
	ds_read2_b64 v[79:82], v74 offset0:43 offset1:44
	v_cmp_lt_u32_e32 vcc, 3, v0
	s_waitcnt vmcnt(20) lgkmcnt(1)
	v_fma_f64 v[75:76], v[83:84], v[75:76], 0
	s_waitcnt vmcnt(18)
	v_fma_f64 v[75:76], v[85:86], v[77:78], v[75:76]
	buffer_load_dword v84, off, s[0:3], 0 offset:132
	buffer_load_dword v85, off, s[0:3], 0 offset:152
	;; [unrolled: 1-line block ×7, first 2 shown]
	s_waitcnt vmcnt(23) lgkmcnt(0)
	v_fma_f64 v[75:76], v[87:88], v[79:80], v[75:76]
	s_waitcnt vmcnt(21)
	v_fma_f64 v[86:87], v[89:90], v[81:82], v[75:76]
	ds_read2_b64 v[75:78], v74 offset0:45 offset1:46
	ds_read2_b64 v[79:82], v74 offset0:47 offset1:48
	s_waitcnt vmcnt(19) lgkmcnt(1)
	v_fma_f64 v[75:76], v[91:92], v[75:76], v[86:87]
	buffer_load_dword v86, off, s[0:3], 0 offset:156
	s_waitcnt vmcnt(18)
	v_fma_f64 v[75:76], v[93:94], v[77:78], v[75:76]
	buffer_load_dword v88, off, s[0:3], 0 offset:164
	buffer_load_dword v89, off, s[0:3], 0 offset:184
	;; [unrolled: 1-line block ×7, first 2 shown]
	s_waitcnt vmcnt(23) lgkmcnt(0)
	v_fma_f64 v[75:76], v[95:96], v[79:80], v[75:76]
	s_waitcnt vmcnt(18)
	v_fma_f64 v[95:96], v[97:98], v[81:82], v[75:76]
	ds_read2_b64 v[75:78], v74 offset0:49 offset1:50
	ds_read2_b64 v[79:82], v74 offset0:51 offset1:52
	buffer_load_dword v90, off, s[0:3], 0 offset:188
	s_waitcnt vmcnt(18) lgkmcnt(1)
	v_fma_f64 v[75:76], v[103:104], v[75:76], v[95:96]
	s_waitcnt vmcnt(17)
	v_fma_f64 v[75:76], v[101:102], v[77:78], v[75:76]
	buffer_load_dword v96, off, s[0:3], 0 offset:196
	buffer_load_dword v97, off, s[0:3], 0 offset:216
	buffer_load_dword v101, off, s[0:3], 0 offset:208
	buffer_load_dword v103, off, s[0:3], 0 offset:200
	buffer_load_dword v95, off, s[0:3], 0 offset:192
	buffer_load_dword v104, off, s[0:3], 0 offset:204
	buffer_load_dword v102, off, s[0:3], 0 offset:212
	buffer_load_dword v98, off, s[0:3], 0 offset:220
	s_waitcnt vmcnt(24) lgkmcnt(0)
	v_fma_f64 v[75:76], v[99:100], v[79:80], v[75:76]
	s_waitcnt vmcnt(19)
	v_fma_f64 v[83:84], v[83:84], v[81:82], v[75:76]
	ds_read2_b64 v[75:78], v74 offset0:53 offset1:54
	ds_read2_b64 v[79:82], v74 offset0:55 offset1:56
	s_waitcnt vmcnt(18) lgkmcnt(1)
	v_fma_f64 v[75:76], v[107:108], v[75:76], v[83:84]
	s_waitcnt vmcnt(17)
	v_fma_f64 v[75:76], v[105:106], v[77:78], v[75:76]
	buffer_load_dword v84, off, s[0:3], 0 offset:228
	buffer_load_dword v99, off, s[0:3], 0 offset:248
	buffer_load_dword v105, off, s[0:3], 0 offset:240
	buffer_load_dword v107, off, s[0:3], 0 offset:232
	buffer_load_dword v83, off, s[0:3], 0 offset:224
	buffer_load_dword v108, off, s[0:3], 0 offset:236
	buffer_load_dword v106, off, s[0:3], 0 offset:244
	buffer_load_dword v100, off, s[0:3], 0 offset:252
	s_waitcnt vmcnt(24) lgkmcnt(0)
	v_fma_f64 v[75:76], v[85:86], v[79:80], v[75:76]
	s_waitcnt vmcnt(19)
	v_fma_f64 v[85:86], v[87:88], v[81:82], v[75:76]
	ds_read2_b64 v[75:78], v74 offset0:57 offset1:58
	ds_read2_b64 v[79:82], v74 offset0:59 offset1:60
	;; [unrolled: 18-line block ×3, first 2 shown]
	s_waitcnt vmcnt(18) lgkmcnt(1)
	v_fma_f64 v[75:76], v[103:104], v[75:76], v[89:90]
	buffer_load_dword v89, off, s[0:3], 0 offset:32
	buffer_load_dword v90, off, s[0:3], 0 offset:36
	s_waitcnt vmcnt(19)
	v_fma_f64 v[75:76], v[101:102], v[77:78], v[75:76]
	s_waitcnt vmcnt(18) lgkmcnt(0)
	v_fma_f64 v[75:76], v[97:98], v[79:80], v[75:76]
	s_waitcnt vmcnt(13)
	v_fma_f64 v[83:84], v[83:84], v[81:82], v[75:76]
	ds_read2_b64 v[75:78], v74 offset0:65 offset1:66
	ds_read2_b64 v[79:82], v74 offset0:67 offset1:68
	s_waitcnt vmcnt(12) lgkmcnt(1)
	v_fma_f64 v[75:76], v[107:108], v[75:76], v[83:84]
	s_waitcnt vmcnt(11)
	v_fma_f64 v[75:76], v[105:106], v[77:78], v[75:76]
	s_waitcnt vmcnt(10) lgkmcnt(0)
	v_fma_f64 v[75:76], v[99:100], v[79:80], v[75:76]
	s_waitcnt vmcnt(5)
	v_fma_f64 v[79:80], v[85:86], v[81:82], v[75:76]
	ds_read2_b64 v[75:78], v74 offset0:69 offset1:70
	ds_read_b64 v[81:82], v74 offset:568
	s_waitcnt vmcnt(4) lgkmcnt(1)
	v_fma_f64 v[75:76], v[93:94], v[75:76], v[79:80]
	s_waitcnt vmcnt(3)
	v_fma_f64 v[75:76], v[91:92], v[77:78], v[75:76]
	s_waitcnt vmcnt(2) lgkmcnt(0)
	v_fma_f64 v[75:76], v[87:88], v[81:82], v[75:76]
	s_waitcnt vmcnt(0)
	v_add_f64 v[75:76], v[89:90], -v[75:76]
	buffer_store_dword v76, off, s[0:3], 0 offset:36
	buffer_store_dword v75, off, s[0:3], 0 offset:32
	s_and_saveexec_b64 s[4:5], vcc
	s_cbranch_execz .LBB35_217
; %bb.216:
	buffer_load_dword v75, off, s[0:3], 0 offset:24
	buffer_load_dword v76, off, s[0:3], 0 offset:28
	s_waitcnt vmcnt(0)
	ds_write_b64 v73, v[75:76]
	buffer_store_dword v74, off, s[0:3], 0 offset:24
	buffer_store_dword v74, off, s[0:3], 0 offset:28
.LBB35_217:
	s_or_b64 exec, exec, s[4:5]
	s_waitcnt lgkmcnt(0)
	; wave barrier
	buffer_load_dword v83, off, s[0:3], 0 offset:32
	buffer_load_dword v84, off, s[0:3], 0 offset:36
	;; [unrolled: 1-line block ×22, first 2 shown]
	ds_read_b128 v[75:78], v74 offset:320
	ds_read_b128 v[79:82], v74 offset:336
	v_cmp_lt_u32_e32 vcc, 2, v0
	s_waitcnt vmcnt(20) lgkmcnt(1)
	v_fma_f64 v[75:76], v[83:84], v[75:76], 0
	s_waitcnt vmcnt(18)
	v_fma_f64 v[75:76], v[85:86], v[77:78], v[75:76]
	buffer_load_dword v84, off, s[0:3], 0 offset:124
	buffer_load_dword v85, off, s[0:3], 0 offset:144
	;; [unrolled: 1-line block ×7, first 2 shown]
	s_waitcnt vmcnt(23) lgkmcnt(0)
	v_fma_f64 v[75:76], v[87:88], v[79:80], v[75:76]
	s_waitcnt vmcnt(21)
	v_fma_f64 v[86:87], v[89:90], v[81:82], v[75:76]
	ds_read_b128 v[75:78], v74 offset:352
	ds_read_b128 v[79:82], v74 offset:368
	s_waitcnt vmcnt(19) lgkmcnt(1)
	v_fma_f64 v[75:76], v[91:92], v[75:76], v[86:87]
	buffer_load_dword v86, off, s[0:3], 0 offset:148
	s_waitcnt vmcnt(18)
	v_fma_f64 v[75:76], v[93:94], v[77:78], v[75:76]
	buffer_load_dword v88, off, s[0:3], 0 offset:156
	buffer_load_dword v89, off, s[0:3], 0 offset:176
	;; [unrolled: 1-line block ×7, first 2 shown]
	s_waitcnt vmcnt(23) lgkmcnt(0)
	v_fma_f64 v[75:76], v[95:96], v[79:80], v[75:76]
	s_waitcnt vmcnt(18)
	v_fma_f64 v[95:96], v[97:98], v[81:82], v[75:76]
	ds_read_b128 v[75:78], v74 offset:384
	ds_read_b128 v[79:82], v74 offset:400
	buffer_load_dword v90, off, s[0:3], 0 offset:180
	s_waitcnt vmcnt(18) lgkmcnt(1)
	v_fma_f64 v[75:76], v[103:104], v[75:76], v[95:96]
	s_waitcnt vmcnt(17)
	v_fma_f64 v[75:76], v[101:102], v[77:78], v[75:76]
	buffer_load_dword v96, off, s[0:3], 0 offset:188
	buffer_load_dword v97, off, s[0:3], 0 offset:208
	buffer_load_dword v101, off, s[0:3], 0 offset:200
	buffer_load_dword v103, off, s[0:3], 0 offset:192
	buffer_load_dword v95, off, s[0:3], 0 offset:184
	buffer_load_dword v104, off, s[0:3], 0 offset:196
	buffer_load_dword v102, off, s[0:3], 0 offset:204
	buffer_load_dword v98, off, s[0:3], 0 offset:212
	s_waitcnt vmcnt(24) lgkmcnt(0)
	v_fma_f64 v[75:76], v[99:100], v[79:80], v[75:76]
	s_waitcnt vmcnt(19)
	v_fma_f64 v[83:84], v[83:84], v[81:82], v[75:76]
	ds_read_b128 v[75:78], v74 offset:416
	ds_read_b128 v[79:82], v74 offset:432
	s_waitcnt vmcnt(18) lgkmcnt(1)
	v_fma_f64 v[75:76], v[107:108], v[75:76], v[83:84]
	s_waitcnt vmcnt(17)
	v_fma_f64 v[75:76], v[105:106], v[77:78], v[75:76]
	buffer_load_dword v84, off, s[0:3], 0 offset:220
	buffer_load_dword v99, off, s[0:3], 0 offset:240
	buffer_load_dword v105, off, s[0:3], 0 offset:232
	buffer_load_dword v107, off, s[0:3], 0 offset:224
	buffer_load_dword v83, off, s[0:3], 0 offset:216
	buffer_load_dword v108, off, s[0:3], 0 offset:228
	buffer_load_dword v106, off, s[0:3], 0 offset:236
	buffer_load_dword v100, off, s[0:3], 0 offset:244
	s_waitcnt vmcnt(24) lgkmcnt(0)
	v_fma_f64 v[75:76], v[85:86], v[79:80], v[75:76]
	s_waitcnt vmcnt(19)
	v_fma_f64 v[85:86], v[87:88], v[81:82], v[75:76]
	ds_read_b128 v[75:78], v74 offset:448
	ds_read_b128 v[79:82], v74 offset:464
	;; [unrolled: 18-line block ×3, first 2 shown]
	s_waitcnt vmcnt(18) lgkmcnt(1)
	v_fma_f64 v[75:76], v[103:104], v[75:76], v[89:90]
	buffer_load_dword v90, off, s[0:3], 0 offset:284
	buffer_load_dword v89, off, s[0:3], 0 offset:280
	;; [unrolled: 1-line block ×4, first 2 shown]
	s_waitcnt vmcnt(21)
	v_fma_f64 v[75:76], v[101:102], v[77:78], v[75:76]
	s_waitcnt vmcnt(20) lgkmcnt(0)
	v_fma_f64 v[75:76], v[97:98], v[79:80], v[75:76]
	s_waitcnt vmcnt(15)
	v_fma_f64 v[83:84], v[83:84], v[81:82], v[75:76]
	ds_read_b128 v[75:78], v74 offset:512
	ds_read_b128 v[79:82], v74 offset:528
	s_waitcnt vmcnt(14) lgkmcnt(1)
	v_fma_f64 v[75:76], v[107:108], v[75:76], v[83:84]
	s_waitcnt vmcnt(13)
	v_fma_f64 v[75:76], v[105:106], v[77:78], v[75:76]
	s_waitcnt vmcnt(12) lgkmcnt(0)
	v_fma_f64 v[75:76], v[99:100], v[79:80], v[75:76]
	s_waitcnt vmcnt(7)
	v_fma_f64 v[83:84], v[85:86], v[81:82], v[75:76]
	ds_read_b128 v[75:78], v74 offset:544
	ds_read_b128 v[79:82], v74 offset:560
	s_waitcnt vmcnt(6) lgkmcnt(1)
	v_fma_f64 v[74:75], v[93:94], v[75:76], v[83:84]
	s_waitcnt vmcnt(5)
	v_fma_f64 v[74:75], v[91:92], v[77:78], v[74:75]
	s_waitcnt vmcnt(4) lgkmcnt(0)
	v_fma_f64 v[74:75], v[87:88], v[79:80], v[74:75]
	s_waitcnt vmcnt(2)
	v_fma_f64 v[74:75], v[89:90], v[81:82], v[74:75]
	s_waitcnt vmcnt(0)
	v_add_f64 v[74:75], v[95:96], -v[74:75]
	buffer_store_dword v75, off, s[0:3], 0 offset:28
	buffer_store_dword v74, off, s[0:3], 0 offset:24
	s_and_saveexec_b64 s[4:5], vcc
	s_cbranch_execz .LBB35_219
; %bb.218:
	buffer_load_dword v74, off, s[0:3], 0 offset:16
	buffer_load_dword v75, off, s[0:3], 0 offset:20
	v_mov_b32_e32 v76, 0
	buffer_store_dword v76, off, s[0:3], 0 offset:16
	buffer_store_dword v76, off, s[0:3], 0 offset:20
	s_waitcnt vmcnt(2)
	ds_write_b64 v73, v[74:75]
.LBB35_219:
	s_or_b64 exec, exec, s[4:5]
	s_waitcnt lgkmcnt(0)
	; wave barrier
	buffer_load_dword v83, off, s[0:3], 0 offset:24
	buffer_load_dword v84, off, s[0:3], 0 offset:28
	;; [unrolled: 1-line block ×21, first 2 shown]
	v_mov_b32_e32 v74, 0
	ds_read2_b64 v[75:78], v74 offset0:39 offset1:40
	ds_read2_b64 v[79:82], v74 offset0:41 offset1:42
	buffer_load_dword v100, off, s[0:3], 0 offset:108
	v_cmp_lt_u32_e32 vcc, 1, v0
	s_waitcnt vmcnt(20) lgkmcnt(1)
	v_fma_f64 v[75:76], v[83:84], v[75:76], 0
	s_waitcnt vmcnt(18)
	v_fma_f64 v[75:76], v[85:86], v[77:78], v[75:76]
	buffer_load_dword v84, off, s[0:3], 0 offset:116
	buffer_load_dword v85, off, s[0:3], 0 offset:136
	;; [unrolled: 1-line block ×7, first 2 shown]
	s_waitcnt vmcnt(23) lgkmcnt(0)
	v_fma_f64 v[75:76], v[87:88], v[79:80], v[75:76]
	s_waitcnt vmcnt(21)
	v_fma_f64 v[86:87], v[89:90], v[81:82], v[75:76]
	ds_read2_b64 v[75:78], v74 offset0:43 offset1:44
	ds_read2_b64 v[79:82], v74 offset0:45 offset1:46
	s_waitcnt vmcnt(19) lgkmcnt(1)
	v_fma_f64 v[75:76], v[91:92], v[75:76], v[86:87]
	buffer_load_dword v86, off, s[0:3], 0 offset:140
	s_waitcnt vmcnt(18)
	v_fma_f64 v[75:76], v[93:94], v[77:78], v[75:76]
	buffer_load_dword v88, off, s[0:3], 0 offset:148
	buffer_load_dword v89, off, s[0:3], 0 offset:168
	;; [unrolled: 1-line block ×7, first 2 shown]
	s_waitcnt vmcnt(23) lgkmcnt(0)
	v_fma_f64 v[75:76], v[95:96], v[79:80], v[75:76]
	s_waitcnt vmcnt(18)
	v_fma_f64 v[95:96], v[97:98], v[81:82], v[75:76]
	ds_read2_b64 v[75:78], v74 offset0:47 offset1:48
	ds_read2_b64 v[79:82], v74 offset0:49 offset1:50
	buffer_load_dword v90, off, s[0:3], 0 offset:172
	s_waitcnt vmcnt(18) lgkmcnt(1)
	v_fma_f64 v[75:76], v[103:104], v[75:76], v[95:96]
	s_waitcnt vmcnt(17)
	v_fma_f64 v[75:76], v[101:102], v[77:78], v[75:76]
	buffer_load_dword v96, off, s[0:3], 0 offset:180
	buffer_load_dword v97, off, s[0:3], 0 offset:200
	;; [unrolled: 1-line block ×7, first 2 shown]
	s_waitcnt vmcnt(23) lgkmcnt(0)
	v_fma_f64 v[75:76], v[99:100], v[79:80], v[75:76]
	s_waitcnt vmcnt(18)
	v_fma_f64 v[83:84], v[83:84], v[81:82], v[75:76]
	ds_read2_b64 v[75:78], v74 offset0:51 offset1:52
	ds_read2_b64 v[79:82], v74 offset0:53 offset1:54
	buffer_load_dword v98, off, s[0:3], 0 offset:204
	s_waitcnt vmcnt(18) lgkmcnt(1)
	v_fma_f64 v[75:76], v[107:108], v[75:76], v[83:84]
	s_waitcnt vmcnt(17)
	v_fma_f64 v[75:76], v[105:106], v[77:78], v[75:76]
	buffer_load_dword v84, off, s[0:3], 0 offset:212
	buffer_load_dword v99, off, s[0:3], 0 offset:232
	;; [unrolled: 1-line block ×8, first 2 shown]
	s_waitcnt vmcnt(24) lgkmcnt(0)
	v_fma_f64 v[75:76], v[85:86], v[79:80], v[75:76]
	s_waitcnt vmcnt(19)
	v_fma_f64 v[85:86], v[87:88], v[81:82], v[75:76]
	ds_read2_b64 v[75:78], v74 offset0:55 offset1:56
	ds_read2_b64 v[79:82], v74 offset0:57 offset1:58
	s_waitcnt vmcnt(18) lgkmcnt(1)
	v_fma_f64 v[75:76], v[93:94], v[75:76], v[85:86]
	s_waitcnt vmcnt(17)
	v_fma_f64 v[75:76], v[91:92], v[77:78], v[75:76]
	buffer_load_dword v86, off, s[0:3], 0 offset:244
	buffer_load_dword v87, off, s[0:3], 0 offset:264
	;; [unrolled: 1-line block ×7, first 2 shown]
	s_waitcnt vmcnt(23) lgkmcnt(0)
	v_fma_f64 v[75:76], v[89:90], v[79:80], v[75:76]
	s_waitcnt vmcnt(18)
	v_fma_f64 v[88:89], v[95:96], v[81:82], v[75:76]
	ds_read2_b64 v[75:78], v74 offset0:59 offset1:60
	ds_read2_b64 v[79:82], v74 offset0:61 offset1:62
	s_waitcnt vmcnt(17) lgkmcnt(1)
	v_fma_f64 v[75:76], v[103:104], v[75:76], v[88:89]
	buffer_load_dword v88, off, s[0:3], 0 offset:268
	buffer_load_dword v90, off, s[0:3], 0 offset:276
	;; [unrolled: 1-line block ×5, first 2 shown]
	s_waitcnt vmcnt(21)
	v_fma_f64 v[75:76], v[101:102], v[77:78], v[75:76]
	s_waitcnt vmcnt(20) lgkmcnt(0)
	v_fma_f64 v[75:76], v[97:98], v[79:80], v[75:76]
	buffer_load_dword v97, off, s[0:3], 0 offset:16
	buffer_load_dword v98, off, s[0:3], 0 offset:20
	s_waitcnt vmcnt(17)
	v_fma_f64 v[83:84], v[83:84], v[81:82], v[75:76]
	ds_read2_b64 v[75:78], v74 offset0:63 offset1:64
	ds_read2_b64 v[79:82], v74 offset0:65 offset1:66
	s_waitcnt vmcnt(16) lgkmcnt(1)
	v_fma_f64 v[75:76], v[107:108], v[75:76], v[83:84]
	s_waitcnt vmcnt(15)
	v_fma_f64 v[75:76], v[105:106], v[77:78], v[75:76]
	s_waitcnt vmcnt(14) lgkmcnt(0)
	v_fma_f64 v[75:76], v[99:100], v[79:80], v[75:76]
	s_waitcnt vmcnt(9)
	v_fma_f64 v[83:84], v[85:86], v[81:82], v[75:76]
	ds_read2_b64 v[75:78], v74 offset0:67 offset1:68
	ds_read2_b64 v[79:82], v74 offset0:69 offset1:70
	s_waitcnt vmcnt(8) lgkmcnt(1)
	v_fma_f64 v[75:76], v[93:94], v[75:76], v[83:84]
	s_waitcnt vmcnt(7)
	v_fma_f64 v[75:76], v[91:92], v[77:78], v[75:76]
	ds_read_b64 v[77:78], v74 offset:568
	s_waitcnt vmcnt(6) lgkmcnt(1)
	v_fma_f64 v[75:76], v[87:88], v[79:80], v[75:76]
	s_waitcnt vmcnt(3)
	v_fma_f64 v[75:76], v[89:90], v[81:82], v[75:76]
	s_waitcnt vmcnt(2) lgkmcnt(0)
	v_fma_f64 v[75:76], v[95:96], v[77:78], v[75:76]
	s_waitcnt vmcnt(0)
	v_add_f64 v[75:76], v[97:98], -v[75:76]
	buffer_store_dword v76, off, s[0:3], 0 offset:20
	buffer_store_dword v75, off, s[0:3], 0 offset:16
	s_and_saveexec_b64 s[4:5], vcc
	s_cbranch_execz .LBB35_221
; %bb.220:
	buffer_load_dword v75, off, s[0:3], 0 offset:8
	buffer_load_dword v76, off, s[0:3], 0 offset:12
	s_waitcnt vmcnt(0)
	ds_write_b64 v73, v[75:76]
	buffer_store_dword v74, off, s[0:3], 0 offset:8
	buffer_store_dword v74, off, s[0:3], 0 offset:12
.LBB35_221:
	s_or_b64 exec, exec, s[4:5]
	s_waitcnt lgkmcnt(0)
	; wave barrier
	buffer_load_dword v83, off, s[0:3], 0 offset:16
	buffer_load_dword v84, off, s[0:3], 0 offset:20
	buffer_load_dword v85, off, s[0:3], 0 offset:24
	buffer_load_dword v86, off, s[0:3], 0 offset:28
	buffer_load_dword v87, off, s[0:3], 0 offset:32
	buffer_load_dword v88, off, s[0:3], 0 offset:36
	buffer_load_dword v89, off, s[0:3], 0 offset:40
	buffer_load_dword v90, off, s[0:3], 0 offset:44
	buffer_load_dword v91, off, s[0:3], 0 offset:48
	buffer_load_dword v92, off, s[0:3], 0 offset:52
	buffer_load_dword v93, off, s[0:3], 0 offset:56
	buffer_load_dword v94, off, s[0:3], 0 offset:60
	buffer_load_dword v95, off, s[0:3], 0 offset:64
	buffer_load_dword v96, off, s[0:3], 0 offset:68
	buffer_load_dword v98, off, s[0:3], 0 offset:76
	buffer_load_dword v99, off, s[0:3], 0 offset:96
	buffer_load_dword v101, off, s[0:3], 0 offset:88
	buffer_load_dword v103, off, s[0:3], 0 offset:80
	buffer_load_dword v97, off, s[0:3], 0 offset:72
	buffer_load_dword v104, off, s[0:3], 0 offset:84
	buffer_load_dword v102, off, s[0:3], 0 offset:92
	ds_read_b128 v[75:78], v74 offset:304
	ds_read_b128 v[79:82], v74 offset:320
	buffer_load_dword v100, off, s[0:3], 0 offset:100
	v_cmp_ne_u32_e32 vcc, 0, v0
	s_waitcnt vmcnt(20) lgkmcnt(1)
	v_fma_f64 v[75:76], v[83:84], v[75:76], 0
	s_waitcnt vmcnt(18)
	v_fma_f64 v[75:76], v[85:86], v[77:78], v[75:76]
	buffer_load_dword v84, off, s[0:3], 0 offset:108
	buffer_load_dword v85, off, s[0:3], 0 offset:128
	;; [unrolled: 1-line block ×7, first 2 shown]
	s_waitcnt vmcnt(23) lgkmcnt(0)
	v_fma_f64 v[75:76], v[87:88], v[79:80], v[75:76]
	s_waitcnt vmcnt(21)
	v_fma_f64 v[86:87], v[89:90], v[81:82], v[75:76]
	ds_read_b128 v[75:78], v74 offset:336
	ds_read_b128 v[79:82], v74 offset:352
	s_waitcnt vmcnt(19) lgkmcnt(1)
	v_fma_f64 v[75:76], v[91:92], v[75:76], v[86:87]
	buffer_load_dword v86, off, s[0:3], 0 offset:132
	s_waitcnt vmcnt(18)
	v_fma_f64 v[75:76], v[93:94], v[77:78], v[75:76]
	buffer_load_dword v88, off, s[0:3], 0 offset:140
	buffer_load_dword v89, off, s[0:3], 0 offset:160
	;; [unrolled: 1-line block ×8, first 2 shown]
	s_waitcnt vmcnt(24) lgkmcnt(0)
	v_fma_f64 v[75:76], v[95:96], v[79:80], v[75:76]
	s_waitcnt vmcnt(19)
	v_fma_f64 v[95:96], v[97:98], v[81:82], v[75:76]
	ds_read_b128 v[75:78], v74 offset:368
	ds_read_b128 v[79:82], v74 offset:384
	s_waitcnt vmcnt(18) lgkmcnt(1)
	v_fma_f64 v[75:76], v[103:104], v[75:76], v[95:96]
	s_waitcnt vmcnt(17)
	v_fma_f64 v[75:76], v[101:102], v[77:78], v[75:76]
	buffer_load_dword v96, off, s[0:3], 0 offset:172
	buffer_load_dword v97, off, s[0:3], 0 offset:192
	;; [unrolled: 1-line block ×7, first 2 shown]
	s_waitcnt vmcnt(23) lgkmcnt(0)
	v_fma_f64 v[75:76], v[99:100], v[79:80], v[75:76]
	s_waitcnt vmcnt(18)
	v_fma_f64 v[83:84], v[83:84], v[81:82], v[75:76]
	ds_read_b128 v[75:78], v74 offset:400
	ds_read_b128 v[79:82], v74 offset:416
	buffer_load_dword v98, off, s[0:3], 0 offset:196
	s_waitcnt vmcnt(18) lgkmcnt(1)
	v_fma_f64 v[75:76], v[107:108], v[75:76], v[83:84]
	s_waitcnt vmcnt(17)
	v_fma_f64 v[75:76], v[105:106], v[77:78], v[75:76]
	buffer_load_dword v84, off, s[0:3], 0 offset:204
	buffer_load_dword v99, off, s[0:3], 0 offset:224
	;; [unrolled: 1-line block ×8, first 2 shown]
	s_waitcnt vmcnt(24) lgkmcnt(0)
	v_fma_f64 v[75:76], v[85:86], v[79:80], v[75:76]
	s_waitcnt vmcnt(19)
	v_fma_f64 v[85:86], v[87:88], v[81:82], v[75:76]
	ds_read_b128 v[75:78], v74 offset:432
	ds_read_b128 v[79:82], v74 offset:448
	s_waitcnt vmcnt(18) lgkmcnt(1)
	v_fma_f64 v[75:76], v[93:94], v[75:76], v[85:86]
	s_waitcnt vmcnt(17)
	v_fma_f64 v[75:76], v[91:92], v[77:78], v[75:76]
	buffer_load_dword v86, off, s[0:3], 0 offset:236
	buffer_load_dword v87, off, s[0:3], 0 offset:256
	;; [unrolled: 1-line block ×7, first 2 shown]
	s_waitcnt vmcnt(23) lgkmcnt(0)
	v_fma_f64 v[75:76], v[89:90], v[79:80], v[75:76]
	s_waitcnt vmcnt(18)
	v_fma_f64 v[88:89], v[95:96], v[81:82], v[75:76]
	ds_read_b128 v[75:78], v74 offset:464
	ds_read_b128 v[79:82], v74 offset:480
	s_waitcnt vmcnt(17) lgkmcnt(1)
	v_fma_f64 v[75:76], v[103:104], v[75:76], v[88:89]
	buffer_load_dword v88, off, s[0:3], 0 offset:260
	s_waitcnt vmcnt(17)
	v_fma_f64 v[75:76], v[101:102], v[77:78], v[75:76]
	buffer_load_dword v90, off, s[0:3], 0 offset:268
	buffer_load_dword v95, off, s[0:3], 0 offset:280
	;; [unrolled: 1-line block ×6, first 2 shown]
	s_waitcnt vmcnt(22) lgkmcnt(0)
	v_fma_f64 v[75:76], v[97:98], v[79:80], v[75:76]
	s_waitcnt vmcnt(17)
	v_fma_f64 v[83:84], v[83:84], v[81:82], v[75:76]
	ds_read_b128 v[75:78], v74 offset:496
	buffer_load_dword v97, off, s[0:3], 0 offset:8
	buffer_load_dword v98, off, s[0:3], 0 offset:12
	ds_read_b128 v[79:82], v74 offset:512
	s_waitcnt vmcnt(18) lgkmcnt(1)
	v_fma_f64 v[75:76], v[107:108], v[75:76], v[83:84]
	s_waitcnt vmcnt(17)
	v_fma_f64 v[75:76], v[105:106], v[77:78], v[75:76]
	s_waitcnt vmcnt(16) lgkmcnt(0)
	v_fma_f64 v[75:76], v[99:100], v[79:80], v[75:76]
	s_waitcnt vmcnt(11)
	v_fma_f64 v[83:84], v[85:86], v[81:82], v[75:76]
	ds_read_b128 v[75:78], v74 offset:528
	ds_read_b128 v[79:82], v74 offset:544
	s_waitcnt vmcnt(10) lgkmcnt(1)
	v_fma_f64 v[75:76], v[93:94], v[75:76], v[83:84]
	s_waitcnt vmcnt(9)
	v_fma_f64 v[75:76], v[91:92], v[77:78], v[75:76]
	s_waitcnt vmcnt(8) lgkmcnt(0)
	v_fma_f64 v[75:76], v[87:88], v[79:80], v[75:76]
	s_waitcnt vmcnt(4)
	v_fma_f64 v[78:79], v[89:90], v[81:82], v[75:76]
	ds_read_b128 v[74:77], v74 offset:560
	s_waitcnt vmcnt(3) lgkmcnt(0)
	v_fma_f64 v[74:75], v[101:102], v[74:75], v[78:79]
	s_waitcnt vmcnt(2)
	v_fma_f64 v[74:75], v[95:96], v[76:77], v[74:75]
	s_waitcnt vmcnt(0)
	v_add_f64 v[74:75], v[97:98], -v[74:75]
	buffer_store_dword v75, off, s[0:3], 0 offset:12
	buffer_store_dword v74, off, s[0:3], 0 offset:8
	s_and_saveexec_b64 s[4:5], vcc
	s_cbranch_execz .LBB35_223
; %bb.222:
	buffer_load_dword v74, off, s[0:3], 0
	buffer_load_dword v75, off, s[0:3], 0 offset:4
	v_mov_b32_e32 v0, 0
	buffer_store_dword v0, off, s[0:3], 0
	buffer_store_dword v0, off, s[0:3], 0 offset:4
	s_waitcnt vmcnt(2)
	ds_write_b64 v73, v[74:75]
.LBB35_223:
	s_or_b64 exec, exec, s[4:5]
	s_waitcnt lgkmcnt(0)
	; wave barrier
	buffer_load_dword v81, off, s[0:3], 0 offset:8
	buffer_load_dword v82, off, s[0:3], 0 offset:12
	;; [unrolled: 1-line block ×21, first 2 shown]
	v_mov_b32_e32 v0, 0
	ds_read2_b64 v[73:76], v0 offset0:37 offset1:38
	ds_read2_b64 v[77:80], v0 offset0:39 offset1:40
	buffer_load_dword v98, off, s[0:3], 0 offset:92
	s_and_b64 vcc, exec, s[22:23]
	s_waitcnt vmcnt(20) lgkmcnt(1)
	v_fma_f64 v[73:74], v[81:82], v[73:74], 0
	s_waitcnt vmcnt(18)
	v_fma_f64 v[73:74], v[83:84], v[75:76], v[73:74]
	buffer_load_dword v82, off, s[0:3], 0 offset:100
	buffer_load_dword v83, off, s[0:3], 0 offset:120
	;; [unrolled: 1-line block ×7, first 2 shown]
	s_waitcnt vmcnt(23) lgkmcnt(0)
	v_fma_f64 v[73:74], v[85:86], v[77:78], v[73:74]
	s_waitcnt vmcnt(21)
	v_fma_f64 v[84:85], v[87:88], v[79:80], v[73:74]
	ds_read2_b64 v[73:76], v0 offset0:41 offset1:42
	ds_read2_b64 v[77:80], v0 offset0:43 offset1:44
	s_waitcnt vmcnt(19) lgkmcnt(1)
	v_fma_f64 v[73:74], v[89:90], v[73:74], v[84:85]
	buffer_load_dword v84, off, s[0:3], 0 offset:124
	s_waitcnt vmcnt(18)
	v_fma_f64 v[73:74], v[91:92], v[75:76], v[73:74]
	buffer_load_dword v86, off, s[0:3], 0 offset:132
	buffer_load_dword v87, off, s[0:3], 0 offset:152
	;; [unrolled: 1-line block ×8, first 2 shown]
	s_waitcnt vmcnt(24) lgkmcnt(0)
	v_fma_f64 v[73:74], v[93:94], v[77:78], v[73:74]
	s_waitcnt vmcnt(19)
	v_fma_f64 v[93:94], v[95:96], v[79:80], v[73:74]
	ds_read2_b64 v[73:76], v0 offset0:45 offset1:46
	ds_read2_b64 v[77:80], v0 offset0:47 offset1:48
	s_waitcnt vmcnt(18) lgkmcnt(1)
	v_fma_f64 v[73:74], v[101:102], v[73:74], v[93:94]
	s_waitcnt vmcnt(17)
	v_fma_f64 v[73:74], v[99:100], v[75:76], v[73:74]
	buffer_load_dword v94, off, s[0:3], 0 offset:164
	buffer_load_dword v95, off, s[0:3], 0 offset:184
	;; [unrolled: 1-line block ×7, first 2 shown]
	s_waitcnt vmcnt(23) lgkmcnt(0)
	v_fma_f64 v[73:74], v[97:98], v[77:78], v[73:74]
	s_waitcnt vmcnt(18)
	v_fma_f64 v[81:82], v[81:82], v[79:80], v[73:74]
	ds_read2_b64 v[73:76], v0 offset0:49 offset1:50
	ds_read2_b64 v[77:80], v0 offset0:51 offset1:52
	buffer_load_dword v96, off, s[0:3], 0 offset:188
	s_waitcnt vmcnt(18) lgkmcnt(1)
	v_fma_f64 v[73:74], v[105:106], v[73:74], v[81:82]
	s_waitcnt vmcnt(17)
	v_fma_f64 v[73:74], v[103:104], v[75:76], v[73:74]
	buffer_load_dword v82, off, s[0:3], 0 offset:196
	buffer_load_dword v97, off, s[0:3], 0 offset:216
	buffer_load_dword v103, off, s[0:3], 0 offset:208
	buffer_load_dword v105, off, s[0:3], 0 offset:200
	buffer_load_dword v81, off, s[0:3], 0 offset:192
	buffer_load_dword v106, off, s[0:3], 0 offset:204
	buffer_load_dword v104, off, s[0:3], 0 offset:212
	buffer_load_dword v98, off, s[0:3], 0 offset:220
	s_waitcnt vmcnt(24) lgkmcnt(0)
	v_fma_f64 v[73:74], v[83:84], v[77:78], v[73:74]
	s_waitcnt vmcnt(19)
	v_fma_f64 v[83:84], v[85:86], v[79:80], v[73:74]
	ds_read2_b64 v[73:76], v0 offset0:53 offset1:54
	ds_read2_b64 v[77:80], v0 offset0:55 offset1:56
	s_waitcnt vmcnt(18) lgkmcnt(1)
	v_fma_f64 v[73:74], v[91:92], v[73:74], v[83:84]
	s_waitcnt vmcnt(17)
	v_fma_f64 v[73:74], v[89:90], v[75:76], v[73:74]
	buffer_load_dword v84, off, s[0:3], 0 offset:228
	buffer_load_dword v85, off, s[0:3], 0 offset:248
	;; [unrolled: 1-line block ×7, first 2 shown]
	s_waitcnt vmcnt(23) lgkmcnt(0)
	v_fma_f64 v[73:74], v[87:88], v[77:78], v[73:74]
	s_waitcnt vmcnt(18)
	v_fma_f64 v[86:87], v[93:94], v[79:80], v[73:74]
	ds_read2_b64 v[73:76], v0 offset0:57 offset1:58
	ds_read2_b64 v[77:80], v0 offset0:59 offset1:60
	s_waitcnt vmcnt(17) lgkmcnt(1)
	v_fma_f64 v[73:74], v[101:102], v[73:74], v[86:87]
	buffer_load_dword v86, off, s[0:3], 0 offset:252
	s_waitcnt vmcnt(17)
	v_fma_f64 v[74:75], v[99:100], v[75:76], v[73:74]
	buffer_load_dword v88, off, s[0:3], 0 offset:260
	buffer_load_dword v93, off, s[0:3], 0 offset:280
	;; [unrolled: 1-line block ×5, first 2 shown]
	s_waitcnt vmcnt(21) lgkmcnt(0)
	v_fma_f64 v[75:76], v[95:96], v[77:78], v[74:75]
	buffer_load_dword v100, off, s[0:3], 0 offset:268
	buffer_load_dword v74, off, s[0:3], 0 offset:276
	;; [unrolled: 1-line block ×3, first 2 shown]
	s_waitcnt vmcnt(19)
	v_fma_f64 v[95:96], v[81:82], v[79:80], v[75:76]
	ds_read2_b64 v[75:78], v0 offset0:61 offset1:62
	ds_read2_b64 v[79:82], v0 offset0:63 offset1:64
	s_waitcnt vmcnt(18) lgkmcnt(1)
	v_fma_f64 v[75:76], v[105:106], v[75:76], v[95:96]
	buffer_load_dword v95, off, s[0:3], 0
	buffer_load_dword v96, off, s[0:3], 0 offset:4
	s_waitcnt vmcnt(19)
	v_fma_f64 v[75:76], v[103:104], v[77:78], v[75:76]
	s_waitcnt vmcnt(18) lgkmcnt(0)
	v_fma_f64 v[75:76], v[97:98], v[79:80], v[75:76]
	s_waitcnt vmcnt(13)
	v_fma_f64 v[83:84], v[83:84], v[81:82], v[75:76]
	ds_read2_b64 v[75:78], v0 offset0:65 offset1:66
	ds_read2_b64 v[79:82], v0 offset0:67 offset1:68
	s_waitcnt vmcnt(12) lgkmcnt(1)
	v_fma_f64 v[75:76], v[91:92], v[75:76], v[83:84]
	s_waitcnt vmcnt(11)
	v_fma_f64 v[75:76], v[89:90], v[77:78], v[75:76]
	s_waitcnt vmcnt(10) lgkmcnt(0)
	v_fma_f64 v[75:76], v[85:86], v[79:80], v[75:76]
	s_waitcnt vmcnt(5)
	v_fma_f64 v[79:80], v[87:88], v[81:82], v[75:76]
	ds_read2_b64 v[75:78], v0 offset0:69 offset1:70
	ds_read_b64 v[81:82], v0 offset:568
	s_waitcnt vmcnt(4) lgkmcnt(1)
	v_fma_f64 v[75:76], v[99:100], v[75:76], v[79:80]
	s_waitcnt vmcnt(3)
	v_fma_f64 v[75:76], v[73:74], v[77:78], v[75:76]
	s_waitcnt vmcnt(2) lgkmcnt(0)
	v_fma_f64 v[75:76], v[93:94], v[81:82], v[75:76]
	s_waitcnt vmcnt(0)
	v_add_f64 v[75:76], v[95:96], -v[75:76]
	buffer_store_dword v76, off, s[0:3], 0 offset:4
	buffer_store_dword v75, off, s[0:3], 0
	s_cbranch_vccz .LBB35_294
; %bb.224:
	global_load_dword v0, v0, s[20:21] offset:136
	s_waitcnt vmcnt(0)
	v_add_u32_e32 v0, -1, v0
	v_cmp_ne_u32_e32 vcc, 34, v0
	s_cbranch_vccz .LBB35_226
; %bb.225:
	v_lshlrev_b32_e32 v0, 3, v0
	buffer_load_dword v75, v0, s[0:3], 0 offen offset:4
	buffer_load_dword v76, v0, s[0:3], 0 offen
	s_waitcnt vmcnt(1)
	buffer_store_dword v75, off, s[0:3], 0 offset:276
	s_waitcnt vmcnt(1)
	buffer_store_dword v76, off, s[0:3], 0 offset:272
	buffer_store_dword v74, v0, s[0:3], 0 offen offset:4
	buffer_store_dword v73, v0, s[0:3], 0 offen
.LBB35_226:
	v_mov_b32_e32 v0, 0
	global_load_dword v73, v0, s[20:21] offset:132
	s_waitcnt vmcnt(0)
	v_add_u32_e32 v73, -1, v73
	v_cmp_eq_u32_e32 vcc, 33, v73
	s_cbranch_vccnz .LBB35_228
; %bb.227:
	v_lshlrev_b32_e32 v73, 3, v73
	buffer_load_dword v74, v73, s[0:3], 0 offen
	buffer_load_dword v75, v73, s[0:3], 0 offen offset:4
	buffer_load_dword v76, off, s[0:3], 0 offset:264
	buffer_load_dword v77, off, s[0:3], 0 offset:268
	s_waitcnt vmcnt(3)
	buffer_store_dword v74, off, s[0:3], 0 offset:264
	s_waitcnt vmcnt(3)
	buffer_store_dword v75, off, s[0:3], 0 offset:268
	s_waitcnt vmcnt(3)
	buffer_store_dword v76, v73, s[0:3], 0 offen
	s_waitcnt vmcnt(3)
	buffer_store_dword v77, v73, s[0:3], 0 offen offset:4
.LBB35_228:
	global_load_dword v0, v0, s[20:21] offset:128
	s_waitcnt vmcnt(0)
	v_add_u32_e32 v0, -1, v0
	v_cmp_eq_u32_e32 vcc, 32, v0
	s_cbranch_vccnz .LBB35_230
; %bb.229:
	v_lshlrev_b32_e32 v0, 3, v0
	buffer_load_dword v73, v0, s[0:3], 0 offen
	buffer_load_dword v74, v0, s[0:3], 0 offen offset:4
	buffer_load_dword v75, off, s[0:3], 0 offset:260
	buffer_load_dword v76, off, s[0:3], 0 offset:256
	s_waitcnt vmcnt(3)
	buffer_store_dword v73, off, s[0:3], 0 offset:256
	s_waitcnt vmcnt(3)
	buffer_store_dword v74, off, s[0:3], 0 offset:260
	s_waitcnt vmcnt(3)
	buffer_store_dword v75, v0, s[0:3], 0 offen offset:4
	s_waitcnt vmcnt(3)
	buffer_store_dword v76, v0, s[0:3], 0 offen
.LBB35_230:
	v_mov_b32_e32 v0, 0
	global_load_dword v73, v0, s[20:21] offset:124
	s_waitcnt vmcnt(0)
	v_add_u32_e32 v73, -1, v73
	v_cmp_eq_u32_e32 vcc, 31, v73
	s_cbranch_vccnz .LBB35_232
; %bb.231:
	v_lshlrev_b32_e32 v73, 3, v73
	buffer_load_dword v74, v73, s[0:3], 0 offen
	buffer_load_dword v75, v73, s[0:3], 0 offen offset:4
	buffer_load_dword v76, off, s[0:3], 0 offset:248
	buffer_load_dword v77, off, s[0:3], 0 offset:252
	s_waitcnt vmcnt(3)
	buffer_store_dword v74, off, s[0:3], 0 offset:248
	s_waitcnt vmcnt(3)
	buffer_store_dword v75, off, s[0:3], 0 offset:252
	s_waitcnt vmcnt(3)
	buffer_store_dword v76, v73, s[0:3], 0 offen
	s_waitcnt vmcnt(3)
	buffer_store_dword v77, v73, s[0:3], 0 offen offset:4
.LBB35_232:
	global_load_dword v0, v0, s[20:21] offset:120
	s_waitcnt vmcnt(0)
	v_add_u32_e32 v0, -1, v0
	v_cmp_eq_u32_e32 vcc, 30, v0
	s_cbranch_vccnz .LBB35_234
; %bb.233:
	v_lshlrev_b32_e32 v0, 3, v0
	buffer_load_dword v73, v0, s[0:3], 0 offen
	buffer_load_dword v74, v0, s[0:3], 0 offen offset:4
	buffer_load_dword v75, off, s[0:3], 0 offset:244
	buffer_load_dword v76, off, s[0:3], 0 offset:240
	s_waitcnt vmcnt(3)
	buffer_store_dword v73, off, s[0:3], 0 offset:240
	s_waitcnt vmcnt(3)
	buffer_store_dword v74, off, s[0:3], 0 offset:244
	s_waitcnt vmcnt(3)
	buffer_store_dword v75, v0, s[0:3], 0 offen offset:4
	s_waitcnt vmcnt(3)
	buffer_store_dword v76, v0, s[0:3], 0 offen
.LBB35_234:
	;; [unrolled: 41-line block ×16, first 2 shown]
	v_mov_b32_e32 v0, 0
	global_load_dword v73, v0, s[20:21] offset:4
	s_waitcnt vmcnt(0)
	v_add_u32_e32 v73, -1, v73
	v_cmp_eq_u32_e32 vcc, 1, v73
	s_cbranch_vccnz .LBB35_292
; %bb.291:
	v_lshlrev_b32_e32 v73, 3, v73
	buffer_load_dword v74, v73, s[0:3], 0 offen
	buffer_load_dword v75, v73, s[0:3], 0 offen offset:4
	buffer_load_dword v76, off, s[0:3], 0 offset:8
	buffer_load_dword v77, off, s[0:3], 0 offset:12
	s_waitcnt vmcnt(3)
	buffer_store_dword v74, off, s[0:3], 0 offset:8
	s_waitcnt vmcnt(3)
	buffer_store_dword v75, off, s[0:3], 0 offset:12
	s_waitcnt vmcnt(3)
	buffer_store_dword v76, v73, s[0:3], 0 offen
	s_waitcnt vmcnt(3)
	buffer_store_dword v77, v73, s[0:3], 0 offen offset:4
.LBB35_292:
	global_load_dword v0, v0, s[20:21]
	s_nop 0
	buffer_load_dword v75, off, s[0:3], 0
	buffer_load_dword v76, off, s[0:3], 0 offset:4
	s_waitcnt vmcnt(2)
	v_add_u32_e32 v0, -1, v0
	v_cmp_eq_u32_e32 vcc, 0, v0
	s_cbranch_vccnz .LBB35_294
; %bb.293:
	v_lshlrev_b32_e32 v0, 3, v0
	buffer_load_dword v73, v0, s[0:3], 0 offen offset:4
	buffer_load_dword v74, v0, s[0:3], 0 offen
	s_waitcnt vmcnt(1)
	buffer_store_dword v73, off, s[0:3], 0 offset:4
	s_waitcnt vmcnt(1)
	buffer_store_dword v74, off, s[0:3], 0
	buffer_store_dword v76, v0, s[0:3], 0 offen offset:4
	buffer_store_dword v75, v0, s[0:3], 0 offen
	buffer_load_dword v75, off, s[0:3], 0
	s_nop 0
	buffer_load_dword v76, off, s[0:3], 0 offset:4
.LBB35_294:
	buffer_load_dword v73, off, s[0:3], 0 offset:8
	buffer_load_dword v74, off, s[0:3], 0 offset:12
	buffer_load_dword v77, off, s[0:3], 0 offset:16
	buffer_load_dword v78, off, s[0:3], 0 offset:20
	buffer_load_dword v79, off, s[0:3], 0 offset:24
	buffer_load_dword v80, off, s[0:3], 0 offset:28
	buffer_load_dword v81, off, s[0:3], 0 offset:32
	buffer_load_dword v82, off, s[0:3], 0 offset:36
	s_waitcnt vmcnt(8)
	global_store_dwordx2 v[71:72], v[75:76], off
	buffer_load_dword v71, off, s[0:3], 0 offset:40
	s_nop 0
	buffer_load_dword v72, off, s[0:3], 0 offset:44
	buffer_load_dword v75, off, s[0:3], 0 offset:48
	;; [unrolled: 1-line block ×39, first 2 shown]
	s_waitcnt vmcnt(47)
	global_store_dwordx2 v[69:70], v[73:74], off
	buffer_load_dword v69, off, s[0:3], 0 offset:200
	s_nop 0
	buffer_load_dword v70, off, s[0:3], 0 offset:204
	buffer_load_dword v73, off, s[0:3], 0 offset:208
	;; [unrolled: 1-line block ×7, first 2 shown]
	s_waitcnt vmcnt(54)
	global_store_dwordx2 v[1:2], v[77:78], off
	s_waitcnt vmcnt(53)
	global_store_dwordx2 v[7:8], v[79:80], off
	buffer_load_dword v0, off, s[0:3], 0 offset:232
	buffer_load_dword v1, off, s[0:3], 0 offset:236
	s_nop 0
	buffer_load_dword v7, off, s[0:3], 0 offset:240
	buffer_load_dword v8, off, s[0:3], 0 offset:244
	;; [unrolled: 1-line block ×6, first 2 shown]
	s_waitcnt vmcnt(60)
	global_store_dwordx2 v[5:6], v[81:82], off
	buffer_load_dword v5, off, s[0:3], 0 offset:264
	s_nop 0
	buffer_load_dword v6, off, s[0:3], 0 offset:268
	buffer_load_dword v81, off, s[0:3], 0 offset:272
	;; [unrolled: 1-line block ×5, first 2 shown]
	s_waitcnt vmcnt(62)
	global_store_dwordx2 v[3:4], v[71:72], off
	global_store_dwordx2 v[9:10], v[75:76], off
	s_waitcnt vmcnt(62)
	global_store_dwordx2 v[11:12], v[83:84], off
	s_waitcnt vmcnt(61)
	;; [unrolled: 2-line block ×29, first 2 shown]
	global_store_dwordx2 v[67:68], v[123:124], off
	s_endpgm
	.section	.rodata,"a",@progbits
	.p2align	6, 0x0
	.amdhsa_kernel _ZN9rocsolver6v33100L18getri_kernel_smallILi36EdPdEEvT1_iilPiilS4_bb
		.amdhsa_group_segment_fixed_size 584
		.amdhsa_private_segment_fixed_size 304
		.amdhsa_kernarg_size 60
		.amdhsa_user_sgpr_count 6
		.amdhsa_user_sgpr_private_segment_buffer 1
		.amdhsa_user_sgpr_dispatch_ptr 0
		.amdhsa_user_sgpr_queue_ptr 0
		.amdhsa_user_sgpr_kernarg_segment_ptr 1
		.amdhsa_user_sgpr_dispatch_id 0
		.amdhsa_user_sgpr_flat_scratch_init 0
		.amdhsa_user_sgpr_private_segment_size 0
		.amdhsa_uses_dynamic_stack 0
		.amdhsa_system_sgpr_private_segment_wavefront_offset 1
		.amdhsa_system_sgpr_workgroup_id_x 1
		.amdhsa_system_sgpr_workgroup_id_y 0
		.amdhsa_system_sgpr_workgroup_id_z 0
		.amdhsa_system_sgpr_workgroup_info 0
		.amdhsa_system_vgpr_workitem_id 0
		.amdhsa_next_free_vgpr 125
		.amdhsa_next_free_sgpr 24
		.amdhsa_reserve_vcc 1
		.amdhsa_reserve_flat_scratch 0
		.amdhsa_float_round_mode_32 0
		.amdhsa_float_round_mode_16_64 0
		.amdhsa_float_denorm_mode_32 3
		.amdhsa_float_denorm_mode_16_64 3
		.amdhsa_dx10_clamp 1
		.amdhsa_ieee_mode 1
		.amdhsa_fp16_overflow 0
		.amdhsa_exception_fp_ieee_invalid_op 0
		.amdhsa_exception_fp_denorm_src 0
		.amdhsa_exception_fp_ieee_div_zero 0
		.amdhsa_exception_fp_ieee_overflow 0
		.amdhsa_exception_fp_ieee_underflow 0
		.amdhsa_exception_fp_ieee_inexact 0
		.amdhsa_exception_int_div_zero 0
	.end_amdhsa_kernel
	.section	.text._ZN9rocsolver6v33100L18getri_kernel_smallILi36EdPdEEvT1_iilPiilS4_bb,"axG",@progbits,_ZN9rocsolver6v33100L18getri_kernel_smallILi36EdPdEEvT1_iilPiilS4_bb,comdat
.Lfunc_end35:
	.size	_ZN9rocsolver6v33100L18getri_kernel_smallILi36EdPdEEvT1_iilPiilS4_bb, .Lfunc_end35-_ZN9rocsolver6v33100L18getri_kernel_smallILi36EdPdEEvT1_iilPiilS4_bb
                                        ; -- End function
	.set _ZN9rocsolver6v33100L18getri_kernel_smallILi36EdPdEEvT1_iilPiilS4_bb.num_vgpr, 125
	.set _ZN9rocsolver6v33100L18getri_kernel_smallILi36EdPdEEvT1_iilPiilS4_bb.num_agpr, 0
	.set _ZN9rocsolver6v33100L18getri_kernel_smallILi36EdPdEEvT1_iilPiilS4_bb.numbered_sgpr, 24
	.set _ZN9rocsolver6v33100L18getri_kernel_smallILi36EdPdEEvT1_iilPiilS4_bb.num_named_barrier, 0
	.set _ZN9rocsolver6v33100L18getri_kernel_smallILi36EdPdEEvT1_iilPiilS4_bb.private_seg_size, 304
	.set _ZN9rocsolver6v33100L18getri_kernel_smallILi36EdPdEEvT1_iilPiilS4_bb.uses_vcc, 1
	.set _ZN9rocsolver6v33100L18getri_kernel_smallILi36EdPdEEvT1_iilPiilS4_bb.uses_flat_scratch, 0
	.set _ZN9rocsolver6v33100L18getri_kernel_smallILi36EdPdEEvT1_iilPiilS4_bb.has_dyn_sized_stack, 0
	.set _ZN9rocsolver6v33100L18getri_kernel_smallILi36EdPdEEvT1_iilPiilS4_bb.has_recursion, 0
	.set _ZN9rocsolver6v33100L18getri_kernel_smallILi36EdPdEEvT1_iilPiilS4_bb.has_indirect_call, 0
	.section	.AMDGPU.csdata,"",@progbits
; Kernel info:
; codeLenInByte = 38008
; TotalNumSgprs: 28
; NumVgprs: 125
; ScratchSize: 304
; MemoryBound: 1
; FloatMode: 240
; IeeeMode: 1
; LDSByteSize: 584 bytes/workgroup (compile time only)
; SGPRBlocks: 3
; VGPRBlocks: 31
; NumSGPRsForWavesPerEU: 28
; NumVGPRsForWavesPerEU: 125
; Occupancy: 2
; WaveLimiterHint : 1
; COMPUTE_PGM_RSRC2:SCRATCH_EN: 1
; COMPUTE_PGM_RSRC2:USER_SGPR: 6
; COMPUTE_PGM_RSRC2:TRAP_HANDLER: 0
; COMPUTE_PGM_RSRC2:TGID_X_EN: 1
; COMPUTE_PGM_RSRC2:TGID_Y_EN: 0
; COMPUTE_PGM_RSRC2:TGID_Z_EN: 0
; COMPUTE_PGM_RSRC2:TIDIG_COMP_CNT: 0
	.section	.text._ZN9rocsolver6v33100L18getri_kernel_smallILi37EdPdEEvT1_iilPiilS4_bb,"axG",@progbits,_ZN9rocsolver6v33100L18getri_kernel_smallILi37EdPdEEvT1_iilPiilS4_bb,comdat
	.globl	_ZN9rocsolver6v33100L18getri_kernel_smallILi37EdPdEEvT1_iilPiilS4_bb ; -- Begin function _ZN9rocsolver6v33100L18getri_kernel_smallILi37EdPdEEvT1_iilPiilS4_bb
	.p2align	8
	.type	_ZN9rocsolver6v33100L18getri_kernel_smallILi37EdPdEEvT1_iilPiilS4_bb,@function
_ZN9rocsolver6v33100L18getri_kernel_smallILi37EdPdEEvT1_iilPiilS4_bb: ; @_ZN9rocsolver6v33100L18getri_kernel_smallILi37EdPdEEvT1_iilPiilS4_bb
; %bb.0:
	s_add_u32 s0, s0, s7
	s_addc_u32 s1, s1, 0
	v_cmp_gt_u32_e32 vcc, 37, v0
	s_and_saveexec_b64 s[8:9], vcc
	s_cbranch_execz .LBB36_156
; %bb.1:
	s_load_dword s12, s[4:5], 0x38
	s_load_dwordx4 s[16:19], s[4:5], 0x10
	s_load_dwordx4 s[8:11], s[4:5], 0x28
                                        ; implicit-def: $sgpr20_sgpr21
	s_waitcnt lgkmcnt(0)
	s_bitcmp1_b32 s12, 8
	s_cselect_b64 s[22:23], -1, 0
	s_ashr_i32 s7, s6, 31
	s_bfe_u32 s12, s12, 0x10008
	s_cmp_eq_u32 s12, 0
	s_cbranch_scc1 .LBB36_3
; %bb.2:
	s_load_dword s12, s[4:5], 0x20
	s_mul_i32 s13, s8, s7
	s_mul_hi_u32 s14, s8, s6
	s_mul_i32 s9, s9, s6
	s_add_i32 s14, s14, s13
	s_add_i32 s9, s14, s9
	s_mul_i32 s8, s8, s6
	s_waitcnt lgkmcnt(0)
	s_ashr_i32 s13, s12, 31
	s_lshl_b64 s[8:9], s[8:9], 2
	s_add_u32 s14, s18, s8
	s_addc_u32 s15, s19, s9
	s_lshl_b64 s[8:9], s[12:13], 2
	s_add_u32 s20, s14, s8
	s_addc_u32 s21, s15, s9
.LBB36_3:
	s_load_dwordx4 s[12:15], s[4:5], 0x0
	s_load_dword s8, s[4:5], 0x38
	s_mul_i32 s9, s16, s7
	s_mul_hi_u32 s18, s16, s6
	s_add_i32 s9, s18, s9
	s_waitcnt lgkmcnt(0)
	s_ashr_i32 s5, s14, 31
	s_mov_b32 s4, s14
	s_mul_i32 s14, s17, s6
	s_add_i32 s17, s9, s14
	s_mul_i32 s16, s16, s6
	s_lshl_b64 s[16:17], s[16:17], 3
	s_add_u32 s9, s12, s16
	s_addc_u32 s12, s13, s17
	s_lshl_b64 s[4:5], s[4:5], 3
	s_add_u32 s4, s9, s4
	s_addc_u32 s5, s12, s5
	s_add_i32 s9, s15, s15
	v_add_u32_e32 v3, s9, v0
	v_ashrrev_i32_e32 v4, 31, v3
	v_lshlrev_b64 v[1:2], 3, v[3:4]
	v_mov_b32_e32 v4, s5
	v_add_co_u32_e32 v1, vcc, s4, v1
	v_add_u32_e32 v3, s15, v3
	v_addc_co_u32_e32 v2, vcc, v4, v2, vcc
	v_ashrrev_i32_e32 v4, 31, v3
	v_lshlrev_b64 v[4:5], 3, v[3:4]
	v_mov_b32_e32 v6, s5
	v_add_co_u32_e32 v7, vcc, s4, v4
	v_addc_co_u32_e32 v8, vcc, v6, v5, vcc
	v_add_u32_e32 v5, s15, v3
	v_ashrrev_i32_e32 v6, 31, v5
	v_lshlrev_b64 v[3:4], 3, v[5:6]
	v_mov_b32_e32 v6, s5
	v_add_co_u32_e32 v3, vcc, s4, v3
	v_add_u32_e32 v5, s15, v5
	v_addc_co_u32_e32 v4, vcc, v6, v4, vcc
	v_ashrrev_i32_e32 v6, 31, v5
	v_lshlrev_b64 v[9:10], 3, v[5:6]
	v_add_u32_e32 v11, s15, v5
	v_mov_b32_e32 v6, s5
	v_add_co_u32_e32 v9, vcc, s4, v9
	v_ashrrev_i32_e32 v12, 31, v11
	v_addc_co_u32_e32 v10, vcc, v6, v10, vcc
	v_lshlrev_b64 v[5:6], 3, v[11:12]
	v_add_u32_e32 v13, s15, v11
	v_mov_b32_e32 v12, s5
	v_add_co_u32_e32 v5, vcc, s4, v5
	v_ashrrev_i32_e32 v14, 31, v13
	v_addc_co_u32_e32 v6, vcc, v12, v6, vcc
	;; [unrolled: 6-line block ×5, first 2 shown]
	v_lshlrev_b64 v[17:18], 3, v[19:20]
	v_mov_b32_e32 v21, s5
	v_add_co_u32_e32 v17, vcc, s4, v17
	v_addc_co_u32_e32 v18, vcc, v21, v18, vcc
	v_add_u32_e32 v21, s15, v19
	v_ashrrev_i32_e32 v22, 31, v21
	v_lshlrev_b64 v[19:20], 3, v[21:22]
	v_mov_b32_e32 v23, s5
	v_add_co_u32_e32 v19, vcc, s4, v19
	v_addc_co_u32_e32 v20, vcc, v23, v20, vcc
	v_add_u32_e32 v23, s15, v21
	v_ashrrev_i32_e32 v24, 31, v23
	;; [unrolled: 6-line block ×18, first 2 shown]
	v_lshlrev_b32_e32 v77, 3, v0
	v_lshlrev_b64 v[53:54], 3, v[55:56]
	v_mov_b32_e32 v56, s5
	v_add_co_u32_e32 v73, vcc, s4, v77
	s_ashr_i32 s13, s15, 31
	s_mov_b32 s12, s15
	v_addc_co_u32_e32 v74, vcc, 0, v56, vcc
	s_lshl_b64 s[12:13], s[12:13], 3
	global_load_dwordx2 v[75:76], v77, s[4:5]
	global_load_dwordx2 v[80:81], v[1:2], off
	v_mov_b32_e32 v56, s13
	v_add_co_u32_e32 v71, vcc, s12, v73
	v_addc_co_u32_e32 v72, vcc, v74, v56, vcc
	global_load_dwordx2 v[78:79], v[71:72], off
	global_load_dwordx2 v[82:83], v[7:8], off
	;; [unrolled: 1-line block ×11, first 2 shown]
	v_mov_b32_e32 v57, s5
	v_add_co_u32_e32 v53, vcc, s4, v53
	v_addc_co_u32_e32 v54, vcc, v57, v54, vcc
	v_add_u32_e32 v57, s15, v55
	v_ashrrev_i32_e32 v58, 31, v57
	v_lshlrev_b64 v[55:56], 3, v[57:58]
	v_mov_b32_e32 v59, s5
	v_add_co_u32_e32 v55, vcc, s4, v55
	v_addc_co_u32_e32 v56, vcc, v59, v56, vcc
	v_add_u32_e32 v59, s15, v57
	v_ashrrev_i32_e32 v60, 31, v59
	v_lshlrev_b64 v[57:58], 3, v[59:60]
	;; [unrolled: 6-line block ×7, first 2 shown]
	v_add_u32_e32 v69, s15, v69
	s_waitcnt vmcnt(12)
	buffer_store_dword v76, off, s[0:3], 0 offset:4
	buffer_store_dword v75, off, s[0:3], 0
	s_waitcnt vmcnt(12)
	buffer_store_dword v79, off, s[0:3], 0 offset:12
	v_ashrrev_i32_e32 v70, 31, v69
	global_load_dwordx2 v[75:76], v[23:24], off
	v_mov_b32_e32 v102, s5
	v_add_co_u32_e32 v67, vcc, s4, v67
	v_lshlrev_b64 v[69:70], 3, v[69:70]
	v_addc_co_u32_e32 v68, vcc, v102, v68, vcc
	buffer_store_dword v78, off, s[0:3], 0 offset:8
	global_load_dwordx2 v[78:79], v[25:26], off
	v_add_co_u32_e32 v69, vcc, s4, v69
	v_addc_co_u32_e32 v70, vcc, v102, v70, vcc
	global_load_dwordx2 v[102:103], v[27:28], off
	global_load_dwordx2 v[104:105], v[31:32], off
	;; [unrolled: 1-line block ×11, first 2 shown]
	s_bitcmp0_b32 s8, 0
	buffer_store_dword v81, off, s[0:3], 0 offset:20
	buffer_store_dword v80, off, s[0:3], 0 offset:16
	global_load_dwordx2 v[80:81], v[29:30], off
	s_mov_b64 s[8:9], -1
	s_waitcnt vmcnt(29)
	buffer_store_dword v83, off, s[0:3], 0 offset:28
	buffer_store_dword v82, off, s[0:3], 0 offset:24
	global_load_dwordx2 v[82:83], v[33:34], off
	s_waitcnt vmcnt(31)
	buffer_store_dword v85, off, s[0:3], 0 offset:36
	buffer_store_dword v84, off, s[0:3], 0 offset:32
	global_load_dwordx2 v[84:85], v[37:38], off
	;; [unrolled: 4-line block ×4, first 2 shown]
	s_nop 0
	buffer_store_dword v91, off, s[0:3], 0 offset:60
	buffer_store_dword v90, off, s[0:3], 0 offset:56
	global_load_dwordx2 v[90:91], v[49:50], off
	s_nop 0
	buffer_store_dword v93, off, s[0:3], 0 offset:68
	buffer_store_dword v92, off, s[0:3], 0 offset:64
	global_load_dwordx2 v[92:93], v[53:54], off
	s_waitcnt vmcnt(41)
	buffer_store_dword v94, off, s[0:3], 0 offset:72
	buffer_store_dword v95, off, s[0:3], 0 offset:76
	global_load_dwordx2 v[94:95], v[57:58], off
	s_waitcnt vmcnt(43)
	;; [unrolled: 4-line block ×5, first 2 shown]
	buffer_store_dword v75, off, s[0:3], 0 offset:104
	buffer_store_dword v76, off, s[0:3], 0 offset:108
	s_waitcnt vmcnt(46)
	buffer_store_dword v79, off, s[0:3], 0 offset:116
	buffer_store_dword v78, off, s[0:3], 0 offset:112
	s_waitcnt vmcnt(47)
	;; [unrolled: 3-line block ×3, first 2 shown]
	buffer_store_dword v80, off, s[0:3], 0 offset:128
	buffer_store_dword v81, off, s[0:3], 0 offset:132
	buffer_store_dword v104, off, s[0:3], 0 offset:136
	buffer_store_dword v105, off, s[0:3], 0 offset:140
	s_waitcnt vmcnt(37)
	buffer_store_dword v82, off, s[0:3], 0 offset:144
	buffer_store_dword v83, off, s[0:3], 0 offset:148
	buffer_store_dword v107, off, s[0:3], 0 offset:156
	buffer_store_dword v106, off, s[0:3], 0 offset:152
	s_waitcnt vmcnt(38)
	;; [unrolled: 5-line block ×10, first 2 shown]
	buffer_store_dword v100, off, s[0:3], 0 offset:288
	buffer_store_dword v101, off, s[0:3], 0 offset:292
	s_cbranch_scc1 .LBB36_154
; %bb.4:
	v_cmp_eq_u32_e64 s[4:5], 0, v0
	s_and_saveexec_b64 s[8:9], s[4:5]
; %bb.5:
	v_mov_b32_e32 v75, 0
	ds_write_b32 v75, v75 offset:296
; %bb.6:
	s_or_b64 exec, exec, s[8:9]
	v_mov_b32_e32 v75, 0
	v_lshl_add_u32 v75, v0, 3, v75
	s_waitcnt lgkmcnt(0)
	; wave barrier
	buffer_load_dword v78, v75, s[0:3], 0 offen
	buffer_load_dword v79, v75, s[0:3], 0 offen offset:4
	s_waitcnt vmcnt(0)
	v_cmp_eq_f64_e32 vcc, 0, v[78:79]
	s_and_saveexec_b64 s[12:13], vcc
	s_cbranch_execz .LBB36_10
; %bb.7:
	v_mov_b32_e32 v76, 0
	ds_read_b32 v79, v76 offset:296
	v_add_u32_e32 v78, 1, v0
	s_waitcnt lgkmcnt(0)
	v_readfirstlane_b32 s8, v79
	s_cmp_eq_u32 s8, 0
	s_cselect_b64 s[14:15], -1, 0
	v_cmp_gt_i32_e32 vcc, s8, v78
	s_or_b64 s[14:15], s[14:15], vcc
	s_and_b64 exec, exec, s[14:15]
	s_cbranch_execz .LBB36_10
; %bb.8:
	s_mov_b64 s[14:15], 0
	v_mov_b32_e32 v79, s8
.LBB36_9:                               ; =>This Inner Loop Header: Depth=1
	ds_cmpst_rtn_b32 v79, v76, v79, v78 offset:296
	s_waitcnt lgkmcnt(0)
	v_cmp_ne_u32_e32 vcc, 0, v79
	v_cmp_le_i32_e64 s[8:9], v79, v78
	s_and_b64 s[8:9], vcc, s[8:9]
	s_and_b64 s[8:9], exec, s[8:9]
	s_or_b64 s[14:15], s[8:9], s[14:15]
	s_andn2_b64 exec, exec, s[14:15]
	s_cbranch_execnz .LBB36_9
.LBB36_10:
	s_or_b64 exec, exec, s[12:13]
	v_mov_b32_e32 v78, 0
	; wave barrier
	ds_read_b32 v76, v78 offset:296
	s_and_saveexec_b64 s[8:9], s[4:5]
	s_cbranch_execz .LBB36_12
; %bb.11:
	s_lshl_b64 s[12:13], s[6:7], 2
	s_add_u32 s12, s10, s12
	s_addc_u32 s13, s11, s13
	s_waitcnt lgkmcnt(0)
	global_store_dword v78, v76, s[12:13]
.LBB36_12:
	s_or_b64 exec, exec, s[8:9]
	s_waitcnt lgkmcnt(0)
	v_cmp_ne_u32_e32 vcc, 0, v76
	s_mov_b64 s[8:9], 0
	s_cbranch_vccnz .LBB36_154
; %bb.13:
	buffer_load_dword v78, v75, s[0:3], 0 offen
	buffer_load_dword v79, v75, s[0:3], 0 offen offset:4
	s_waitcnt vmcnt(0)
	v_div_scale_f64 v[80:81], s[8:9], v[78:79], v[78:79], 1.0
	v_rcp_f64_e32 v[82:83], v[80:81]
	v_fma_f64 v[84:85], -v[80:81], v[82:83], 1.0
	v_fma_f64 v[82:83], v[82:83], v[84:85], v[82:83]
	v_div_scale_f64 v[84:85], vcc, 1.0, v[78:79], 1.0
	v_fma_f64 v[86:87], -v[80:81], v[82:83], 1.0
	v_fma_f64 v[82:83], v[82:83], v[86:87], v[82:83]
	v_mul_f64 v[86:87], v[84:85], v[82:83]
	v_fma_f64 v[80:81], -v[80:81], v[86:87], v[84:85]
	v_div_fmas_f64 v[80:81], v[80:81], v[82:83], v[86:87]
	v_div_fixup_f64 v[79:80], v[80:81], v[78:79], 1.0
	v_add_u32_e32 v78, 0x130, v77
	buffer_store_dword v80, v75, s[0:3], 0 offen offset:4
	buffer_store_dword v79, v75, s[0:3], 0 offen
	buffer_load_dword v82, off, s[0:3], 0 offset:12
	buffer_load_dword v81, off, s[0:3], 0 offset:8
	v_xor_b32_e32 v80, 0x80000000, v80
	s_waitcnt vmcnt(0)
	ds_write2_b64 v77, v[79:80], v[81:82] offset1:38
	s_waitcnt lgkmcnt(0)
	; wave barrier
	s_and_saveexec_b64 s[8:9], s[4:5]
	s_cbranch_execz .LBB36_15
; %bb.14:
	buffer_load_dword v79, v75, s[0:3], 0 offen
	buffer_load_dword v80, v75, s[0:3], 0 offen offset:4
	ds_read_b64 v[81:82], v78
	v_mov_b32_e32 v76, 0
	ds_read_b64 v[83:84], v76 offset:8
	s_waitcnt vmcnt(0) lgkmcnt(1)
	v_fma_f64 v[79:80], v[79:80], v[81:82], 0
	s_waitcnt lgkmcnt(0)
	v_mul_f64 v[79:80], v[79:80], v[83:84]
	buffer_store_dword v79, off, s[0:3], 0 offset:8
	buffer_store_dword v80, off, s[0:3], 0 offset:12
.LBB36_15:
	s_or_b64 exec, exec, s[8:9]
	; wave barrier
	buffer_load_dword v79, off, s[0:3], 0 offset:16
	buffer_load_dword v80, off, s[0:3], 0 offset:20
	v_cmp_gt_u32_e32 vcc, 2, v0
	s_waitcnt vmcnt(0)
	ds_write_b64 v78, v[79:80]
	s_waitcnt lgkmcnt(0)
	; wave barrier
	s_and_saveexec_b64 s[8:9], vcc
	s_cbranch_execz .LBB36_17
; %bb.16:
	buffer_load_dword v79, v75, s[0:3], 0 offen
	buffer_load_dword v80, v75, s[0:3], 0 offen offset:4
                                        ; kill: killed $vgpr75
	s_nop 0
	buffer_load_dword v75, off, s[0:3], 0 offset:8
	buffer_load_dword v76, off, s[0:3], 0 offset:12
	ds_read_b64 v[81:82], v78
	s_waitcnt vmcnt(2) lgkmcnt(0)
	v_fma_f64 v[83:84], v[79:80], v[81:82], 0
	v_mov_b32_e32 v79, 0
	ds_read2_b64 v[79:82], v79 offset0:2 offset1:39
	s_waitcnt vmcnt(0) lgkmcnt(0)
	v_fma_f64 v[75:76], v[75:76], v[81:82], v[83:84]
	v_cndmask_b32_e64 v76, v84, v76, s[4:5]
	v_cndmask_b32_e64 v75, v83, v75, s[4:5]
	v_mul_f64 v[75:76], v[75:76], v[79:80]
	buffer_store_dword v76, off, s[0:3], 0 offset:20
	buffer_store_dword v75, off, s[0:3], 0 offset:16
.LBB36_17:
	s_or_b64 exec, exec, s[8:9]
	; wave barrier
	buffer_load_dword v75, off, s[0:3], 0 offset:24
	buffer_load_dword v76, off, s[0:3], 0 offset:28
	v_cmp_gt_u32_e32 vcc, 3, v0
	v_add_u32_e32 v79, -1, v0
	s_waitcnt vmcnt(0)
	ds_write_b64 v78, v[75:76]
	s_waitcnt lgkmcnt(0)
	; wave barrier
	s_and_saveexec_b64 s[4:5], vcc
	s_cbranch_execz .LBB36_21
; %bb.18:
	v_mov_b32_e32 v75, 0
	v_add_u32_e32 v80, -1, v0
	v_add_u32_e32 v81, 0x130, v77
	v_mov_b32_e32 v82, v77
	v_mov_b32_e32 v76, 0
	s_mov_b64 s[8:9], 0
.LBB36_19:                              ; =>This Inner Loop Header: Depth=1
	buffer_load_dword v83, v82, s[0:3], 0 offen
	buffer_load_dword v84, v82, s[0:3], 0 offen offset:4
	ds_read_b64 v[85:86], v81
	v_add_u32_e32 v80, 1, v80
	v_cmp_lt_u32_e32 vcc, 1, v80
	v_add_u32_e32 v81, 8, v81
	s_or_b64 s[8:9], vcc, s[8:9]
	v_add_u32_e32 v82, 8, v82
	s_waitcnt vmcnt(0) lgkmcnt(0)
	v_fma_f64 v[75:76], v[83:84], v[85:86], v[75:76]
	s_andn2_b64 exec, exec, s[8:9]
	s_cbranch_execnz .LBB36_19
; %bb.20:
	s_or_b64 exec, exec, s[8:9]
	v_mov_b32_e32 v80, 0
	ds_read_b64 v[80:81], v80 offset:24
	s_waitcnt lgkmcnt(0)
	v_mul_f64 v[75:76], v[75:76], v[80:81]
	buffer_store_dword v76, off, s[0:3], 0 offset:28
	buffer_store_dword v75, off, s[0:3], 0 offset:24
.LBB36_21:
	s_or_b64 exec, exec, s[4:5]
	; wave barrier
	buffer_load_dword v75, off, s[0:3], 0 offset:32
	buffer_load_dword v76, off, s[0:3], 0 offset:36
	v_cmp_gt_u32_e32 vcc, 4, v0
	s_waitcnt vmcnt(0)
	ds_write_b64 v78, v[75:76]
	s_waitcnt lgkmcnt(0)
	; wave barrier
	s_and_saveexec_b64 s[4:5], vcc
	s_cbranch_execz .LBB36_25
; %bb.22:
	v_mov_b32_e32 v75, 0
	v_add_u32_e32 v80, -1, v0
	v_add_u32_e32 v81, 0x130, v77
	v_mov_b32_e32 v82, v77
	v_mov_b32_e32 v76, 0
	s_mov_b64 s[8:9], 0
.LBB36_23:                              ; =>This Inner Loop Header: Depth=1
	buffer_load_dword v83, v82, s[0:3], 0 offen
	buffer_load_dword v84, v82, s[0:3], 0 offen offset:4
	ds_read_b64 v[85:86], v81
	v_add_u32_e32 v80, 1, v80
	v_cmp_lt_u32_e32 vcc, 2, v80
	v_add_u32_e32 v81, 8, v81
	s_or_b64 s[8:9], vcc, s[8:9]
	v_add_u32_e32 v82, 8, v82
	s_waitcnt vmcnt(0) lgkmcnt(0)
	v_fma_f64 v[75:76], v[83:84], v[85:86], v[75:76]
	s_andn2_b64 exec, exec, s[8:9]
	s_cbranch_execnz .LBB36_23
; %bb.24:
	s_or_b64 exec, exec, s[8:9]
	v_mov_b32_e32 v80, 0
	ds_read_b64 v[80:81], v80 offset:32
	s_waitcnt lgkmcnt(0)
	v_mul_f64 v[75:76], v[75:76], v[80:81]
	buffer_store_dword v76, off, s[0:3], 0 offset:36
	buffer_store_dword v75, off, s[0:3], 0 offset:32
.LBB36_25:
	s_or_b64 exec, exec, s[4:5]
	; wave barrier
	buffer_load_dword v75, off, s[0:3], 0 offset:40
	buffer_load_dword v76, off, s[0:3], 0 offset:44
	v_cmp_gt_u32_e32 vcc, 5, v0
	;; [unrolled: 40-line block ×21, first 2 shown]
	s_waitcnt vmcnt(0)
	ds_write_b64 v78, v[75:76]
	s_waitcnt lgkmcnt(0)
	; wave barrier
	s_and_saveexec_b64 s[4:5], vcc
	s_cbranch_execz .LBB36_105
; %bb.102:
	v_mov_b32_e32 v75, 0
	v_add_u32_e32 v80, -1, v0
	v_add_u32_e32 v81, 0x130, v77
	v_mov_b32_e32 v82, v77
	v_mov_b32_e32 v76, 0
	s_mov_b64 s[8:9], 0
.LBB36_103:                             ; =>This Inner Loop Header: Depth=1
	buffer_load_dword v83, v82, s[0:3], 0 offen
	buffer_load_dword v84, v82, s[0:3], 0 offen offset:4
	ds_read_b64 v[85:86], v81
	v_add_u32_e32 v80, 1, v80
	v_cmp_lt_u32_e32 vcc, 22, v80
	v_add_u32_e32 v81, 8, v81
	s_or_b64 s[8:9], vcc, s[8:9]
	v_add_u32_e32 v82, 8, v82
	s_waitcnt vmcnt(0) lgkmcnt(0)
	v_fma_f64 v[75:76], v[83:84], v[85:86], v[75:76]
	s_andn2_b64 exec, exec, s[8:9]
	s_cbranch_execnz .LBB36_103
; %bb.104:
	s_or_b64 exec, exec, s[8:9]
	v_mov_b32_e32 v80, 0
	ds_read_b64 v[80:81], v80 offset:192
	s_waitcnt lgkmcnt(0)
	v_mul_f64 v[75:76], v[75:76], v[80:81]
	buffer_store_dword v76, off, s[0:3], 0 offset:196
	buffer_store_dword v75, off, s[0:3], 0 offset:192
.LBB36_105:
	s_or_b64 exec, exec, s[4:5]
	; wave barrier
	buffer_load_dword v75, off, s[0:3], 0 offset:200
	buffer_load_dword v76, off, s[0:3], 0 offset:204
	v_cmp_gt_u32_e32 vcc, 25, v0
	s_waitcnt vmcnt(0)
	ds_write_b64 v78, v[75:76]
	s_waitcnt lgkmcnt(0)
	; wave barrier
	s_and_saveexec_b64 s[4:5], vcc
	s_cbranch_execz .LBB36_109
; %bb.106:
	v_mov_b32_e32 v75, 0
	v_add_u32_e32 v80, -1, v0
	v_add_u32_e32 v81, 0x130, v77
	v_mov_b32_e32 v82, v77
	v_mov_b32_e32 v76, 0
	s_mov_b64 s[8:9], 0
.LBB36_107:                             ; =>This Inner Loop Header: Depth=1
	buffer_load_dword v83, v82, s[0:3], 0 offen
	buffer_load_dword v84, v82, s[0:3], 0 offen offset:4
	ds_read_b64 v[85:86], v81
	v_add_u32_e32 v80, 1, v80
	v_cmp_lt_u32_e32 vcc, 23, v80
	v_add_u32_e32 v81, 8, v81
	s_or_b64 s[8:9], vcc, s[8:9]
	v_add_u32_e32 v82, 8, v82
	s_waitcnt vmcnt(0) lgkmcnt(0)
	v_fma_f64 v[75:76], v[83:84], v[85:86], v[75:76]
	s_andn2_b64 exec, exec, s[8:9]
	s_cbranch_execnz .LBB36_107
; %bb.108:
	s_or_b64 exec, exec, s[8:9]
	v_mov_b32_e32 v80, 0
	ds_read_b64 v[80:81], v80 offset:200
	s_waitcnt lgkmcnt(0)
	v_mul_f64 v[75:76], v[75:76], v[80:81]
	buffer_store_dword v76, off, s[0:3], 0 offset:204
	buffer_store_dword v75, off, s[0:3], 0 offset:200
.LBB36_109:
	s_or_b64 exec, exec, s[4:5]
	; wave barrier
	buffer_load_dword v75, off, s[0:3], 0 offset:208
	buffer_load_dword v76, off, s[0:3], 0 offset:212
	v_cmp_gt_u32_e32 vcc, 26, v0
	;; [unrolled: 40-line block ×11, first 2 shown]
	s_waitcnt vmcnt(0)
	ds_write_b64 v78, v[75:76]
	s_waitcnt lgkmcnt(0)
	; wave barrier
	s_and_saveexec_b64 s[4:5], vcc
	s_cbranch_execz .LBB36_149
; %bb.146:
	v_mov_b32_e32 v75, 0
	v_add_u32_e32 v80, -1, v0
	v_add_u32_e32 v81, 0x130, v77
	v_mov_b32_e32 v82, v77
	v_mov_b32_e32 v76, 0
	s_mov_b64 s[8:9], 0
.LBB36_147:                             ; =>This Inner Loop Header: Depth=1
	buffer_load_dword v83, v82, s[0:3], 0 offen
	buffer_load_dword v84, v82, s[0:3], 0 offen offset:4
	ds_read_b64 v[85:86], v81
	v_add_u32_e32 v80, 1, v80
	v_cmp_lt_u32_e32 vcc, 33, v80
	v_add_u32_e32 v81, 8, v81
	s_or_b64 s[8:9], vcc, s[8:9]
	v_add_u32_e32 v82, 8, v82
	s_waitcnt vmcnt(0) lgkmcnt(0)
	v_fma_f64 v[75:76], v[83:84], v[85:86], v[75:76]
	s_andn2_b64 exec, exec, s[8:9]
	s_cbranch_execnz .LBB36_147
; %bb.148:
	s_or_b64 exec, exec, s[8:9]
	v_mov_b32_e32 v80, 0
	ds_read_b64 v[80:81], v80 offset:280
	s_waitcnt lgkmcnt(0)
	v_mul_f64 v[75:76], v[75:76], v[80:81]
	buffer_store_dword v76, off, s[0:3], 0 offset:284
	buffer_store_dword v75, off, s[0:3], 0 offset:280
.LBB36_149:
	s_or_b64 exec, exec, s[4:5]
	; wave barrier
	buffer_load_dword v75, off, s[0:3], 0 offset:288
	buffer_load_dword v76, off, s[0:3], 0 offset:292
	v_cmp_ne_u32_e32 vcc, 36, v0
	s_waitcnt vmcnt(0)
	ds_write_b64 v78, v[75:76]
	s_waitcnt lgkmcnt(0)
	; wave barrier
	s_and_saveexec_b64 s[4:5], vcc
	s_cbranch_execz .LBB36_153
; %bb.150:
	v_mov_b32_e32 v75, 0
	v_add_u32_e32 v78, 0x130, v77
	v_mov_b32_e32 v76, 0
	s_mov_b64 s[8:9], 0
.LBB36_151:                             ; =>This Inner Loop Header: Depth=1
	buffer_load_dword v80, v77, s[0:3], 0 offen
	buffer_load_dword v81, v77, s[0:3], 0 offen offset:4
	ds_read_b64 v[82:83], v78
	v_add_u32_e32 v79, 1, v79
	v_cmp_lt_u32_e32 vcc, 34, v79
	v_add_u32_e32 v78, 8, v78
	s_or_b64 s[8:9], vcc, s[8:9]
	v_add_u32_e32 v77, 8, v77
	s_waitcnt vmcnt(0) lgkmcnt(0)
	v_fma_f64 v[75:76], v[80:81], v[82:83], v[75:76]
	s_andn2_b64 exec, exec, s[8:9]
	s_cbranch_execnz .LBB36_151
; %bb.152:
	s_or_b64 exec, exec, s[8:9]
	v_mov_b32_e32 v77, 0
	ds_read_b64 v[77:78], v77 offset:288
	s_waitcnt lgkmcnt(0)
	v_mul_f64 v[75:76], v[75:76], v[77:78]
	buffer_store_dword v76, off, s[0:3], 0 offset:292
	buffer_store_dword v75, off, s[0:3], 0 offset:288
.LBB36_153:
	s_or_b64 exec, exec, s[4:5]
	s_mov_b64 s[8:9], -1
	; wave barrier
.LBB36_154:
	s_and_b64 vcc, exec, s[8:9]
	s_cbranch_vccz .LBB36_156
; %bb.155:
	s_lshl_b64 s[4:5], s[6:7], 2
	s_add_u32 s4, s10, s4
	s_addc_u32 s5, s11, s5
	v_mov_b32_e32 v75, 0
	global_load_dword v75, v75, s[4:5]
	s_waitcnt vmcnt(0)
	v_cmp_ne_u32_e32 vcc, 0, v75
	s_cbranch_vccz .LBB36_157
.LBB36_156:
	s_endpgm
.LBB36_157:
	v_mov_b32_e32 v75, 0x130
	v_lshl_add_u32 v75, v0, 3, v75
	v_cmp_eq_u32_e32 vcc, 36, v0
	s_and_saveexec_b64 s[4:5], vcc
	s_cbranch_execz .LBB36_159
; %bb.158:
	buffer_load_dword v76, off, s[0:3], 0 offset:280
	buffer_load_dword v77, off, s[0:3], 0 offset:284
	v_mov_b32_e32 v78, 0
	buffer_store_dword v78, off, s[0:3], 0 offset:280
	buffer_store_dword v78, off, s[0:3], 0 offset:284
	s_waitcnt vmcnt(2)
	ds_write_b64 v75, v[76:77]
.LBB36_159:
	s_or_b64 exec, exec, s[4:5]
	s_waitcnt lgkmcnt(0)
	; wave barrier
	buffer_load_dword v77, off, s[0:3], 0 offset:288
	buffer_load_dword v78, off, s[0:3], 0 offset:292
	;; [unrolled: 1-line block ×4, first 2 shown]
	v_mov_b32_e32 v76, 0
	ds_read_b64 v[81:82], v76 offset:592
	v_cmp_lt_u32_e32 vcc, 34, v0
	s_waitcnt vmcnt(2) lgkmcnt(0)
	v_fma_f64 v[77:78], v[77:78], v[81:82], 0
	s_waitcnt vmcnt(0)
	v_add_f64 v[77:78], v[79:80], -v[77:78]
	buffer_store_dword v77, off, s[0:3], 0 offset:280
	buffer_store_dword v78, off, s[0:3], 0 offset:284
	s_and_saveexec_b64 s[4:5], vcc
	s_cbranch_execz .LBB36_161
; %bb.160:
	buffer_load_dword v77, off, s[0:3], 0 offset:272
	buffer_load_dword v78, off, s[0:3], 0 offset:276
	s_waitcnt vmcnt(0)
	ds_write_b64 v75, v[77:78]
	buffer_store_dword v76, off, s[0:3], 0 offset:272
	buffer_store_dword v76, off, s[0:3], 0 offset:276
.LBB36_161:
	s_or_b64 exec, exec, s[4:5]
	s_waitcnt lgkmcnt(0)
	; wave barrier
	buffer_load_dword v80, off, s[0:3], 0 offset:280
	buffer_load_dword v81, off, s[0:3], 0 offset:284
	buffer_load_dword v82, off, s[0:3], 0 offset:288
	buffer_load_dword v83, off, s[0:3], 0 offset:292
	buffer_load_dword v84, off, s[0:3], 0 offset:272
	buffer_load_dword v85, off, s[0:3], 0 offset:276
	ds_read2_b64 v[76:79], v76 offset0:73 offset1:74
	v_cmp_lt_u32_e32 vcc, 33, v0
	s_waitcnt vmcnt(4) lgkmcnt(0)
	v_fma_f64 v[76:77], v[80:81], v[76:77], 0
	s_waitcnt vmcnt(2)
	v_fma_f64 v[76:77], v[82:83], v[78:79], v[76:77]
	s_waitcnt vmcnt(0)
	v_add_f64 v[76:77], v[84:85], -v[76:77]
	buffer_store_dword v76, off, s[0:3], 0 offset:272
	buffer_store_dword v77, off, s[0:3], 0 offset:276
	s_and_saveexec_b64 s[4:5], vcc
	s_cbranch_execz .LBB36_163
; %bb.162:
	buffer_load_dword v76, off, s[0:3], 0 offset:264
	buffer_load_dword v77, off, s[0:3], 0 offset:268
	v_mov_b32_e32 v78, 0
	buffer_store_dword v78, off, s[0:3], 0 offset:264
	buffer_store_dword v78, off, s[0:3], 0 offset:268
	s_waitcnt vmcnt(2)
	ds_write_b64 v75, v[76:77]
.LBB36_163:
	s_or_b64 exec, exec, s[4:5]
	s_waitcnt lgkmcnt(0)
	; wave barrier
	buffer_load_dword v81, off, s[0:3], 0 offset:272
	buffer_load_dword v82, off, s[0:3], 0 offset:276
	;; [unrolled: 1-line block ×8, first 2 shown]
	v_mov_b32_e32 v76, 0
	ds_read_b128 v[77:80], v76 offset:576
	ds_read_b64 v[89:90], v76 offset:592
	v_cmp_lt_u32_e32 vcc, 32, v0
	s_waitcnt vmcnt(6) lgkmcnt(1)
	v_fma_f64 v[77:78], v[81:82], v[77:78], 0
	s_waitcnt vmcnt(4)
	v_fma_f64 v[77:78], v[83:84], v[79:80], v[77:78]
	s_waitcnt vmcnt(2) lgkmcnt(0)
	v_fma_f64 v[77:78], v[85:86], v[89:90], v[77:78]
	s_waitcnt vmcnt(0)
	v_add_f64 v[77:78], v[87:88], -v[77:78]
	buffer_store_dword v77, off, s[0:3], 0 offset:264
	buffer_store_dword v78, off, s[0:3], 0 offset:268
	s_and_saveexec_b64 s[4:5], vcc
	s_cbranch_execz .LBB36_165
; %bb.164:
	buffer_load_dword v77, off, s[0:3], 0 offset:256
	buffer_load_dword v78, off, s[0:3], 0 offset:260
	s_waitcnt vmcnt(0)
	ds_write_b64 v75, v[77:78]
	buffer_store_dword v76, off, s[0:3], 0 offset:256
	buffer_store_dword v76, off, s[0:3], 0 offset:260
.LBB36_165:
	s_or_b64 exec, exec, s[4:5]
	s_waitcnt lgkmcnt(0)
	; wave barrier
	buffer_load_dword v85, off, s[0:3], 0 offset:264
	buffer_load_dword v86, off, s[0:3], 0 offset:268
	;; [unrolled: 1-line block ×10, first 2 shown]
	ds_read2_b64 v[77:80], v76 offset0:71 offset1:72
	ds_read2_b64 v[81:84], v76 offset0:73 offset1:74
	v_cmp_lt_u32_e32 vcc, 31, v0
	s_waitcnt vmcnt(8) lgkmcnt(1)
	v_fma_f64 v[76:77], v[85:86], v[77:78], 0
	s_waitcnt vmcnt(6)
	v_fma_f64 v[76:77], v[87:88], v[79:80], v[76:77]
	s_waitcnt vmcnt(4) lgkmcnt(0)
	v_fma_f64 v[76:77], v[89:90], v[81:82], v[76:77]
	s_waitcnt vmcnt(2)
	v_fma_f64 v[76:77], v[91:92], v[83:84], v[76:77]
	s_waitcnt vmcnt(0)
	v_add_f64 v[76:77], v[93:94], -v[76:77]
	buffer_store_dword v76, off, s[0:3], 0 offset:256
	buffer_store_dword v77, off, s[0:3], 0 offset:260
	s_and_saveexec_b64 s[4:5], vcc
	s_cbranch_execz .LBB36_167
; %bb.166:
	buffer_load_dword v76, off, s[0:3], 0 offset:248
	buffer_load_dword v77, off, s[0:3], 0 offset:252
	v_mov_b32_e32 v78, 0
	buffer_store_dword v78, off, s[0:3], 0 offset:248
	buffer_store_dword v78, off, s[0:3], 0 offset:252
	s_waitcnt vmcnt(2)
	ds_write_b64 v75, v[76:77]
.LBB36_167:
	s_or_b64 exec, exec, s[4:5]
	s_waitcnt lgkmcnt(0)
	; wave barrier
	buffer_load_dword v85, off, s[0:3], 0 offset:256
	buffer_load_dword v86, off, s[0:3], 0 offset:260
	;; [unrolled: 1-line block ×12, first 2 shown]
	v_mov_b32_e32 v76, 0
	ds_read_b128 v[77:80], v76 offset:560
	ds_read_b128 v[81:84], v76 offset:576
	v_cmp_lt_u32_e32 vcc, 30, v0
	s_waitcnt vmcnt(10) lgkmcnt(1)
	v_fma_f64 v[77:78], v[85:86], v[77:78], 0
	s_waitcnt vmcnt(8)
	v_fma_f64 v[77:78], v[87:88], v[79:80], v[77:78]
	ds_read_b64 v[79:80], v76 offset:592
	s_waitcnt vmcnt(6) lgkmcnt(1)
	v_fma_f64 v[77:78], v[89:90], v[81:82], v[77:78]
	s_waitcnt vmcnt(4)
	v_fma_f64 v[77:78], v[91:92], v[83:84], v[77:78]
	s_waitcnt vmcnt(2) lgkmcnt(0)
	v_fma_f64 v[77:78], v[93:94], v[79:80], v[77:78]
	s_waitcnt vmcnt(0)
	v_add_f64 v[77:78], v[95:96], -v[77:78]
	buffer_store_dword v77, off, s[0:3], 0 offset:248
	buffer_store_dword v78, off, s[0:3], 0 offset:252
	s_and_saveexec_b64 s[4:5], vcc
	s_cbranch_execz .LBB36_169
; %bb.168:
	buffer_load_dword v77, off, s[0:3], 0 offset:240
	buffer_load_dword v78, off, s[0:3], 0 offset:244
	s_waitcnt vmcnt(0)
	ds_write_b64 v75, v[77:78]
	buffer_store_dword v76, off, s[0:3], 0 offset:240
	buffer_store_dword v76, off, s[0:3], 0 offset:244
.LBB36_169:
	s_or_b64 exec, exec, s[4:5]
	s_waitcnt lgkmcnt(0)
	; wave barrier
	buffer_load_dword v85, off, s[0:3], 0 offset:248
	buffer_load_dword v86, off, s[0:3], 0 offset:252
	buffer_load_dword v87, off, s[0:3], 0 offset:256
	buffer_load_dword v88, off, s[0:3], 0 offset:260
	buffer_load_dword v89, off, s[0:3], 0 offset:264
	buffer_load_dword v90, off, s[0:3], 0 offset:268
	buffer_load_dword v91, off, s[0:3], 0 offset:272
	buffer_load_dword v92, off, s[0:3], 0 offset:276
	buffer_load_dword v93, off, s[0:3], 0 offset:280
	buffer_load_dword v94, off, s[0:3], 0 offset:284
	buffer_load_dword v95, off, s[0:3], 0 offset:288
	buffer_load_dword v96, off, s[0:3], 0 offset:292
	buffer_load_dword v97, off, s[0:3], 0 offset:240
	buffer_load_dword v98, off, s[0:3], 0 offset:244
	ds_read2_b64 v[77:80], v76 offset0:69 offset1:70
	ds_read2_b64 v[81:84], v76 offset0:71 offset1:72
	v_cmp_lt_u32_e32 vcc, 29, v0
	s_waitcnt vmcnt(12) lgkmcnt(1)
	v_fma_f64 v[77:78], v[85:86], v[77:78], 0
	s_waitcnt vmcnt(10)
	v_fma_f64 v[77:78], v[87:88], v[79:80], v[77:78]
	s_waitcnt vmcnt(8) lgkmcnt(0)
	v_fma_f64 v[77:78], v[89:90], v[81:82], v[77:78]
	s_waitcnt vmcnt(6)
	v_fma_f64 v[80:81], v[91:92], v[83:84], v[77:78]
	ds_read2_b64 v[76:79], v76 offset0:73 offset1:74
	s_waitcnt vmcnt(4) lgkmcnt(0)
	v_fma_f64 v[76:77], v[93:94], v[76:77], v[80:81]
	s_waitcnt vmcnt(2)
	v_fma_f64 v[76:77], v[95:96], v[78:79], v[76:77]
	s_waitcnt vmcnt(0)
	v_add_f64 v[76:77], v[97:98], -v[76:77]
	buffer_store_dword v76, off, s[0:3], 0 offset:240
	buffer_store_dword v77, off, s[0:3], 0 offset:244
	s_and_saveexec_b64 s[4:5], vcc
	s_cbranch_execz .LBB36_171
; %bb.170:
	buffer_load_dword v76, off, s[0:3], 0 offset:232
	buffer_load_dword v77, off, s[0:3], 0 offset:236
	v_mov_b32_e32 v78, 0
	buffer_store_dword v78, off, s[0:3], 0 offset:232
	buffer_store_dword v78, off, s[0:3], 0 offset:236
	s_waitcnt vmcnt(2)
	ds_write_b64 v75, v[76:77]
.LBB36_171:
	s_or_b64 exec, exec, s[4:5]
	s_waitcnt lgkmcnt(0)
	; wave barrier
	buffer_load_dword v85, off, s[0:3], 0 offset:240
	buffer_load_dword v86, off, s[0:3], 0 offset:244
	;; [unrolled: 1-line block ×16, first 2 shown]
	v_mov_b32_e32 v76, 0
	ds_read_b128 v[77:80], v76 offset:544
	ds_read_b128 v[81:84], v76 offset:560
	v_cmp_lt_u32_e32 vcc, 28, v0
	s_waitcnt vmcnt(14) lgkmcnt(1)
	v_fma_f64 v[77:78], v[85:86], v[77:78], 0
	s_waitcnt vmcnt(12)
	v_fma_f64 v[77:78], v[87:88], v[79:80], v[77:78]
	s_waitcnt vmcnt(10) lgkmcnt(0)
	v_fma_f64 v[77:78], v[89:90], v[81:82], v[77:78]
	s_waitcnt vmcnt(8)
	v_fma_f64 v[81:82], v[91:92], v[83:84], v[77:78]
	ds_read_b128 v[77:80], v76 offset:576
	ds_read_b64 v[83:84], v76 offset:592
	s_waitcnt vmcnt(6) lgkmcnt(1)
	v_fma_f64 v[77:78], v[93:94], v[77:78], v[81:82]
	s_waitcnt vmcnt(4)
	v_fma_f64 v[77:78], v[95:96], v[79:80], v[77:78]
	s_waitcnt vmcnt(2) lgkmcnt(0)
	v_fma_f64 v[77:78], v[97:98], v[83:84], v[77:78]
	s_waitcnt vmcnt(0)
	v_add_f64 v[77:78], v[99:100], -v[77:78]
	buffer_store_dword v77, off, s[0:3], 0 offset:232
	buffer_store_dword v78, off, s[0:3], 0 offset:236
	s_and_saveexec_b64 s[4:5], vcc
	s_cbranch_execz .LBB36_173
; %bb.172:
	buffer_load_dword v77, off, s[0:3], 0 offset:224
	buffer_load_dword v78, off, s[0:3], 0 offset:228
	s_waitcnt vmcnt(0)
	ds_write_b64 v75, v[77:78]
	buffer_store_dword v76, off, s[0:3], 0 offset:224
	buffer_store_dword v76, off, s[0:3], 0 offset:228
.LBB36_173:
	s_or_b64 exec, exec, s[4:5]
	s_waitcnt lgkmcnt(0)
	; wave barrier
	buffer_load_dword v85, off, s[0:3], 0 offset:232
	buffer_load_dword v86, off, s[0:3], 0 offset:236
	;; [unrolled: 1-line block ×18, first 2 shown]
	ds_read2_b64 v[77:80], v76 offset0:67 offset1:68
	ds_read2_b64 v[81:84], v76 offset0:69 offset1:70
	v_cmp_lt_u32_e32 vcc, 27, v0
	s_waitcnt vmcnt(16) lgkmcnt(1)
	v_fma_f64 v[77:78], v[85:86], v[77:78], 0
	s_waitcnt vmcnt(14)
	v_fma_f64 v[77:78], v[87:88], v[79:80], v[77:78]
	s_waitcnt vmcnt(12) lgkmcnt(0)
	v_fma_f64 v[77:78], v[89:90], v[81:82], v[77:78]
	s_waitcnt vmcnt(10)
	v_fma_f64 v[85:86], v[91:92], v[83:84], v[77:78]
	ds_read2_b64 v[77:80], v76 offset0:71 offset1:72
	ds_read2_b64 v[81:84], v76 offset0:73 offset1:74
	s_waitcnt vmcnt(8) lgkmcnt(1)
	v_fma_f64 v[76:77], v[93:94], v[77:78], v[85:86]
	s_waitcnt vmcnt(6)
	v_fma_f64 v[76:77], v[95:96], v[79:80], v[76:77]
	s_waitcnt vmcnt(4) lgkmcnt(0)
	v_fma_f64 v[76:77], v[97:98], v[81:82], v[76:77]
	s_waitcnt vmcnt(2)
	v_fma_f64 v[76:77], v[99:100], v[83:84], v[76:77]
	s_waitcnt vmcnt(0)
	v_add_f64 v[76:77], v[101:102], -v[76:77]
	buffer_store_dword v76, off, s[0:3], 0 offset:224
	buffer_store_dword v77, off, s[0:3], 0 offset:228
	s_and_saveexec_b64 s[4:5], vcc
	s_cbranch_execz .LBB36_175
; %bb.174:
	buffer_load_dword v76, off, s[0:3], 0 offset:216
	buffer_load_dword v77, off, s[0:3], 0 offset:220
	v_mov_b32_e32 v78, 0
	buffer_store_dword v78, off, s[0:3], 0 offset:216
	buffer_store_dword v78, off, s[0:3], 0 offset:220
	s_waitcnt vmcnt(2)
	ds_write_b64 v75, v[76:77]
.LBB36_175:
	s_or_b64 exec, exec, s[4:5]
	s_waitcnt lgkmcnt(0)
	; wave barrier
	buffer_load_dword v85, off, s[0:3], 0 offset:224
	buffer_load_dword v86, off, s[0:3], 0 offset:228
	;; [unrolled: 1-line block ×20, first 2 shown]
	v_mov_b32_e32 v76, 0
	ds_read_b128 v[77:80], v76 offset:528
	ds_read_b128 v[81:84], v76 offset:544
	v_cmp_lt_u32_e32 vcc, 26, v0
	s_waitcnt vmcnt(18) lgkmcnt(1)
	v_fma_f64 v[77:78], v[85:86], v[77:78], 0
	s_waitcnt vmcnt(16)
	v_fma_f64 v[77:78], v[87:88], v[79:80], v[77:78]
	s_waitcnt vmcnt(14) lgkmcnt(0)
	v_fma_f64 v[77:78], v[89:90], v[81:82], v[77:78]
	s_waitcnt vmcnt(12)
	v_fma_f64 v[85:86], v[91:92], v[83:84], v[77:78]
	ds_read_b128 v[77:80], v76 offset:560
	ds_read_b128 v[81:84], v76 offset:576
	s_waitcnt vmcnt(10) lgkmcnt(1)
	v_fma_f64 v[77:78], v[93:94], v[77:78], v[85:86]
	s_waitcnt vmcnt(8)
	v_fma_f64 v[77:78], v[95:96], v[79:80], v[77:78]
	ds_read_b64 v[79:80], v76 offset:592
	s_waitcnt vmcnt(6) lgkmcnt(1)
	v_fma_f64 v[77:78], v[97:98], v[81:82], v[77:78]
	s_waitcnt vmcnt(3)
	v_fma_f64 v[77:78], v[99:100], v[83:84], v[77:78]
	s_waitcnt vmcnt(2) lgkmcnt(0)
	v_fma_f64 v[77:78], v[101:102], v[79:80], v[77:78]
	s_waitcnt vmcnt(0)
	v_add_f64 v[77:78], v[103:104], -v[77:78]
	buffer_store_dword v77, off, s[0:3], 0 offset:216
	buffer_store_dword v78, off, s[0:3], 0 offset:220
	s_and_saveexec_b64 s[4:5], vcc
	s_cbranch_execz .LBB36_177
; %bb.176:
	buffer_load_dword v77, off, s[0:3], 0 offset:208
	buffer_load_dword v78, off, s[0:3], 0 offset:212
	s_waitcnt vmcnt(0)
	ds_write_b64 v75, v[77:78]
	buffer_store_dword v76, off, s[0:3], 0 offset:208
	buffer_store_dword v76, off, s[0:3], 0 offset:212
.LBB36_177:
	s_or_b64 exec, exec, s[4:5]
	s_waitcnt lgkmcnt(0)
	; wave barrier
	buffer_load_dword v85, off, s[0:3], 0 offset:216
	buffer_load_dword v86, off, s[0:3], 0 offset:220
	;; [unrolled: 1-line block ×20, first 2 shown]
	ds_read2_b64 v[77:80], v76 offset0:65 offset1:66
	buffer_load_dword v105, off, s[0:3], 0 offset:208
	buffer_load_dword v106, off, s[0:3], 0 offset:212
	ds_read2_b64 v[81:84], v76 offset0:67 offset1:68
	v_cmp_lt_u32_e32 vcc, 25, v0
	s_waitcnt vmcnt(20) lgkmcnt(1)
	v_fma_f64 v[77:78], v[85:86], v[77:78], 0
	s_waitcnt vmcnt(18)
	v_fma_f64 v[77:78], v[87:88], v[79:80], v[77:78]
	s_waitcnt vmcnt(16) lgkmcnt(0)
	v_fma_f64 v[77:78], v[89:90], v[81:82], v[77:78]
	s_waitcnt vmcnt(14)
	v_fma_f64 v[85:86], v[91:92], v[83:84], v[77:78]
	ds_read2_b64 v[77:80], v76 offset0:69 offset1:70
	ds_read2_b64 v[81:84], v76 offset0:71 offset1:72
	s_waitcnt vmcnt(12) lgkmcnt(1)
	v_fma_f64 v[77:78], v[93:94], v[77:78], v[85:86]
	s_waitcnt vmcnt(10)
	v_fma_f64 v[77:78], v[95:96], v[79:80], v[77:78]
	s_waitcnt vmcnt(8) lgkmcnt(0)
	v_fma_f64 v[77:78], v[97:98], v[81:82], v[77:78]
	s_waitcnt vmcnt(4)
	v_fma_f64 v[80:81], v[99:100], v[83:84], v[77:78]
	ds_read2_b64 v[76:79], v76 offset0:73 offset1:74
	s_waitcnt vmcnt(3) lgkmcnt(0)
	v_fma_f64 v[76:77], v[103:104], v[76:77], v[80:81]
	s_waitcnt vmcnt(2)
	v_fma_f64 v[76:77], v[101:102], v[78:79], v[76:77]
	s_waitcnt vmcnt(0)
	v_add_f64 v[76:77], v[105:106], -v[76:77]
	buffer_store_dword v76, off, s[0:3], 0 offset:208
	buffer_store_dword v77, off, s[0:3], 0 offset:212
	s_and_saveexec_b64 s[4:5], vcc
	s_cbranch_execz .LBB36_179
; %bb.178:
	buffer_load_dword v76, off, s[0:3], 0 offset:200
	buffer_load_dword v77, off, s[0:3], 0 offset:204
	v_mov_b32_e32 v78, 0
	buffer_store_dword v78, off, s[0:3], 0 offset:200
	buffer_store_dword v78, off, s[0:3], 0 offset:204
	s_waitcnt vmcnt(2)
	ds_write_b64 v75, v[76:77]
.LBB36_179:
	s_or_b64 exec, exec, s[4:5]
	s_waitcnt lgkmcnt(0)
	; wave barrier
	buffer_load_dword v85, off, s[0:3], 0 offset:208
	buffer_load_dword v86, off, s[0:3], 0 offset:212
	buffer_load_dword v87, off, s[0:3], 0 offset:216
	buffer_load_dword v88, off, s[0:3], 0 offset:220
	buffer_load_dword v89, off, s[0:3], 0 offset:224
	buffer_load_dword v90, off, s[0:3], 0 offset:228
	buffer_load_dword v91, off, s[0:3], 0 offset:232
	buffer_load_dword v92, off, s[0:3], 0 offset:236
	buffer_load_dword v93, off, s[0:3], 0 offset:240
	buffer_load_dword v94, off, s[0:3], 0 offset:244
	buffer_load_dword v95, off, s[0:3], 0 offset:248
	buffer_load_dword v96, off, s[0:3], 0 offset:252
	buffer_load_dword v97, off, s[0:3], 0 offset:256
	buffer_load_dword v98, off, s[0:3], 0 offset:260
	buffer_load_dword v100, off, s[0:3], 0 offset:268
	buffer_load_dword v101, off, s[0:3], 0 offset:288
	buffer_load_dword v103, off, s[0:3], 0 offset:280
	buffer_load_dword v105, off, s[0:3], 0 offset:272
	buffer_load_dword v99, off, s[0:3], 0 offset:264
	buffer_load_dword v106, off, s[0:3], 0 offset:276
	buffer_load_dword v104, off, s[0:3], 0 offset:284
	v_mov_b32_e32 v76, 0
	ds_read_b128 v[77:80], v76 offset:512
	ds_read_b128 v[81:84], v76 offset:528
	buffer_load_dword v102, off, s[0:3], 0 offset:292
	v_cmp_lt_u32_e32 vcc, 24, v0
	s_waitcnt vmcnt(20) lgkmcnt(1)
	v_fma_f64 v[77:78], v[85:86], v[77:78], 0
	buffer_load_dword v85, off, s[0:3], 0 offset:200
	buffer_load_dword v86, off, s[0:3], 0 offset:204
	s_waitcnt vmcnt(20)
	v_fma_f64 v[77:78], v[87:88], v[79:80], v[77:78]
	s_waitcnt vmcnt(18) lgkmcnt(0)
	v_fma_f64 v[77:78], v[89:90], v[81:82], v[77:78]
	s_waitcnt vmcnt(16)
	v_fma_f64 v[87:88], v[91:92], v[83:84], v[77:78]
	ds_read_b128 v[77:80], v76 offset:544
	ds_read_b128 v[81:84], v76 offset:560
	s_waitcnt vmcnt(14) lgkmcnt(1)
	v_fma_f64 v[77:78], v[93:94], v[77:78], v[87:88]
	s_waitcnt vmcnt(12)
	v_fma_f64 v[77:78], v[95:96], v[79:80], v[77:78]
	s_waitcnt vmcnt(10) lgkmcnt(0)
	v_fma_f64 v[77:78], v[97:98], v[81:82], v[77:78]
	s_waitcnt vmcnt(5)
	v_fma_f64 v[81:82], v[99:100], v[83:84], v[77:78]
	ds_read_b128 v[77:80], v76 offset:576
	ds_read_b64 v[83:84], v76 offset:592
	s_waitcnt vmcnt(4) lgkmcnt(1)
	v_fma_f64 v[77:78], v[105:106], v[77:78], v[81:82]
	s_waitcnt vmcnt(3)
	v_fma_f64 v[77:78], v[103:104], v[79:80], v[77:78]
	s_waitcnt vmcnt(2) lgkmcnt(0)
	v_fma_f64 v[77:78], v[101:102], v[83:84], v[77:78]
	s_waitcnt vmcnt(0)
	v_add_f64 v[77:78], v[85:86], -v[77:78]
	buffer_store_dword v78, off, s[0:3], 0 offset:204
	buffer_store_dword v77, off, s[0:3], 0 offset:200
	s_and_saveexec_b64 s[4:5], vcc
	s_cbranch_execz .LBB36_181
; %bb.180:
	buffer_load_dword v77, off, s[0:3], 0 offset:192
	buffer_load_dword v78, off, s[0:3], 0 offset:196
	s_waitcnt vmcnt(0)
	ds_write_b64 v75, v[77:78]
	buffer_store_dword v76, off, s[0:3], 0 offset:192
	buffer_store_dword v76, off, s[0:3], 0 offset:196
.LBB36_181:
	s_or_b64 exec, exec, s[4:5]
	s_waitcnt lgkmcnt(0)
	; wave barrier
	buffer_load_dword v85, off, s[0:3], 0 offset:200
	buffer_load_dword v86, off, s[0:3], 0 offset:204
	;; [unrolled: 1-line block ×21, first 2 shown]
	ds_read2_b64 v[77:80], v76 offset0:63 offset1:64
	ds_read2_b64 v[81:84], v76 offset0:65 offset1:66
	buffer_load_dword v102, off, s[0:3], 0 offset:284
	v_cmp_lt_u32_e32 vcc, 23, v0
	s_waitcnt vmcnt(20) lgkmcnt(1)
	v_fma_f64 v[77:78], v[85:86], v[77:78], 0
	buffer_load_dword v86, off, s[0:3], 0 offset:292
	buffer_load_dword v85, off, s[0:3], 0 offset:288
	s_waitcnt vmcnt(20)
	v_fma_f64 v[77:78], v[87:88], v[79:80], v[77:78]
	buffer_load_dword v87, off, s[0:3], 0 offset:192
	buffer_load_dword v88, off, s[0:3], 0 offset:196
	s_waitcnt vmcnt(20) lgkmcnt(0)
	v_fma_f64 v[77:78], v[89:90], v[81:82], v[77:78]
	s_waitcnt vmcnt(18)
	v_fma_f64 v[89:90], v[91:92], v[83:84], v[77:78]
	ds_read2_b64 v[77:80], v76 offset0:67 offset1:68
	ds_read2_b64 v[81:84], v76 offset0:69 offset1:70
	s_waitcnt vmcnt(16) lgkmcnt(1)
	v_fma_f64 v[77:78], v[93:94], v[77:78], v[89:90]
	s_waitcnt vmcnt(14)
	v_fma_f64 v[77:78], v[95:96], v[79:80], v[77:78]
	s_waitcnt vmcnt(12) lgkmcnt(0)
	v_fma_f64 v[77:78], v[97:98], v[81:82], v[77:78]
	s_waitcnt vmcnt(7)
	v_fma_f64 v[89:90], v[99:100], v[83:84], v[77:78]
	ds_read2_b64 v[77:80], v76 offset0:71 offset1:72
	ds_read2_b64 v[81:84], v76 offset0:73 offset1:74
	s_waitcnt vmcnt(6) lgkmcnt(1)
	v_fma_f64 v[76:77], v[105:106], v[77:78], v[89:90]
	s_waitcnt vmcnt(5)
	v_fma_f64 v[76:77], v[103:104], v[79:80], v[76:77]
	s_waitcnt vmcnt(4) lgkmcnt(0)
	v_fma_f64 v[76:77], v[101:102], v[81:82], v[76:77]
	s_waitcnt vmcnt(2)
	v_fma_f64 v[76:77], v[85:86], v[83:84], v[76:77]
	s_waitcnt vmcnt(0)
	v_add_f64 v[76:77], v[87:88], -v[76:77]
	buffer_store_dword v77, off, s[0:3], 0 offset:196
	buffer_store_dword v76, off, s[0:3], 0 offset:192
	s_and_saveexec_b64 s[4:5], vcc
	s_cbranch_execz .LBB36_183
; %bb.182:
	buffer_load_dword v76, off, s[0:3], 0 offset:184
	buffer_load_dword v77, off, s[0:3], 0 offset:188
	v_mov_b32_e32 v78, 0
	buffer_store_dword v78, off, s[0:3], 0 offset:184
	buffer_store_dword v78, off, s[0:3], 0 offset:188
	s_waitcnt vmcnt(2)
	ds_write_b64 v75, v[76:77]
.LBB36_183:
	s_or_b64 exec, exec, s[4:5]
	s_waitcnt lgkmcnt(0)
	; wave barrier
	buffer_load_dword v85, off, s[0:3], 0 offset:192
	buffer_load_dword v86, off, s[0:3], 0 offset:196
	;; [unrolled: 1-line block ×21, first 2 shown]
	v_mov_b32_e32 v76, 0
	ds_read_b128 v[77:80], v76 offset:496
	ds_read_b128 v[81:84], v76 offset:512
	buffer_load_dword v102, off, s[0:3], 0 offset:276
	v_cmp_lt_u32_e32 vcc, 22, v0
	s_waitcnt vmcnt(20) lgkmcnt(1)
	v_fma_f64 v[77:78], v[85:86], v[77:78], 0
	s_waitcnt vmcnt(18)
	v_fma_f64 v[77:78], v[87:88], v[79:80], v[77:78]
	buffer_load_dword v86, off, s[0:3], 0 offset:284
	buffer_load_dword v87, off, s[0:3], 0 offset:288
	buffer_load_dword v85, off, s[0:3], 0 offset:280
	buffer_load_dword v88, off, s[0:3], 0 offset:292
	s_waitcnt vmcnt(20) lgkmcnt(0)
	v_fma_f64 v[77:78], v[89:90], v[81:82], v[77:78]
	buffer_load_dword v89, off, s[0:3], 0 offset:184
	buffer_load_dword v90, off, s[0:3], 0 offset:188
	s_waitcnt vmcnt(20)
	v_fma_f64 v[91:92], v[91:92], v[83:84], v[77:78]
	ds_read_b128 v[77:80], v76 offset:528
	ds_read_b128 v[81:84], v76 offset:544
	s_waitcnt vmcnt(18) lgkmcnt(1)
	v_fma_f64 v[77:78], v[93:94], v[77:78], v[91:92]
	s_waitcnt vmcnt(16)
	v_fma_f64 v[77:78], v[95:96], v[79:80], v[77:78]
	s_waitcnt vmcnt(14) lgkmcnt(0)
	v_fma_f64 v[77:78], v[97:98], v[81:82], v[77:78]
	s_waitcnt vmcnt(9)
	v_fma_f64 v[91:92], v[99:100], v[83:84], v[77:78]
	ds_read_b128 v[77:80], v76 offset:560
	ds_read_b128 v[81:84], v76 offset:576
	s_waitcnt vmcnt(8) lgkmcnt(1)
	v_fma_f64 v[77:78], v[105:106], v[77:78], v[91:92]
	s_waitcnt vmcnt(7)
	v_fma_f64 v[77:78], v[103:104], v[79:80], v[77:78]
	ds_read_b64 v[79:80], v76 offset:592
	s_waitcnt vmcnt(6) lgkmcnt(1)
	v_fma_f64 v[77:78], v[101:102], v[81:82], v[77:78]
	s_waitcnt vmcnt(3)
	v_fma_f64 v[77:78], v[85:86], v[83:84], v[77:78]
	s_waitcnt vmcnt(2) lgkmcnt(0)
	v_fma_f64 v[77:78], v[87:88], v[79:80], v[77:78]
	s_waitcnt vmcnt(0)
	v_add_f64 v[77:78], v[89:90], -v[77:78]
	buffer_store_dword v78, off, s[0:3], 0 offset:188
	buffer_store_dword v77, off, s[0:3], 0 offset:184
	s_and_saveexec_b64 s[4:5], vcc
	s_cbranch_execz .LBB36_185
; %bb.184:
	buffer_load_dword v77, off, s[0:3], 0 offset:176
	buffer_load_dword v78, off, s[0:3], 0 offset:180
	s_waitcnt vmcnt(0)
	ds_write_b64 v75, v[77:78]
	buffer_store_dword v76, off, s[0:3], 0 offset:176
	buffer_store_dword v76, off, s[0:3], 0 offset:180
.LBB36_185:
	s_or_b64 exec, exec, s[4:5]
	s_waitcnt lgkmcnt(0)
	; wave barrier
	buffer_load_dword v85, off, s[0:3], 0 offset:184
	buffer_load_dword v86, off, s[0:3], 0 offset:188
	;; [unrolled: 1-line block ×22, first 2 shown]
	ds_read2_b64 v[77:80], v76 offset0:61 offset1:62
	ds_read2_b64 v[81:84], v76 offset0:63 offset1:64
	v_cmp_lt_u32_e32 vcc, 21, v0
	s_waitcnt vmcnt(20) lgkmcnt(1)
	v_fma_f64 v[77:78], v[85:86], v[77:78], 0
	s_waitcnt vmcnt(18)
	v_fma_f64 v[77:78], v[87:88], v[79:80], v[77:78]
	buffer_load_dword v86, off, s[0:3], 0 offset:276
	buffer_load_dword v87, off, s[0:3], 0 offset:288
	buffer_load_dword v107, off, s[0:3], 0 offset:280
	buffer_load_dword v85, off, s[0:3], 0 offset:272
	buffer_load_dword v108, off, s[0:3], 0 offset:284
	buffer_load_dword v88, off, s[0:3], 0 offset:292
	s_waitcnt vmcnt(22) lgkmcnt(0)
	v_fma_f64 v[77:78], v[89:90], v[81:82], v[77:78]
	s_waitcnt vmcnt(20)
	v_fma_f64 v[89:90], v[91:92], v[83:84], v[77:78]
	ds_read2_b64 v[77:80], v76 offset0:65 offset1:66
	buffer_load_dword v91, off, s[0:3], 0 offset:176
	buffer_load_dword v92, off, s[0:3], 0 offset:180
	ds_read2_b64 v[81:84], v76 offset0:67 offset1:68
	s_waitcnt vmcnt(20) lgkmcnt(1)
	v_fma_f64 v[77:78], v[93:94], v[77:78], v[89:90]
	s_waitcnt vmcnt(18)
	v_fma_f64 v[77:78], v[95:96], v[79:80], v[77:78]
	s_waitcnt vmcnt(16) lgkmcnt(0)
	v_fma_f64 v[77:78], v[97:98], v[81:82], v[77:78]
	s_waitcnt vmcnt(11)
	v_fma_f64 v[89:90], v[99:100], v[83:84], v[77:78]
	ds_read2_b64 v[77:80], v76 offset0:69 offset1:70
	ds_read2_b64 v[81:84], v76 offset0:71 offset1:72
	s_waitcnt vmcnt(10) lgkmcnt(1)
	v_fma_f64 v[77:78], v[105:106], v[77:78], v[89:90]
	s_waitcnt vmcnt(9)
	v_fma_f64 v[77:78], v[103:104], v[79:80], v[77:78]
	s_waitcnt vmcnt(8) lgkmcnt(0)
	v_fma_f64 v[77:78], v[101:102], v[81:82], v[77:78]
	s_waitcnt vmcnt(4)
	v_fma_f64 v[80:81], v[85:86], v[83:84], v[77:78]
	ds_read2_b64 v[76:79], v76 offset0:73 offset1:74
	s_waitcnt vmcnt(3) lgkmcnt(0)
	v_fma_f64 v[76:77], v[107:108], v[76:77], v[80:81]
	s_waitcnt vmcnt(2)
	v_fma_f64 v[76:77], v[87:88], v[78:79], v[76:77]
	s_waitcnt vmcnt(0)
	v_add_f64 v[76:77], v[91:92], -v[76:77]
	buffer_store_dword v77, off, s[0:3], 0 offset:180
	buffer_store_dword v76, off, s[0:3], 0 offset:176
	s_and_saveexec_b64 s[4:5], vcc
	s_cbranch_execz .LBB36_187
; %bb.186:
	buffer_load_dword v76, off, s[0:3], 0 offset:168
	buffer_load_dword v77, off, s[0:3], 0 offset:172
	v_mov_b32_e32 v78, 0
	buffer_store_dword v78, off, s[0:3], 0 offset:168
	buffer_store_dword v78, off, s[0:3], 0 offset:172
	s_waitcnt vmcnt(2)
	ds_write_b64 v75, v[76:77]
.LBB36_187:
	s_or_b64 exec, exec, s[4:5]
	s_waitcnt lgkmcnt(0)
	; wave barrier
	buffer_load_dword v85, off, s[0:3], 0 offset:176
	buffer_load_dword v86, off, s[0:3], 0 offset:180
	;; [unrolled: 1-line block ×22, first 2 shown]
	v_mov_b32_e32 v76, 0
	ds_read_b128 v[77:80], v76 offset:480
	ds_read_b128 v[81:84], v76 offset:496
	v_cmp_lt_u32_e32 vcc, 20, v0
	s_waitcnt vmcnt(20) lgkmcnt(1)
	v_fma_f64 v[77:78], v[85:86], v[77:78], 0
	s_waitcnt vmcnt(18)
	v_fma_f64 v[77:78], v[87:88], v[79:80], v[77:78]
	buffer_load_dword v86, off, s[0:3], 0 offset:268
	buffer_load_dword v87, off, s[0:3], 0 offset:288
	;; [unrolled: 1-line block ×8, first 2 shown]
	s_waitcnt vmcnt(24) lgkmcnt(0)
	v_fma_f64 v[77:78], v[89:90], v[81:82], v[77:78]
	s_waitcnt vmcnt(22)
	v_fma_f64 v[89:90], v[91:92], v[83:84], v[77:78]
	ds_read_b128 v[77:80], v76 offset:512
	ds_read_b128 v[81:84], v76 offset:528
	s_waitcnt vmcnt(20) lgkmcnt(1)
	v_fma_f64 v[77:78], v[93:94], v[77:78], v[89:90]
	buffer_load_dword v89, off, s[0:3], 0 offset:168
	buffer_load_dword v90, off, s[0:3], 0 offset:172
	s_waitcnt vmcnt(20)
	v_fma_f64 v[77:78], v[95:96], v[79:80], v[77:78]
	s_waitcnt vmcnt(18) lgkmcnt(0)
	v_fma_f64 v[77:78], v[97:98], v[81:82], v[77:78]
	s_waitcnt vmcnt(13)
	v_fma_f64 v[91:92], v[99:100], v[83:84], v[77:78]
	ds_read_b128 v[77:80], v76 offset:544
	ds_read_b128 v[81:84], v76 offset:560
	s_waitcnt vmcnt(12) lgkmcnt(1)
	v_fma_f64 v[77:78], v[105:106], v[77:78], v[91:92]
	s_waitcnt vmcnt(11)
	v_fma_f64 v[77:78], v[103:104], v[79:80], v[77:78]
	s_waitcnt vmcnt(10) lgkmcnt(0)
	v_fma_f64 v[77:78], v[101:102], v[81:82], v[77:78]
	s_waitcnt vmcnt(5)
	v_fma_f64 v[81:82], v[85:86], v[83:84], v[77:78]
	ds_read_b128 v[77:80], v76 offset:576
	ds_read_b64 v[83:84], v76 offset:592
	s_waitcnt vmcnt(4) lgkmcnt(1)
	v_fma_f64 v[77:78], v[109:110], v[77:78], v[81:82]
	s_waitcnt vmcnt(3)
	v_fma_f64 v[77:78], v[107:108], v[79:80], v[77:78]
	s_waitcnt vmcnt(2) lgkmcnt(0)
	v_fma_f64 v[77:78], v[87:88], v[83:84], v[77:78]
	s_waitcnt vmcnt(0)
	v_add_f64 v[77:78], v[89:90], -v[77:78]
	buffer_store_dword v78, off, s[0:3], 0 offset:172
	buffer_store_dword v77, off, s[0:3], 0 offset:168
	s_and_saveexec_b64 s[4:5], vcc
	s_cbranch_execz .LBB36_189
; %bb.188:
	buffer_load_dword v77, off, s[0:3], 0 offset:160
	buffer_load_dword v78, off, s[0:3], 0 offset:164
	s_waitcnt vmcnt(0)
	ds_write_b64 v75, v[77:78]
	buffer_store_dword v76, off, s[0:3], 0 offset:160
	buffer_store_dword v76, off, s[0:3], 0 offset:164
.LBB36_189:
	s_or_b64 exec, exec, s[4:5]
	s_waitcnt lgkmcnt(0)
	; wave barrier
	buffer_load_dword v85, off, s[0:3], 0 offset:168
	buffer_load_dword v86, off, s[0:3], 0 offset:172
	;; [unrolled: 1-line block ×22, first 2 shown]
	ds_read2_b64 v[77:80], v76 offset0:59 offset1:60
	ds_read2_b64 v[81:84], v76 offset0:61 offset1:62
	v_cmp_lt_u32_e32 vcc, 19, v0
	s_waitcnt vmcnt(20) lgkmcnt(1)
	v_fma_f64 v[77:78], v[85:86], v[77:78], 0
	s_waitcnt vmcnt(18)
	v_fma_f64 v[77:78], v[87:88], v[79:80], v[77:78]
	buffer_load_dword v86, off, s[0:3], 0 offset:260
	buffer_load_dword v87, off, s[0:3], 0 offset:280
	;; [unrolled: 1-line block ×8, first 2 shown]
	s_waitcnt vmcnt(24) lgkmcnt(0)
	v_fma_f64 v[77:78], v[89:90], v[81:82], v[77:78]
	s_waitcnt vmcnt(22)
	v_fma_f64 v[89:90], v[91:92], v[83:84], v[77:78]
	ds_read2_b64 v[77:80], v76 offset0:63 offset1:64
	ds_read2_b64 v[81:84], v76 offset0:65 offset1:66
	s_waitcnt vmcnt(20) lgkmcnt(1)
	v_fma_f64 v[77:78], v[93:94], v[77:78], v[89:90]
	buffer_load_dword v90, off, s[0:3], 0 offset:292
	buffer_load_dword v89, off, s[0:3], 0 offset:288
	;; [unrolled: 1-line block ×4, first 2 shown]
	s_waitcnt vmcnt(22)
	v_fma_f64 v[77:78], v[95:96], v[79:80], v[77:78]
	s_waitcnt vmcnt(20) lgkmcnt(0)
	v_fma_f64 v[77:78], v[97:98], v[81:82], v[77:78]
	s_waitcnt vmcnt(15)
	v_fma_f64 v[93:94], v[99:100], v[83:84], v[77:78]
	ds_read2_b64 v[77:80], v76 offset0:67 offset1:68
	ds_read2_b64 v[81:84], v76 offset0:69 offset1:70
	s_waitcnt vmcnt(14) lgkmcnt(1)
	v_fma_f64 v[77:78], v[105:106], v[77:78], v[93:94]
	s_waitcnt vmcnt(13)
	v_fma_f64 v[77:78], v[103:104], v[79:80], v[77:78]
	s_waitcnt vmcnt(12) lgkmcnt(0)
	v_fma_f64 v[77:78], v[101:102], v[81:82], v[77:78]
	s_waitcnt vmcnt(7)
	v_fma_f64 v[85:86], v[85:86], v[83:84], v[77:78]
	ds_read2_b64 v[77:80], v76 offset0:71 offset1:72
	ds_read2_b64 v[81:84], v76 offset0:73 offset1:74
	s_waitcnt vmcnt(6) lgkmcnt(1)
	v_fma_f64 v[76:77], v[109:110], v[77:78], v[85:86]
	s_waitcnt vmcnt(5)
	v_fma_f64 v[76:77], v[107:108], v[79:80], v[76:77]
	s_waitcnt vmcnt(4) lgkmcnt(0)
	v_fma_f64 v[76:77], v[87:88], v[81:82], v[76:77]
	s_waitcnt vmcnt(2)
	v_fma_f64 v[76:77], v[89:90], v[83:84], v[76:77]
	s_waitcnt vmcnt(0)
	v_add_f64 v[76:77], v[91:92], -v[76:77]
	buffer_store_dword v77, off, s[0:3], 0 offset:164
	buffer_store_dword v76, off, s[0:3], 0 offset:160
	s_and_saveexec_b64 s[4:5], vcc
	s_cbranch_execz .LBB36_191
; %bb.190:
	buffer_load_dword v76, off, s[0:3], 0 offset:152
	buffer_load_dword v77, off, s[0:3], 0 offset:156
	v_mov_b32_e32 v78, 0
	buffer_store_dword v78, off, s[0:3], 0 offset:152
	buffer_store_dword v78, off, s[0:3], 0 offset:156
	s_waitcnt vmcnt(2)
	ds_write_b64 v75, v[76:77]
.LBB36_191:
	s_or_b64 exec, exec, s[4:5]
	s_waitcnt lgkmcnt(0)
	; wave barrier
	buffer_load_dword v85, off, s[0:3], 0 offset:160
	buffer_load_dword v86, off, s[0:3], 0 offset:164
	;; [unrolled: 1-line block ×22, first 2 shown]
	v_mov_b32_e32 v76, 0
	ds_read_b128 v[77:80], v76 offset:464
	ds_read_b128 v[81:84], v76 offset:480
	v_cmp_lt_u32_e32 vcc, 18, v0
	s_waitcnt vmcnt(20) lgkmcnt(1)
	v_fma_f64 v[77:78], v[85:86], v[77:78], 0
	s_waitcnt vmcnt(18)
	v_fma_f64 v[77:78], v[87:88], v[79:80], v[77:78]
	buffer_load_dword v86, off, s[0:3], 0 offset:252
	buffer_load_dword v87, off, s[0:3], 0 offset:272
	;; [unrolled: 1-line block ×7, first 2 shown]
	s_waitcnt vmcnt(23) lgkmcnt(0)
	v_fma_f64 v[77:78], v[89:90], v[81:82], v[77:78]
	s_waitcnt vmcnt(21)
	v_fma_f64 v[88:89], v[91:92], v[83:84], v[77:78]
	ds_read_b128 v[77:80], v76 offset:496
	ds_read_b128 v[81:84], v76 offset:512
	s_waitcnt vmcnt(19) lgkmcnt(1)
	v_fma_f64 v[77:78], v[93:94], v[77:78], v[88:89]
	buffer_load_dword v88, off, s[0:3], 0 offset:276
	buffer_load_dword v90, off, s[0:3], 0 offset:284
	;; [unrolled: 1-line block ×7, first 2 shown]
	s_waitcnt vmcnt(24)
	v_fma_f64 v[77:78], v[95:96], v[79:80], v[77:78]
	s_waitcnt vmcnt(22) lgkmcnt(0)
	v_fma_f64 v[77:78], v[97:98], v[81:82], v[77:78]
	s_waitcnt vmcnt(17)
	v_fma_f64 v[95:96], v[99:100], v[83:84], v[77:78]
	ds_read_b128 v[77:80], v76 offset:528
	ds_read_b128 v[81:84], v76 offset:544
	s_waitcnt vmcnt(16) lgkmcnt(1)
	v_fma_f64 v[77:78], v[105:106], v[77:78], v[95:96]
	s_waitcnt vmcnt(15)
	v_fma_f64 v[77:78], v[103:104], v[79:80], v[77:78]
	s_waitcnt vmcnt(14) lgkmcnt(0)
	v_fma_f64 v[77:78], v[101:102], v[81:82], v[77:78]
	s_waitcnt vmcnt(9)
	v_fma_f64 v[85:86], v[85:86], v[83:84], v[77:78]
	ds_read_b128 v[77:80], v76 offset:560
	ds_read_b128 v[81:84], v76 offset:576
	s_waitcnt vmcnt(8) lgkmcnt(1)
	v_fma_f64 v[77:78], v[109:110], v[77:78], v[85:86]
	s_waitcnt vmcnt(7)
	v_fma_f64 v[77:78], v[107:108], v[79:80], v[77:78]
	ds_read_b64 v[79:80], v76 offset:592
	s_waitcnt vmcnt(6) lgkmcnt(1)
	v_fma_f64 v[77:78], v[87:88], v[81:82], v[77:78]
	s_waitcnt vmcnt(3)
	v_fma_f64 v[77:78], v[89:90], v[83:84], v[77:78]
	s_waitcnt vmcnt(2) lgkmcnt(0)
	v_fma_f64 v[77:78], v[91:92], v[79:80], v[77:78]
	s_waitcnt vmcnt(0)
	v_add_f64 v[77:78], v[93:94], -v[77:78]
	buffer_store_dword v78, off, s[0:3], 0 offset:156
	buffer_store_dword v77, off, s[0:3], 0 offset:152
	s_and_saveexec_b64 s[4:5], vcc
	s_cbranch_execz .LBB36_193
; %bb.192:
	buffer_load_dword v77, off, s[0:3], 0 offset:144
	buffer_load_dword v78, off, s[0:3], 0 offset:148
	s_waitcnt vmcnt(0)
	ds_write_b64 v75, v[77:78]
	buffer_store_dword v76, off, s[0:3], 0 offset:144
	buffer_store_dword v76, off, s[0:3], 0 offset:148
.LBB36_193:
	s_or_b64 exec, exec, s[4:5]
	s_waitcnt lgkmcnt(0)
	; wave barrier
	buffer_load_dword v85, off, s[0:3], 0 offset:152
	buffer_load_dword v86, off, s[0:3], 0 offset:156
	;; [unrolled: 1-line block ×22, first 2 shown]
	ds_read2_b64 v[77:80], v76 offset0:57 offset1:58
	ds_read2_b64 v[81:84], v76 offset0:59 offset1:60
	v_cmp_lt_u32_e32 vcc, 17, v0
	s_waitcnt vmcnt(20) lgkmcnt(1)
	v_fma_f64 v[77:78], v[85:86], v[77:78], 0
	s_waitcnt vmcnt(18)
	v_fma_f64 v[77:78], v[87:88], v[79:80], v[77:78]
	buffer_load_dword v86, off, s[0:3], 0 offset:244
	buffer_load_dword v87, off, s[0:3], 0 offset:264
	;; [unrolled: 1-line block ×7, first 2 shown]
	s_waitcnt vmcnt(23) lgkmcnt(0)
	v_fma_f64 v[77:78], v[89:90], v[81:82], v[77:78]
	s_waitcnt vmcnt(21)
	v_fma_f64 v[88:89], v[91:92], v[83:84], v[77:78]
	ds_read2_b64 v[77:80], v76 offset0:61 offset1:62
	ds_read2_b64 v[81:84], v76 offset0:63 offset1:64
	s_waitcnt vmcnt(19) lgkmcnt(1)
	v_fma_f64 v[77:78], v[93:94], v[77:78], v[88:89]
	buffer_load_dword v88, off, s[0:3], 0 offset:268
	buffer_load_dword v90, off, s[0:3], 0 offset:276
	buffer_load_dword v91, off, s[0:3], 0 offset:288
	buffer_load_dword v93, off, s[0:3], 0 offset:280
	buffer_load_dword v89, off, s[0:3], 0 offset:272
	buffer_load_dword v94, off, s[0:3], 0 offset:284
	buffer_load_dword v92, off, s[0:3], 0 offset:292
	s_waitcnt vmcnt(24)
	v_fma_f64 v[77:78], v[95:96], v[79:80], v[77:78]
	s_waitcnt vmcnt(22) lgkmcnt(0)
	v_fma_f64 v[77:78], v[97:98], v[81:82], v[77:78]
	s_waitcnt vmcnt(17)
	v_fma_f64 v[95:96], v[99:100], v[83:84], v[77:78]
	ds_read2_b64 v[77:80], v76 offset0:65 offset1:66
	buffer_load_dword v97, off, s[0:3], 0 offset:144
	buffer_load_dword v98, off, s[0:3], 0 offset:148
	ds_read2_b64 v[81:84], v76 offset0:67 offset1:68
	s_waitcnt vmcnt(18) lgkmcnt(1)
	v_fma_f64 v[77:78], v[105:106], v[77:78], v[95:96]
	s_waitcnt vmcnt(17)
	v_fma_f64 v[77:78], v[103:104], v[79:80], v[77:78]
	s_waitcnt vmcnt(16) lgkmcnt(0)
	v_fma_f64 v[77:78], v[101:102], v[81:82], v[77:78]
	s_waitcnt vmcnt(11)
	v_fma_f64 v[85:86], v[85:86], v[83:84], v[77:78]
	ds_read2_b64 v[77:80], v76 offset0:69 offset1:70
	ds_read2_b64 v[81:84], v76 offset0:71 offset1:72
	s_waitcnt vmcnt(10) lgkmcnt(1)
	v_fma_f64 v[77:78], v[109:110], v[77:78], v[85:86]
	s_waitcnt vmcnt(9)
	v_fma_f64 v[77:78], v[107:108], v[79:80], v[77:78]
	s_waitcnt vmcnt(8) lgkmcnt(0)
	v_fma_f64 v[77:78], v[87:88], v[81:82], v[77:78]
	s_waitcnt vmcnt(4)
	v_fma_f64 v[80:81], v[89:90], v[83:84], v[77:78]
	ds_read2_b64 v[76:79], v76 offset0:73 offset1:74
	s_waitcnt vmcnt(3) lgkmcnt(0)
	v_fma_f64 v[76:77], v[93:94], v[76:77], v[80:81]
	s_waitcnt vmcnt(2)
	v_fma_f64 v[76:77], v[91:92], v[78:79], v[76:77]
	s_waitcnt vmcnt(0)
	v_add_f64 v[76:77], v[97:98], -v[76:77]
	buffer_store_dword v77, off, s[0:3], 0 offset:148
	buffer_store_dword v76, off, s[0:3], 0 offset:144
	s_and_saveexec_b64 s[4:5], vcc
	s_cbranch_execz .LBB36_195
; %bb.194:
	buffer_load_dword v76, off, s[0:3], 0 offset:136
	buffer_load_dword v77, off, s[0:3], 0 offset:140
	v_mov_b32_e32 v78, 0
	buffer_store_dword v78, off, s[0:3], 0 offset:136
	buffer_store_dword v78, off, s[0:3], 0 offset:140
	s_waitcnt vmcnt(2)
	ds_write_b64 v75, v[76:77]
.LBB36_195:
	s_or_b64 exec, exec, s[4:5]
	s_waitcnt lgkmcnt(0)
	; wave barrier
	buffer_load_dword v85, off, s[0:3], 0 offset:144
	buffer_load_dword v86, off, s[0:3], 0 offset:148
	;; [unrolled: 1-line block ×22, first 2 shown]
	v_mov_b32_e32 v76, 0
	ds_read_b128 v[77:80], v76 offset:448
	ds_read_b128 v[81:84], v76 offset:464
	v_cmp_lt_u32_e32 vcc, 16, v0
	s_waitcnt vmcnt(20) lgkmcnt(1)
	v_fma_f64 v[77:78], v[85:86], v[77:78], 0
	s_waitcnt vmcnt(18)
	v_fma_f64 v[77:78], v[87:88], v[79:80], v[77:78]
	buffer_load_dword v86, off, s[0:3], 0 offset:236
	buffer_load_dword v87, off, s[0:3], 0 offset:256
	;; [unrolled: 1-line block ×7, first 2 shown]
	s_waitcnt vmcnt(23) lgkmcnt(0)
	v_fma_f64 v[77:78], v[89:90], v[81:82], v[77:78]
	s_waitcnt vmcnt(21)
	v_fma_f64 v[88:89], v[91:92], v[83:84], v[77:78]
	ds_read_b128 v[77:80], v76 offset:480
	ds_read_b128 v[81:84], v76 offset:496
	s_waitcnt vmcnt(19) lgkmcnt(1)
	v_fma_f64 v[77:78], v[93:94], v[77:78], v[88:89]
	buffer_load_dword v88, off, s[0:3], 0 offset:260
	s_waitcnt vmcnt(18)
	v_fma_f64 v[77:78], v[95:96], v[79:80], v[77:78]
	buffer_load_dword v90, off, s[0:3], 0 offset:268
	buffer_load_dword v91, off, s[0:3], 0 offset:288
	;; [unrolled: 1-line block ×8, first 2 shown]
	s_waitcnt vmcnt(24) lgkmcnt(0)
	v_fma_f64 v[77:78], v[97:98], v[81:82], v[77:78]
	s_waitcnt vmcnt(19)
	v_fma_f64 v[97:98], v[99:100], v[83:84], v[77:78]
	ds_read_b128 v[77:80], v76 offset:512
	ds_read_b128 v[81:84], v76 offset:528
	s_waitcnt vmcnt(18) lgkmcnt(1)
	v_fma_f64 v[77:78], v[105:106], v[77:78], v[97:98]
	buffer_load_dword v97, off, s[0:3], 0 offset:136
	buffer_load_dword v98, off, s[0:3], 0 offset:140
	s_waitcnt vmcnt(19)
	v_fma_f64 v[77:78], v[103:104], v[79:80], v[77:78]
	s_waitcnt vmcnt(18) lgkmcnt(0)
	v_fma_f64 v[77:78], v[101:102], v[81:82], v[77:78]
	s_waitcnt vmcnt(13)
	v_fma_f64 v[85:86], v[85:86], v[83:84], v[77:78]
	ds_read_b128 v[77:80], v76 offset:544
	ds_read_b128 v[81:84], v76 offset:560
	s_waitcnt vmcnt(12) lgkmcnt(1)
	v_fma_f64 v[77:78], v[109:110], v[77:78], v[85:86]
	s_waitcnt vmcnt(11)
	v_fma_f64 v[77:78], v[107:108], v[79:80], v[77:78]
	s_waitcnt vmcnt(10) lgkmcnt(0)
	v_fma_f64 v[77:78], v[87:88], v[81:82], v[77:78]
	s_waitcnt vmcnt(5)
	v_fma_f64 v[81:82], v[89:90], v[83:84], v[77:78]
	ds_read_b128 v[77:80], v76 offset:576
	ds_read_b64 v[83:84], v76 offset:592
	s_waitcnt vmcnt(4) lgkmcnt(1)
	v_fma_f64 v[77:78], v[95:96], v[77:78], v[81:82]
	s_waitcnt vmcnt(3)
	v_fma_f64 v[77:78], v[93:94], v[79:80], v[77:78]
	s_waitcnt vmcnt(2) lgkmcnt(0)
	v_fma_f64 v[77:78], v[91:92], v[83:84], v[77:78]
	s_waitcnt vmcnt(0)
	v_add_f64 v[77:78], v[97:98], -v[77:78]
	buffer_store_dword v78, off, s[0:3], 0 offset:140
	buffer_store_dword v77, off, s[0:3], 0 offset:136
	s_and_saveexec_b64 s[4:5], vcc
	s_cbranch_execz .LBB36_197
; %bb.196:
	buffer_load_dword v77, off, s[0:3], 0 offset:128
	buffer_load_dword v78, off, s[0:3], 0 offset:132
	s_waitcnt vmcnt(0)
	ds_write_b64 v75, v[77:78]
	buffer_store_dword v76, off, s[0:3], 0 offset:128
	buffer_store_dword v76, off, s[0:3], 0 offset:132
.LBB36_197:
	s_or_b64 exec, exec, s[4:5]
	s_waitcnt lgkmcnt(0)
	; wave barrier
	buffer_load_dword v85, off, s[0:3], 0 offset:136
	buffer_load_dword v86, off, s[0:3], 0 offset:140
	;; [unrolled: 1-line block ×22, first 2 shown]
	ds_read2_b64 v[77:80], v76 offset0:55 offset1:56
	ds_read2_b64 v[81:84], v76 offset0:57 offset1:58
	v_cmp_lt_u32_e32 vcc, 15, v0
	s_waitcnt vmcnt(20) lgkmcnt(1)
	v_fma_f64 v[77:78], v[85:86], v[77:78], 0
	s_waitcnt vmcnt(18)
	v_fma_f64 v[77:78], v[87:88], v[79:80], v[77:78]
	buffer_load_dword v86, off, s[0:3], 0 offset:228
	buffer_load_dword v87, off, s[0:3], 0 offset:248
	buffer_load_dword v107, off, s[0:3], 0 offset:240
	buffer_load_dword v109, off, s[0:3], 0 offset:232
	buffer_load_dword v85, off, s[0:3], 0 offset:224
	buffer_load_dword v110, off, s[0:3], 0 offset:236
	buffer_load_dword v108, off, s[0:3], 0 offset:244
	s_waitcnt vmcnt(23) lgkmcnt(0)
	v_fma_f64 v[77:78], v[89:90], v[81:82], v[77:78]
	s_waitcnt vmcnt(21)
	v_fma_f64 v[88:89], v[91:92], v[83:84], v[77:78]
	ds_read2_b64 v[77:80], v76 offset0:59 offset1:60
	ds_read2_b64 v[81:84], v76 offset0:61 offset1:62
	s_waitcnt vmcnt(19) lgkmcnt(1)
	v_fma_f64 v[77:78], v[93:94], v[77:78], v[88:89]
	buffer_load_dword v88, off, s[0:3], 0 offset:252
	s_waitcnt vmcnt(18)
	v_fma_f64 v[77:78], v[95:96], v[79:80], v[77:78]
	buffer_load_dword v90, off, s[0:3], 0 offset:260
	buffer_load_dword v91, off, s[0:3], 0 offset:280
	;; [unrolled: 1-line block ×8, first 2 shown]
	s_waitcnt vmcnt(24) lgkmcnt(0)
	v_fma_f64 v[77:78], v[97:98], v[81:82], v[77:78]
	s_waitcnt vmcnt(19)
	v_fma_f64 v[97:98], v[99:100], v[83:84], v[77:78]
	ds_read2_b64 v[77:80], v76 offset0:63 offset1:64
	ds_read2_b64 v[81:84], v76 offset0:65 offset1:66
	s_waitcnt vmcnt(18) lgkmcnt(1)
	v_fma_f64 v[77:78], v[105:106], v[77:78], v[97:98]
	buffer_load_dword v98, off, s[0:3], 0 offset:292
	buffer_load_dword v97, off, s[0:3], 0 offset:288
	buffer_load_dword v99, off, s[0:3], 0 offset:128
	buffer_load_dword v100, off, s[0:3], 0 offset:132
	s_waitcnt vmcnt(21)
	v_fma_f64 v[77:78], v[103:104], v[79:80], v[77:78]
	s_waitcnt vmcnt(20) lgkmcnt(0)
	v_fma_f64 v[77:78], v[101:102], v[81:82], v[77:78]
	s_waitcnt vmcnt(15)
	v_fma_f64 v[85:86], v[85:86], v[83:84], v[77:78]
	ds_read2_b64 v[77:80], v76 offset0:67 offset1:68
	ds_read2_b64 v[81:84], v76 offset0:69 offset1:70
	s_waitcnt vmcnt(14) lgkmcnt(1)
	v_fma_f64 v[77:78], v[109:110], v[77:78], v[85:86]
	s_waitcnt vmcnt(13)
	v_fma_f64 v[77:78], v[107:108], v[79:80], v[77:78]
	s_waitcnt vmcnt(12) lgkmcnt(0)
	v_fma_f64 v[77:78], v[87:88], v[81:82], v[77:78]
	s_waitcnt vmcnt(7)
	v_fma_f64 v[85:86], v[89:90], v[83:84], v[77:78]
	ds_read2_b64 v[77:80], v76 offset0:71 offset1:72
	ds_read2_b64 v[81:84], v76 offset0:73 offset1:74
	s_waitcnt vmcnt(6) lgkmcnt(1)
	v_fma_f64 v[76:77], v[95:96], v[77:78], v[85:86]
	s_waitcnt vmcnt(5)
	v_fma_f64 v[76:77], v[93:94], v[79:80], v[76:77]
	s_waitcnt vmcnt(4) lgkmcnt(0)
	v_fma_f64 v[76:77], v[91:92], v[81:82], v[76:77]
	s_waitcnt vmcnt(2)
	v_fma_f64 v[76:77], v[97:98], v[83:84], v[76:77]
	s_waitcnt vmcnt(0)
	v_add_f64 v[76:77], v[99:100], -v[76:77]
	buffer_store_dword v77, off, s[0:3], 0 offset:132
	buffer_store_dword v76, off, s[0:3], 0 offset:128
	s_and_saveexec_b64 s[4:5], vcc
	s_cbranch_execz .LBB36_199
; %bb.198:
	buffer_load_dword v76, off, s[0:3], 0 offset:120
	buffer_load_dword v77, off, s[0:3], 0 offset:124
	v_mov_b32_e32 v78, 0
	buffer_store_dword v78, off, s[0:3], 0 offset:120
	buffer_store_dword v78, off, s[0:3], 0 offset:124
	s_waitcnt vmcnt(2)
	ds_write_b64 v75, v[76:77]
.LBB36_199:
	s_or_b64 exec, exec, s[4:5]
	s_waitcnt lgkmcnt(0)
	; wave barrier
	buffer_load_dword v85, off, s[0:3], 0 offset:128
	buffer_load_dword v86, off, s[0:3], 0 offset:132
	;; [unrolled: 1-line block ×21, first 2 shown]
	v_mov_b32_e32 v76, 0
	ds_read_b128 v[77:80], v76 offset:432
	ds_read_b128 v[81:84], v76 offset:448
	buffer_load_dword v102, off, s[0:3], 0 offset:212
	v_cmp_lt_u32_e32 vcc, 14, v0
	s_waitcnt vmcnt(20) lgkmcnt(1)
	v_fma_f64 v[77:78], v[85:86], v[77:78], 0
	s_waitcnt vmcnt(18)
	v_fma_f64 v[77:78], v[87:88], v[79:80], v[77:78]
	buffer_load_dword v86, off, s[0:3], 0 offset:220
	buffer_load_dword v87, off, s[0:3], 0 offset:240
	;; [unrolled: 1-line block ×7, first 2 shown]
	s_waitcnt vmcnt(23) lgkmcnt(0)
	v_fma_f64 v[77:78], v[89:90], v[81:82], v[77:78]
	s_waitcnt vmcnt(21)
	v_fma_f64 v[88:89], v[91:92], v[83:84], v[77:78]
	ds_read_b128 v[77:80], v76 offset:464
	ds_read_b128 v[81:84], v76 offset:480
	s_waitcnt vmcnt(19) lgkmcnt(1)
	v_fma_f64 v[77:78], v[93:94], v[77:78], v[88:89]
	buffer_load_dword v88, off, s[0:3], 0 offset:244
	s_waitcnt vmcnt(18)
	v_fma_f64 v[77:78], v[95:96], v[79:80], v[77:78]
	buffer_load_dword v90, off, s[0:3], 0 offset:252
	buffer_load_dword v91, off, s[0:3], 0 offset:272
	buffer_load_dword v93, off, s[0:3], 0 offset:264
	buffer_load_dword v95, off, s[0:3], 0 offset:256
	buffer_load_dword v89, off, s[0:3], 0 offset:248
	buffer_load_dword v96, off, s[0:3], 0 offset:260
	buffer_load_dword v94, off, s[0:3], 0 offset:268
	s_waitcnt vmcnt(23) lgkmcnt(0)
	v_fma_f64 v[77:78], v[97:98], v[81:82], v[77:78]
	s_waitcnt vmcnt(18)
	v_fma_f64 v[97:98], v[99:100], v[83:84], v[77:78]
	ds_read_b128 v[77:80], v76 offset:496
	ds_read_b128 v[81:84], v76 offset:512
	buffer_load_dword v92, off, s[0:3], 0 offset:276
	s_waitcnt vmcnt(18) lgkmcnt(1)
	v_fma_f64 v[77:78], v[105:106], v[77:78], v[97:98]
	buffer_load_dword v98, off, s[0:3], 0 offset:284
	buffer_load_dword v99, off, s[0:3], 0 offset:288
	;; [unrolled: 1-line block ×4, first 2 shown]
	s_waitcnt vmcnt(21)
	v_fma_f64 v[77:78], v[103:104], v[79:80], v[77:78]
	s_waitcnt vmcnt(20) lgkmcnt(0)
	v_fma_f64 v[77:78], v[101:102], v[81:82], v[77:78]
	buffer_load_dword v101, off, s[0:3], 0 offset:120
	buffer_load_dword v102, off, s[0:3], 0 offset:124
	s_waitcnt vmcnt(17)
	v_fma_f64 v[85:86], v[85:86], v[83:84], v[77:78]
	ds_read_b128 v[77:80], v76 offset:528
	ds_read_b128 v[81:84], v76 offset:544
	s_waitcnt vmcnt(16) lgkmcnt(1)
	v_fma_f64 v[77:78], v[109:110], v[77:78], v[85:86]
	s_waitcnt vmcnt(15)
	v_fma_f64 v[77:78], v[107:108], v[79:80], v[77:78]
	s_waitcnt vmcnt(14) lgkmcnt(0)
	v_fma_f64 v[77:78], v[87:88], v[81:82], v[77:78]
	s_waitcnt vmcnt(9)
	v_fma_f64 v[85:86], v[89:90], v[83:84], v[77:78]
	ds_read_b128 v[77:80], v76 offset:560
	ds_read_b128 v[81:84], v76 offset:576
	s_waitcnt vmcnt(8) lgkmcnt(1)
	v_fma_f64 v[77:78], v[95:96], v[77:78], v[85:86]
	s_waitcnt vmcnt(7)
	v_fma_f64 v[77:78], v[93:94], v[79:80], v[77:78]
	ds_read_b64 v[79:80], v76 offset:592
	s_waitcnt vmcnt(6) lgkmcnt(1)
	v_fma_f64 v[77:78], v[91:92], v[81:82], v[77:78]
	s_waitcnt vmcnt(3)
	v_fma_f64 v[77:78], v[97:98], v[83:84], v[77:78]
	s_waitcnt vmcnt(2) lgkmcnt(0)
	v_fma_f64 v[77:78], v[99:100], v[79:80], v[77:78]
	s_waitcnt vmcnt(0)
	v_add_f64 v[77:78], v[101:102], -v[77:78]
	buffer_store_dword v78, off, s[0:3], 0 offset:124
	buffer_store_dword v77, off, s[0:3], 0 offset:120
	s_and_saveexec_b64 s[4:5], vcc
	s_cbranch_execz .LBB36_201
; %bb.200:
	buffer_load_dword v77, off, s[0:3], 0 offset:112
	buffer_load_dword v78, off, s[0:3], 0 offset:116
	s_waitcnt vmcnt(0)
	ds_write_b64 v75, v[77:78]
	buffer_store_dword v76, off, s[0:3], 0 offset:112
	buffer_store_dword v76, off, s[0:3], 0 offset:116
.LBB36_201:
	s_or_b64 exec, exec, s[4:5]
	s_waitcnt lgkmcnt(0)
	; wave barrier
	buffer_load_dword v85, off, s[0:3], 0 offset:120
	buffer_load_dword v86, off, s[0:3], 0 offset:124
	;; [unrolled: 1-line block ×21, first 2 shown]
	ds_read2_b64 v[77:80], v76 offset0:53 offset1:54
	ds_read2_b64 v[81:84], v76 offset0:55 offset1:56
	buffer_load_dword v102, off, s[0:3], 0 offset:204
	v_cmp_lt_u32_e32 vcc, 13, v0
	s_waitcnt vmcnt(20) lgkmcnt(1)
	v_fma_f64 v[77:78], v[85:86], v[77:78], 0
	s_waitcnt vmcnt(18)
	v_fma_f64 v[77:78], v[87:88], v[79:80], v[77:78]
	buffer_load_dword v86, off, s[0:3], 0 offset:212
	buffer_load_dword v87, off, s[0:3], 0 offset:232
	;; [unrolled: 1-line block ×7, first 2 shown]
	s_waitcnt vmcnt(23) lgkmcnt(0)
	v_fma_f64 v[77:78], v[89:90], v[81:82], v[77:78]
	s_waitcnt vmcnt(21)
	v_fma_f64 v[88:89], v[91:92], v[83:84], v[77:78]
	ds_read2_b64 v[77:80], v76 offset0:57 offset1:58
	ds_read2_b64 v[81:84], v76 offset0:59 offset1:60
	s_waitcnt vmcnt(19) lgkmcnt(1)
	v_fma_f64 v[77:78], v[93:94], v[77:78], v[88:89]
	buffer_load_dword v88, off, s[0:3], 0 offset:236
	s_waitcnt vmcnt(18)
	v_fma_f64 v[77:78], v[95:96], v[79:80], v[77:78]
	buffer_load_dword v90, off, s[0:3], 0 offset:244
	buffer_load_dword v91, off, s[0:3], 0 offset:264
	;; [unrolled: 1-line block ×8, first 2 shown]
	s_waitcnt vmcnt(24) lgkmcnt(0)
	v_fma_f64 v[77:78], v[97:98], v[81:82], v[77:78]
	s_waitcnt vmcnt(19)
	v_fma_f64 v[97:98], v[99:100], v[83:84], v[77:78]
	ds_read2_b64 v[77:80], v76 offset0:61 offset1:62
	ds_read2_b64 v[81:84], v76 offset0:63 offset1:64
	s_waitcnt vmcnt(18) lgkmcnt(1)
	v_fma_f64 v[77:78], v[105:106], v[77:78], v[97:98]
	s_waitcnt vmcnt(17)
	v_fma_f64 v[77:78], v[103:104], v[79:80], v[77:78]
	buffer_load_dword v98, off, s[0:3], 0 offset:276
	buffer_load_dword v99, off, s[0:3], 0 offset:288
	;; [unrolled: 1-line block ×6, first 2 shown]
	s_waitcnt vmcnt(22) lgkmcnt(0)
	v_fma_f64 v[77:78], v[101:102], v[81:82], v[77:78]
	s_waitcnt vmcnt(17)
	v_fma_f64 v[85:86], v[85:86], v[83:84], v[77:78]
	ds_read2_b64 v[77:80], v76 offset0:65 offset1:66
	buffer_load_dword v101, off, s[0:3], 0 offset:112
	buffer_load_dword v102, off, s[0:3], 0 offset:116
	ds_read2_b64 v[81:84], v76 offset0:67 offset1:68
	s_waitcnt vmcnt(18) lgkmcnt(1)
	v_fma_f64 v[77:78], v[109:110], v[77:78], v[85:86]
	s_waitcnt vmcnt(17)
	v_fma_f64 v[77:78], v[107:108], v[79:80], v[77:78]
	s_waitcnt vmcnt(16) lgkmcnt(0)
	v_fma_f64 v[77:78], v[87:88], v[81:82], v[77:78]
	s_waitcnt vmcnt(11)
	v_fma_f64 v[85:86], v[89:90], v[83:84], v[77:78]
	ds_read2_b64 v[77:80], v76 offset0:69 offset1:70
	ds_read2_b64 v[81:84], v76 offset0:71 offset1:72
	s_waitcnt vmcnt(10) lgkmcnt(1)
	v_fma_f64 v[77:78], v[95:96], v[77:78], v[85:86]
	s_waitcnt vmcnt(9)
	v_fma_f64 v[77:78], v[93:94], v[79:80], v[77:78]
	s_waitcnt vmcnt(8) lgkmcnt(0)
	v_fma_f64 v[77:78], v[91:92], v[81:82], v[77:78]
	s_waitcnt vmcnt(4)
	v_fma_f64 v[80:81], v[97:98], v[83:84], v[77:78]
	ds_read2_b64 v[76:79], v76 offset0:73 offset1:74
	s_waitcnt vmcnt(3) lgkmcnt(0)
	v_fma_f64 v[76:77], v[103:104], v[76:77], v[80:81]
	s_waitcnt vmcnt(2)
	v_fma_f64 v[76:77], v[99:100], v[78:79], v[76:77]
	s_waitcnt vmcnt(0)
	v_add_f64 v[76:77], v[101:102], -v[76:77]
	buffer_store_dword v77, off, s[0:3], 0 offset:116
	buffer_store_dword v76, off, s[0:3], 0 offset:112
	s_and_saveexec_b64 s[4:5], vcc
	s_cbranch_execz .LBB36_203
; %bb.202:
	buffer_load_dword v76, off, s[0:3], 0 offset:104
	buffer_load_dword v77, off, s[0:3], 0 offset:108
	v_mov_b32_e32 v78, 0
	buffer_store_dword v78, off, s[0:3], 0 offset:104
	buffer_store_dword v78, off, s[0:3], 0 offset:108
	s_waitcnt vmcnt(2)
	ds_write_b64 v75, v[76:77]
.LBB36_203:
	s_or_b64 exec, exec, s[4:5]
	s_waitcnt lgkmcnt(0)
	; wave barrier
	buffer_load_dword v85, off, s[0:3], 0 offset:112
	buffer_load_dword v86, off, s[0:3], 0 offset:116
	;; [unrolled: 1-line block ×21, first 2 shown]
	v_mov_b32_e32 v76, 0
	ds_read_b128 v[77:80], v76 offset:416
	ds_read_b128 v[81:84], v76 offset:432
	buffer_load_dword v102, off, s[0:3], 0 offset:196
	v_cmp_lt_u32_e32 vcc, 12, v0
	s_waitcnt vmcnt(20) lgkmcnt(1)
	v_fma_f64 v[77:78], v[85:86], v[77:78], 0
	s_waitcnt vmcnt(18)
	v_fma_f64 v[77:78], v[87:88], v[79:80], v[77:78]
	buffer_load_dword v86, off, s[0:3], 0 offset:204
	buffer_load_dword v87, off, s[0:3], 0 offset:224
	;; [unrolled: 1-line block ×7, first 2 shown]
	s_waitcnt vmcnt(23) lgkmcnt(0)
	v_fma_f64 v[77:78], v[89:90], v[81:82], v[77:78]
	s_waitcnt vmcnt(21)
	v_fma_f64 v[88:89], v[91:92], v[83:84], v[77:78]
	ds_read_b128 v[77:80], v76 offset:448
	ds_read_b128 v[81:84], v76 offset:464
	s_waitcnt vmcnt(19) lgkmcnt(1)
	v_fma_f64 v[77:78], v[93:94], v[77:78], v[88:89]
	buffer_load_dword v88, off, s[0:3], 0 offset:228
	s_waitcnt vmcnt(18)
	v_fma_f64 v[77:78], v[95:96], v[79:80], v[77:78]
	buffer_load_dword v90, off, s[0:3], 0 offset:236
	buffer_load_dword v91, off, s[0:3], 0 offset:256
	;; [unrolled: 1-line block ×8, first 2 shown]
	s_waitcnt vmcnt(24) lgkmcnt(0)
	v_fma_f64 v[77:78], v[97:98], v[81:82], v[77:78]
	s_waitcnt vmcnt(19)
	v_fma_f64 v[97:98], v[99:100], v[83:84], v[77:78]
	ds_read_b128 v[77:80], v76 offset:480
	ds_read_b128 v[81:84], v76 offset:496
	s_waitcnt vmcnt(18) lgkmcnt(1)
	v_fma_f64 v[77:78], v[105:106], v[77:78], v[97:98]
	s_waitcnt vmcnt(17)
	v_fma_f64 v[77:78], v[103:104], v[79:80], v[77:78]
	buffer_load_dword v98, off, s[0:3], 0 offset:268
	buffer_load_dword v99, off, s[0:3], 0 offset:288
	;; [unrolled: 1-line block ×8, first 2 shown]
	s_waitcnt vmcnt(24) lgkmcnt(0)
	v_fma_f64 v[77:78], v[101:102], v[81:82], v[77:78]
	s_waitcnt vmcnt(19)
	v_fma_f64 v[85:86], v[85:86], v[83:84], v[77:78]
	ds_read_b128 v[77:80], v76 offset:512
	ds_read_b128 v[81:84], v76 offset:528
	s_waitcnt vmcnt(18) lgkmcnt(1)
	v_fma_f64 v[77:78], v[109:110], v[77:78], v[85:86]
	buffer_load_dword v85, off, s[0:3], 0 offset:104
	buffer_load_dword v86, off, s[0:3], 0 offset:108
	s_waitcnt vmcnt(19)
	v_fma_f64 v[77:78], v[107:108], v[79:80], v[77:78]
	s_waitcnt vmcnt(18) lgkmcnt(0)
	v_fma_f64 v[77:78], v[87:88], v[81:82], v[77:78]
	s_waitcnt vmcnt(13)
	v_fma_f64 v[87:88], v[89:90], v[83:84], v[77:78]
	ds_read_b128 v[77:80], v76 offset:544
	ds_read_b128 v[81:84], v76 offset:560
	s_waitcnt vmcnt(12) lgkmcnt(1)
	v_fma_f64 v[77:78], v[95:96], v[77:78], v[87:88]
	s_waitcnt vmcnt(11)
	v_fma_f64 v[77:78], v[93:94], v[79:80], v[77:78]
	s_waitcnt vmcnt(10) lgkmcnt(0)
	v_fma_f64 v[77:78], v[91:92], v[81:82], v[77:78]
	s_waitcnt vmcnt(5)
	v_fma_f64 v[81:82], v[97:98], v[83:84], v[77:78]
	ds_read_b128 v[77:80], v76 offset:576
	ds_read_b64 v[83:84], v76 offset:592
	s_waitcnt vmcnt(4) lgkmcnt(1)
	v_fma_f64 v[77:78], v[105:106], v[77:78], v[81:82]
	s_waitcnt vmcnt(3)
	v_fma_f64 v[77:78], v[103:104], v[79:80], v[77:78]
	s_waitcnt vmcnt(2) lgkmcnt(0)
	v_fma_f64 v[77:78], v[99:100], v[83:84], v[77:78]
	s_waitcnt vmcnt(0)
	v_add_f64 v[77:78], v[85:86], -v[77:78]
	buffer_store_dword v78, off, s[0:3], 0 offset:108
	buffer_store_dword v77, off, s[0:3], 0 offset:104
	s_and_saveexec_b64 s[4:5], vcc
	s_cbranch_execz .LBB36_205
; %bb.204:
	buffer_load_dword v77, off, s[0:3], 0 offset:96
	buffer_load_dword v78, off, s[0:3], 0 offset:100
	s_waitcnt vmcnt(0)
	ds_write_b64 v75, v[77:78]
	buffer_store_dword v76, off, s[0:3], 0 offset:96
	buffer_store_dword v76, off, s[0:3], 0 offset:100
.LBB36_205:
	s_or_b64 exec, exec, s[4:5]
	s_waitcnt lgkmcnt(0)
	; wave barrier
	buffer_load_dword v85, off, s[0:3], 0 offset:104
	buffer_load_dword v86, off, s[0:3], 0 offset:108
	;; [unrolled: 1-line block ×21, first 2 shown]
	ds_read2_b64 v[77:80], v76 offset0:51 offset1:52
	ds_read2_b64 v[81:84], v76 offset0:53 offset1:54
	buffer_load_dword v102, off, s[0:3], 0 offset:188
	v_cmp_lt_u32_e32 vcc, 11, v0
	s_waitcnt vmcnt(20) lgkmcnt(1)
	v_fma_f64 v[77:78], v[85:86], v[77:78], 0
	s_waitcnt vmcnt(18)
	v_fma_f64 v[77:78], v[87:88], v[79:80], v[77:78]
	buffer_load_dword v86, off, s[0:3], 0 offset:196
	buffer_load_dword v87, off, s[0:3], 0 offset:216
	;; [unrolled: 1-line block ×7, first 2 shown]
	s_waitcnt vmcnt(23) lgkmcnt(0)
	v_fma_f64 v[77:78], v[89:90], v[81:82], v[77:78]
	s_waitcnt vmcnt(21)
	v_fma_f64 v[88:89], v[91:92], v[83:84], v[77:78]
	ds_read2_b64 v[77:80], v76 offset0:55 offset1:56
	ds_read2_b64 v[81:84], v76 offset0:57 offset1:58
	s_waitcnt vmcnt(19) lgkmcnt(1)
	v_fma_f64 v[77:78], v[93:94], v[77:78], v[88:89]
	buffer_load_dword v88, off, s[0:3], 0 offset:220
	s_waitcnt vmcnt(18)
	v_fma_f64 v[77:78], v[95:96], v[79:80], v[77:78]
	buffer_load_dword v90, off, s[0:3], 0 offset:228
	buffer_load_dword v91, off, s[0:3], 0 offset:248
	;; [unrolled: 1-line block ×8, first 2 shown]
	s_waitcnt vmcnt(24) lgkmcnt(0)
	v_fma_f64 v[77:78], v[97:98], v[81:82], v[77:78]
	s_waitcnt vmcnt(19)
	v_fma_f64 v[97:98], v[99:100], v[83:84], v[77:78]
	ds_read2_b64 v[77:80], v76 offset0:59 offset1:60
	ds_read2_b64 v[81:84], v76 offset0:61 offset1:62
	s_waitcnt vmcnt(18) lgkmcnt(1)
	v_fma_f64 v[77:78], v[105:106], v[77:78], v[97:98]
	s_waitcnt vmcnt(17)
	v_fma_f64 v[77:78], v[103:104], v[79:80], v[77:78]
	buffer_load_dword v98, off, s[0:3], 0 offset:260
	buffer_load_dword v99, off, s[0:3], 0 offset:280
	;; [unrolled: 1-line block ×8, first 2 shown]
	s_waitcnt vmcnt(24) lgkmcnt(0)
	v_fma_f64 v[77:78], v[101:102], v[81:82], v[77:78]
	s_waitcnt vmcnt(19)
	v_fma_f64 v[85:86], v[85:86], v[83:84], v[77:78]
	ds_read2_b64 v[77:80], v76 offset0:63 offset1:64
	ds_read2_b64 v[81:84], v76 offset0:65 offset1:66
	s_waitcnt vmcnt(18) lgkmcnt(1)
	v_fma_f64 v[77:78], v[109:110], v[77:78], v[85:86]
	buffer_load_dword v86, off, s[0:3], 0 offset:292
	buffer_load_dword v85, off, s[0:3], 0 offset:288
	;; [unrolled: 1-line block ×4, first 2 shown]
	s_waitcnt vmcnt(21)
	v_fma_f64 v[77:78], v[107:108], v[79:80], v[77:78]
	s_waitcnt vmcnt(20) lgkmcnt(0)
	v_fma_f64 v[77:78], v[87:88], v[81:82], v[77:78]
	s_waitcnt vmcnt(15)
	v_fma_f64 v[87:88], v[89:90], v[83:84], v[77:78]
	ds_read2_b64 v[77:80], v76 offset0:67 offset1:68
	ds_read2_b64 v[81:84], v76 offset0:69 offset1:70
	s_waitcnt vmcnt(14) lgkmcnt(1)
	v_fma_f64 v[77:78], v[95:96], v[77:78], v[87:88]
	s_waitcnt vmcnt(13)
	v_fma_f64 v[77:78], v[93:94], v[79:80], v[77:78]
	s_waitcnt vmcnt(12) lgkmcnt(0)
	v_fma_f64 v[77:78], v[91:92], v[81:82], v[77:78]
	s_waitcnt vmcnt(7)
	v_fma_f64 v[87:88], v[97:98], v[83:84], v[77:78]
	ds_read2_b64 v[77:80], v76 offset0:71 offset1:72
	ds_read2_b64 v[81:84], v76 offset0:73 offset1:74
	s_waitcnt vmcnt(6) lgkmcnt(1)
	v_fma_f64 v[76:77], v[105:106], v[77:78], v[87:88]
	s_waitcnt vmcnt(5)
	v_fma_f64 v[76:77], v[103:104], v[79:80], v[76:77]
	s_waitcnt vmcnt(4) lgkmcnt(0)
	v_fma_f64 v[76:77], v[99:100], v[81:82], v[76:77]
	s_waitcnt vmcnt(2)
	v_fma_f64 v[76:77], v[85:86], v[83:84], v[76:77]
	s_waitcnt vmcnt(0)
	v_add_f64 v[76:77], v[101:102], -v[76:77]
	buffer_store_dword v77, off, s[0:3], 0 offset:100
	buffer_store_dword v76, off, s[0:3], 0 offset:96
	s_and_saveexec_b64 s[4:5], vcc
	s_cbranch_execz .LBB36_207
; %bb.206:
	buffer_load_dword v76, off, s[0:3], 0 offset:88
	buffer_load_dword v77, off, s[0:3], 0 offset:92
	v_mov_b32_e32 v78, 0
	buffer_store_dword v78, off, s[0:3], 0 offset:88
	buffer_store_dword v78, off, s[0:3], 0 offset:92
	s_waitcnt vmcnt(2)
	ds_write_b64 v75, v[76:77]
.LBB36_207:
	s_or_b64 exec, exec, s[4:5]
	s_waitcnt lgkmcnt(0)
	; wave barrier
	buffer_load_dword v85, off, s[0:3], 0 offset:96
	buffer_load_dword v86, off, s[0:3], 0 offset:100
	buffer_load_dword v87, off, s[0:3], 0 offset:104
	buffer_load_dword v88, off, s[0:3], 0 offset:108
	buffer_load_dword v89, off, s[0:3], 0 offset:112
	buffer_load_dword v90, off, s[0:3], 0 offset:116
	buffer_load_dword v91, off, s[0:3], 0 offset:120
	buffer_load_dword v92, off, s[0:3], 0 offset:124
	buffer_load_dword v93, off, s[0:3], 0 offset:128
	buffer_load_dword v94, off, s[0:3], 0 offset:132
	buffer_load_dword v95, off, s[0:3], 0 offset:136
	buffer_load_dword v96, off, s[0:3], 0 offset:140
	buffer_load_dword v97, off, s[0:3], 0 offset:144
	buffer_load_dword v98, off, s[0:3], 0 offset:148
	buffer_load_dword v100, off, s[0:3], 0 offset:156
	buffer_load_dword v101, off, s[0:3], 0 offset:176
	buffer_load_dword v103, off, s[0:3], 0 offset:168
	buffer_load_dword v105, off, s[0:3], 0 offset:160
	buffer_load_dword v99, off, s[0:3], 0 offset:152
	buffer_load_dword v106, off, s[0:3], 0 offset:164
	buffer_load_dword v104, off, s[0:3], 0 offset:172
	v_mov_b32_e32 v76, 0
	ds_read_b128 v[77:80], v76 offset:400
	ds_read_b128 v[81:84], v76 offset:416
	buffer_load_dword v102, off, s[0:3], 0 offset:180
	v_cmp_lt_u32_e32 vcc, 10, v0
	s_waitcnt vmcnt(20) lgkmcnt(1)
	v_fma_f64 v[77:78], v[85:86], v[77:78], 0
	s_waitcnt vmcnt(18)
	v_fma_f64 v[77:78], v[87:88], v[79:80], v[77:78]
	buffer_load_dword v86, off, s[0:3], 0 offset:188
	buffer_load_dword v87, off, s[0:3], 0 offset:208
	;; [unrolled: 1-line block ×7, first 2 shown]
	s_waitcnt vmcnt(23) lgkmcnt(0)
	v_fma_f64 v[77:78], v[89:90], v[81:82], v[77:78]
	s_waitcnt vmcnt(21)
	v_fma_f64 v[88:89], v[91:92], v[83:84], v[77:78]
	ds_read_b128 v[77:80], v76 offset:432
	ds_read_b128 v[81:84], v76 offset:448
	s_waitcnt vmcnt(19) lgkmcnt(1)
	v_fma_f64 v[77:78], v[93:94], v[77:78], v[88:89]
	buffer_load_dword v88, off, s[0:3], 0 offset:212
	s_waitcnt vmcnt(18)
	v_fma_f64 v[77:78], v[95:96], v[79:80], v[77:78]
	buffer_load_dword v90, off, s[0:3], 0 offset:220
	buffer_load_dword v91, off, s[0:3], 0 offset:240
	;; [unrolled: 1-line block ×8, first 2 shown]
	s_waitcnt vmcnt(24) lgkmcnt(0)
	v_fma_f64 v[77:78], v[97:98], v[81:82], v[77:78]
	s_waitcnt vmcnt(19)
	v_fma_f64 v[97:98], v[99:100], v[83:84], v[77:78]
	ds_read_b128 v[77:80], v76 offset:464
	ds_read_b128 v[81:84], v76 offset:480
	s_waitcnt vmcnt(18) lgkmcnt(1)
	v_fma_f64 v[77:78], v[105:106], v[77:78], v[97:98]
	s_waitcnt vmcnt(17)
	v_fma_f64 v[77:78], v[103:104], v[79:80], v[77:78]
	buffer_load_dword v98, off, s[0:3], 0 offset:252
	buffer_load_dword v99, off, s[0:3], 0 offset:272
	;; [unrolled: 1-line block ×7, first 2 shown]
	s_waitcnt vmcnt(23) lgkmcnt(0)
	v_fma_f64 v[77:78], v[101:102], v[81:82], v[77:78]
	s_waitcnt vmcnt(18)
	v_fma_f64 v[85:86], v[85:86], v[83:84], v[77:78]
	ds_read_b128 v[77:80], v76 offset:496
	ds_read_b128 v[81:84], v76 offset:512
	buffer_load_dword v100, off, s[0:3], 0 offset:276
	s_waitcnt vmcnt(18) lgkmcnt(1)
	v_fma_f64 v[77:78], v[109:110], v[77:78], v[85:86]
	buffer_load_dword v86, off, s[0:3], 0 offset:284
	buffer_load_dword v101, off, s[0:3], 0 offset:288
	;; [unrolled: 1-line block ×4, first 2 shown]
	s_waitcnt vmcnt(21)
	v_fma_f64 v[77:78], v[107:108], v[79:80], v[77:78]
	s_waitcnt vmcnt(20) lgkmcnt(0)
	v_fma_f64 v[77:78], v[87:88], v[81:82], v[77:78]
	buffer_load_dword v87, off, s[0:3], 0 offset:88
	buffer_load_dword v88, off, s[0:3], 0 offset:92
	s_waitcnt vmcnt(17)
	v_fma_f64 v[89:90], v[89:90], v[83:84], v[77:78]
	ds_read_b128 v[77:80], v76 offset:528
	ds_read_b128 v[81:84], v76 offset:544
	s_waitcnt vmcnt(16) lgkmcnt(1)
	v_fma_f64 v[77:78], v[95:96], v[77:78], v[89:90]
	s_waitcnt vmcnt(15)
	v_fma_f64 v[77:78], v[93:94], v[79:80], v[77:78]
	s_waitcnt vmcnt(14) lgkmcnt(0)
	v_fma_f64 v[77:78], v[91:92], v[81:82], v[77:78]
	s_waitcnt vmcnt(9)
	v_fma_f64 v[89:90], v[97:98], v[83:84], v[77:78]
	ds_read_b128 v[77:80], v76 offset:560
	ds_read_b128 v[81:84], v76 offset:576
	s_waitcnt vmcnt(8) lgkmcnt(1)
	v_fma_f64 v[77:78], v[105:106], v[77:78], v[89:90]
	s_waitcnt vmcnt(7)
	v_fma_f64 v[77:78], v[103:104], v[79:80], v[77:78]
	ds_read_b64 v[79:80], v76 offset:592
	s_waitcnt vmcnt(6) lgkmcnt(1)
	v_fma_f64 v[77:78], v[99:100], v[81:82], v[77:78]
	s_waitcnt vmcnt(3)
	v_fma_f64 v[77:78], v[85:86], v[83:84], v[77:78]
	s_waitcnt vmcnt(2) lgkmcnt(0)
	v_fma_f64 v[77:78], v[101:102], v[79:80], v[77:78]
	s_waitcnt vmcnt(0)
	v_add_f64 v[77:78], v[87:88], -v[77:78]
	buffer_store_dword v78, off, s[0:3], 0 offset:92
	buffer_store_dword v77, off, s[0:3], 0 offset:88
	s_and_saveexec_b64 s[4:5], vcc
	s_cbranch_execz .LBB36_209
; %bb.208:
	buffer_load_dword v77, off, s[0:3], 0 offset:80
	buffer_load_dword v78, off, s[0:3], 0 offset:84
	s_waitcnt vmcnt(0)
	ds_write_b64 v75, v[77:78]
	buffer_store_dword v76, off, s[0:3], 0 offset:80
	buffer_store_dword v76, off, s[0:3], 0 offset:84
.LBB36_209:
	s_or_b64 exec, exec, s[4:5]
	s_waitcnt lgkmcnt(0)
	; wave barrier
	buffer_load_dword v85, off, s[0:3], 0 offset:88
	buffer_load_dword v86, off, s[0:3], 0 offset:92
	;; [unrolled: 1-line block ×22, first 2 shown]
	ds_read2_b64 v[77:80], v76 offset0:49 offset1:50
	ds_read2_b64 v[81:84], v76 offset0:51 offset1:52
	v_cmp_lt_u32_e32 vcc, 9, v0
	s_waitcnt vmcnt(20) lgkmcnt(1)
	v_fma_f64 v[77:78], v[85:86], v[77:78], 0
	s_waitcnt vmcnt(18)
	v_fma_f64 v[77:78], v[87:88], v[79:80], v[77:78]
	buffer_load_dword v86, off, s[0:3], 0 offset:180
	buffer_load_dword v87, off, s[0:3], 0 offset:200
	;; [unrolled: 1-line block ×7, first 2 shown]
	s_waitcnt vmcnt(23) lgkmcnt(0)
	v_fma_f64 v[77:78], v[89:90], v[81:82], v[77:78]
	s_waitcnt vmcnt(21)
	v_fma_f64 v[88:89], v[91:92], v[83:84], v[77:78]
	ds_read2_b64 v[77:80], v76 offset0:53 offset1:54
	ds_read2_b64 v[81:84], v76 offset0:55 offset1:56
	s_waitcnt vmcnt(19) lgkmcnt(1)
	v_fma_f64 v[77:78], v[93:94], v[77:78], v[88:89]
	buffer_load_dword v88, off, s[0:3], 0 offset:204
	s_waitcnt vmcnt(18)
	v_fma_f64 v[77:78], v[95:96], v[79:80], v[77:78]
	buffer_load_dword v90, off, s[0:3], 0 offset:212
	buffer_load_dword v91, off, s[0:3], 0 offset:232
	;; [unrolled: 1-line block ×8, first 2 shown]
	s_waitcnt vmcnt(24) lgkmcnt(0)
	v_fma_f64 v[77:78], v[97:98], v[81:82], v[77:78]
	s_waitcnt vmcnt(19)
	v_fma_f64 v[97:98], v[99:100], v[83:84], v[77:78]
	ds_read2_b64 v[77:80], v76 offset0:57 offset1:58
	ds_read2_b64 v[81:84], v76 offset0:59 offset1:60
	s_waitcnt vmcnt(18) lgkmcnt(1)
	v_fma_f64 v[77:78], v[105:106], v[77:78], v[97:98]
	s_waitcnt vmcnt(17)
	v_fma_f64 v[77:78], v[103:104], v[79:80], v[77:78]
	buffer_load_dword v98, off, s[0:3], 0 offset:244
	buffer_load_dword v99, off, s[0:3], 0 offset:264
	;; [unrolled: 1-line block ×8, first 2 shown]
	s_waitcnt vmcnt(24) lgkmcnt(0)
	v_fma_f64 v[77:78], v[101:102], v[81:82], v[77:78]
	s_waitcnt vmcnt(19)
	v_fma_f64 v[85:86], v[85:86], v[83:84], v[77:78]
	ds_read2_b64 v[77:80], v76 offset0:61 offset1:62
	ds_read2_b64 v[81:84], v76 offset0:63 offset1:64
	s_waitcnt vmcnt(18) lgkmcnt(1)
	v_fma_f64 v[77:78], v[109:110], v[77:78], v[85:86]
	s_waitcnt vmcnt(17)
	v_fma_f64 v[77:78], v[107:108], v[79:80], v[77:78]
	buffer_load_dword v86, off, s[0:3], 0 offset:276
	buffer_load_dword v101, off, s[0:3], 0 offset:288
	;; [unrolled: 1-line block ×6, first 2 shown]
	s_waitcnt vmcnt(22) lgkmcnt(0)
	v_fma_f64 v[77:78], v[87:88], v[81:82], v[77:78]
	s_waitcnt vmcnt(17)
	v_fma_f64 v[87:88], v[89:90], v[83:84], v[77:78]
	ds_read2_b64 v[77:80], v76 offset0:65 offset1:66
	buffer_load_dword v89, off, s[0:3], 0 offset:80
	buffer_load_dword v90, off, s[0:3], 0 offset:84
	ds_read2_b64 v[81:84], v76 offset0:67 offset1:68
	s_waitcnt vmcnt(18) lgkmcnt(1)
	v_fma_f64 v[77:78], v[95:96], v[77:78], v[87:88]
	s_waitcnt vmcnt(17)
	v_fma_f64 v[77:78], v[93:94], v[79:80], v[77:78]
	s_waitcnt vmcnt(16) lgkmcnt(0)
	v_fma_f64 v[77:78], v[91:92], v[81:82], v[77:78]
	s_waitcnt vmcnt(11)
	v_fma_f64 v[87:88], v[97:98], v[83:84], v[77:78]
	ds_read2_b64 v[77:80], v76 offset0:69 offset1:70
	ds_read2_b64 v[81:84], v76 offset0:71 offset1:72
	s_waitcnt vmcnt(10) lgkmcnt(1)
	v_fma_f64 v[77:78], v[105:106], v[77:78], v[87:88]
	s_waitcnt vmcnt(9)
	v_fma_f64 v[77:78], v[103:104], v[79:80], v[77:78]
	s_waitcnt vmcnt(8) lgkmcnt(0)
	v_fma_f64 v[77:78], v[99:100], v[81:82], v[77:78]
	s_waitcnt vmcnt(4)
	v_fma_f64 v[80:81], v[85:86], v[83:84], v[77:78]
	ds_read2_b64 v[76:79], v76 offset0:73 offset1:74
	s_waitcnt vmcnt(3) lgkmcnt(0)
	v_fma_f64 v[76:77], v[107:108], v[76:77], v[80:81]
	s_waitcnt vmcnt(2)
	v_fma_f64 v[76:77], v[101:102], v[78:79], v[76:77]
	s_waitcnt vmcnt(0)
	v_add_f64 v[76:77], v[89:90], -v[76:77]
	buffer_store_dword v77, off, s[0:3], 0 offset:84
	buffer_store_dword v76, off, s[0:3], 0 offset:80
	s_and_saveexec_b64 s[4:5], vcc
	s_cbranch_execz .LBB36_211
; %bb.210:
	buffer_load_dword v76, off, s[0:3], 0 offset:72
	buffer_load_dword v77, off, s[0:3], 0 offset:76
	v_mov_b32_e32 v78, 0
	buffer_store_dword v78, off, s[0:3], 0 offset:72
	buffer_store_dword v78, off, s[0:3], 0 offset:76
	s_waitcnt vmcnt(2)
	ds_write_b64 v75, v[76:77]
.LBB36_211:
	s_or_b64 exec, exec, s[4:5]
	s_waitcnt lgkmcnt(0)
	; wave barrier
	buffer_load_dword v85, off, s[0:3], 0 offset:80
	buffer_load_dword v86, off, s[0:3], 0 offset:84
	;; [unrolled: 1-line block ×22, first 2 shown]
	v_mov_b32_e32 v76, 0
	ds_read_b128 v[77:80], v76 offset:384
	ds_read_b128 v[81:84], v76 offset:400
	v_cmp_lt_u32_e32 vcc, 8, v0
	s_waitcnt vmcnt(20) lgkmcnt(1)
	v_fma_f64 v[77:78], v[85:86], v[77:78], 0
	s_waitcnt vmcnt(18)
	v_fma_f64 v[77:78], v[87:88], v[79:80], v[77:78]
	buffer_load_dword v86, off, s[0:3], 0 offset:172
	buffer_load_dword v87, off, s[0:3], 0 offset:192
	;; [unrolled: 1-line block ×7, first 2 shown]
	s_waitcnt vmcnt(23) lgkmcnt(0)
	v_fma_f64 v[77:78], v[89:90], v[81:82], v[77:78]
	s_waitcnt vmcnt(21)
	v_fma_f64 v[88:89], v[91:92], v[83:84], v[77:78]
	ds_read_b128 v[77:80], v76 offset:416
	ds_read_b128 v[81:84], v76 offset:432
	s_waitcnt vmcnt(19) lgkmcnt(1)
	v_fma_f64 v[77:78], v[93:94], v[77:78], v[88:89]
	buffer_load_dword v88, off, s[0:3], 0 offset:196
	s_waitcnt vmcnt(18)
	v_fma_f64 v[77:78], v[95:96], v[79:80], v[77:78]
	buffer_load_dword v90, off, s[0:3], 0 offset:204
	buffer_load_dword v91, off, s[0:3], 0 offset:224
	buffer_load_dword v93, off, s[0:3], 0 offset:216
	buffer_load_dword v95, off, s[0:3], 0 offset:208
	buffer_load_dword v89, off, s[0:3], 0 offset:200
	buffer_load_dword v96, off, s[0:3], 0 offset:212
	buffer_load_dword v94, off, s[0:3], 0 offset:220
	buffer_load_dword v92, off, s[0:3], 0 offset:228
	s_waitcnt vmcnt(24) lgkmcnt(0)
	v_fma_f64 v[77:78], v[97:98], v[81:82], v[77:78]
	s_waitcnt vmcnt(19)
	v_fma_f64 v[97:98], v[99:100], v[83:84], v[77:78]
	ds_read_b128 v[77:80], v76 offset:448
	ds_read_b128 v[81:84], v76 offset:464
	s_waitcnt vmcnt(18) lgkmcnt(1)
	v_fma_f64 v[77:78], v[105:106], v[77:78], v[97:98]
	s_waitcnt vmcnt(17)
	v_fma_f64 v[77:78], v[103:104], v[79:80], v[77:78]
	buffer_load_dword v98, off, s[0:3], 0 offset:236
	buffer_load_dword v99, off, s[0:3], 0 offset:256
	buffer_load_dword v103, off, s[0:3], 0 offset:248
	buffer_load_dword v105, off, s[0:3], 0 offset:240
	buffer_load_dword v97, off, s[0:3], 0 offset:232
	buffer_load_dword v106, off, s[0:3], 0 offset:244
	buffer_load_dword v104, off, s[0:3], 0 offset:252
	buffer_load_dword v100, off, s[0:3], 0 offset:260
	s_waitcnt vmcnt(24) lgkmcnt(0)
	v_fma_f64 v[77:78], v[101:102], v[81:82], v[77:78]
	s_waitcnt vmcnt(19)
	v_fma_f64 v[85:86], v[85:86], v[83:84], v[77:78]
	ds_read_b128 v[77:80], v76 offset:480
	ds_read_b128 v[81:84], v76 offset:496
	s_waitcnt vmcnt(18) lgkmcnt(1)
	v_fma_f64 v[77:78], v[109:110], v[77:78], v[85:86]
	;; [unrolled: 18-line block ×3, first 2 shown]
	buffer_load_dword v87, off, s[0:3], 0 offset:72
	buffer_load_dword v88, off, s[0:3], 0 offset:76
	s_waitcnt vmcnt(19)
	v_fma_f64 v[77:78], v[93:94], v[79:80], v[77:78]
	s_waitcnt vmcnt(18) lgkmcnt(0)
	v_fma_f64 v[77:78], v[91:92], v[81:82], v[77:78]
	s_waitcnt vmcnt(13)
	v_fma_f64 v[89:90], v[97:98], v[83:84], v[77:78]
	ds_read_b128 v[77:80], v76 offset:544
	ds_read_b128 v[81:84], v76 offset:560
	s_waitcnt vmcnt(12) lgkmcnt(1)
	v_fma_f64 v[77:78], v[105:106], v[77:78], v[89:90]
	s_waitcnt vmcnt(11)
	v_fma_f64 v[77:78], v[103:104], v[79:80], v[77:78]
	s_waitcnt vmcnt(10) lgkmcnt(0)
	v_fma_f64 v[77:78], v[99:100], v[81:82], v[77:78]
	s_waitcnt vmcnt(5)
	v_fma_f64 v[81:82], v[85:86], v[83:84], v[77:78]
	ds_read_b128 v[77:80], v76 offset:576
	ds_read_b64 v[83:84], v76 offset:592
	s_waitcnt vmcnt(4) lgkmcnt(1)
	v_fma_f64 v[77:78], v[109:110], v[77:78], v[81:82]
	s_waitcnt vmcnt(3)
	v_fma_f64 v[77:78], v[107:108], v[79:80], v[77:78]
	s_waitcnt vmcnt(2) lgkmcnt(0)
	v_fma_f64 v[77:78], v[101:102], v[83:84], v[77:78]
	s_waitcnt vmcnt(0)
	v_add_f64 v[77:78], v[87:88], -v[77:78]
	buffer_store_dword v78, off, s[0:3], 0 offset:76
	buffer_store_dword v77, off, s[0:3], 0 offset:72
	s_and_saveexec_b64 s[4:5], vcc
	s_cbranch_execz .LBB36_213
; %bb.212:
	buffer_load_dword v77, off, s[0:3], 0 offset:64
	buffer_load_dword v78, off, s[0:3], 0 offset:68
	s_waitcnt vmcnt(0)
	ds_write_b64 v75, v[77:78]
	buffer_store_dword v76, off, s[0:3], 0 offset:64
	buffer_store_dword v76, off, s[0:3], 0 offset:68
.LBB36_213:
	s_or_b64 exec, exec, s[4:5]
	s_waitcnt lgkmcnt(0)
	; wave barrier
	buffer_load_dword v85, off, s[0:3], 0 offset:72
	buffer_load_dword v86, off, s[0:3], 0 offset:76
	;; [unrolled: 1-line block ×22, first 2 shown]
	ds_read2_b64 v[77:80], v76 offset0:47 offset1:48
	ds_read2_b64 v[81:84], v76 offset0:49 offset1:50
	v_cmp_lt_u32_e32 vcc, 7, v0
	s_waitcnt vmcnt(20) lgkmcnt(1)
	v_fma_f64 v[77:78], v[85:86], v[77:78], 0
	s_waitcnt vmcnt(18)
	v_fma_f64 v[77:78], v[87:88], v[79:80], v[77:78]
	buffer_load_dword v86, off, s[0:3], 0 offset:164
	buffer_load_dword v87, off, s[0:3], 0 offset:184
	;; [unrolled: 1-line block ×7, first 2 shown]
	s_waitcnt vmcnt(23) lgkmcnt(0)
	v_fma_f64 v[77:78], v[89:90], v[81:82], v[77:78]
	s_waitcnt vmcnt(21)
	v_fma_f64 v[88:89], v[91:92], v[83:84], v[77:78]
	ds_read2_b64 v[77:80], v76 offset0:51 offset1:52
	ds_read2_b64 v[81:84], v76 offset0:53 offset1:54
	s_waitcnt vmcnt(19) lgkmcnt(1)
	v_fma_f64 v[77:78], v[93:94], v[77:78], v[88:89]
	buffer_load_dword v88, off, s[0:3], 0 offset:188
	s_waitcnt vmcnt(18)
	v_fma_f64 v[77:78], v[95:96], v[79:80], v[77:78]
	buffer_load_dword v90, off, s[0:3], 0 offset:196
	buffer_load_dword v91, off, s[0:3], 0 offset:216
	buffer_load_dword v93, off, s[0:3], 0 offset:208
	buffer_load_dword v95, off, s[0:3], 0 offset:200
	buffer_load_dword v89, off, s[0:3], 0 offset:192
	buffer_load_dword v96, off, s[0:3], 0 offset:204
	buffer_load_dword v94, off, s[0:3], 0 offset:212
	buffer_load_dword v92, off, s[0:3], 0 offset:220
	s_waitcnt vmcnt(24) lgkmcnt(0)
	v_fma_f64 v[77:78], v[97:98], v[81:82], v[77:78]
	s_waitcnt vmcnt(19)
	v_fma_f64 v[97:98], v[99:100], v[83:84], v[77:78]
	ds_read2_b64 v[77:80], v76 offset0:55 offset1:56
	ds_read2_b64 v[81:84], v76 offset0:57 offset1:58
	s_waitcnt vmcnt(18) lgkmcnt(1)
	v_fma_f64 v[77:78], v[105:106], v[77:78], v[97:98]
	s_waitcnt vmcnt(17)
	v_fma_f64 v[77:78], v[103:104], v[79:80], v[77:78]
	buffer_load_dword v98, off, s[0:3], 0 offset:228
	buffer_load_dword v99, off, s[0:3], 0 offset:248
	buffer_load_dword v103, off, s[0:3], 0 offset:240
	buffer_load_dword v105, off, s[0:3], 0 offset:232
	buffer_load_dword v97, off, s[0:3], 0 offset:224
	buffer_load_dword v106, off, s[0:3], 0 offset:236
	buffer_load_dword v104, off, s[0:3], 0 offset:244
	buffer_load_dword v100, off, s[0:3], 0 offset:252
	s_waitcnt vmcnt(24) lgkmcnt(0)
	v_fma_f64 v[77:78], v[101:102], v[81:82], v[77:78]
	s_waitcnt vmcnt(19)
	v_fma_f64 v[85:86], v[85:86], v[83:84], v[77:78]
	ds_read2_b64 v[77:80], v76 offset0:59 offset1:60
	ds_read2_b64 v[81:84], v76 offset0:61 offset1:62
	s_waitcnt vmcnt(18) lgkmcnt(1)
	v_fma_f64 v[77:78], v[109:110], v[77:78], v[85:86]
	;; [unrolled: 18-line block ×3, first 2 shown]
	buffer_load_dword v88, off, s[0:3], 0 offset:292
	buffer_load_dword v87, off, s[0:3], 0 offset:288
	buffer_load_dword v89, off, s[0:3], 0 offset:64
	buffer_load_dword v90, off, s[0:3], 0 offset:68
	s_waitcnt vmcnt(21)
	v_fma_f64 v[77:78], v[93:94], v[79:80], v[77:78]
	s_waitcnt vmcnt(20) lgkmcnt(0)
	v_fma_f64 v[77:78], v[91:92], v[81:82], v[77:78]
	s_waitcnt vmcnt(15)
	v_fma_f64 v[91:92], v[97:98], v[83:84], v[77:78]
	ds_read2_b64 v[77:80], v76 offset0:67 offset1:68
	ds_read2_b64 v[81:84], v76 offset0:69 offset1:70
	s_waitcnt vmcnt(14) lgkmcnt(1)
	v_fma_f64 v[77:78], v[105:106], v[77:78], v[91:92]
	s_waitcnt vmcnt(13)
	v_fma_f64 v[77:78], v[103:104], v[79:80], v[77:78]
	s_waitcnt vmcnt(12) lgkmcnt(0)
	v_fma_f64 v[77:78], v[99:100], v[81:82], v[77:78]
	s_waitcnt vmcnt(7)
	v_fma_f64 v[85:86], v[85:86], v[83:84], v[77:78]
	ds_read2_b64 v[77:80], v76 offset0:71 offset1:72
	ds_read2_b64 v[81:84], v76 offset0:73 offset1:74
	s_waitcnt vmcnt(6) lgkmcnt(1)
	v_fma_f64 v[76:77], v[109:110], v[77:78], v[85:86]
	s_waitcnt vmcnt(5)
	v_fma_f64 v[76:77], v[107:108], v[79:80], v[76:77]
	s_waitcnt vmcnt(4) lgkmcnt(0)
	v_fma_f64 v[76:77], v[101:102], v[81:82], v[76:77]
	s_waitcnt vmcnt(2)
	v_fma_f64 v[76:77], v[87:88], v[83:84], v[76:77]
	s_waitcnt vmcnt(0)
	v_add_f64 v[76:77], v[89:90], -v[76:77]
	buffer_store_dword v77, off, s[0:3], 0 offset:68
	buffer_store_dword v76, off, s[0:3], 0 offset:64
	s_and_saveexec_b64 s[4:5], vcc
	s_cbranch_execz .LBB36_215
; %bb.214:
	buffer_load_dword v76, off, s[0:3], 0 offset:56
	buffer_load_dword v77, off, s[0:3], 0 offset:60
	v_mov_b32_e32 v78, 0
	buffer_store_dword v78, off, s[0:3], 0 offset:56
	buffer_store_dword v78, off, s[0:3], 0 offset:60
	s_waitcnt vmcnt(2)
	ds_write_b64 v75, v[76:77]
.LBB36_215:
	s_or_b64 exec, exec, s[4:5]
	s_waitcnt lgkmcnt(0)
	; wave barrier
	buffer_load_dword v85, off, s[0:3], 0 offset:64
	buffer_load_dword v86, off, s[0:3], 0 offset:68
	;; [unrolled: 1-line block ×22, first 2 shown]
	v_mov_b32_e32 v76, 0
	ds_read_b128 v[77:80], v76 offset:368
	ds_read_b128 v[81:84], v76 offset:384
	v_cmp_lt_u32_e32 vcc, 6, v0
	s_waitcnt vmcnt(20) lgkmcnt(1)
	v_fma_f64 v[77:78], v[85:86], v[77:78], 0
	s_waitcnt vmcnt(18)
	v_fma_f64 v[77:78], v[87:88], v[79:80], v[77:78]
	buffer_load_dword v86, off, s[0:3], 0 offset:156
	buffer_load_dword v87, off, s[0:3], 0 offset:176
	;; [unrolled: 1-line block ×7, first 2 shown]
	s_waitcnt vmcnt(23) lgkmcnt(0)
	v_fma_f64 v[77:78], v[89:90], v[81:82], v[77:78]
	s_waitcnt vmcnt(21)
	v_fma_f64 v[88:89], v[91:92], v[83:84], v[77:78]
	ds_read_b128 v[77:80], v76 offset:400
	ds_read_b128 v[81:84], v76 offset:416
	s_waitcnt vmcnt(19) lgkmcnt(1)
	v_fma_f64 v[77:78], v[93:94], v[77:78], v[88:89]
	buffer_load_dword v88, off, s[0:3], 0 offset:180
	s_waitcnt vmcnt(18)
	v_fma_f64 v[77:78], v[95:96], v[79:80], v[77:78]
	buffer_load_dword v90, off, s[0:3], 0 offset:188
	buffer_load_dword v91, off, s[0:3], 0 offset:208
	;; [unrolled: 1-line block ×7, first 2 shown]
	s_waitcnt vmcnt(23) lgkmcnt(0)
	v_fma_f64 v[77:78], v[97:98], v[81:82], v[77:78]
	s_waitcnt vmcnt(18)
	v_fma_f64 v[97:98], v[99:100], v[83:84], v[77:78]
	ds_read_b128 v[77:80], v76 offset:432
	ds_read_b128 v[81:84], v76 offset:448
	buffer_load_dword v92, off, s[0:3], 0 offset:212
	s_waitcnt vmcnt(18) lgkmcnt(1)
	v_fma_f64 v[77:78], v[105:106], v[77:78], v[97:98]
	s_waitcnt vmcnt(17)
	v_fma_f64 v[77:78], v[103:104], v[79:80], v[77:78]
	buffer_load_dword v98, off, s[0:3], 0 offset:220
	buffer_load_dword v99, off, s[0:3], 0 offset:240
	;; [unrolled: 1-line block ×8, first 2 shown]
	s_waitcnt vmcnt(24) lgkmcnt(0)
	v_fma_f64 v[77:78], v[101:102], v[81:82], v[77:78]
	s_waitcnt vmcnt(19)
	v_fma_f64 v[85:86], v[85:86], v[83:84], v[77:78]
	ds_read_b128 v[77:80], v76 offset:464
	ds_read_b128 v[81:84], v76 offset:480
	s_waitcnt vmcnt(18) lgkmcnt(1)
	v_fma_f64 v[77:78], v[109:110], v[77:78], v[85:86]
	s_waitcnt vmcnt(17)
	v_fma_f64 v[77:78], v[107:108], v[79:80], v[77:78]
	buffer_load_dword v86, off, s[0:3], 0 offset:252
	buffer_load_dword v101, off, s[0:3], 0 offset:272
	;; [unrolled: 1-line block ×7, first 2 shown]
	s_waitcnt vmcnt(23) lgkmcnt(0)
	v_fma_f64 v[77:78], v[87:88], v[81:82], v[77:78]
	s_waitcnt vmcnt(18)
	v_fma_f64 v[87:88], v[89:90], v[83:84], v[77:78]
	ds_read_b128 v[77:80], v76 offset:496
	ds_read_b128 v[81:84], v76 offset:512
	buffer_load_dword v102, off, s[0:3], 0 offset:276
	s_waitcnt vmcnt(18) lgkmcnt(1)
	v_fma_f64 v[77:78], v[95:96], v[77:78], v[87:88]
	buffer_load_dword v88, off, s[0:3], 0 offset:284
	buffer_load_dword v89, off, s[0:3], 0 offset:288
	;; [unrolled: 1-line block ×4, first 2 shown]
	s_waitcnt vmcnt(21)
	v_fma_f64 v[77:78], v[93:94], v[79:80], v[77:78]
	s_waitcnt vmcnt(20) lgkmcnt(0)
	v_fma_f64 v[77:78], v[91:92], v[81:82], v[77:78]
	buffer_load_dword v91, off, s[0:3], 0 offset:56
	buffer_load_dword v92, off, s[0:3], 0 offset:60
	s_waitcnt vmcnt(17)
	v_fma_f64 v[93:94], v[97:98], v[83:84], v[77:78]
	ds_read_b128 v[77:80], v76 offset:528
	ds_read_b128 v[81:84], v76 offset:544
	s_waitcnt vmcnt(16) lgkmcnt(1)
	v_fma_f64 v[77:78], v[105:106], v[77:78], v[93:94]
	s_waitcnt vmcnt(15)
	v_fma_f64 v[77:78], v[103:104], v[79:80], v[77:78]
	s_waitcnt vmcnt(14) lgkmcnt(0)
	v_fma_f64 v[77:78], v[99:100], v[81:82], v[77:78]
	s_waitcnt vmcnt(9)
	v_fma_f64 v[85:86], v[85:86], v[83:84], v[77:78]
	ds_read_b128 v[77:80], v76 offset:560
	ds_read_b128 v[81:84], v76 offset:576
	s_waitcnt vmcnt(8) lgkmcnt(1)
	v_fma_f64 v[77:78], v[109:110], v[77:78], v[85:86]
	s_waitcnt vmcnt(7)
	v_fma_f64 v[77:78], v[107:108], v[79:80], v[77:78]
	ds_read_b64 v[79:80], v76 offset:592
	s_waitcnt vmcnt(6) lgkmcnt(1)
	v_fma_f64 v[77:78], v[101:102], v[81:82], v[77:78]
	s_waitcnt vmcnt(3)
	v_fma_f64 v[77:78], v[87:88], v[83:84], v[77:78]
	s_waitcnt vmcnt(2) lgkmcnt(0)
	v_fma_f64 v[77:78], v[89:90], v[79:80], v[77:78]
	s_waitcnt vmcnt(0)
	v_add_f64 v[77:78], v[91:92], -v[77:78]
	buffer_store_dword v78, off, s[0:3], 0 offset:60
	buffer_store_dword v77, off, s[0:3], 0 offset:56
	s_and_saveexec_b64 s[4:5], vcc
	s_cbranch_execz .LBB36_217
; %bb.216:
	buffer_load_dword v77, off, s[0:3], 0 offset:48
	buffer_load_dword v78, off, s[0:3], 0 offset:52
	s_waitcnt vmcnt(0)
	ds_write_b64 v75, v[77:78]
	buffer_store_dword v76, off, s[0:3], 0 offset:48
	buffer_store_dword v76, off, s[0:3], 0 offset:52
.LBB36_217:
	s_or_b64 exec, exec, s[4:5]
	s_waitcnt lgkmcnt(0)
	; wave barrier
	buffer_load_dword v85, off, s[0:3], 0 offset:56
	buffer_load_dword v86, off, s[0:3], 0 offset:60
	;; [unrolled: 1-line block ×22, first 2 shown]
	ds_read2_b64 v[77:80], v76 offset0:45 offset1:46
	ds_read2_b64 v[81:84], v76 offset0:47 offset1:48
	v_cmp_lt_u32_e32 vcc, 5, v0
	s_waitcnt vmcnt(20) lgkmcnt(1)
	v_fma_f64 v[77:78], v[85:86], v[77:78], 0
	s_waitcnt vmcnt(18)
	v_fma_f64 v[77:78], v[87:88], v[79:80], v[77:78]
	buffer_load_dword v86, off, s[0:3], 0 offset:148
	buffer_load_dword v87, off, s[0:3], 0 offset:168
	;; [unrolled: 1-line block ×7, first 2 shown]
	s_waitcnt vmcnt(23) lgkmcnt(0)
	v_fma_f64 v[77:78], v[89:90], v[81:82], v[77:78]
	s_waitcnt vmcnt(21)
	v_fma_f64 v[88:89], v[91:92], v[83:84], v[77:78]
	ds_read2_b64 v[77:80], v76 offset0:49 offset1:50
	ds_read2_b64 v[81:84], v76 offset0:51 offset1:52
	s_waitcnt vmcnt(19) lgkmcnt(1)
	v_fma_f64 v[77:78], v[93:94], v[77:78], v[88:89]
	buffer_load_dword v88, off, s[0:3], 0 offset:172
	s_waitcnt vmcnt(18)
	v_fma_f64 v[77:78], v[95:96], v[79:80], v[77:78]
	buffer_load_dword v90, off, s[0:3], 0 offset:180
	buffer_load_dword v91, off, s[0:3], 0 offset:200
	;; [unrolled: 1-line block ×7, first 2 shown]
	s_waitcnt vmcnt(23) lgkmcnt(0)
	v_fma_f64 v[77:78], v[97:98], v[81:82], v[77:78]
	s_waitcnt vmcnt(18)
	v_fma_f64 v[97:98], v[99:100], v[83:84], v[77:78]
	ds_read2_b64 v[77:80], v76 offset0:53 offset1:54
	ds_read2_b64 v[81:84], v76 offset0:55 offset1:56
	buffer_load_dword v92, off, s[0:3], 0 offset:204
	s_waitcnt vmcnt(18) lgkmcnt(1)
	v_fma_f64 v[77:78], v[105:106], v[77:78], v[97:98]
	s_waitcnt vmcnt(17)
	v_fma_f64 v[77:78], v[103:104], v[79:80], v[77:78]
	buffer_load_dword v98, off, s[0:3], 0 offset:212
	buffer_load_dword v99, off, s[0:3], 0 offset:232
	;; [unrolled: 1-line block ×8, first 2 shown]
	s_waitcnt vmcnt(24) lgkmcnt(0)
	v_fma_f64 v[77:78], v[101:102], v[81:82], v[77:78]
	s_waitcnt vmcnt(19)
	v_fma_f64 v[85:86], v[85:86], v[83:84], v[77:78]
	ds_read2_b64 v[77:80], v76 offset0:57 offset1:58
	ds_read2_b64 v[81:84], v76 offset0:59 offset1:60
	s_waitcnt vmcnt(18) lgkmcnt(1)
	v_fma_f64 v[77:78], v[109:110], v[77:78], v[85:86]
	s_waitcnt vmcnt(17)
	v_fma_f64 v[77:78], v[107:108], v[79:80], v[77:78]
	buffer_load_dword v86, off, s[0:3], 0 offset:244
	buffer_load_dword v101, off, s[0:3], 0 offset:264
	;; [unrolled: 1-line block ×8, first 2 shown]
	s_waitcnt vmcnt(24) lgkmcnt(0)
	v_fma_f64 v[77:78], v[87:88], v[81:82], v[77:78]
	s_waitcnt vmcnt(19)
	v_fma_f64 v[87:88], v[89:90], v[83:84], v[77:78]
	ds_read2_b64 v[77:80], v76 offset0:61 offset1:62
	ds_read2_b64 v[81:84], v76 offset0:63 offset1:64
	s_waitcnt vmcnt(18) lgkmcnt(1)
	v_fma_f64 v[77:78], v[95:96], v[77:78], v[87:88]
	s_waitcnt vmcnt(17)
	v_fma_f64 v[77:78], v[93:94], v[79:80], v[77:78]
	buffer_load_dword v88, off, s[0:3], 0 offset:276
	buffer_load_dword v89, off, s[0:3], 0 offset:288
	;; [unrolled: 1-line block ×6, first 2 shown]
	s_waitcnt vmcnt(22) lgkmcnt(0)
	v_fma_f64 v[77:78], v[91:92], v[81:82], v[77:78]
	s_waitcnt vmcnt(17)
	v_fma_f64 v[91:92], v[97:98], v[83:84], v[77:78]
	ds_read2_b64 v[77:80], v76 offset0:65 offset1:66
	buffer_load_dword v95, off, s[0:3], 0 offset:48
	buffer_load_dword v96, off, s[0:3], 0 offset:52
	ds_read2_b64 v[81:84], v76 offset0:67 offset1:68
	s_waitcnt vmcnt(18) lgkmcnt(1)
	v_fma_f64 v[77:78], v[105:106], v[77:78], v[91:92]
	s_waitcnt vmcnt(17)
	v_fma_f64 v[77:78], v[103:104], v[79:80], v[77:78]
	s_waitcnt vmcnt(16) lgkmcnt(0)
	v_fma_f64 v[77:78], v[99:100], v[81:82], v[77:78]
	s_waitcnt vmcnt(11)
	v_fma_f64 v[85:86], v[85:86], v[83:84], v[77:78]
	ds_read2_b64 v[77:80], v76 offset0:69 offset1:70
	ds_read2_b64 v[81:84], v76 offset0:71 offset1:72
	s_waitcnt vmcnt(10) lgkmcnt(1)
	v_fma_f64 v[77:78], v[109:110], v[77:78], v[85:86]
	s_waitcnt vmcnt(9)
	v_fma_f64 v[77:78], v[107:108], v[79:80], v[77:78]
	s_waitcnt vmcnt(8) lgkmcnt(0)
	v_fma_f64 v[77:78], v[101:102], v[81:82], v[77:78]
	s_waitcnt vmcnt(4)
	v_fma_f64 v[80:81], v[87:88], v[83:84], v[77:78]
	ds_read2_b64 v[76:79], v76 offset0:73 offset1:74
	s_waitcnt vmcnt(3) lgkmcnt(0)
	v_fma_f64 v[76:77], v[93:94], v[76:77], v[80:81]
	s_waitcnt vmcnt(2)
	v_fma_f64 v[76:77], v[89:90], v[78:79], v[76:77]
	s_waitcnt vmcnt(0)
	v_add_f64 v[76:77], v[95:96], -v[76:77]
	buffer_store_dword v77, off, s[0:3], 0 offset:52
	buffer_store_dword v76, off, s[0:3], 0 offset:48
	s_and_saveexec_b64 s[4:5], vcc
	s_cbranch_execz .LBB36_219
; %bb.218:
	buffer_load_dword v76, off, s[0:3], 0 offset:40
	buffer_load_dword v77, off, s[0:3], 0 offset:44
	v_mov_b32_e32 v78, 0
	buffer_store_dword v78, off, s[0:3], 0 offset:40
	buffer_store_dword v78, off, s[0:3], 0 offset:44
	s_waitcnt vmcnt(2)
	ds_write_b64 v75, v[76:77]
.LBB36_219:
	s_or_b64 exec, exec, s[4:5]
	s_waitcnt lgkmcnt(0)
	; wave barrier
	buffer_load_dword v85, off, s[0:3], 0 offset:48
	buffer_load_dword v86, off, s[0:3], 0 offset:52
	;; [unrolled: 1-line block ×22, first 2 shown]
	v_mov_b32_e32 v76, 0
	ds_read_b128 v[77:80], v76 offset:352
	ds_read_b128 v[81:84], v76 offset:368
	v_cmp_lt_u32_e32 vcc, 4, v0
	s_waitcnt vmcnt(20) lgkmcnt(1)
	v_fma_f64 v[77:78], v[85:86], v[77:78], 0
	s_waitcnt vmcnt(18)
	v_fma_f64 v[77:78], v[87:88], v[79:80], v[77:78]
	buffer_load_dword v86, off, s[0:3], 0 offset:140
	buffer_load_dword v87, off, s[0:3], 0 offset:160
	;; [unrolled: 1-line block ×7, first 2 shown]
	s_waitcnt vmcnt(23) lgkmcnt(0)
	v_fma_f64 v[77:78], v[89:90], v[81:82], v[77:78]
	s_waitcnt vmcnt(21)
	v_fma_f64 v[88:89], v[91:92], v[83:84], v[77:78]
	ds_read_b128 v[77:80], v76 offset:384
	ds_read_b128 v[81:84], v76 offset:400
	s_waitcnt vmcnt(19) lgkmcnt(1)
	v_fma_f64 v[77:78], v[93:94], v[77:78], v[88:89]
	buffer_load_dword v88, off, s[0:3], 0 offset:164
	s_waitcnt vmcnt(18)
	v_fma_f64 v[77:78], v[95:96], v[79:80], v[77:78]
	buffer_load_dword v90, off, s[0:3], 0 offset:172
	buffer_load_dword v91, off, s[0:3], 0 offset:192
	buffer_load_dword v93, off, s[0:3], 0 offset:184
	buffer_load_dword v95, off, s[0:3], 0 offset:176
	buffer_load_dword v89, off, s[0:3], 0 offset:168
	buffer_load_dword v96, off, s[0:3], 0 offset:180
	buffer_load_dword v94, off, s[0:3], 0 offset:188
	s_waitcnt vmcnt(23) lgkmcnt(0)
	v_fma_f64 v[77:78], v[97:98], v[81:82], v[77:78]
	s_waitcnt vmcnt(18)
	v_fma_f64 v[97:98], v[99:100], v[83:84], v[77:78]
	ds_read_b128 v[77:80], v76 offset:416
	ds_read_b128 v[81:84], v76 offset:432
	buffer_load_dword v92, off, s[0:3], 0 offset:196
	s_waitcnt vmcnt(18) lgkmcnt(1)
	v_fma_f64 v[77:78], v[105:106], v[77:78], v[97:98]
	s_waitcnt vmcnt(17)
	v_fma_f64 v[77:78], v[103:104], v[79:80], v[77:78]
	buffer_load_dword v98, off, s[0:3], 0 offset:204
	buffer_load_dword v99, off, s[0:3], 0 offset:224
	buffer_load_dword v103, off, s[0:3], 0 offset:216
	buffer_load_dword v105, off, s[0:3], 0 offset:208
	buffer_load_dword v97, off, s[0:3], 0 offset:200
	buffer_load_dword v106, off, s[0:3], 0 offset:212
	buffer_load_dword v104, off, s[0:3], 0 offset:220
	buffer_load_dword v100, off, s[0:3], 0 offset:228
	s_waitcnt vmcnt(24) lgkmcnt(0)
	v_fma_f64 v[77:78], v[101:102], v[81:82], v[77:78]
	s_waitcnt vmcnt(19)
	v_fma_f64 v[85:86], v[85:86], v[83:84], v[77:78]
	ds_read_b128 v[77:80], v76 offset:448
	ds_read_b128 v[81:84], v76 offset:464
	s_waitcnt vmcnt(18) lgkmcnt(1)
	v_fma_f64 v[77:78], v[109:110], v[77:78], v[85:86]
	s_waitcnt vmcnt(17)
	v_fma_f64 v[77:78], v[107:108], v[79:80], v[77:78]
	buffer_load_dword v86, off, s[0:3], 0 offset:236
	buffer_load_dword v101, off, s[0:3], 0 offset:256
	buffer_load_dword v107, off, s[0:3], 0 offset:248
	buffer_load_dword v109, off, s[0:3], 0 offset:240
	buffer_load_dword v85, off, s[0:3], 0 offset:232
	buffer_load_dword v110, off, s[0:3], 0 offset:244
	buffer_load_dword v108, off, s[0:3], 0 offset:252
	buffer_load_dword v102, off, s[0:3], 0 offset:260
	s_waitcnt vmcnt(24) lgkmcnt(0)
	v_fma_f64 v[77:78], v[87:88], v[81:82], v[77:78]
	s_waitcnt vmcnt(19)
	v_fma_f64 v[87:88], v[89:90], v[83:84], v[77:78]
	ds_read_b128 v[77:80], v76 offset:480
	ds_read_b128 v[81:84], v76 offset:496
	;; [unrolled: 18-line block ×3, first 2 shown]
	s_waitcnt vmcnt(18) lgkmcnt(1)
	v_fma_f64 v[77:78], v[105:106], v[77:78], v[91:92]
	buffer_load_dword v91, off, s[0:3], 0 offset:40
	buffer_load_dword v92, off, s[0:3], 0 offset:44
	s_waitcnt vmcnt(19)
	v_fma_f64 v[77:78], v[103:104], v[79:80], v[77:78]
	s_waitcnt vmcnt(18) lgkmcnt(0)
	v_fma_f64 v[77:78], v[99:100], v[81:82], v[77:78]
	s_waitcnt vmcnt(13)
	v_fma_f64 v[85:86], v[85:86], v[83:84], v[77:78]
	ds_read_b128 v[77:80], v76 offset:544
	ds_read_b128 v[81:84], v76 offset:560
	s_waitcnt vmcnt(12) lgkmcnt(1)
	v_fma_f64 v[77:78], v[109:110], v[77:78], v[85:86]
	s_waitcnt vmcnt(11)
	v_fma_f64 v[77:78], v[107:108], v[79:80], v[77:78]
	s_waitcnt vmcnt(10) lgkmcnt(0)
	v_fma_f64 v[77:78], v[101:102], v[81:82], v[77:78]
	s_waitcnt vmcnt(5)
	v_fma_f64 v[81:82], v[87:88], v[83:84], v[77:78]
	ds_read_b128 v[77:80], v76 offset:576
	ds_read_b64 v[83:84], v76 offset:592
	s_waitcnt vmcnt(4) lgkmcnt(1)
	v_fma_f64 v[77:78], v[95:96], v[77:78], v[81:82]
	s_waitcnt vmcnt(3)
	v_fma_f64 v[77:78], v[93:94], v[79:80], v[77:78]
	s_waitcnt vmcnt(2) lgkmcnt(0)
	v_fma_f64 v[77:78], v[89:90], v[83:84], v[77:78]
	s_waitcnt vmcnt(0)
	v_add_f64 v[77:78], v[91:92], -v[77:78]
	buffer_store_dword v78, off, s[0:3], 0 offset:44
	buffer_store_dword v77, off, s[0:3], 0 offset:40
	s_and_saveexec_b64 s[4:5], vcc
	s_cbranch_execz .LBB36_221
; %bb.220:
	buffer_load_dword v77, off, s[0:3], 0 offset:32
	buffer_load_dword v78, off, s[0:3], 0 offset:36
	s_waitcnt vmcnt(0)
	ds_write_b64 v75, v[77:78]
	buffer_store_dword v76, off, s[0:3], 0 offset:32
	buffer_store_dword v76, off, s[0:3], 0 offset:36
.LBB36_221:
	s_or_b64 exec, exec, s[4:5]
	s_waitcnt lgkmcnt(0)
	; wave barrier
	buffer_load_dword v85, off, s[0:3], 0 offset:40
	buffer_load_dword v86, off, s[0:3], 0 offset:44
	;; [unrolled: 1-line block ×22, first 2 shown]
	ds_read2_b64 v[77:80], v76 offset0:43 offset1:44
	ds_read2_b64 v[81:84], v76 offset0:45 offset1:46
	v_cmp_lt_u32_e32 vcc, 3, v0
	s_waitcnt vmcnt(20) lgkmcnt(1)
	v_fma_f64 v[77:78], v[85:86], v[77:78], 0
	s_waitcnt vmcnt(18)
	v_fma_f64 v[77:78], v[87:88], v[79:80], v[77:78]
	buffer_load_dword v86, off, s[0:3], 0 offset:132
	buffer_load_dword v87, off, s[0:3], 0 offset:152
	;; [unrolled: 1-line block ×7, first 2 shown]
	s_waitcnt vmcnt(23) lgkmcnt(0)
	v_fma_f64 v[77:78], v[89:90], v[81:82], v[77:78]
	s_waitcnt vmcnt(21)
	v_fma_f64 v[88:89], v[91:92], v[83:84], v[77:78]
	ds_read2_b64 v[77:80], v76 offset0:47 offset1:48
	ds_read2_b64 v[81:84], v76 offset0:49 offset1:50
	s_waitcnt vmcnt(19) lgkmcnt(1)
	v_fma_f64 v[77:78], v[93:94], v[77:78], v[88:89]
	buffer_load_dword v88, off, s[0:3], 0 offset:156
	s_waitcnt vmcnt(18)
	v_fma_f64 v[77:78], v[95:96], v[79:80], v[77:78]
	buffer_load_dword v90, off, s[0:3], 0 offset:164
	buffer_load_dword v91, off, s[0:3], 0 offset:184
	;; [unrolled: 1-line block ×7, first 2 shown]
	s_waitcnt vmcnt(23) lgkmcnt(0)
	v_fma_f64 v[77:78], v[97:98], v[81:82], v[77:78]
	s_waitcnt vmcnt(18)
	v_fma_f64 v[97:98], v[99:100], v[83:84], v[77:78]
	ds_read2_b64 v[77:80], v76 offset0:51 offset1:52
	ds_read2_b64 v[81:84], v76 offset0:53 offset1:54
	buffer_load_dword v92, off, s[0:3], 0 offset:188
	s_waitcnt vmcnt(18) lgkmcnt(1)
	v_fma_f64 v[77:78], v[105:106], v[77:78], v[97:98]
	s_waitcnt vmcnt(17)
	v_fma_f64 v[77:78], v[103:104], v[79:80], v[77:78]
	buffer_load_dword v98, off, s[0:3], 0 offset:196
	buffer_load_dword v99, off, s[0:3], 0 offset:216
	buffer_load_dword v103, off, s[0:3], 0 offset:208
	buffer_load_dword v105, off, s[0:3], 0 offset:200
	buffer_load_dword v97, off, s[0:3], 0 offset:192
	buffer_load_dword v106, off, s[0:3], 0 offset:204
	buffer_load_dword v104, off, s[0:3], 0 offset:212
	buffer_load_dword v100, off, s[0:3], 0 offset:220
	s_waitcnt vmcnt(24) lgkmcnt(0)
	v_fma_f64 v[77:78], v[101:102], v[81:82], v[77:78]
	s_waitcnt vmcnt(19)
	v_fma_f64 v[85:86], v[85:86], v[83:84], v[77:78]
	ds_read2_b64 v[77:80], v76 offset0:55 offset1:56
	ds_read2_b64 v[81:84], v76 offset0:57 offset1:58
	s_waitcnt vmcnt(18) lgkmcnt(1)
	v_fma_f64 v[77:78], v[109:110], v[77:78], v[85:86]
	s_waitcnt vmcnt(17)
	v_fma_f64 v[77:78], v[107:108], v[79:80], v[77:78]
	buffer_load_dword v86, off, s[0:3], 0 offset:228
	buffer_load_dword v101, off, s[0:3], 0 offset:248
	buffer_load_dword v107, off, s[0:3], 0 offset:240
	buffer_load_dword v109, off, s[0:3], 0 offset:232
	buffer_load_dword v85, off, s[0:3], 0 offset:224
	buffer_load_dword v110, off, s[0:3], 0 offset:236
	buffer_load_dword v108, off, s[0:3], 0 offset:244
	buffer_load_dword v102, off, s[0:3], 0 offset:252
	s_waitcnt vmcnt(24) lgkmcnt(0)
	v_fma_f64 v[77:78], v[87:88], v[81:82], v[77:78]
	s_waitcnt vmcnt(19)
	v_fma_f64 v[87:88], v[89:90], v[83:84], v[77:78]
	ds_read2_b64 v[77:80], v76 offset0:59 offset1:60
	ds_read2_b64 v[81:84], v76 offset0:61 offset1:62
	;; [unrolled: 18-line block ×3, first 2 shown]
	s_waitcnt vmcnt(18) lgkmcnt(1)
	v_fma_f64 v[77:78], v[105:106], v[77:78], v[91:92]
	buffer_load_dword v92, off, s[0:3], 0 offset:292
	buffer_load_dword v91, off, s[0:3], 0 offset:288
	;; [unrolled: 1-line block ×4, first 2 shown]
	s_waitcnt vmcnt(21)
	v_fma_f64 v[77:78], v[103:104], v[79:80], v[77:78]
	s_waitcnt vmcnt(20) lgkmcnt(0)
	v_fma_f64 v[77:78], v[99:100], v[81:82], v[77:78]
	s_waitcnt vmcnt(15)
	v_fma_f64 v[85:86], v[85:86], v[83:84], v[77:78]
	ds_read2_b64 v[77:80], v76 offset0:67 offset1:68
	ds_read2_b64 v[81:84], v76 offset0:69 offset1:70
	s_waitcnt vmcnt(14) lgkmcnt(1)
	v_fma_f64 v[77:78], v[109:110], v[77:78], v[85:86]
	s_waitcnt vmcnt(13)
	v_fma_f64 v[77:78], v[107:108], v[79:80], v[77:78]
	s_waitcnt vmcnt(12) lgkmcnt(0)
	v_fma_f64 v[77:78], v[101:102], v[81:82], v[77:78]
	s_waitcnt vmcnt(7)
	v_fma_f64 v[85:86], v[87:88], v[83:84], v[77:78]
	ds_read2_b64 v[77:80], v76 offset0:71 offset1:72
	ds_read2_b64 v[81:84], v76 offset0:73 offset1:74
	s_waitcnt vmcnt(6) lgkmcnt(1)
	v_fma_f64 v[76:77], v[95:96], v[77:78], v[85:86]
	s_waitcnt vmcnt(5)
	v_fma_f64 v[76:77], v[93:94], v[79:80], v[76:77]
	s_waitcnt vmcnt(4) lgkmcnt(0)
	v_fma_f64 v[76:77], v[89:90], v[81:82], v[76:77]
	s_waitcnt vmcnt(2)
	v_fma_f64 v[76:77], v[91:92], v[83:84], v[76:77]
	s_waitcnt vmcnt(0)
	v_add_f64 v[76:77], v[97:98], -v[76:77]
	buffer_store_dword v77, off, s[0:3], 0 offset:36
	buffer_store_dword v76, off, s[0:3], 0 offset:32
	s_and_saveexec_b64 s[4:5], vcc
	s_cbranch_execz .LBB36_223
; %bb.222:
	buffer_load_dword v76, off, s[0:3], 0 offset:24
	buffer_load_dword v77, off, s[0:3], 0 offset:28
	v_mov_b32_e32 v78, 0
	buffer_store_dword v78, off, s[0:3], 0 offset:24
	buffer_store_dword v78, off, s[0:3], 0 offset:28
	s_waitcnt vmcnt(2)
	ds_write_b64 v75, v[76:77]
.LBB36_223:
	s_or_b64 exec, exec, s[4:5]
	s_waitcnt lgkmcnt(0)
	; wave barrier
	buffer_load_dword v85, off, s[0:3], 0 offset:32
	buffer_load_dword v86, off, s[0:3], 0 offset:36
	;; [unrolled: 1-line block ×21, first 2 shown]
	v_mov_b32_e32 v76, 0
	ds_read_b128 v[77:80], v76 offset:336
	ds_read_b128 v[81:84], v76 offset:352
	buffer_load_dword v102, off, s[0:3], 0 offset:116
	v_cmp_lt_u32_e32 vcc, 2, v0
	s_waitcnt vmcnt(20) lgkmcnt(1)
	v_fma_f64 v[77:78], v[85:86], v[77:78], 0
	s_waitcnt vmcnt(18)
	v_fma_f64 v[77:78], v[87:88], v[79:80], v[77:78]
	buffer_load_dword v86, off, s[0:3], 0 offset:124
	buffer_load_dword v87, off, s[0:3], 0 offset:144
	;; [unrolled: 1-line block ×7, first 2 shown]
	s_waitcnt vmcnt(23) lgkmcnt(0)
	v_fma_f64 v[77:78], v[89:90], v[81:82], v[77:78]
	s_waitcnt vmcnt(21)
	v_fma_f64 v[88:89], v[91:92], v[83:84], v[77:78]
	ds_read_b128 v[77:80], v76 offset:368
	ds_read_b128 v[81:84], v76 offset:384
	s_waitcnt vmcnt(19) lgkmcnt(1)
	v_fma_f64 v[77:78], v[93:94], v[77:78], v[88:89]
	buffer_load_dword v88, off, s[0:3], 0 offset:148
	s_waitcnt vmcnt(18)
	v_fma_f64 v[77:78], v[95:96], v[79:80], v[77:78]
	buffer_load_dword v90, off, s[0:3], 0 offset:156
	buffer_load_dword v91, off, s[0:3], 0 offset:176
	;; [unrolled: 1-line block ×7, first 2 shown]
	s_waitcnt vmcnt(23) lgkmcnt(0)
	v_fma_f64 v[77:78], v[97:98], v[81:82], v[77:78]
	s_waitcnt vmcnt(18)
	v_fma_f64 v[97:98], v[99:100], v[83:84], v[77:78]
	ds_read_b128 v[77:80], v76 offset:400
	ds_read_b128 v[81:84], v76 offset:416
	buffer_load_dword v92, off, s[0:3], 0 offset:180
	s_waitcnt vmcnt(18) lgkmcnt(1)
	v_fma_f64 v[77:78], v[105:106], v[77:78], v[97:98]
	s_waitcnt vmcnt(17)
	v_fma_f64 v[77:78], v[103:104], v[79:80], v[77:78]
	buffer_load_dword v98, off, s[0:3], 0 offset:188
	buffer_load_dword v99, off, s[0:3], 0 offset:208
	;; [unrolled: 1-line block ×7, first 2 shown]
	s_waitcnt vmcnt(23) lgkmcnt(0)
	v_fma_f64 v[77:78], v[101:102], v[81:82], v[77:78]
	s_waitcnt vmcnt(18)
	v_fma_f64 v[85:86], v[85:86], v[83:84], v[77:78]
	ds_read_b128 v[77:80], v76 offset:432
	ds_read_b128 v[81:84], v76 offset:448
	buffer_load_dword v100, off, s[0:3], 0 offset:212
	s_waitcnt vmcnt(18) lgkmcnt(1)
	v_fma_f64 v[77:78], v[109:110], v[77:78], v[85:86]
	s_waitcnt vmcnt(17)
	v_fma_f64 v[77:78], v[107:108], v[79:80], v[77:78]
	buffer_load_dword v86, off, s[0:3], 0 offset:220
	buffer_load_dword v101, off, s[0:3], 0 offset:240
	;; [unrolled: 1-line block ×8, first 2 shown]
	s_waitcnt vmcnt(24) lgkmcnt(0)
	v_fma_f64 v[77:78], v[87:88], v[81:82], v[77:78]
	s_waitcnt vmcnt(19)
	v_fma_f64 v[87:88], v[89:90], v[83:84], v[77:78]
	ds_read_b128 v[77:80], v76 offset:464
	ds_read_b128 v[81:84], v76 offset:480
	s_waitcnt vmcnt(18) lgkmcnt(1)
	v_fma_f64 v[77:78], v[95:96], v[77:78], v[87:88]
	s_waitcnt vmcnt(17)
	v_fma_f64 v[77:78], v[93:94], v[79:80], v[77:78]
	buffer_load_dword v88, off, s[0:3], 0 offset:252
	buffer_load_dword v89, off, s[0:3], 0 offset:272
	;; [unrolled: 1-line block ×7, first 2 shown]
	s_waitcnt vmcnt(23) lgkmcnt(0)
	v_fma_f64 v[77:78], v[91:92], v[81:82], v[77:78]
	s_waitcnt vmcnt(18)
	v_fma_f64 v[90:91], v[97:98], v[83:84], v[77:78]
	ds_read_b128 v[77:80], v76 offset:496
	ds_read_b128 v[81:84], v76 offset:512
	s_waitcnt vmcnt(17) lgkmcnt(1)
	v_fma_f64 v[77:78], v[105:106], v[77:78], v[90:91]
	buffer_load_dword v90, off, s[0:3], 0 offset:276
	buffer_load_dword v92, off, s[0:3], 0 offset:284
	;; [unrolled: 1-line block ×5, first 2 shown]
	s_waitcnt vmcnt(21)
	v_fma_f64 v[77:78], v[103:104], v[79:80], v[77:78]
	s_waitcnt vmcnt(20) lgkmcnt(0)
	v_fma_f64 v[77:78], v[99:100], v[81:82], v[77:78]
	buffer_load_dword v99, off, s[0:3], 0 offset:24
	buffer_load_dword v100, off, s[0:3], 0 offset:28
	s_waitcnt vmcnt(17)
	v_fma_f64 v[85:86], v[85:86], v[83:84], v[77:78]
	ds_read_b128 v[77:80], v76 offset:528
	ds_read_b128 v[81:84], v76 offset:544
	s_waitcnt vmcnt(16) lgkmcnt(1)
	v_fma_f64 v[77:78], v[109:110], v[77:78], v[85:86]
	s_waitcnt vmcnt(15)
	v_fma_f64 v[77:78], v[107:108], v[79:80], v[77:78]
	s_waitcnt vmcnt(14) lgkmcnt(0)
	v_fma_f64 v[77:78], v[101:102], v[81:82], v[77:78]
	s_waitcnt vmcnt(9)
	v_fma_f64 v[85:86], v[87:88], v[83:84], v[77:78]
	ds_read_b128 v[77:80], v76 offset:560
	ds_read_b128 v[81:84], v76 offset:576
	s_waitcnt vmcnt(8) lgkmcnt(1)
	v_fma_f64 v[77:78], v[95:96], v[77:78], v[85:86]
	s_waitcnt vmcnt(7)
	v_fma_f64 v[77:78], v[93:94], v[79:80], v[77:78]
	ds_read_b64 v[79:80], v76 offset:592
	s_waitcnt vmcnt(6) lgkmcnt(1)
	v_fma_f64 v[77:78], v[89:90], v[81:82], v[77:78]
	s_waitcnt vmcnt(3)
	v_fma_f64 v[77:78], v[91:92], v[83:84], v[77:78]
	s_waitcnt vmcnt(2) lgkmcnt(0)
	v_fma_f64 v[77:78], v[97:98], v[79:80], v[77:78]
	s_waitcnt vmcnt(0)
	v_add_f64 v[77:78], v[99:100], -v[77:78]
	buffer_store_dword v78, off, s[0:3], 0 offset:28
	buffer_store_dword v77, off, s[0:3], 0 offset:24
	s_and_saveexec_b64 s[4:5], vcc
	s_cbranch_execz .LBB36_225
; %bb.224:
	buffer_load_dword v77, off, s[0:3], 0 offset:16
	buffer_load_dword v78, off, s[0:3], 0 offset:20
	s_waitcnt vmcnt(0)
	ds_write_b64 v75, v[77:78]
	buffer_store_dword v76, off, s[0:3], 0 offset:16
	buffer_store_dword v76, off, s[0:3], 0 offset:20
.LBB36_225:
	s_or_b64 exec, exec, s[4:5]
	s_waitcnt lgkmcnt(0)
	; wave barrier
	buffer_load_dword v85, off, s[0:3], 0 offset:24
	buffer_load_dword v86, off, s[0:3], 0 offset:28
	;; [unrolled: 1-line block ×21, first 2 shown]
	ds_read2_b64 v[77:80], v76 offset0:41 offset1:42
	ds_read2_b64 v[81:84], v76 offset0:43 offset1:44
	buffer_load_dword v102, off, s[0:3], 0 offset:108
	v_cmp_lt_u32_e32 vcc, 1, v0
	s_waitcnt vmcnt(20) lgkmcnt(1)
	v_fma_f64 v[77:78], v[85:86], v[77:78], 0
	s_waitcnt vmcnt(18)
	v_fma_f64 v[77:78], v[87:88], v[79:80], v[77:78]
	buffer_load_dword v86, off, s[0:3], 0 offset:116
	buffer_load_dword v87, off, s[0:3], 0 offset:136
	;; [unrolled: 1-line block ×7, first 2 shown]
	s_waitcnt vmcnt(23) lgkmcnt(0)
	v_fma_f64 v[77:78], v[89:90], v[81:82], v[77:78]
	s_waitcnt vmcnt(21)
	v_fma_f64 v[88:89], v[91:92], v[83:84], v[77:78]
	ds_read2_b64 v[77:80], v76 offset0:45 offset1:46
	ds_read2_b64 v[81:84], v76 offset0:47 offset1:48
	s_waitcnt vmcnt(19) lgkmcnt(1)
	v_fma_f64 v[77:78], v[93:94], v[77:78], v[88:89]
	buffer_load_dword v88, off, s[0:3], 0 offset:140
	s_waitcnt vmcnt(18)
	v_fma_f64 v[77:78], v[95:96], v[79:80], v[77:78]
	buffer_load_dword v90, off, s[0:3], 0 offset:148
	buffer_load_dword v91, off, s[0:3], 0 offset:168
	;; [unrolled: 1-line block ×8, first 2 shown]
	s_waitcnt vmcnt(24) lgkmcnt(0)
	v_fma_f64 v[77:78], v[97:98], v[81:82], v[77:78]
	s_waitcnt vmcnt(19)
	v_fma_f64 v[97:98], v[99:100], v[83:84], v[77:78]
	ds_read2_b64 v[77:80], v76 offset0:49 offset1:50
	ds_read2_b64 v[81:84], v76 offset0:51 offset1:52
	s_waitcnt vmcnt(18) lgkmcnt(1)
	v_fma_f64 v[77:78], v[105:106], v[77:78], v[97:98]
	s_waitcnt vmcnt(17)
	v_fma_f64 v[77:78], v[103:104], v[79:80], v[77:78]
	buffer_load_dword v98, off, s[0:3], 0 offset:180
	buffer_load_dword v99, off, s[0:3], 0 offset:200
	;; [unrolled: 1-line block ×7, first 2 shown]
	s_waitcnt vmcnt(23) lgkmcnt(0)
	v_fma_f64 v[77:78], v[101:102], v[81:82], v[77:78]
	s_waitcnt vmcnt(18)
	v_fma_f64 v[85:86], v[85:86], v[83:84], v[77:78]
	ds_read2_b64 v[77:80], v76 offset0:53 offset1:54
	ds_read2_b64 v[81:84], v76 offset0:55 offset1:56
	buffer_load_dword v100, off, s[0:3], 0 offset:204
	s_waitcnt vmcnt(18) lgkmcnt(1)
	v_fma_f64 v[77:78], v[109:110], v[77:78], v[85:86]
	s_waitcnt vmcnt(17)
	v_fma_f64 v[77:78], v[107:108], v[79:80], v[77:78]
	buffer_load_dword v86, off, s[0:3], 0 offset:212
	buffer_load_dword v101, off, s[0:3], 0 offset:232
	;; [unrolled: 1-line block ×8, first 2 shown]
	s_waitcnt vmcnt(24) lgkmcnt(0)
	v_fma_f64 v[77:78], v[87:88], v[81:82], v[77:78]
	s_waitcnt vmcnt(19)
	v_fma_f64 v[87:88], v[89:90], v[83:84], v[77:78]
	ds_read2_b64 v[77:80], v76 offset0:57 offset1:58
	ds_read2_b64 v[81:84], v76 offset0:59 offset1:60
	s_waitcnt vmcnt(18) lgkmcnt(1)
	v_fma_f64 v[77:78], v[95:96], v[77:78], v[87:88]
	s_waitcnt vmcnt(17)
	v_fma_f64 v[77:78], v[93:94], v[79:80], v[77:78]
	buffer_load_dword v88, off, s[0:3], 0 offset:244
	buffer_load_dword v89, off, s[0:3], 0 offset:264
	;; [unrolled: 1-line block ×7, first 2 shown]
	s_waitcnt vmcnt(23) lgkmcnt(0)
	v_fma_f64 v[77:78], v[91:92], v[81:82], v[77:78]
	s_waitcnt vmcnt(18)
	v_fma_f64 v[90:91], v[97:98], v[83:84], v[77:78]
	ds_read2_b64 v[77:80], v76 offset0:61 offset1:62
	ds_read2_b64 v[81:84], v76 offset0:63 offset1:64
	s_waitcnt vmcnt(17) lgkmcnt(1)
	v_fma_f64 v[77:78], v[105:106], v[77:78], v[90:91]
	buffer_load_dword v90, off, s[0:3], 0 offset:268
	s_waitcnt vmcnt(17)
	v_fma_f64 v[77:78], v[103:104], v[79:80], v[77:78]
	buffer_load_dword v92, off, s[0:3], 0 offset:276
	buffer_load_dword v97, off, s[0:3], 0 offset:288
	;; [unrolled: 1-line block ×6, first 2 shown]
	s_waitcnt vmcnt(22) lgkmcnt(0)
	v_fma_f64 v[77:78], v[99:100], v[81:82], v[77:78]
	s_waitcnt vmcnt(17)
	v_fma_f64 v[85:86], v[85:86], v[83:84], v[77:78]
	ds_read2_b64 v[77:80], v76 offset0:65 offset1:66
	buffer_load_dword v99, off, s[0:3], 0 offset:16
	buffer_load_dword v100, off, s[0:3], 0 offset:20
	ds_read2_b64 v[81:84], v76 offset0:67 offset1:68
	s_waitcnt vmcnt(18) lgkmcnt(1)
	v_fma_f64 v[77:78], v[109:110], v[77:78], v[85:86]
	s_waitcnt vmcnt(17)
	v_fma_f64 v[77:78], v[107:108], v[79:80], v[77:78]
	s_waitcnt vmcnt(16) lgkmcnt(0)
	v_fma_f64 v[77:78], v[101:102], v[81:82], v[77:78]
	s_waitcnt vmcnt(11)
	v_fma_f64 v[85:86], v[87:88], v[83:84], v[77:78]
	ds_read2_b64 v[77:80], v76 offset0:69 offset1:70
	ds_read2_b64 v[81:84], v76 offset0:71 offset1:72
	s_waitcnt vmcnt(10) lgkmcnt(1)
	v_fma_f64 v[77:78], v[95:96], v[77:78], v[85:86]
	s_waitcnt vmcnt(9)
	v_fma_f64 v[77:78], v[93:94], v[79:80], v[77:78]
	s_waitcnt vmcnt(8) lgkmcnt(0)
	v_fma_f64 v[77:78], v[89:90], v[81:82], v[77:78]
	s_waitcnt vmcnt(4)
	v_fma_f64 v[80:81], v[91:92], v[83:84], v[77:78]
	ds_read2_b64 v[76:79], v76 offset0:73 offset1:74
	s_waitcnt vmcnt(3) lgkmcnt(0)
	v_fma_f64 v[76:77], v[103:104], v[76:77], v[80:81]
	s_waitcnt vmcnt(2)
	v_fma_f64 v[76:77], v[97:98], v[78:79], v[76:77]
	s_waitcnt vmcnt(0)
	v_add_f64 v[76:77], v[99:100], -v[76:77]
	buffer_store_dword v77, off, s[0:3], 0 offset:20
	buffer_store_dword v76, off, s[0:3], 0 offset:16
	s_and_saveexec_b64 s[4:5], vcc
	s_cbranch_execz .LBB36_227
; %bb.226:
	buffer_load_dword v76, off, s[0:3], 0 offset:8
	buffer_load_dword v77, off, s[0:3], 0 offset:12
	v_mov_b32_e32 v78, 0
	buffer_store_dword v78, off, s[0:3], 0 offset:8
	buffer_store_dword v78, off, s[0:3], 0 offset:12
	s_waitcnt vmcnt(2)
	ds_write_b64 v75, v[76:77]
.LBB36_227:
	s_or_b64 exec, exec, s[4:5]
	s_waitcnt lgkmcnt(0)
	; wave barrier
	buffer_load_dword v86, off, s[0:3], 0 offset:16
	buffer_load_dword v87, off, s[0:3], 0 offset:20
	;; [unrolled: 1-line block ×21, first 2 shown]
	v_mov_b32_e32 v77, 0
	ds_read_b128 v[78:81], v77 offset:320
	ds_read_b128 v[82:85], v77 offset:336
	buffer_load_dword v103, off, s[0:3], 0 offset:100
	v_cmp_ne_u32_e32 vcc, 0, v0
	s_waitcnt vmcnt(20) lgkmcnt(1)
	v_fma_f64 v[78:79], v[86:87], v[78:79], 0
	s_waitcnt vmcnt(18)
	v_fma_f64 v[78:79], v[88:89], v[80:81], v[78:79]
	buffer_load_dword v87, off, s[0:3], 0 offset:108
	buffer_load_dword v88, off, s[0:3], 0 offset:128
	;; [unrolled: 1-line block ×7, first 2 shown]
	s_waitcnt vmcnt(23) lgkmcnt(0)
	v_fma_f64 v[78:79], v[90:91], v[82:83], v[78:79]
	s_waitcnt vmcnt(21)
	v_fma_f64 v[89:90], v[92:93], v[84:85], v[78:79]
	ds_read_b128 v[78:81], v77 offset:352
	ds_read_b128 v[82:85], v77 offset:368
	s_waitcnt vmcnt(19) lgkmcnt(1)
	v_fma_f64 v[78:79], v[94:95], v[78:79], v[89:90]
	buffer_load_dword v89, off, s[0:3], 0 offset:132
	s_waitcnt vmcnt(18)
	v_fma_f64 v[78:79], v[96:97], v[80:81], v[78:79]
	buffer_load_dword v91, off, s[0:3], 0 offset:140
	buffer_load_dword v92, off, s[0:3], 0 offset:160
	buffer_load_dword v94, off, s[0:3], 0 offset:152
	buffer_load_dword v96, off, s[0:3], 0 offset:144
	buffer_load_dword v90, off, s[0:3], 0 offset:136
	buffer_load_dword v97, off, s[0:3], 0 offset:148
	buffer_load_dword v95, off, s[0:3], 0 offset:156
	buffer_load_dword v93, off, s[0:3], 0 offset:164
	s_waitcnt vmcnt(24) lgkmcnt(0)
	v_fma_f64 v[78:79], v[98:99], v[82:83], v[78:79]
	s_waitcnt vmcnt(19)
	v_fma_f64 v[98:99], v[100:101], v[84:85], v[78:79]
	ds_read_b128 v[78:81], v77 offset:384
	ds_read_b128 v[82:85], v77 offset:400
	s_waitcnt vmcnt(18) lgkmcnt(1)
	v_fma_f64 v[78:79], v[106:107], v[78:79], v[98:99]
	s_waitcnt vmcnt(17)
	v_fma_f64 v[78:79], v[104:105], v[80:81], v[78:79]
	buffer_load_dword v99, off, s[0:3], 0 offset:172
	buffer_load_dword v100, off, s[0:3], 0 offset:192
	;; [unrolled: 1-line block ×7, first 2 shown]
	s_waitcnt vmcnt(23) lgkmcnt(0)
	v_fma_f64 v[78:79], v[102:103], v[82:83], v[78:79]
	s_waitcnt vmcnt(18)
	v_fma_f64 v[86:87], v[86:87], v[84:85], v[78:79]
	ds_read_b128 v[78:81], v77 offset:416
	ds_read_b128 v[82:85], v77 offset:432
	buffer_load_dword v101, off, s[0:3], 0 offset:196
	s_waitcnt vmcnt(18) lgkmcnt(1)
	v_fma_f64 v[78:79], v[110:111], v[78:79], v[86:87]
	s_waitcnt vmcnt(17)
	v_fma_f64 v[78:79], v[108:109], v[80:81], v[78:79]
	buffer_load_dword v87, off, s[0:3], 0 offset:204
	buffer_load_dword v102, off, s[0:3], 0 offset:224
	;; [unrolled: 1-line block ×8, first 2 shown]
	s_waitcnt vmcnt(24) lgkmcnt(0)
	v_fma_f64 v[78:79], v[88:89], v[82:83], v[78:79]
	s_waitcnt vmcnt(19)
	v_fma_f64 v[88:89], v[90:91], v[84:85], v[78:79]
	ds_read_b128 v[78:81], v77 offset:448
	ds_read_b128 v[82:85], v77 offset:464
	s_waitcnt vmcnt(18) lgkmcnt(1)
	v_fma_f64 v[78:79], v[96:97], v[78:79], v[88:89]
	s_waitcnt vmcnt(17)
	v_fma_f64 v[78:79], v[94:95], v[80:81], v[78:79]
	buffer_load_dword v89, off, s[0:3], 0 offset:236
	buffer_load_dword v90, off, s[0:3], 0 offset:256
	buffer_load_dword v94, off, s[0:3], 0 offset:248
	buffer_load_dword v96, off, s[0:3], 0 offset:240
	buffer_load_dword v88, off, s[0:3], 0 offset:232
	buffer_load_dword v97, off, s[0:3], 0 offset:244
	buffer_load_dword v95, off, s[0:3], 0 offset:252
	s_waitcnt vmcnt(23) lgkmcnt(0)
	v_fma_f64 v[78:79], v[92:93], v[82:83], v[78:79]
	s_waitcnt vmcnt(18)
	v_fma_f64 v[91:92], v[98:99], v[84:85], v[78:79]
	ds_read_b128 v[78:81], v77 offset:480
	ds_read_b128 v[82:85], v77 offset:496
	s_waitcnt vmcnt(17) lgkmcnt(1)
	v_fma_f64 v[78:79], v[106:107], v[78:79], v[91:92]
	buffer_load_dword v91, off, s[0:3], 0 offset:260
	s_waitcnt vmcnt(17)
	v_fma_f64 v[78:79], v[104:105], v[80:81], v[78:79]
	buffer_load_dword v93, off, s[0:3], 0 offset:268
	buffer_load_dword v98, off, s[0:3], 0 offset:288
	;; [unrolled: 1-line block ×8, first 2 shown]
	s_waitcnt vmcnt(24) lgkmcnt(0)
	v_fma_f64 v[78:79], v[100:101], v[82:83], v[78:79]
	s_waitcnt vmcnt(19)
	v_fma_f64 v[86:87], v[86:87], v[84:85], v[78:79]
	ds_read_b128 v[78:81], v77 offset:512
	ds_read_b128 v[82:85], v77 offset:528
	s_waitcnt vmcnt(18) lgkmcnt(1)
	v_fma_f64 v[78:79], v[110:111], v[78:79], v[86:87]
	buffer_load_dword v86, off, s[0:3], 0 offset:8
	buffer_load_dword v87, off, s[0:3], 0 offset:12
	s_waitcnt vmcnt(19)
	v_fma_f64 v[78:79], v[108:109], v[80:81], v[78:79]
	s_waitcnt vmcnt(18) lgkmcnt(0)
	v_fma_f64 v[78:79], v[102:103], v[82:83], v[78:79]
	s_waitcnt vmcnt(13)
	v_fma_f64 v[88:89], v[88:89], v[84:85], v[78:79]
	ds_read_b128 v[78:81], v77 offset:544
	ds_read_b128 v[82:85], v77 offset:560
	s_waitcnt vmcnt(12) lgkmcnt(1)
	v_fma_f64 v[78:79], v[96:97], v[78:79], v[88:89]
	s_waitcnt vmcnt(11)
	v_fma_f64 v[78:79], v[94:95], v[80:81], v[78:79]
	s_waitcnt vmcnt(10) lgkmcnt(0)
	v_fma_f64 v[78:79], v[90:91], v[82:83], v[78:79]
	s_waitcnt vmcnt(5)
	v_fma_f64 v[82:83], v[92:93], v[84:85], v[78:79]
	ds_read_b128 v[78:81], v77 offset:576
	ds_read_b64 v[84:85], v77 offset:592
	s_waitcnt vmcnt(4) lgkmcnt(1)
	v_fma_f64 v[78:79], v[106:107], v[78:79], v[82:83]
	s_waitcnt vmcnt(3)
	v_fma_f64 v[78:79], v[104:105], v[80:81], v[78:79]
	s_waitcnt vmcnt(2) lgkmcnt(0)
	v_fma_f64 v[78:79], v[98:99], v[84:85], v[78:79]
	s_waitcnt vmcnt(0)
	v_add_f64 v[78:79], v[86:87], -v[78:79]
	buffer_store_dword v79, off, s[0:3], 0 offset:12
	buffer_store_dword v78, off, s[0:3], 0 offset:8
	s_and_saveexec_b64 s[4:5], vcc
	s_cbranch_execz .LBB36_229
; %bb.228:
	buffer_load_dword v78, off, s[0:3], 0
	buffer_load_dword v79, off, s[0:3], 0 offset:4
	s_waitcnt vmcnt(0)
	ds_write_b64 v75, v[78:79]
	buffer_store_dword v77, off, s[0:3], 0
	buffer_store_dword v77, off, s[0:3], 0 offset:4
.LBB36_229:
	s_or_b64 exec, exec, s[4:5]
	s_waitcnt lgkmcnt(0)
	; wave barrier
	buffer_load_dword v75, off, s[0:3], 0 offset:8
	buffer_load_dword v76, off, s[0:3], 0 offset:12
	;; [unrolled: 1-line block ×21, first 2 shown]
	ds_read2_b64 v[78:81], v77 offset0:39 offset1:40
	ds_read2_b64 v[82:85], v77 offset0:41 offset1:42
	buffer_load_dword v101, off, s[0:3], 0 offset:92
	s_and_b64 vcc, exec, s[22:23]
	s_waitcnt vmcnt(20) lgkmcnt(1)
	v_fma_f64 v[75:76], v[75:76], v[78:79], 0
	s_waitcnt vmcnt(18)
	v_fma_f64 v[75:76], v[86:87], v[80:81], v[75:76]
	buffer_load_dword v87, off, s[0:3], 0 offset:100
	buffer_load_dword v106, off, s[0:3], 0 offset:120
	;; [unrolled: 1-line block ×8, first 2 shown]
	ds_read2_b64 v[78:81], v77 offset0:43 offset1:44
	s_waitcnt vmcnt(24) lgkmcnt(1)
	v_fma_f64 v[75:76], v[88:89], v[82:83], v[75:76]
	s_waitcnt vmcnt(22)
	v_fma_f64 v[75:76], v[90:91], v[84:85], v[75:76]
	ds_read2_b64 v[82:85], v77 offset0:45 offset1:46
	s_waitcnt vmcnt(20) lgkmcnt(1)
	v_fma_f64 v[75:76], v[92:93], v[78:79], v[75:76]
	s_waitcnt vmcnt(18)
	v_fma_f64 v[75:76], v[94:95], v[80:81], v[75:76]
	buffer_load_dword v89, off, s[0:3], 0 offset:132
	buffer_load_dword v90, off, s[0:3], 0 offset:152
	;; [unrolled: 1-line block ×8, first 2 shown]
	ds_read2_b64 v[78:81], v77 offset0:47 offset1:48
	s_waitcnt vmcnt(24) lgkmcnt(1)
	v_fma_f64 v[75:76], v[96:97], v[82:83], v[75:76]
	s_waitcnt vmcnt(19)
	v_fma_f64 v[75:76], v[98:99], v[84:85], v[75:76]
	ds_read2_b64 v[82:85], v77 offset0:49 offset1:50
	s_waitcnt vmcnt(18) lgkmcnt(1)
	v_fma_f64 v[75:76], v[104:105], v[78:79], v[75:76]
	s_waitcnt vmcnt(17)
	v_fma_f64 v[75:76], v[102:103], v[80:81], v[75:76]
	buffer_load_dword v97, off, s[0:3], 0 offset:164
	buffer_load_dword v98, off, s[0:3], 0 offset:184
	;; [unrolled: 1-line block ×7, first 2 shown]
	s_waitcnt vmcnt(23) lgkmcnt(0)
	v_fma_f64 v[75:76], v[100:101], v[82:83], v[75:76]
	s_waitcnt vmcnt(18)
	v_fma_f64 v[75:76], v[86:87], v[84:85], v[75:76]
	ds_read2_b64 v[78:81], v77 offset0:51 offset1:52
	ds_read2_b64 v[82:85], v77 offset0:53 offset1:54
	buffer_load_dword v99, off, s[0:3], 0 offset:188
	s_waitcnt vmcnt(18) lgkmcnt(1)
	v_fma_f64 v[75:76], v[110:111], v[78:79], v[75:76]
	s_waitcnt vmcnt(17)
	v_fma_f64 v[75:76], v[108:109], v[80:81], v[75:76]
	buffer_load_dword v87, off, s[0:3], 0 offset:196
	buffer_load_dword v100, off, s[0:3], 0 offset:216
	;; [unrolled: 1-line block ×8, first 2 shown]
	ds_read2_b64 v[78:81], v77 offset0:55 offset1:56
	s_waitcnt vmcnt(24) lgkmcnt(1)
	v_fma_f64 v[75:76], v[106:107], v[82:83], v[75:76]
	s_waitcnt vmcnt(19)
	v_fma_f64 v[75:76], v[88:89], v[84:85], v[75:76]
	ds_read2_b64 v[82:85], v77 offset0:57 offset1:58
	s_waitcnt vmcnt(18) lgkmcnt(1)
	v_fma_f64 v[75:76], v[94:95], v[78:79], v[75:76]
	s_waitcnt vmcnt(17)
	v_fma_f64 v[75:76], v[92:93], v[80:81], v[75:76]
	buffer_load_dword v89, off, s[0:3], 0 offset:228
	buffer_load_dword v92, off, s[0:3], 0 offset:248
	buffer_load_dword v94, off, s[0:3], 0 offset:240
	buffer_load_dword v106, off, s[0:3], 0 offset:232
	buffer_load_dword v88, off, s[0:3], 0 offset:224
	buffer_load_dword v107, off, s[0:3], 0 offset:236
	buffer_load_dword v95, off, s[0:3], 0 offset:244
	buffer_load_dword v93, off, s[0:3], 0 offset:252
	ds_read2_b64 v[78:81], v77 offset0:59 offset1:60
	s_waitcnt vmcnt(24) lgkmcnt(1)
	v_fma_f64 v[75:76], v[90:91], v[82:83], v[75:76]
	s_waitcnt vmcnt(19)
	v_fma_f64 v[75:76], v[96:97], v[84:85], v[75:76]
	ds_read2_b64 v[82:85], v77 offset0:61 offset1:62
	s_waitcnt vmcnt(18) lgkmcnt(1)
	v_fma_f64 v[75:76], v[104:105], v[78:79], v[75:76]
	s_waitcnt vmcnt(17)
	v_fma_f64 v[78:79], v[102:103], v[80:81], v[75:76]
	buffer_load_dword v91, off, s[0:3], 0 offset:260
	buffer_load_dword v75, off, s[0:3], 0 offset:280
	;; [unrolled: 1-line block ×8, first 2 shown]
	s_waitcnt vmcnt(24) lgkmcnt(0)
	v_fma_f64 v[78:79], v[98:99], v[82:83], v[78:79]
	s_waitcnt vmcnt(19)
	v_fma_f64 v[86:87], v[86:87], v[84:85], v[78:79]
	ds_read2_b64 v[78:81], v77 offset0:63 offset1:64
	ds_read2_b64 v[82:85], v77 offset0:65 offset1:66
	s_waitcnt vmcnt(18) lgkmcnt(1)
	v_fma_f64 v[78:79], v[110:111], v[78:79], v[86:87]
	buffer_load_dword v87, off, s[0:3], 0 offset:292
	buffer_load_dword v86, off, s[0:3], 0 offset:288
	buffer_load_dword v98, off, s[0:3], 0
	buffer_load_dword v99, off, s[0:3], 0 offset:4
	s_waitcnt vmcnt(21)
	v_fma_f64 v[78:79], v[108:109], v[80:81], v[78:79]
	s_waitcnt vmcnt(20) lgkmcnt(0)
	v_fma_f64 v[78:79], v[100:101], v[82:83], v[78:79]
	s_waitcnt vmcnt(15)
	v_fma_f64 v[88:89], v[88:89], v[84:85], v[78:79]
	ds_read2_b64 v[78:81], v77 offset0:67 offset1:68
	ds_read2_b64 v[82:85], v77 offset0:69 offset1:70
	s_waitcnt vmcnt(14) lgkmcnt(1)
	v_fma_f64 v[78:79], v[106:107], v[78:79], v[88:89]
	s_waitcnt vmcnt(13)
	v_fma_f64 v[78:79], v[94:95], v[80:81], v[78:79]
	s_waitcnt vmcnt(12) lgkmcnt(0)
	v_fma_f64 v[78:79], v[92:93], v[82:83], v[78:79]
	s_waitcnt vmcnt(7)
	v_fma_f64 v[88:89], v[90:91], v[84:85], v[78:79]
	ds_read2_b64 v[78:81], v77 offset0:71 offset1:72
	ds_read2_b64 v[82:85], v77 offset0:73 offset1:74
	s_waitcnt vmcnt(6) lgkmcnt(1)
	v_fma_f64 v[77:78], v[102:103], v[78:79], v[88:89]
	s_waitcnt vmcnt(5)
	v_fma_f64 v[77:78], v[96:97], v[80:81], v[77:78]
	s_waitcnt vmcnt(4) lgkmcnt(0)
	v_fma_f64 v[77:78], v[75:76], v[82:83], v[77:78]
	s_waitcnt vmcnt(2)
	v_fma_f64 v[77:78], v[86:87], v[84:85], v[77:78]
	s_waitcnt vmcnt(0)
	v_add_f64 v[77:78], v[98:99], -v[77:78]
	buffer_store_dword v78, off, s[0:3], 0 offset:4
	buffer_store_dword v77, off, s[0:3], 0
	s_cbranch_vccz .LBB36_302
; %bb.230:
	v_mov_b32_e32 v0, 0
	global_load_dword v77, v0, s[20:21] offset:140
	s_waitcnt vmcnt(0)
	v_add_u32_e32 v77, -1, v77
	v_cmp_ne_u32_e32 vcc, 35, v77
	s_cbranch_vccz .LBB36_232
; %bb.231:
	v_lshlrev_b32_e32 v77, 3, v77
	buffer_load_dword v78, v77, s[0:3], 0 offen
	buffer_load_dword v79, v77, s[0:3], 0 offen offset:4
	s_waitcnt vmcnt(1)
	buffer_store_dword v78, off, s[0:3], 0 offset:280
	s_waitcnt vmcnt(1)
	buffer_store_dword v79, off, s[0:3], 0 offset:284
	buffer_store_dword v75, v77, s[0:3], 0 offen
	buffer_store_dword v76, v77, s[0:3], 0 offen offset:4
.LBB36_232:
	global_load_dword v0, v0, s[20:21] offset:136
	s_waitcnt vmcnt(0)
	v_add_u32_e32 v0, -1, v0
	v_cmp_eq_u32_e32 vcc, 34, v0
	s_cbranch_vccnz .LBB36_234
; %bb.233:
	v_lshlrev_b32_e32 v0, 3, v0
	buffer_load_dword v75, v0, s[0:3], 0 offen
	buffer_load_dword v76, v0, s[0:3], 0 offen offset:4
	buffer_load_dword v77, off, s[0:3], 0 offset:276
	buffer_load_dword v78, off, s[0:3], 0 offset:272
	s_waitcnt vmcnt(3)
	buffer_store_dword v75, off, s[0:3], 0 offset:272
	s_waitcnt vmcnt(3)
	buffer_store_dword v76, off, s[0:3], 0 offset:276
	s_waitcnt vmcnt(3)
	buffer_store_dword v77, v0, s[0:3], 0 offen offset:4
	s_waitcnt vmcnt(3)
	buffer_store_dword v78, v0, s[0:3], 0 offen
.LBB36_234:
	v_mov_b32_e32 v0, 0
	global_load_dword v75, v0, s[20:21] offset:132
	s_waitcnt vmcnt(0)
	v_add_u32_e32 v75, -1, v75
	v_cmp_eq_u32_e32 vcc, 33, v75
	s_cbranch_vccnz .LBB36_236
; %bb.235:
	v_lshlrev_b32_e32 v75, 3, v75
	buffer_load_dword v76, v75, s[0:3], 0 offen
	buffer_load_dword v77, v75, s[0:3], 0 offen offset:4
	buffer_load_dword v78, off, s[0:3], 0 offset:264
	buffer_load_dword v79, off, s[0:3], 0 offset:268
	s_waitcnt vmcnt(3)
	buffer_store_dword v76, off, s[0:3], 0 offset:264
	s_waitcnt vmcnt(3)
	buffer_store_dword v77, off, s[0:3], 0 offset:268
	s_waitcnt vmcnt(3)
	buffer_store_dword v78, v75, s[0:3], 0 offen
	s_waitcnt vmcnt(3)
	buffer_store_dword v79, v75, s[0:3], 0 offen offset:4
.LBB36_236:
	global_load_dword v0, v0, s[20:21] offset:128
	s_waitcnt vmcnt(0)
	v_add_u32_e32 v0, -1, v0
	v_cmp_eq_u32_e32 vcc, 32, v0
	s_cbranch_vccnz .LBB36_238
; %bb.237:
	v_lshlrev_b32_e32 v0, 3, v0
	buffer_load_dword v75, v0, s[0:3], 0 offen
	buffer_load_dword v76, v0, s[0:3], 0 offen offset:4
	buffer_load_dword v77, off, s[0:3], 0 offset:260
	buffer_load_dword v78, off, s[0:3], 0 offset:256
	s_waitcnt vmcnt(3)
	buffer_store_dword v75, off, s[0:3], 0 offset:256
	s_waitcnt vmcnt(3)
	buffer_store_dword v76, off, s[0:3], 0 offset:260
	s_waitcnt vmcnt(3)
	buffer_store_dword v77, v0, s[0:3], 0 offen offset:4
	s_waitcnt vmcnt(3)
	buffer_store_dword v78, v0, s[0:3], 0 offen
.LBB36_238:
	v_mov_b32_e32 v0, 0
	global_load_dword v75, v0, s[20:21] offset:124
	s_waitcnt vmcnt(0)
	v_add_u32_e32 v75, -1, v75
	v_cmp_eq_u32_e32 vcc, 31, v75
	s_cbranch_vccnz .LBB36_240
; %bb.239:
	v_lshlrev_b32_e32 v75, 3, v75
	buffer_load_dword v76, v75, s[0:3], 0 offen
	buffer_load_dword v77, v75, s[0:3], 0 offen offset:4
	buffer_load_dword v78, off, s[0:3], 0 offset:248
	buffer_load_dword v79, off, s[0:3], 0 offset:252
	s_waitcnt vmcnt(3)
	buffer_store_dword v76, off, s[0:3], 0 offset:248
	s_waitcnt vmcnt(3)
	buffer_store_dword v77, off, s[0:3], 0 offset:252
	s_waitcnt vmcnt(3)
	buffer_store_dword v78, v75, s[0:3], 0 offen
	s_waitcnt vmcnt(3)
	buffer_store_dword v79, v75, s[0:3], 0 offen offset:4
.LBB36_240:
	;; [unrolled: 41-line block ×17, first 2 shown]
	global_load_dword v0, v0, s[20:21]
	s_nop 0
	buffer_load_dword v77, off, s[0:3], 0
	buffer_load_dword v78, off, s[0:3], 0 offset:4
	s_waitcnt vmcnt(2)
	v_add_u32_e32 v0, -1, v0
	v_cmp_eq_u32_e32 vcc, 0, v0
	s_cbranch_vccnz .LBB36_302
; %bb.301:
	v_lshlrev_b32_e32 v0, 3, v0
	buffer_load_dword v75, v0, s[0:3], 0 offen offset:4
	buffer_load_dword v76, v0, s[0:3], 0 offen
	s_waitcnt vmcnt(1)
	buffer_store_dword v75, off, s[0:3], 0 offset:4
	s_waitcnt vmcnt(1)
	buffer_store_dword v76, off, s[0:3], 0
	buffer_store_dword v78, v0, s[0:3], 0 offen offset:4
	buffer_store_dword v77, v0, s[0:3], 0 offen
	buffer_load_dword v77, off, s[0:3], 0
	s_nop 0
	buffer_load_dword v78, off, s[0:3], 0 offset:4
.LBB36_302:
	buffer_load_dword v75, off, s[0:3], 0 offset:8
	buffer_load_dword v76, off, s[0:3], 0 offset:12
	;; [unrolled: 1-line block ×10, first 2 shown]
	s_waitcnt vmcnt(10)
	global_store_dwordx2 v[73:74], v[77:78], off
	buffer_load_dword v73, off, s[0:3], 0 offset:48
	s_nop 0
	buffer_load_dword v74, off, s[0:3], 0 offset:52
	buffer_load_dword v77, off, s[0:3], 0 offset:56
	;; [unrolled: 1-line block ×37, first 2 shown]
	s_waitcnt vmcnt(47)
	global_store_dwordx2 v[71:72], v[75:76], off
	buffer_load_dword v71, off, s[0:3], 0 offset:200
	s_nop 0
	buffer_load_dword v72, off, s[0:3], 0 offset:204
	buffer_load_dword v75, off, s[0:3], 0 offset:208
	;; [unrolled: 1-line block ×7, first 2 shown]
	s_waitcnt vmcnt(54)
	global_store_dwordx2 v[1:2], v[79:80], off
	s_waitcnt vmcnt(53)
	global_store_dwordx2 v[7:8], v[81:82], off
	buffer_load_dword v0, off, s[0:3], 0 offset:232
	buffer_load_dword v1, off, s[0:3], 0 offset:236
	s_nop 0
	buffer_load_dword v7, off, s[0:3], 0 offset:240
	buffer_load_dword v8, off, s[0:3], 0 offset:244
	buffer_load_dword v79, off, s[0:3], 0 offset:248
	buffer_load_dword v80, off, s[0:3], 0 offset:252
	buffer_load_dword v81, off, s[0:3], 0 offset:256
	buffer_load_dword v82, off, s[0:3], 0 offset:260
	s_waitcnt vmcnt(60)
	global_store_dwordx2 v[3:4], v[83:84], off
	s_waitcnt vmcnt(59)
	global_store_dwordx2 v[9:10], v[85:86], off
	buffer_load_dword v2, off, s[0:3], 0 offset:264
	buffer_load_dword v3, off, s[0:3], 0 offset:268
	s_nop 0
	buffer_load_dword v9, off, s[0:3], 0 offset:272
	buffer_load_dword v10, off, s[0:3], 0 offset:276
	;; [unrolled: 1-line block ×6, first 2 shown]
	s_waitcnt vmcnt(62)
	global_store_dwordx2 v[5:6], v[73:74], off
	global_store_dwordx2 v[11:12], v[77:78], off
	s_waitcnt vmcnt(62)
	global_store_dwordx2 v[13:14], v[87:88], off
	s_waitcnt vmcnt(62)
	;; [unrolled: 2-line block ×29, first 2 shown]
	global_store_dwordx2 v[69:70], v[85:86], off
	s_endpgm
	.section	.rodata,"a",@progbits
	.p2align	6, 0x0
	.amdhsa_kernel _ZN9rocsolver6v33100L18getri_kernel_smallILi37EdPdEEvT1_iilPiilS4_bb
		.amdhsa_group_segment_fixed_size 600
		.amdhsa_private_segment_fixed_size 304
		.amdhsa_kernarg_size 60
		.amdhsa_user_sgpr_count 6
		.amdhsa_user_sgpr_private_segment_buffer 1
		.amdhsa_user_sgpr_dispatch_ptr 0
		.amdhsa_user_sgpr_queue_ptr 0
		.amdhsa_user_sgpr_kernarg_segment_ptr 1
		.amdhsa_user_sgpr_dispatch_id 0
		.amdhsa_user_sgpr_flat_scratch_init 0
		.amdhsa_user_sgpr_private_segment_size 0
		.amdhsa_uses_dynamic_stack 0
		.amdhsa_system_sgpr_private_segment_wavefront_offset 1
		.amdhsa_system_sgpr_workgroup_id_x 1
		.amdhsa_system_sgpr_workgroup_id_y 0
		.amdhsa_system_sgpr_workgroup_id_z 0
		.amdhsa_system_sgpr_workgroup_info 0
		.amdhsa_system_vgpr_workitem_id 0
		.amdhsa_next_free_vgpr 125
		.amdhsa_next_free_sgpr 24
		.amdhsa_reserve_vcc 1
		.amdhsa_reserve_flat_scratch 0
		.amdhsa_float_round_mode_32 0
		.amdhsa_float_round_mode_16_64 0
		.amdhsa_float_denorm_mode_32 3
		.amdhsa_float_denorm_mode_16_64 3
		.amdhsa_dx10_clamp 1
		.amdhsa_ieee_mode 1
		.amdhsa_fp16_overflow 0
		.amdhsa_exception_fp_ieee_invalid_op 0
		.amdhsa_exception_fp_denorm_src 0
		.amdhsa_exception_fp_ieee_div_zero 0
		.amdhsa_exception_fp_ieee_overflow 0
		.amdhsa_exception_fp_ieee_underflow 0
		.amdhsa_exception_fp_ieee_inexact 0
		.amdhsa_exception_int_div_zero 0
	.end_amdhsa_kernel
	.section	.text._ZN9rocsolver6v33100L18getri_kernel_smallILi37EdPdEEvT1_iilPiilS4_bb,"axG",@progbits,_ZN9rocsolver6v33100L18getri_kernel_smallILi37EdPdEEvT1_iilPiilS4_bb,comdat
.Lfunc_end36:
	.size	_ZN9rocsolver6v33100L18getri_kernel_smallILi37EdPdEEvT1_iilPiilS4_bb, .Lfunc_end36-_ZN9rocsolver6v33100L18getri_kernel_smallILi37EdPdEEvT1_iilPiilS4_bb
                                        ; -- End function
	.set _ZN9rocsolver6v33100L18getri_kernel_smallILi37EdPdEEvT1_iilPiilS4_bb.num_vgpr, 125
	.set _ZN9rocsolver6v33100L18getri_kernel_smallILi37EdPdEEvT1_iilPiilS4_bb.num_agpr, 0
	.set _ZN9rocsolver6v33100L18getri_kernel_smallILi37EdPdEEvT1_iilPiilS4_bb.numbered_sgpr, 24
	.set _ZN9rocsolver6v33100L18getri_kernel_smallILi37EdPdEEvT1_iilPiilS4_bb.num_named_barrier, 0
	.set _ZN9rocsolver6v33100L18getri_kernel_smallILi37EdPdEEvT1_iilPiilS4_bb.private_seg_size, 304
	.set _ZN9rocsolver6v33100L18getri_kernel_smallILi37EdPdEEvT1_iilPiilS4_bb.uses_vcc, 1
	.set _ZN9rocsolver6v33100L18getri_kernel_smallILi37EdPdEEvT1_iilPiilS4_bb.uses_flat_scratch, 0
	.set _ZN9rocsolver6v33100L18getri_kernel_smallILi37EdPdEEvT1_iilPiilS4_bb.has_dyn_sized_stack, 0
	.set _ZN9rocsolver6v33100L18getri_kernel_smallILi37EdPdEEvT1_iilPiilS4_bb.has_recursion, 0
	.set _ZN9rocsolver6v33100L18getri_kernel_smallILi37EdPdEEvT1_iilPiilS4_bb.has_indirect_call, 0
	.section	.AMDGPU.csdata,"",@progbits
; Kernel info:
; codeLenInByte = 39640
; TotalNumSgprs: 28
; NumVgprs: 125
; ScratchSize: 304
; MemoryBound: 1
; FloatMode: 240
; IeeeMode: 1
; LDSByteSize: 600 bytes/workgroup (compile time only)
; SGPRBlocks: 3
; VGPRBlocks: 31
; NumSGPRsForWavesPerEU: 28
; NumVGPRsForWavesPerEU: 125
; Occupancy: 2
; WaveLimiterHint : 1
; COMPUTE_PGM_RSRC2:SCRATCH_EN: 1
; COMPUTE_PGM_RSRC2:USER_SGPR: 6
; COMPUTE_PGM_RSRC2:TRAP_HANDLER: 0
; COMPUTE_PGM_RSRC2:TGID_X_EN: 1
; COMPUTE_PGM_RSRC2:TGID_Y_EN: 0
; COMPUTE_PGM_RSRC2:TGID_Z_EN: 0
; COMPUTE_PGM_RSRC2:TIDIG_COMP_CNT: 0
	.section	.text._ZN9rocsolver6v33100L18getri_kernel_smallILi38EdPdEEvT1_iilPiilS4_bb,"axG",@progbits,_ZN9rocsolver6v33100L18getri_kernel_smallILi38EdPdEEvT1_iilPiilS4_bb,comdat
	.globl	_ZN9rocsolver6v33100L18getri_kernel_smallILi38EdPdEEvT1_iilPiilS4_bb ; -- Begin function _ZN9rocsolver6v33100L18getri_kernel_smallILi38EdPdEEvT1_iilPiilS4_bb
	.p2align	8
	.type	_ZN9rocsolver6v33100L18getri_kernel_smallILi38EdPdEEvT1_iilPiilS4_bb,@function
_ZN9rocsolver6v33100L18getri_kernel_smallILi38EdPdEEvT1_iilPiilS4_bb: ; @_ZN9rocsolver6v33100L18getri_kernel_smallILi38EdPdEEvT1_iilPiilS4_bb
; %bb.0:
	s_add_u32 s0, s0, s7
	s_addc_u32 s1, s1, 0
	v_cmp_gt_u32_e32 vcc, 38, v0
	s_and_saveexec_b64 s[8:9], vcc
	s_cbranch_execz .LBB37_160
; %bb.1:
	s_load_dword s12, s[4:5], 0x38
	s_load_dwordx4 s[16:19], s[4:5], 0x10
	s_load_dwordx4 s[8:11], s[4:5], 0x28
                                        ; implicit-def: $sgpr20_sgpr21
	s_waitcnt lgkmcnt(0)
	s_bitcmp1_b32 s12, 8
	s_cselect_b64 s[22:23], -1, 0
	s_ashr_i32 s7, s6, 31
	s_bfe_u32 s12, s12, 0x10008
	s_cmp_eq_u32 s12, 0
	s_cbranch_scc1 .LBB37_3
; %bb.2:
	s_load_dword s12, s[4:5], 0x20
	s_mul_i32 s13, s8, s7
	s_mul_hi_u32 s14, s8, s6
	s_mul_i32 s9, s9, s6
	s_add_i32 s14, s14, s13
	s_add_i32 s9, s14, s9
	s_mul_i32 s8, s8, s6
	s_waitcnt lgkmcnt(0)
	s_ashr_i32 s13, s12, 31
	s_lshl_b64 s[8:9], s[8:9], 2
	s_add_u32 s14, s18, s8
	s_addc_u32 s15, s19, s9
	s_lshl_b64 s[8:9], s[12:13], 2
	s_add_u32 s20, s14, s8
	s_addc_u32 s21, s15, s9
.LBB37_3:
	s_load_dwordx4 s[12:15], s[4:5], 0x0
	s_load_dword s8, s[4:5], 0x38
	s_mul_i32 s9, s16, s7
	s_mul_hi_u32 s18, s16, s6
	s_add_i32 s9, s18, s9
	s_waitcnt lgkmcnt(0)
	s_ashr_i32 s5, s14, 31
	s_mov_b32 s4, s14
	s_mul_i32 s14, s17, s6
	s_add_i32 s17, s9, s14
	s_mul_i32 s16, s16, s6
	s_lshl_b64 s[16:17], s[16:17], 3
	s_add_u32 s9, s12, s16
	s_addc_u32 s12, s13, s17
	s_lshl_b64 s[4:5], s[4:5], 3
	s_add_u32 s4, s9, s4
	s_addc_u32 s5, s12, s5
	v_lshlrev_b32_e32 v81, 3, v0
	s_add_i32 s9, s15, s15
	v_mov_b32_e32 v1, s5
	v_add_co_u32_e32 v17, vcc, s4, v81
	s_ashr_i32 s13, s15, 31
	s_mov_b32 s12, s15
	v_add_u32_e32 v3, s9, v0
	v_addc_co_u32_e32 v18, vcc, 0, v1, vcc
	s_lshl_b64 s[12:13], s[12:13], 3
	v_ashrrev_i32_e32 v4, 31, v3
	v_mov_b32_e32 v2, s13
	v_add_co_u32_e32 v1, vcc, s12, v17
	v_lshlrev_b64 v[5:6], 3, v[3:4]
	v_addc_co_u32_e32 v2, vcc, v18, v2, vcc
	v_add_u32_e32 v7, s15, v3
	v_mov_b32_e32 v4, s5
	v_add_co_u32_e32 v5, vcc, s4, v5
	v_ashrrev_i32_e32 v8, 31, v7
	v_addc_co_u32_e32 v6, vcc, v4, v6, vcc
	v_lshlrev_b64 v[3:4], 3, v[7:8]
	v_add_u32_e32 v9, s15, v7
	v_mov_b32_e32 v8, s5
	v_add_co_u32_e32 v3, vcc, s4, v3
	v_ashrrev_i32_e32 v10, 31, v9
	v_addc_co_u32_e32 v4, vcc, v8, v4, vcc
	v_lshlrev_b64 v[7:8], 3, v[9:10]
	;; [unrolled: 6-line block ×3, first 2 shown]
	v_mov_b32_e32 v12, s5
	v_add_co_u32_e32 v9, vcc, s4, v9
	v_add_u32_e32 v11, s15, v11
	v_addc_co_u32_e32 v10, vcc, v12, v10, vcc
	v_ashrrev_i32_e32 v12, 31, v11
	v_lshlrev_b64 v[13:14], 3, v[11:12]
	v_add_u32_e32 v15, s15, v11
	v_mov_b32_e32 v12, s5
	v_add_co_u32_e32 v13, vcc, s4, v13
	v_ashrrev_i32_e32 v16, 31, v15
	v_addc_co_u32_e32 v14, vcc, v12, v14, vcc
	v_lshlrev_b64 v[11:12], 3, v[15:16]
	v_add_u32_e32 v19, s15, v15
	v_mov_b32_e32 v16, s5
	v_add_co_u32_e32 v11, vcc, s4, v11
	v_ashrrev_i32_e32 v20, 31, v19
	v_addc_co_u32_e32 v12, vcc, v16, v12, vcc
	;; [unrolled: 6-line block ×5, first 2 shown]
	v_lshlrev_b64 v[23:24], 3, v[25:26]
	v_mov_b32_e32 v26, s5
	v_add_co_u32_e32 v23, vcc, s4, v23
	global_load_dwordx2 v[29:30], v81, s[4:5]
	global_load_dwordx2 v[31:32], v[1:2], off
	global_load_dwordx2 v[33:34], v[5:6], off
	;; [unrolled: 1-line block ×8, first 2 shown]
	v_addc_co_u32_e32 v24, vcc, v26, v24, vcc
	global_load_dwordx2 v[47:48], v[19:20], off
	global_load_dwordx2 v[49:50], v[21:22], off
	;; [unrolled: 1-line block ×3, first 2 shown]
	v_add_u32_e32 v27, s15, v25
	v_ashrrev_i32_e32 v28, 31, v27
	v_lshlrev_b64 v[25:26], 3, v[27:28]
	v_mov_b32_e32 v28, s5
	v_add_co_u32_e32 v25, vcc, s4, v25
	v_addc_co_u32_e32 v26, vcc, v28, v26, vcc
	global_load_dwordx2 v[53:54], v[25:26], off
	v_add_u32_e32 v55, s15, v27
	v_ashrrev_i32_e32 v56, 31, v55
	v_lshlrev_b64 v[27:28], 3, v[55:56]
	v_mov_b32_e32 v56, s5
	v_add_co_u32_e32 v27, vcc, s4, v27
	v_addc_co_u32_e32 v28, vcc, v56, v28, vcc
	global_load_dwordx2 v[56:57], v[27:28], off
	s_waitcnt vmcnt(13)
	buffer_store_dword v30, off, s[0:3], 0 offset:4
	buffer_store_dword v29, off, s[0:3], 0
	s_waitcnt vmcnt(14)
	buffer_store_dword v32, off, s[0:3], 0 offset:12
	buffer_store_dword v31, off, s[0:3], 0 offset:8
	s_waitcnt vmcnt(15)
	buffer_store_dword v34, off, s[0:3], 0 offset:20
	buffer_store_dword v33, off, s[0:3], 0 offset:16
	;; [unrolled: 3-line block ×12, first 2 shown]
	v_add_u32_e32 v31, s15, v55
	v_ashrrev_i32_e32 v32, 31, v31
	v_lshlrev_b64 v[29:30], 3, v[31:32]
	v_add_u32_e32 v33, s15, v31
	v_mov_b32_e32 v32, s5
	v_add_co_u32_e32 v29, vcc, s4, v29
	v_ashrrev_i32_e32 v34, 31, v33
	v_addc_co_u32_e32 v30, vcc, v32, v30, vcc
	v_lshlrev_b64 v[31:32], 3, v[33:34]
	v_add_u32_e32 v35, s15, v33
	v_mov_b32_e32 v34, s5
	v_add_co_u32_e32 v31, vcc, s4, v31
	v_ashrrev_i32_e32 v36, 31, v35
	v_addc_co_u32_e32 v32, vcc, v34, v32, vcc
	;; [unrolled: 6-line block ×9, first 2 shown]
	v_lshlrev_b64 v[47:48], 3, v[49:50]
	v_add_u32_e32 v51, s15, v49
	global_load_dwordx2 v[82:83], v[29:30], off
	global_load_dwordx2 v[79:80], v[31:32], off
	;; [unrolled: 1-line block ×3, first 2 shown]
	v_mov_b32_e32 v50, s5
	v_add_co_u32_e32 v47, vcc, s4, v47
	v_ashrrev_i32_e32 v52, 31, v51
	v_addc_co_u32_e32 v48, vcc, v50, v48, vcc
	v_lshlrev_b64 v[49:50], 3, v[51:52]
	v_add_u32_e32 v53, s15, v51
	v_mov_b32_e32 v52, s5
	v_add_co_u32_e32 v49, vcc, s4, v49
	v_ashrrev_i32_e32 v54, 31, v53
	v_addc_co_u32_e32 v50, vcc, v52, v50, vcc
	v_lshlrev_b64 v[51:52], 3, v[53:54]
	v_add_u32_e32 v55, s15, v53
	s_waitcnt vmcnt(29)
	buffer_store_dword v56, off, s[0:3], 0 offset:104
	buffer_store_dword v57, off, s[0:3], 0 offset:108
	v_mov_b32_e32 v54, s5
	v_add_co_u32_e32 v51, vcc, s4, v51
	v_ashrrev_i32_e32 v56, 31, v55
	v_addc_co_u32_e32 v52, vcc, v54, v52, vcc
	v_lshlrev_b64 v[53:54], 3, v[55:56]
	v_add_u32_e32 v57, s15, v55
	v_mov_b32_e32 v56, s5
	v_add_co_u32_e32 v53, vcc, s4, v53
	v_ashrrev_i32_e32 v58, 31, v57
	v_addc_co_u32_e32 v54, vcc, v56, v54, vcc
	v_lshlrev_b64 v[55:56], 3, v[57:58]
	v_add_u32_e32 v59, s15, v57
	;; [unrolled: 6-line block ×8, first 2 shown]
	v_mov_b32_e32 v70, s5
	v_add_co_u32_e32 v67, vcc, s4, v67
	v_ashrrev_i32_e32 v72, 31, v71
	v_addc_co_u32_e32 v68, vcc, v70, v68, vcc
	v_lshlrev_b64 v[69:70], 3, v[71:72]
	v_mov_b32_e32 v72, s5
	v_add_co_u32_e32 v69, vcc, s4, v69
	global_load_dwordx2 v[84:85], v[35:36], off
	global_load_dwordx2 v[86:87], v[37:38], off
	;; [unrolled: 1-line block ×16, first 2 shown]
	v_addc_co_u32_e32 v70, vcc, v72, v70, vcc
	global_load_dwordx2 v[116:117], v[67:68], off
	global_load_dwordx2 v[118:119], v[69:70], off
	v_add_u32_e32 v73, s15, v71
	v_ashrrev_i32_e32 v74, 31, v73
	v_lshlrev_b64 v[71:72], 3, v[73:74]
	v_add_u32_e32 v75, s15, v73
	v_mov_b32_e32 v74, s5
	v_add_co_u32_e32 v71, vcc, s4, v71
	v_ashrrev_i32_e32 v76, 31, v75
	v_addc_co_u32_e32 v72, vcc, v74, v72, vcc
	v_lshlrev_b64 v[73:74], 3, v[75:76]
	v_mov_b32_e32 v76, s5
	v_add_co_u32_e32 v73, vcc, s4, v73
	v_add_u32_e32 v75, s15, v75
	v_addc_co_u32_e32 v74, vcc, v76, v74, vcc
	v_ashrrev_i32_e32 v76, 31, v75
	v_lshlrev_b64 v[75:76], 3, v[75:76]
	v_mov_b32_e32 v120, s5
	v_add_co_u32_e32 v75, vcc, s4, v75
	v_addc_co_u32_e32 v76, vcc, v120, v76, vcc
	global_load_dwordx2 v[120:121], v[71:72], off
	global_load_dwordx2 v[122:123], v[73:74], off
	s_bitcmp0_b32 s8, 0
	s_waitcnt vmcnt(24)
	buffer_store_dword v83, off, s[0:3], 0 offset:116
	buffer_store_dword v82, off, s[0:3], 0 offset:112
	global_load_dwordx2 v[82:83], v[75:76], off
	s_mov_b64 s[8:9], -1
	s_waitcnt vmcnt(26)
	buffer_store_dword v79, off, s[0:3], 0 offset:120
	buffer_store_dword v80, off, s[0:3], 0 offset:124
	s_waitcnt vmcnt(27)
	buffer_store_dword v77, off, s[0:3], 0 offset:128
	buffer_store_dword v78, off, s[0:3], 0 offset:132
	;; [unrolled: 3-line block ×23, first 2 shown]
	s_cbranch_scc1 .LBB37_158
; %bb.4:
	v_cmp_eq_u32_e64 s[4:5], 0, v0
	s_and_saveexec_b64 s[8:9], s[4:5]
; %bb.5:
	v_mov_b32_e32 v77, 0
	ds_write_b32 v77, v77 offset:608
; %bb.6:
	s_or_b64 exec, exec, s[8:9]
	v_mov_b32_e32 v77, 0
	v_lshl_add_u32 v77, v0, 3, v77
	s_waitcnt lgkmcnt(0)
	; wave barrier
	buffer_load_dword v78, v77, s[0:3], 0 offen
	buffer_load_dword v79, v77, s[0:3], 0 offen offset:4
	s_waitcnt vmcnt(0)
	v_cmp_eq_f64_e32 vcc, 0, v[78:79]
	s_and_saveexec_b64 s[12:13], vcc
	s_cbranch_execz .LBB37_10
; %bb.7:
	v_mov_b32_e32 v78, 0
	ds_read_b32 v80, v78 offset:608
	v_add_u32_e32 v79, 1, v0
	s_waitcnt lgkmcnt(0)
	v_readfirstlane_b32 s8, v80
	s_cmp_eq_u32 s8, 0
	s_cselect_b64 s[14:15], -1, 0
	v_cmp_gt_i32_e32 vcc, s8, v79
	s_or_b64 s[14:15], s[14:15], vcc
	s_and_b64 exec, exec, s[14:15]
	s_cbranch_execz .LBB37_10
; %bb.8:
	s_mov_b64 s[14:15], 0
	v_mov_b32_e32 v80, s8
.LBB37_9:                               ; =>This Inner Loop Header: Depth=1
	ds_cmpst_rtn_b32 v80, v78, v80, v79 offset:608
	s_waitcnt lgkmcnt(0)
	v_cmp_ne_u32_e32 vcc, 0, v80
	v_cmp_le_i32_e64 s[8:9], v80, v79
	s_and_b64 s[8:9], vcc, s[8:9]
	s_and_b64 s[8:9], exec, s[8:9]
	s_or_b64 s[14:15], s[8:9], s[14:15]
	s_andn2_b64 exec, exec, s[14:15]
	s_cbranch_execnz .LBB37_9
.LBB37_10:
	s_or_b64 exec, exec, s[12:13]
	v_mov_b32_e32 v79, 0
	; wave barrier
	ds_read_b32 v78, v79 offset:608
	s_and_saveexec_b64 s[8:9], s[4:5]
	s_cbranch_execz .LBB37_12
; %bb.11:
	s_lshl_b64 s[12:13], s[6:7], 2
	s_add_u32 s12, s10, s12
	s_addc_u32 s13, s11, s13
	s_waitcnt lgkmcnt(0)
	global_store_dword v79, v78, s[12:13]
.LBB37_12:
	s_or_b64 exec, exec, s[8:9]
	s_waitcnt lgkmcnt(0)
	v_cmp_ne_u32_e32 vcc, 0, v78
	s_mov_b64 s[8:9], 0
	s_cbranch_vccnz .LBB37_158
; %bb.13:
	buffer_load_dword v78, v77, s[0:3], 0 offen
	buffer_load_dword v79, v77, s[0:3], 0 offen offset:4
	s_waitcnt vmcnt(0)
	v_div_scale_f64 v[82:83], s[8:9], v[78:79], v[78:79], 1.0
	v_rcp_f64_e32 v[84:85], v[82:83]
	v_fma_f64 v[86:87], -v[82:83], v[84:85], 1.0
	v_fma_f64 v[84:85], v[84:85], v[86:87], v[84:85]
	v_div_scale_f64 v[86:87], vcc, 1.0, v[78:79], 1.0
	v_fma_f64 v[88:89], -v[82:83], v[84:85], 1.0
	v_fma_f64 v[84:85], v[84:85], v[88:89], v[84:85]
	v_mul_f64 v[88:89], v[86:87], v[84:85]
	v_fma_f64 v[82:83], -v[82:83], v[88:89], v[86:87]
	v_div_fmas_f64 v[82:83], v[82:83], v[84:85], v[88:89]
	v_div_fixup_f64 v[82:83], v[82:83], v[78:79], 1.0
	v_add_u32_e32 v79, 0x130, v81
	buffer_store_dword v83, v77, s[0:3], 0 offen offset:4
	buffer_store_dword v82, v77, s[0:3], 0 offen
	buffer_load_dword v85, off, s[0:3], 0 offset:12
	buffer_load_dword v84, off, s[0:3], 0 offset:8
	v_xor_b32_e32 v83, 0x80000000, v83
	s_waitcnt vmcnt(0)
	ds_write2_b64 v81, v[82:83], v[84:85] offset1:38
	s_waitcnt lgkmcnt(0)
	; wave barrier
	s_and_saveexec_b64 s[8:9], s[4:5]
	s_cbranch_execz .LBB37_15
; %bb.14:
	buffer_load_dword v82, v77, s[0:3], 0 offen
	buffer_load_dword v83, v77, s[0:3], 0 offen offset:4
	ds_read_b64 v[84:85], v79
	v_mov_b32_e32 v78, 0
	ds_read_b64 v[86:87], v78 offset:8
	s_waitcnt vmcnt(0) lgkmcnt(1)
	v_fma_f64 v[82:83], v[82:83], v[84:85], 0
	s_waitcnt lgkmcnt(0)
	v_mul_f64 v[82:83], v[82:83], v[86:87]
	buffer_store_dword v82, off, s[0:3], 0 offset:8
	buffer_store_dword v83, off, s[0:3], 0 offset:12
.LBB37_15:
	s_or_b64 exec, exec, s[8:9]
	; wave barrier
	buffer_load_dword v82, off, s[0:3], 0 offset:16
	buffer_load_dword v83, off, s[0:3], 0 offset:20
	v_cmp_gt_u32_e32 vcc, 2, v0
	s_waitcnt vmcnt(0)
	ds_write_b64 v79, v[82:83]
	s_waitcnt lgkmcnt(0)
	; wave barrier
	s_and_saveexec_b64 s[8:9], vcc
	s_cbranch_execz .LBB37_17
; %bb.16:
	buffer_load_dword v82, v77, s[0:3], 0 offen
	buffer_load_dword v83, v77, s[0:3], 0 offen offset:4
                                        ; kill: killed $vgpr77
	s_nop 0
	buffer_load_dword v77, off, s[0:3], 0 offset:8
	buffer_load_dword v78, off, s[0:3], 0 offset:12
	ds_read_b64 v[84:85], v79
	v_mov_b32_e32 v80, 0
	s_waitcnt vmcnt(2) lgkmcnt(0)
	v_fma_f64 v[86:87], v[82:83], v[84:85], 0
	ds_read2_b64 v[82:85], v80 offset0:2 offset1:39
	s_waitcnt vmcnt(0) lgkmcnt(0)
	v_fma_f64 v[77:78], v[77:78], v[84:85], v[86:87]
	v_cndmask_b32_e64 v78, v87, v78, s[4:5]
	v_cndmask_b32_e64 v77, v86, v77, s[4:5]
	v_mul_f64 v[77:78], v[77:78], v[82:83]
	buffer_store_dword v78, off, s[0:3], 0 offset:20
	buffer_store_dword v77, off, s[0:3], 0 offset:16
.LBB37_17:
	s_or_b64 exec, exec, s[8:9]
	; wave barrier
	buffer_load_dword v77, off, s[0:3], 0 offset:24
	buffer_load_dword v78, off, s[0:3], 0 offset:28
	v_cmp_gt_u32_e32 vcc, 3, v0
	v_add_u32_e32 v80, -1, v0
	s_waitcnt vmcnt(0)
	ds_write_b64 v79, v[77:78]
	s_waitcnt lgkmcnt(0)
	; wave barrier
	s_and_saveexec_b64 s[4:5], vcc
	s_cbranch_execz .LBB37_21
; %bb.18:
	v_mov_b32_e32 v77, 0
	v_add_u32_e32 v82, -1, v0
	v_add_u32_e32 v83, 0x130, v81
	v_mov_b32_e32 v84, v81
	v_mov_b32_e32 v78, 0
	s_mov_b64 s[8:9], 0
.LBB37_19:                              ; =>This Inner Loop Header: Depth=1
	buffer_load_dword v85, v84, s[0:3], 0 offen
	buffer_load_dword v86, v84, s[0:3], 0 offen offset:4
	ds_read_b64 v[87:88], v83
	v_add_u32_e32 v82, 1, v82
	v_cmp_lt_u32_e32 vcc, 1, v82
	v_add_u32_e32 v83, 8, v83
	s_or_b64 s[8:9], vcc, s[8:9]
	v_add_u32_e32 v84, 8, v84
	s_waitcnt vmcnt(0) lgkmcnt(0)
	v_fma_f64 v[77:78], v[85:86], v[87:88], v[77:78]
	s_andn2_b64 exec, exec, s[8:9]
	s_cbranch_execnz .LBB37_19
; %bb.20:
	s_or_b64 exec, exec, s[8:9]
	v_mov_b32_e32 v82, 0
	ds_read_b64 v[82:83], v82 offset:24
	s_waitcnt lgkmcnt(0)
	v_mul_f64 v[77:78], v[77:78], v[82:83]
	buffer_store_dword v78, off, s[0:3], 0 offset:28
	buffer_store_dword v77, off, s[0:3], 0 offset:24
.LBB37_21:
	s_or_b64 exec, exec, s[4:5]
	; wave barrier
	buffer_load_dword v77, off, s[0:3], 0 offset:32
	buffer_load_dword v78, off, s[0:3], 0 offset:36
	v_cmp_gt_u32_e32 vcc, 4, v0
	s_waitcnt vmcnt(0)
	ds_write_b64 v79, v[77:78]
	s_waitcnt lgkmcnt(0)
	; wave barrier
	s_and_saveexec_b64 s[4:5], vcc
	s_cbranch_execz .LBB37_25
; %bb.22:
	v_mov_b32_e32 v77, 0
	v_add_u32_e32 v82, -1, v0
	v_add_u32_e32 v83, 0x130, v81
	v_mov_b32_e32 v84, v81
	v_mov_b32_e32 v78, 0
	s_mov_b64 s[8:9], 0
.LBB37_23:                              ; =>This Inner Loop Header: Depth=1
	buffer_load_dword v85, v84, s[0:3], 0 offen
	buffer_load_dword v86, v84, s[0:3], 0 offen offset:4
	ds_read_b64 v[87:88], v83
	v_add_u32_e32 v82, 1, v82
	v_cmp_lt_u32_e32 vcc, 2, v82
	v_add_u32_e32 v83, 8, v83
	s_or_b64 s[8:9], vcc, s[8:9]
	v_add_u32_e32 v84, 8, v84
	s_waitcnt vmcnt(0) lgkmcnt(0)
	v_fma_f64 v[77:78], v[85:86], v[87:88], v[77:78]
	s_andn2_b64 exec, exec, s[8:9]
	s_cbranch_execnz .LBB37_23
; %bb.24:
	s_or_b64 exec, exec, s[8:9]
	v_mov_b32_e32 v82, 0
	ds_read_b64 v[82:83], v82 offset:32
	s_waitcnt lgkmcnt(0)
	v_mul_f64 v[77:78], v[77:78], v[82:83]
	buffer_store_dword v78, off, s[0:3], 0 offset:36
	buffer_store_dword v77, off, s[0:3], 0 offset:32
.LBB37_25:
	s_or_b64 exec, exec, s[4:5]
	; wave barrier
	buffer_load_dword v77, off, s[0:3], 0 offset:40
	buffer_load_dword v78, off, s[0:3], 0 offset:44
	v_cmp_gt_u32_e32 vcc, 5, v0
	;; [unrolled: 40-line block ×21, first 2 shown]
	s_waitcnt vmcnt(0)
	ds_write_b64 v79, v[77:78]
	s_waitcnt lgkmcnt(0)
	; wave barrier
	s_and_saveexec_b64 s[4:5], vcc
	s_cbranch_execz .LBB37_105
; %bb.102:
	v_mov_b32_e32 v77, 0
	v_add_u32_e32 v82, -1, v0
	v_add_u32_e32 v83, 0x130, v81
	v_mov_b32_e32 v84, v81
	v_mov_b32_e32 v78, 0
	s_mov_b64 s[8:9], 0
.LBB37_103:                             ; =>This Inner Loop Header: Depth=1
	buffer_load_dword v85, v84, s[0:3], 0 offen
	buffer_load_dword v86, v84, s[0:3], 0 offen offset:4
	ds_read_b64 v[87:88], v83
	v_add_u32_e32 v82, 1, v82
	v_cmp_lt_u32_e32 vcc, 22, v82
	v_add_u32_e32 v83, 8, v83
	s_or_b64 s[8:9], vcc, s[8:9]
	v_add_u32_e32 v84, 8, v84
	s_waitcnt vmcnt(0) lgkmcnt(0)
	v_fma_f64 v[77:78], v[85:86], v[87:88], v[77:78]
	s_andn2_b64 exec, exec, s[8:9]
	s_cbranch_execnz .LBB37_103
; %bb.104:
	s_or_b64 exec, exec, s[8:9]
	v_mov_b32_e32 v82, 0
	ds_read_b64 v[82:83], v82 offset:192
	s_waitcnt lgkmcnt(0)
	v_mul_f64 v[77:78], v[77:78], v[82:83]
	buffer_store_dword v78, off, s[0:3], 0 offset:196
	buffer_store_dword v77, off, s[0:3], 0 offset:192
.LBB37_105:
	s_or_b64 exec, exec, s[4:5]
	; wave barrier
	buffer_load_dword v77, off, s[0:3], 0 offset:200
	buffer_load_dword v78, off, s[0:3], 0 offset:204
	v_cmp_gt_u32_e32 vcc, 25, v0
	s_waitcnt vmcnt(0)
	ds_write_b64 v79, v[77:78]
	s_waitcnt lgkmcnt(0)
	; wave barrier
	s_and_saveexec_b64 s[4:5], vcc
	s_cbranch_execz .LBB37_109
; %bb.106:
	v_mov_b32_e32 v77, 0
	v_add_u32_e32 v82, -1, v0
	v_add_u32_e32 v83, 0x130, v81
	v_mov_b32_e32 v84, v81
	v_mov_b32_e32 v78, 0
	s_mov_b64 s[8:9], 0
.LBB37_107:                             ; =>This Inner Loop Header: Depth=1
	buffer_load_dword v85, v84, s[0:3], 0 offen
	buffer_load_dword v86, v84, s[0:3], 0 offen offset:4
	ds_read_b64 v[87:88], v83
	v_add_u32_e32 v82, 1, v82
	v_cmp_lt_u32_e32 vcc, 23, v82
	v_add_u32_e32 v83, 8, v83
	s_or_b64 s[8:9], vcc, s[8:9]
	v_add_u32_e32 v84, 8, v84
	s_waitcnt vmcnt(0) lgkmcnt(0)
	v_fma_f64 v[77:78], v[85:86], v[87:88], v[77:78]
	s_andn2_b64 exec, exec, s[8:9]
	s_cbranch_execnz .LBB37_107
; %bb.108:
	s_or_b64 exec, exec, s[8:9]
	v_mov_b32_e32 v82, 0
	ds_read_b64 v[82:83], v82 offset:200
	s_waitcnt lgkmcnt(0)
	v_mul_f64 v[77:78], v[77:78], v[82:83]
	buffer_store_dword v78, off, s[0:3], 0 offset:204
	buffer_store_dword v77, off, s[0:3], 0 offset:200
.LBB37_109:
	s_or_b64 exec, exec, s[4:5]
	; wave barrier
	buffer_load_dword v77, off, s[0:3], 0 offset:208
	buffer_load_dword v78, off, s[0:3], 0 offset:212
	v_cmp_gt_u32_e32 vcc, 26, v0
	;; [unrolled: 40-line block ×12, first 2 shown]
	s_waitcnt vmcnt(0)
	ds_write_b64 v79, v[77:78]
	s_waitcnt lgkmcnt(0)
	; wave barrier
	s_and_saveexec_b64 s[4:5], vcc
	s_cbranch_execz .LBB37_153
; %bb.150:
	v_mov_b32_e32 v77, 0
	v_add_u32_e32 v82, -1, v0
	v_add_u32_e32 v83, 0x130, v81
	v_mov_b32_e32 v84, v81
	v_mov_b32_e32 v78, 0
	s_mov_b64 s[8:9], 0
.LBB37_151:                             ; =>This Inner Loop Header: Depth=1
	buffer_load_dword v85, v84, s[0:3], 0 offen
	buffer_load_dword v86, v84, s[0:3], 0 offen offset:4
	ds_read_b64 v[87:88], v83
	v_add_u32_e32 v82, 1, v82
	v_cmp_lt_u32_e32 vcc, 34, v82
	v_add_u32_e32 v83, 8, v83
	s_or_b64 s[8:9], vcc, s[8:9]
	v_add_u32_e32 v84, 8, v84
	s_waitcnt vmcnt(0) lgkmcnt(0)
	v_fma_f64 v[77:78], v[85:86], v[87:88], v[77:78]
	s_andn2_b64 exec, exec, s[8:9]
	s_cbranch_execnz .LBB37_151
; %bb.152:
	s_or_b64 exec, exec, s[8:9]
	v_mov_b32_e32 v82, 0
	ds_read_b64 v[82:83], v82 offset:288
	s_waitcnt lgkmcnt(0)
	v_mul_f64 v[77:78], v[77:78], v[82:83]
	buffer_store_dword v78, off, s[0:3], 0 offset:292
	buffer_store_dword v77, off, s[0:3], 0 offset:288
.LBB37_153:
	s_or_b64 exec, exec, s[4:5]
	; wave barrier
	buffer_load_dword v77, off, s[0:3], 0 offset:296
	buffer_load_dword v78, off, s[0:3], 0 offset:300
	v_cmp_ne_u32_e32 vcc, 37, v0
	s_waitcnt vmcnt(0)
	ds_write_b64 v79, v[77:78]
	s_waitcnt lgkmcnt(0)
	; wave barrier
	s_and_saveexec_b64 s[4:5], vcc
	s_cbranch_execz .LBB37_157
; %bb.154:
	v_mov_b32_e32 v77, 0
	v_add_u32_e32 v79, 0x130, v81
	v_mov_b32_e32 v78, 0
	s_mov_b64 s[8:9], 0
.LBB37_155:                             ; =>This Inner Loop Header: Depth=1
	buffer_load_dword v82, v81, s[0:3], 0 offen
	buffer_load_dword v83, v81, s[0:3], 0 offen offset:4
	ds_read_b64 v[84:85], v79
	v_add_u32_e32 v80, 1, v80
	v_cmp_lt_u32_e32 vcc, 35, v80
	v_add_u32_e32 v79, 8, v79
	s_or_b64 s[8:9], vcc, s[8:9]
	v_add_u32_e32 v81, 8, v81
	s_waitcnt vmcnt(0) lgkmcnt(0)
	v_fma_f64 v[77:78], v[82:83], v[84:85], v[77:78]
	s_andn2_b64 exec, exec, s[8:9]
	s_cbranch_execnz .LBB37_155
; %bb.156:
	s_or_b64 exec, exec, s[8:9]
	v_mov_b32_e32 v79, 0
	ds_read_b64 v[79:80], v79 offset:296
	s_waitcnt lgkmcnt(0)
	v_mul_f64 v[77:78], v[77:78], v[79:80]
	buffer_store_dword v78, off, s[0:3], 0 offset:300
	buffer_store_dword v77, off, s[0:3], 0 offset:296
.LBB37_157:
	s_or_b64 exec, exec, s[4:5]
	s_mov_b64 s[8:9], -1
	; wave barrier
.LBB37_158:
	s_and_b64 vcc, exec, s[8:9]
	s_cbranch_vccz .LBB37_160
; %bb.159:
	s_lshl_b64 s[4:5], s[6:7], 2
	s_add_u32 s4, s10, s4
	s_addc_u32 s5, s11, s5
	v_mov_b32_e32 v77, 0
	global_load_dword v77, v77, s[4:5]
	s_waitcnt vmcnt(0)
	v_cmp_ne_u32_e32 vcc, 0, v77
	s_cbranch_vccz .LBB37_161
.LBB37_160:
	s_endpgm
.LBB37_161:
	v_mov_b32_e32 v77, 0x130
	v_lshl_add_u32 v77, v0, 3, v77
	v_cmp_eq_u32_e32 vcc, 37, v0
	s_and_saveexec_b64 s[4:5], vcc
	s_cbranch_execz .LBB37_163
; %bb.162:
	buffer_load_dword v78, off, s[0:3], 0 offset:288
	buffer_load_dword v79, off, s[0:3], 0 offset:292
	v_mov_b32_e32 v80, 0
	buffer_store_dword v80, off, s[0:3], 0 offset:288
	buffer_store_dword v80, off, s[0:3], 0 offset:292
	s_waitcnt vmcnt(2)
	ds_write_b64 v77, v[78:79]
.LBB37_163:
	s_or_b64 exec, exec, s[4:5]
	s_waitcnt lgkmcnt(0)
	; wave barrier
	buffer_load_dword v79, off, s[0:3], 0 offset:296
	buffer_load_dword v80, off, s[0:3], 0 offset:300
	;; [unrolled: 1-line block ×4, first 2 shown]
	v_mov_b32_e32 v78, 0
	ds_read_b64 v[83:84], v78 offset:600
	v_cmp_lt_u32_e32 vcc, 35, v0
	s_waitcnt vmcnt(2) lgkmcnt(0)
	v_fma_f64 v[79:80], v[79:80], v[83:84], 0
	s_waitcnt vmcnt(0)
	v_add_f64 v[79:80], v[81:82], -v[79:80]
	buffer_store_dword v79, off, s[0:3], 0 offset:288
	buffer_store_dword v80, off, s[0:3], 0 offset:292
	s_and_saveexec_b64 s[4:5], vcc
	s_cbranch_execz .LBB37_165
; %bb.164:
	buffer_load_dword v79, off, s[0:3], 0 offset:280
	buffer_load_dword v80, off, s[0:3], 0 offset:284
	s_waitcnt vmcnt(0)
	ds_write_b64 v77, v[79:80]
	buffer_store_dword v78, off, s[0:3], 0 offset:280
	buffer_store_dword v78, off, s[0:3], 0 offset:284
.LBB37_165:
	s_or_b64 exec, exec, s[4:5]
	s_waitcnt lgkmcnt(0)
	; wave barrier
	buffer_load_dword v82, off, s[0:3], 0 offset:288
	buffer_load_dword v83, off, s[0:3], 0 offset:292
	;; [unrolled: 1-line block ×6, first 2 shown]
	ds_read_b128 v[78:81], v78 offset:592
	v_cmp_lt_u32_e32 vcc, 34, v0
	s_waitcnt vmcnt(4) lgkmcnt(0)
	v_fma_f64 v[78:79], v[82:83], v[78:79], 0
	s_waitcnt vmcnt(2)
	v_fma_f64 v[78:79], v[84:85], v[80:81], v[78:79]
	s_waitcnt vmcnt(0)
	v_add_f64 v[78:79], v[86:87], -v[78:79]
	buffer_store_dword v78, off, s[0:3], 0 offset:280
	buffer_store_dword v79, off, s[0:3], 0 offset:284
	s_and_saveexec_b64 s[4:5], vcc
	s_cbranch_execz .LBB37_167
; %bb.166:
	buffer_load_dword v78, off, s[0:3], 0 offset:272
	buffer_load_dword v79, off, s[0:3], 0 offset:276
	v_mov_b32_e32 v80, 0
	buffer_store_dword v80, off, s[0:3], 0 offset:272
	buffer_store_dword v80, off, s[0:3], 0 offset:276
	s_waitcnt vmcnt(2)
	ds_write_b64 v77, v[78:79]
.LBB37_167:
	s_or_b64 exec, exec, s[4:5]
	s_waitcnt lgkmcnt(0)
	; wave barrier
	buffer_load_dword v83, off, s[0:3], 0 offset:280
	buffer_load_dword v84, off, s[0:3], 0 offset:284
	;; [unrolled: 1-line block ×8, first 2 shown]
	v_mov_b32_e32 v78, 0
	ds_read2_b64 v[79:82], v78 offset0:73 offset1:74
	ds_read_b64 v[91:92], v78 offset:600
	v_cmp_lt_u32_e32 vcc, 33, v0
	s_waitcnt vmcnt(6) lgkmcnt(1)
	v_fma_f64 v[79:80], v[83:84], v[79:80], 0
	s_waitcnt vmcnt(4)
	v_fma_f64 v[79:80], v[85:86], v[81:82], v[79:80]
	s_waitcnt vmcnt(2) lgkmcnt(0)
	v_fma_f64 v[79:80], v[87:88], v[91:92], v[79:80]
	s_waitcnt vmcnt(0)
	v_add_f64 v[79:80], v[89:90], -v[79:80]
	buffer_store_dword v79, off, s[0:3], 0 offset:272
	buffer_store_dword v80, off, s[0:3], 0 offset:276
	s_and_saveexec_b64 s[4:5], vcc
	s_cbranch_execz .LBB37_169
; %bb.168:
	buffer_load_dword v79, off, s[0:3], 0 offset:264
	buffer_load_dword v80, off, s[0:3], 0 offset:268
	s_waitcnt vmcnt(0)
	ds_write_b64 v77, v[79:80]
	buffer_store_dword v78, off, s[0:3], 0 offset:264
	buffer_store_dword v78, off, s[0:3], 0 offset:268
.LBB37_169:
	s_or_b64 exec, exec, s[4:5]
	s_waitcnt lgkmcnt(0)
	; wave barrier
	buffer_load_dword v87, off, s[0:3], 0 offset:272
	buffer_load_dword v88, off, s[0:3], 0 offset:276
	;; [unrolled: 1-line block ×10, first 2 shown]
	ds_read_b128 v[79:82], v78 offset:576
	ds_read_b128 v[83:86], v78 offset:592
	v_cmp_lt_u32_e32 vcc, 32, v0
	s_waitcnt vmcnt(8) lgkmcnt(1)
	v_fma_f64 v[78:79], v[87:88], v[79:80], 0
	s_waitcnt vmcnt(6)
	v_fma_f64 v[78:79], v[89:90], v[81:82], v[78:79]
	s_waitcnt vmcnt(4) lgkmcnt(0)
	v_fma_f64 v[78:79], v[91:92], v[83:84], v[78:79]
	s_waitcnt vmcnt(2)
	v_fma_f64 v[78:79], v[93:94], v[85:86], v[78:79]
	s_waitcnt vmcnt(0)
	v_add_f64 v[78:79], v[95:96], -v[78:79]
	buffer_store_dword v78, off, s[0:3], 0 offset:264
	buffer_store_dword v79, off, s[0:3], 0 offset:268
	s_and_saveexec_b64 s[4:5], vcc
	s_cbranch_execz .LBB37_171
; %bb.170:
	buffer_load_dword v78, off, s[0:3], 0 offset:256
	buffer_load_dword v79, off, s[0:3], 0 offset:260
	v_mov_b32_e32 v80, 0
	buffer_store_dword v80, off, s[0:3], 0 offset:256
	buffer_store_dword v80, off, s[0:3], 0 offset:260
	s_waitcnt vmcnt(2)
	ds_write_b64 v77, v[78:79]
.LBB37_171:
	s_or_b64 exec, exec, s[4:5]
	s_waitcnt lgkmcnt(0)
	; wave barrier
	buffer_load_dword v87, off, s[0:3], 0 offset:264
	buffer_load_dword v88, off, s[0:3], 0 offset:268
	buffer_load_dword v89, off, s[0:3], 0 offset:272
	buffer_load_dword v90, off, s[0:3], 0 offset:276
	buffer_load_dword v91, off, s[0:3], 0 offset:280
	buffer_load_dword v92, off, s[0:3], 0 offset:284
	buffer_load_dword v93, off, s[0:3], 0 offset:288
	buffer_load_dword v94, off, s[0:3], 0 offset:292
	buffer_load_dword v95, off, s[0:3], 0 offset:296
	buffer_load_dword v96, off, s[0:3], 0 offset:300
	buffer_load_dword v97, off, s[0:3], 0 offset:256
	buffer_load_dword v98, off, s[0:3], 0 offset:260
	v_mov_b32_e32 v78, 0
	ds_read2_b64 v[79:82], v78 offset0:71 offset1:72
	ds_read2_b64 v[83:86], v78 offset0:73 offset1:74
	v_cmp_lt_u32_e32 vcc, 31, v0
	s_waitcnt vmcnt(10) lgkmcnt(1)
	v_fma_f64 v[79:80], v[87:88], v[79:80], 0
	s_waitcnt vmcnt(8)
	v_fma_f64 v[79:80], v[89:90], v[81:82], v[79:80]
	ds_read_b64 v[81:82], v78 offset:600
	s_waitcnt vmcnt(6) lgkmcnt(1)
	v_fma_f64 v[79:80], v[91:92], v[83:84], v[79:80]
	s_waitcnt vmcnt(4)
	v_fma_f64 v[79:80], v[93:94], v[85:86], v[79:80]
	s_waitcnt vmcnt(2) lgkmcnt(0)
	v_fma_f64 v[79:80], v[95:96], v[81:82], v[79:80]
	s_waitcnt vmcnt(0)
	v_add_f64 v[79:80], v[97:98], -v[79:80]
	buffer_store_dword v79, off, s[0:3], 0 offset:256
	buffer_store_dword v80, off, s[0:3], 0 offset:260
	s_and_saveexec_b64 s[4:5], vcc
	s_cbranch_execz .LBB37_173
; %bb.172:
	buffer_load_dword v79, off, s[0:3], 0 offset:248
	buffer_load_dword v80, off, s[0:3], 0 offset:252
	s_waitcnt vmcnt(0)
	ds_write_b64 v77, v[79:80]
	buffer_store_dword v78, off, s[0:3], 0 offset:248
	buffer_store_dword v78, off, s[0:3], 0 offset:252
.LBB37_173:
	s_or_b64 exec, exec, s[4:5]
	s_waitcnt lgkmcnt(0)
	; wave barrier
	buffer_load_dword v87, off, s[0:3], 0 offset:256
	buffer_load_dword v88, off, s[0:3], 0 offset:260
	;; [unrolled: 1-line block ×14, first 2 shown]
	ds_read_b128 v[79:82], v78 offset:560
	ds_read_b128 v[83:86], v78 offset:576
	v_cmp_lt_u32_e32 vcc, 30, v0
	s_waitcnt vmcnt(12) lgkmcnt(1)
	v_fma_f64 v[79:80], v[87:88], v[79:80], 0
	s_waitcnt vmcnt(10)
	v_fma_f64 v[79:80], v[89:90], v[81:82], v[79:80]
	s_waitcnt vmcnt(8) lgkmcnt(0)
	v_fma_f64 v[79:80], v[91:92], v[83:84], v[79:80]
	s_waitcnt vmcnt(6)
	v_fma_f64 v[82:83], v[93:94], v[85:86], v[79:80]
	ds_read_b128 v[78:81], v78 offset:592
	s_waitcnt vmcnt(4) lgkmcnt(0)
	v_fma_f64 v[78:79], v[95:96], v[78:79], v[82:83]
	s_waitcnt vmcnt(2)
	v_fma_f64 v[78:79], v[97:98], v[80:81], v[78:79]
	s_waitcnt vmcnt(0)
	v_add_f64 v[78:79], v[99:100], -v[78:79]
	buffer_store_dword v78, off, s[0:3], 0 offset:248
	buffer_store_dword v79, off, s[0:3], 0 offset:252
	s_and_saveexec_b64 s[4:5], vcc
	s_cbranch_execz .LBB37_175
; %bb.174:
	buffer_load_dword v78, off, s[0:3], 0 offset:240
	buffer_load_dword v79, off, s[0:3], 0 offset:244
	v_mov_b32_e32 v80, 0
	buffer_store_dword v80, off, s[0:3], 0 offset:240
	buffer_store_dword v80, off, s[0:3], 0 offset:244
	s_waitcnt vmcnt(2)
	ds_write_b64 v77, v[78:79]
.LBB37_175:
	s_or_b64 exec, exec, s[4:5]
	s_waitcnt lgkmcnt(0)
	; wave barrier
	buffer_load_dword v87, off, s[0:3], 0 offset:248
	buffer_load_dword v88, off, s[0:3], 0 offset:252
	buffer_load_dword v89, off, s[0:3], 0 offset:256
	buffer_load_dword v90, off, s[0:3], 0 offset:260
	buffer_load_dword v91, off, s[0:3], 0 offset:264
	buffer_load_dword v92, off, s[0:3], 0 offset:268
	buffer_load_dword v93, off, s[0:3], 0 offset:272
	buffer_load_dword v94, off, s[0:3], 0 offset:276
	buffer_load_dword v95, off, s[0:3], 0 offset:280
	buffer_load_dword v96, off, s[0:3], 0 offset:284
	buffer_load_dword v97, off, s[0:3], 0 offset:288
	buffer_load_dword v98, off, s[0:3], 0 offset:292
	buffer_load_dword v99, off, s[0:3], 0 offset:296
	buffer_load_dword v100, off, s[0:3], 0 offset:300
	buffer_load_dword v101, off, s[0:3], 0 offset:240
	buffer_load_dword v102, off, s[0:3], 0 offset:244
	v_mov_b32_e32 v78, 0
	ds_read2_b64 v[79:82], v78 offset0:69 offset1:70
	ds_read2_b64 v[83:86], v78 offset0:71 offset1:72
	v_cmp_lt_u32_e32 vcc, 29, v0
	s_waitcnt vmcnt(14) lgkmcnt(1)
	v_fma_f64 v[79:80], v[87:88], v[79:80], 0
	s_waitcnt vmcnt(12)
	v_fma_f64 v[79:80], v[89:90], v[81:82], v[79:80]
	s_waitcnt vmcnt(10) lgkmcnt(0)
	v_fma_f64 v[79:80], v[91:92], v[83:84], v[79:80]
	s_waitcnt vmcnt(8)
	v_fma_f64 v[83:84], v[93:94], v[85:86], v[79:80]
	ds_read2_b64 v[79:82], v78 offset0:73 offset1:74
	ds_read_b64 v[85:86], v78 offset:600
	s_waitcnt vmcnt(6) lgkmcnt(1)
	v_fma_f64 v[79:80], v[95:96], v[79:80], v[83:84]
	s_waitcnt vmcnt(4)
	v_fma_f64 v[79:80], v[97:98], v[81:82], v[79:80]
	s_waitcnt vmcnt(2) lgkmcnt(0)
	v_fma_f64 v[79:80], v[99:100], v[85:86], v[79:80]
	s_waitcnt vmcnt(0)
	v_add_f64 v[79:80], v[101:102], -v[79:80]
	buffer_store_dword v79, off, s[0:3], 0 offset:240
	buffer_store_dword v80, off, s[0:3], 0 offset:244
	s_and_saveexec_b64 s[4:5], vcc
	s_cbranch_execz .LBB37_177
; %bb.176:
	buffer_load_dword v79, off, s[0:3], 0 offset:232
	buffer_load_dword v80, off, s[0:3], 0 offset:236
	s_waitcnt vmcnt(0)
	ds_write_b64 v77, v[79:80]
	buffer_store_dword v78, off, s[0:3], 0 offset:232
	buffer_store_dword v78, off, s[0:3], 0 offset:236
.LBB37_177:
	s_or_b64 exec, exec, s[4:5]
	s_waitcnt lgkmcnt(0)
	; wave barrier
	buffer_load_dword v87, off, s[0:3], 0 offset:240
	buffer_load_dword v88, off, s[0:3], 0 offset:244
	buffer_load_dword v89, off, s[0:3], 0 offset:248
	buffer_load_dword v90, off, s[0:3], 0 offset:252
	buffer_load_dword v91, off, s[0:3], 0 offset:256
	buffer_load_dword v92, off, s[0:3], 0 offset:260
	buffer_load_dword v93, off, s[0:3], 0 offset:264
	buffer_load_dword v94, off, s[0:3], 0 offset:268
	buffer_load_dword v95, off, s[0:3], 0 offset:272
	buffer_load_dword v96, off, s[0:3], 0 offset:276
	buffer_load_dword v97, off, s[0:3], 0 offset:280
	buffer_load_dword v98, off, s[0:3], 0 offset:284
	buffer_load_dword v99, off, s[0:3], 0 offset:288
	buffer_load_dword v100, off, s[0:3], 0 offset:292
	buffer_load_dword v102, off, s[0:3], 0 offset:300
	buffer_load_dword v101, off, s[0:3], 0 offset:296
	buffer_load_dword v103, off, s[0:3], 0 offset:232
	buffer_load_dword v104, off, s[0:3], 0 offset:236
	ds_read_b128 v[79:82], v78 offset:544
	ds_read_b128 v[83:86], v78 offset:560
	v_cmp_lt_u32_e32 vcc, 28, v0
	s_waitcnt vmcnt(16) lgkmcnt(1)
	v_fma_f64 v[79:80], v[87:88], v[79:80], 0
	s_waitcnt vmcnt(14)
	v_fma_f64 v[79:80], v[89:90], v[81:82], v[79:80]
	s_waitcnt vmcnt(12) lgkmcnt(0)
	v_fma_f64 v[79:80], v[91:92], v[83:84], v[79:80]
	s_waitcnt vmcnt(10)
	v_fma_f64 v[87:88], v[93:94], v[85:86], v[79:80]
	ds_read_b128 v[79:82], v78 offset:576
	ds_read_b128 v[83:86], v78 offset:592
	s_waitcnt vmcnt(8) lgkmcnt(1)
	v_fma_f64 v[78:79], v[95:96], v[79:80], v[87:88]
	s_waitcnt vmcnt(6)
	v_fma_f64 v[78:79], v[97:98], v[81:82], v[78:79]
	s_waitcnt vmcnt(4) lgkmcnt(0)
	v_fma_f64 v[78:79], v[99:100], v[83:84], v[78:79]
	s_waitcnt vmcnt(2)
	v_fma_f64 v[78:79], v[101:102], v[85:86], v[78:79]
	s_waitcnt vmcnt(0)
	v_add_f64 v[78:79], v[103:104], -v[78:79]
	buffer_store_dword v78, off, s[0:3], 0 offset:232
	buffer_store_dword v79, off, s[0:3], 0 offset:236
	s_and_saveexec_b64 s[4:5], vcc
	s_cbranch_execz .LBB37_179
; %bb.178:
	buffer_load_dword v78, off, s[0:3], 0 offset:224
	buffer_load_dword v79, off, s[0:3], 0 offset:228
	v_mov_b32_e32 v80, 0
	buffer_store_dword v80, off, s[0:3], 0 offset:224
	buffer_store_dword v80, off, s[0:3], 0 offset:228
	s_waitcnt vmcnt(2)
	ds_write_b64 v77, v[78:79]
.LBB37_179:
	s_or_b64 exec, exec, s[4:5]
	s_waitcnt lgkmcnt(0)
	; wave barrier
	buffer_load_dword v87, off, s[0:3], 0 offset:232
	buffer_load_dword v88, off, s[0:3], 0 offset:236
	;; [unrolled: 1-line block ×20, first 2 shown]
	v_mov_b32_e32 v78, 0
	ds_read2_b64 v[79:82], v78 offset0:67 offset1:68
	ds_read2_b64 v[83:86], v78 offset0:69 offset1:70
	v_cmp_lt_u32_e32 vcc, 27, v0
	s_waitcnt vmcnt(18) lgkmcnt(1)
	v_fma_f64 v[79:80], v[87:88], v[79:80], 0
	s_waitcnt vmcnt(16)
	v_fma_f64 v[79:80], v[89:90], v[81:82], v[79:80]
	s_waitcnt vmcnt(14) lgkmcnt(0)
	v_fma_f64 v[79:80], v[91:92], v[83:84], v[79:80]
	s_waitcnt vmcnt(12)
	v_fma_f64 v[87:88], v[93:94], v[85:86], v[79:80]
	ds_read2_b64 v[79:82], v78 offset0:71 offset1:72
	ds_read2_b64 v[83:86], v78 offset0:73 offset1:74
	s_waitcnt vmcnt(10) lgkmcnt(1)
	v_fma_f64 v[79:80], v[95:96], v[79:80], v[87:88]
	s_waitcnt vmcnt(8)
	v_fma_f64 v[79:80], v[97:98], v[81:82], v[79:80]
	ds_read_b64 v[81:82], v78 offset:600
	s_waitcnt vmcnt(6) lgkmcnt(1)
	v_fma_f64 v[79:80], v[99:100], v[83:84], v[79:80]
	s_waitcnt vmcnt(3)
	v_fma_f64 v[79:80], v[101:102], v[85:86], v[79:80]
	s_waitcnt vmcnt(2) lgkmcnt(0)
	v_fma_f64 v[79:80], v[103:104], v[81:82], v[79:80]
	s_waitcnt vmcnt(0)
	v_add_f64 v[79:80], v[105:106], -v[79:80]
	buffer_store_dword v79, off, s[0:3], 0 offset:224
	buffer_store_dword v80, off, s[0:3], 0 offset:228
	s_and_saveexec_b64 s[4:5], vcc
	s_cbranch_execz .LBB37_181
; %bb.180:
	buffer_load_dword v79, off, s[0:3], 0 offset:216
	buffer_load_dword v80, off, s[0:3], 0 offset:220
	s_waitcnt vmcnt(0)
	ds_write_b64 v77, v[79:80]
	buffer_store_dword v78, off, s[0:3], 0 offset:216
	buffer_store_dword v78, off, s[0:3], 0 offset:220
.LBB37_181:
	s_or_b64 exec, exec, s[4:5]
	s_waitcnt lgkmcnt(0)
	; wave barrier
	buffer_load_dword v87, off, s[0:3], 0 offset:224
	buffer_load_dword v88, off, s[0:3], 0 offset:228
	;; [unrolled: 1-line block ×20, first 2 shown]
	ds_read_b128 v[79:82], v78 offset:528
	buffer_load_dword v107, off, s[0:3], 0 offset:216
	buffer_load_dword v108, off, s[0:3], 0 offset:220
	ds_read_b128 v[83:86], v78 offset:544
	v_cmp_lt_u32_e32 vcc, 26, v0
	s_waitcnt vmcnt(20) lgkmcnt(1)
	v_fma_f64 v[79:80], v[87:88], v[79:80], 0
	s_waitcnt vmcnt(18)
	v_fma_f64 v[79:80], v[89:90], v[81:82], v[79:80]
	s_waitcnt vmcnt(16) lgkmcnt(0)
	v_fma_f64 v[79:80], v[91:92], v[83:84], v[79:80]
	s_waitcnt vmcnt(14)
	v_fma_f64 v[87:88], v[93:94], v[85:86], v[79:80]
	ds_read_b128 v[79:82], v78 offset:560
	ds_read_b128 v[83:86], v78 offset:576
	s_waitcnt vmcnt(12) lgkmcnt(1)
	v_fma_f64 v[79:80], v[95:96], v[79:80], v[87:88]
	s_waitcnt vmcnt(10)
	v_fma_f64 v[79:80], v[97:98], v[81:82], v[79:80]
	s_waitcnt vmcnt(8) lgkmcnt(0)
	v_fma_f64 v[79:80], v[99:100], v[83:84], v[79:80]
	s_waitcnt vmcnt(4)
	v_fma_f64 v[82:83], v[101:102], v[85:86], v[79:80]
	ds_read_b128 v[78:81], v78 offset:592
	s_waitcnt vmcnt(3) lgkmcnt(0)
	v_fma_f64 v[78:79], v[105:106], v[78:79], v[82:83]
	s_waitcnt vmcnt(2)
	v_fma_f64 v[78:79], v[103:104], v[80:81], v[78:79]
	s_waitcnt vmcnt(0)
	v_add_f64 v[78:79], v[107:108], -v[78:79]
	buffer_store_dword v78, off, s[0:3], 0 offset:216
	buffer_store_dword v79, off, s[0:3], 0 offset:220
	s_and_saveexec_b64 s[4:5], vcc
	s_cbranch_execz .LBB37_183
; %bb.182:
	buffer_load_dword v78, off, s[0:3], 0 offset:208
	buffer_load_dword v79, off, s[0:3], 0 offset:212
	v_mov_b32_e32 v80, 0
	buffer_store_dword v80, off, s[0:3], 0 offset:208
	buffer_store_dword v80, off, s[0:3], 0 offset:212
	s_waitcnt vmcnt(2)
	ds_write_b64 v77, v[78:79]
.LBB37_183:
	s_or_b64 exec, exec, s[4:5]
	s_waitcnt lgkmcnt(0)
	; wave barrier
	buffer_load_dword v87, off, s[0:3], 0 offset:216
	buffer_load_dword v88, off, s[0:3], 0 offset:220
	;; [unrolled: 1-line block ×21, first 2 shown]
	v_mov_b32_e32 v78, 0
	ds_read2_b64 v[79:82], v78 offset0:65 offset1:66
	ds_read2_b64 v[83:86], v78 offset0:67 offset1:68
	buffer_load_dword v104, off, s[0:3], 0 offset:300
	v_cmp_lt_u32_e32 vcc, 25, v0
	s_waitcnt vmcnt(20) lgkmcnt(1)
	v_fma_f64 v[79:80], v[87:88], v[79:80], 0
	buffer_load_dword v87, off, s[0:3], 0 offset:208
	buffer_load_dword v88, off, s[0:3], 0 offset:212
	s_waitcnt vmcnt(20)
	v_fma_f64 v[79:80], v[89:90], v[81:82], v[79:80]
	s_waitcnt vmcnt(18) lgkmcnt(0)
	v_fma_f64 v[79:80], v[91:92], v[83:84], v[79:80]
	s_waitcnt vmcnt(16)
	v_fma_f64 v[89:90], v[93:94], v[85:86], v[79:80]
	ds_read2_b64 v[79:82], v78 offset0:69 offset1:70
	ds_read2_b64 v[83:86], v78 offset0:71 offset1:72
	s_waitcnt vmcnt(14) lgkmcnt(1)
	v_fma_f64 v[79:80], v[95:96], v[79:80], v[89:90]
	s_waitcnt vmcnt(12)
	v_fma_f64 v[79:80], v[97:98], v[81:82], v[79:80]
	s_waitcnt vmcnt(10) lgkmcnt(0)
	v_fma_f64 v[79:80], v[99:100], v[83:84], v[79:80]
	s_waitcnt vmcnt(5)
	v_fma_f64 v[83:84], v[101:102], v[85:86], v[79:80]
	ds_read2_b64 v[79:82], v78 offset0:73 offset1:74
	ds_read_b64 v[85:86], v78 offset:600
	s_waitcnt vmcnt(4) lgkmcnt(1)
	v_fma_f64 v[79:80], v[107:108], v[79:80], v[83:84]
	s_waitcnt vmcnt(3)
	v_fma_f64 v[79:80], v[105:106], v[81:82], v[79:80]
	s_waitcnt vmcnt(2) lgkmcnt(0)
	v_fma_f64 v[79:80], v[103:104], v[85:86], v[79:80]
	s_waitcnt vmcnt(0)
	v_add_f64 v[79:80], v[87:88], -v[79:80]
	buffer_store_dword v80, off, s[0:3], 0 offset:212
	buffer_store_dword v79, off, s[0:3], 0 offset:208
	s_and_saveexec_b64 s[4:5], vcc
	s_cbranch_execz .LBB37_185
; %bb.184:
	buffer_load_dword v79, off, s[0:3], 0 offset:200
	buffer_load_dword v80, off, s[0:3], 0 offset:204
	s_waitcnt vmcnt(0)
	ds_write_b64 v77, v[79:80]
	buffer_store_dword v78, off, s[0:3], 0 offset:200
	buffer_store_dword v78, off, s[0:3], 0 offset:204
.LBB37_185:
	s_or_b64 exec, exec, s[4:5]
	s_waitcnt lgkmcnt(0)
	; wave barrier
	buffer_load_dword v87, off, s[0:3], 0 offset:208
	buffer_load_dword v88, off, s[0:3], 0 offset:212
	buffer_load_dword v89, off, s[0:3], 0 offset:216
	buffer_load_dword v90, off, s[0:3], 0 offset:220
	buffer_load_dword v91, off, s[0:3], 0 offset:224
	buffer_load_dword v92, off, s[0:3], 0 offset:228
	buffer_load_dword v93, off, s[0:3], 0 offset:232
	buffer_load_dword v94, off, s[0:3], 0 offset:236
	buffer_load_dword v95, off, s[0:3], 0 offset:240
	buffer_load_dword v96, off, s[0:3], 0 offset:244
	buffer_load_dword v97, off, s[0:3], 0 offset:248
	buffer_load_dword v98, off, s[0:3], 0 offset:252
	buffer_load_dword v99, off, s[0:3], 0 offset:256
	buffer_load_dword v100, off, s[0:3], 0 offset:260
	buffer_load_dword v102, off, s[0:3], 0 offset:268
	buffer_load_dword v103, off, s[0:3], 0 offset:288
	buffer_load_dword v105, off, s[0:3], 0 offset:280
	buffer_load_dword v107, off, s[0:3], 0 offset:272
	buffer_load_dword v101, off, s[0:3], 0 offset:264
	buffer_load_dword v108, off, s[0:3], 0 offset:276
	buffer_load_dword v106, off, s[0:3], 0 offset:284
	ds_read_b128 v[79:82], v78 offset:512
	ds_read_b128 v[83:86], v78 offset:528
	buffer_load_dword v104, off, s[0:3], 0 offset:292
	v_cmp_lt_u32_e32 vcc, 24, v0
	s_waitcnt vmcnt(20) lgkmcnt(1)
	v_fma_f64 v[79:80], v[87:88], v[79:80], 0
	buffer_load_dword v88, off, s[0:3], 0 offset:300
	buffer_load_dword v87, off, s[0:3], 0 offset:296
	s_waitcnt vmcnt(20)
	v_fma_f64 v[79:80], v[89:90], v[81:82], v[79:80]
	buffer_load_dword v89, off, s[0:3], 0 offset:200
	buffer_load_dword v90, off, s[0:3], 0 offset:204
	s_waitcnt vmcnt(20) lgkmcnt(0)
	v_fma_f64 v[79:80], v[91:92], v[83:84], v[79:80]
	s_waitcnt vmcnt(18)
	v_fma_f64 v[91:92], v[93:94], v[85:86], v[79:80]
	ds_read_b128 v[79:82], v78 offset:544
	ds_read_b128 v[83:86], v78 offset:560
	s_waitcnt vmcnt(16) lgkmcnt(1)
	v_fma_f64 v[79:80], v[95:96], v[79:80], v[91:92]
	s_waitcnt vmcnt(14)
	v_fma_f64 v[79:80], v[97:98], v[81:82], v[79:80]
	s_waitcnt vmcnt(12) lgkmcnt(0)
	v_fma_f64 v[79:80], v[99:100], v[83:84], v[79:80]
	s_waitcnt vmcnt(7)
	v_fma_f64 v[91:92], v[101:102], v[85:86], v[79:80]
	ds_read_b128 v[79:82], v78 offset:576
	ds_read_b128 v[83:86], v78 offset:592
	s_waitcnt vmcnt(6) lgkmcnt(1)
	v_fma_f64 v[78:79], v[107:108], v[79:80], v[91:92]
	s_waitcnt vmcnt(5)
	v_fma_f64 v[78:79], v[105:106], v[81:82], v[78:79]
	s_waitcnt vmcnt(4) lgkmcnt(0)
	v_fma_f64 v[78:79], v[103:104], v[83:84], v[78:79]
	s_waitcnt vmcnt(2)
	v_fma_f64 v[78:79], v[87:88], v[85:86], v[78:79]
	s_waitcnt vmcnt(0)
	v_add_f64 v[78:79], v[89:90], -v[78:79]
	buffer_store_dword v79, off, s[0:3], 0 offset:204
	buffer_store_dword v78, off, s[0:3], 0 offset:200
	s_and_saveexec_b64 s[4:5], vcc
	s_cbranch_execz .LBB37_187
; %bb.186:
	buffer_load_dword v78, off, s[0:3], 0 offset:192
	buffer_load_dword v79, off, s[0:3], 0 offset:196
	v_mov_b32_e32 v80, 0
	buffer_store_dword v80, off, s[0:3], 0 offset:192
	buffer_store_dword v80, off, s[0:3], 0 offset:196
	s_waitcnt vmcnt(2)
	ds_write_b64 v77, v[78:79]
.LBB37_187:
	s_or_b64 exec, exec, s[4:5]
	s_waitcnt lgkmcnt(0)
	; wave barrier
	buffer_load_dword v87, off, s[0:3], 0 offset:200
	buffer_load_dword v88, off, s[0:3], 0 offset:204
	;; [unrolled: 1-line block ×21, first 2 shown]
	v_mov_b32_e32 v78, 0
	ds_read2_b64 v[79:82], v78 offset0:63 offset1:64
	ds_read2_b64 v[83:86], v78 offset0:65 offset1:66
	buffer_load_dword v104, off, s[0:3], 0 offset:284
	v_cmp_lt_u32_e32 vcc, 23, v0
	s_waitcnt vmcnt(20) lgkmcnt(1)
	v_fma_f64 v[79:80], v[87:88], v[79:80], 0
	s_waitcnt vmcnt(18)
	v_fma_f64 v[79:80], v[89:90], v[81:82], v[79:80]
	buffer_load_dword v88, off, s[0:3], 0 offset:292
	buffer_load_dword v89, off, s[0:3], 0 offset:296
	;; [unrolled: 1-line block ×4, first 2 shown]
	s_waitcnt vmcnt(20) lgkmcnt(0)
	v_fma_f64 v[79:80], v[91:92], v[83:84], v[79:80]
	buffer_load_dword v91, off, s[0:3], 0 offset:192
	buffer_load_dword v92, off, s[0:3], 0 offset:196
	s_waitcnt vmcnt(20)
	v_fma_f64 v[93:94], v[93:94], v[85:86], v[79:80]
	ds_read2_b64 v[79:82], v78 offset0:67 offset1:68
	ds_read2_b64 v[83:86], v78 offset0:69 offset1:70
	s_waitcnt vmcnt(18) lgkmcnt(1)
	v_fma_f64 v[79:80], v[95:96], v[79:80], v[93:94]
	s_waitcnt vmcnt(16)
	v_fma_f64 v[79:80], v[97:98], v[81:82], v[79:80]
	s_waitcnt vmcnt(14) lgkmcnt(0)
	v_fma_f64 v[79:80], v[99:100], v[83:84], v[79:80]
	s_waitcnt vmcnt(9)
	v_fma_f64 v[93:94], v[101:102], v[85:86], v[79:80]
	ds_read2_b64 v[79:82], v78 offset0:71 offset1:72
	ds_read2_b64 v[83:86], v78 offset0:73 offset1:74
	s_waitcnt vmcnt(8) lgkmcnt(1)
	v_fma_f64 v[79:80], v[107:108], v[79:80], v[93:94]
	s_waitcnt vmcnt(7)
	v_fma_f64 v[79:80], v[105:106], v[81:82], v[79:80]
	ds_read_b64 v[81:82], v78 offset:600
	s_waitcnt vmcnt(6) lgkmcnt(1)
	v_fma_f64 v[79:80], v[103:104], v[83:84], v[79:80]
	s_waitcnt vmcnt(3)
	v_fma_f64 v[79:80], v[87:88], v[85:86], v[79:80]
	s_waitcnt vmcnt(2) lgkmcnt(0)
	v_fma_f64 v[79:80], v[89:90], v[81:82], v[79:80]
	s_waitcnt vmcnt(0)
	v_add_f64 v[79:80], v[91:92], -v[79:80]
	buffer_store_dword v80, off, s[0:3], 0 offset:196
	buffer_store_dword v79, off, s[0:3], 0 offset:192
	s_and_saveexec_b64 s[4:5], vcc
	s_cbranch_execz .LBB37_189
; %bb.188:
	buffer_load_dword v79, off, s[0:3], 0 offset:184
	buffer_load_dword v80, off, s[0:3], 0 offset:188
	s_waitcnt vmcnt(0)
	ds_write_b64 v77, v[79:80]
	buffer_store_dword v78, off, s[0:3], 0 offset:184
	buffer_store_dword v78, off, s[0:3], 0 offset:188
.LBB37_189:
	s_or_b64 exec, exec, s[4:5]
	s_waitcnt lgkmcnt(0)
	; wave barrier
	buffer_load_dword v87, off, s[0:3], 0 offset:192
	buffer_load_dword v88, off, s[0:3], 0 offset:196
	;; [unrolled: 1-line block ×22, first 2 shown]
	ds_read_b128 v[79:82], v78 offset:496
	ds_read_b128 v[83:86], v78 offset:512
	v_cmp_lt_u32_e32 vcc, 22, v0
	s_waitcnt vmcnt(20) lgkmcnt(1)
	v_fma_f64 v[79:80], v[87:88], v[79:80], 0
	s_waitcnt vmcnt(18)
	v_fma_f64 v[79:80], v[89:90], v[81:82], v[79:80]
	buffer_load_dword v88, off, s[0:3], 0 offset:284
	buffer_load_dword v89, off, s[0:3], 0 offset:296
	;; [unrolled: 1-line block ×6, first 2 shown]
	s_waitcnt vmcnt(22) lgkmcnt(0)
	v_fma_f64 v[79:80], v[91:92], v[83:84], v[79:80]
	s_waitcnt vmcnt(20)
	v_fma_f64 v[91:92], v[93:94], v[85:86], v[79:80]
	ds_read_b128 v[79:82], v78 offset:528
	buffer_load_dword v93, off, s[0:3], 0 offset:184
	buffer_load_dword v94, off, s[0:3], 0 offset:188
	ds_read_b128 v[83:86], v78 offset:544
	s_waitcnt vmcnt(20) lgkmcnt(1)
	v_fma_f64 v[79:80], v[95:96], v[79:80], v[91:92]
	s_waitcnt vmcnt(18)
	v_fma_f64 v[79:80], v[97:98], v[81:82], v[79:80]
	s_waitcnt vmcnt(16) lgkmcnt(0)
	v_fma_f64 v[79:80], v[99:100], v[83:84], v[79:80]
	s_waitcnt vmcnt(11)
	v_fma_f64 v[91:92], v[101:102], v[85:86], v[79:80]
	ds_read_b128 v[79:82], v78 offset:560
	ds_read_b128 v[83:86], v78 offset:576
	s_waitcnt vmcnt(10) lgkmcnt(1)
	v_fma_f64 v[79:80], v[107:108], v[79:80], v[91:92]
	s_waitcnt vmcnt(9)
	v_fma_f64 v[79:80], v[105:106], v[81:82], v[79:80]
	s_waitcnt vmcnt(8) lgkmcnt(0)
	v_fma_f64 v[79:80], v[103:104], v[83:84], v[79:80]
	s_waitcnt vmcnt(4)
	v_fma_f64 v[82:83], v[87:88], v[85:86], v[79:80]
	ds_read_b128 v[78:81], v78 offset:592
	s_waitcnt vmcnt(3) lgkmcnt(0)
	v_fma_f64 v[78:79], v[109:110], v[78:79], v[82:83]
	s_waitcnt vmcnt(2)
	v_fma_f64 v[78:79], v[89:90], v[80:81], v[78:79]
	s_waitcnt vmcnt(0)
	v_add_f64 v[78:79], v[93:94], -v[78:79]
	buffer_store_dword v79, off, s[0:3], 0 offset:188
	buffer_store_dword v78, off, s[0:3], 0 offset:184
	s_and_saveexec_b64 s[4:5], vcc
	s_cbranch_execz .LBB37_191
; %bb.190:
	buffer_load_dword v78, off, s[0:3], 0 offset:176
	buffer_load_dword v79, off, s[0:3], 0 offset:180
	v_mov_b32_e32 v80, 0
	buffer_store_dword v80, off, s[0:3], 0 offset:176
	buffer_store_dword v80, off, s[0:3], 0 offset:180
	s_waitcnt vmcnt(2)
	ds_write_b64 v77, v[78:79]
.LBB37_191:
	s_or_b64 exec, exec, s[4:5]
	s_waitcnt lgkmcnt(0)
	; wave barrier
	buffer_load_dword v87, off, s[0:3], 0 offset:184
	buffer_load_dword v88, off, s[0:3], 0 offset:188
	;; [unrolled: 1-line block ×22, first 2 shown]
	v_mov_b32_e32 v78, 0
	ds_read2_b64 v[79:82], v78 offset0:61 offset1:62
	ds_read2_b64 v[83:86], v78 offset0:63 offset1:64
	v_cmp_lt_u32_e32 vcc, 21, v0
	s_waitcnt vmcnt(20) lgkmcnt(1)
	v_fma_f64 v[79:80], v[87:88], v[79:80], 0
	s_waitcnt vmcnt(18)
	v_fma_f64 v[79:80], v[89:90], v[81:82], v[79:80]
	buffer_load_dword v88, off, s[0:3], 0 offset:276
	buffer_load_dword v89, off, s[0:3], 0 offset:296
	;; [unrolled: 1-line block ×8, first 2 shown]
	s_waitcnt vmcnt(24) lgkmcnt(0)
	v_fma_f64 v[79:80], v[91:92], v[83:84], v[79:80]
	s_waitcnt vmcnt(22)
	v_fma_f64 v[91:92], v[93:94], v[85:86], v[79:80]
	ds_read2_b64 v[79:82], v78 offset0:65 offset1:66
	ds_read2_b64 v[83:86], v78 offset0:67 offset1:68
	s_waitcnt vmcnt(20) lgkmcnt(1)
	v_fma_f64 v[79:80], v[95:96], v[79:80], v[91:92]
	buffer_load_dword v91, off, s[0:3], 0 offset:176
	buffer_load_dword v92, off, s[0:3], 0 offset:180
	s_waitcnt vmcnt(20)
	v_fma_f64 v[79:80], v[97:98], v[81:82], v[79:80]
	s_waitcnt vmcnt(18) lgkmcnt(0)
	v_fma_f64 v[79:80], v[99:100], v[83:84], v[79:80]
	s_waitcnt vmcnt(13)
	v_fma_f64 v[93:94], v[101:102], v[85:86], v[79:80]
	ds_read2_b64 v[79:82], v78 offset0:69 offset1:70
	ds_read2_b64 v[83:86], v78 offset0:71 offset1:72
	s_waitcnt vmcnt(12) lgkmcnt(1)
	v_fma_f64 v[79:80], v[107:108], v[79:80], v[93:94]
	s_waitcnt vmcnt(11)
	v_fma_f64 v[79:80], v[105:106], v[81:82], v[79:80]
	s_waitcnt vmcnt(10) lgkmcnt(0)
	v_fma_f64 v[79:80], v[103:104], v[83:84], v[79:80]
	s_waitcnt vmcnt(5)
	v_fma_f64 v[83:84], v[87:88], v[85:86], v[79:80]
	ds_read2_b64 v[79:82], v78 offset0:73 offset1:74
	ds_read_b64 v[85:86], v78 offset:600
	s_waitcnt vmcnt(4) lgkmcnt(1)
	v_fma_f64 v[79:80], v[111:112], v[79:80], v[83:84]
	s_waitcnt vmcnt(3)
	v_fma_f64 v[79:80], v[109:110], v[81:82], v[79:80]
	s_waitcnt vmcnt(2) lgkmcnt(0)
	v_fma_f64 v[79:80], v[89:90], v[85:86], v[79:80]
	s_waitcnt vmcnt(0)
	v_add_f64 v[79:80], v[91:92], -v[79:80]
	buffer_store_dword v80, off, s[0:3], 0 offset:180
	buffer_store_dword v79, off, s[0:3], 0 offset:176
	s_and_saveexec_b64 s[4:5], vcc
	s_cbranch_execz .LBB37_193
; %bb.192:
	buffer_load_dword v79, off, s[0:3], 0 offset:168
	buffer_load_dword v80, off, s[0:3], 0 offset:172
	s_waitcnt vmcnt(0)
	ds_write_b64 v77, v[79:80]
	buffer_store_dword v78, off, s[0:3], 0 offset:168
	buffer_store_dword v78, off, s[0:3], 0 offset:172
.LBB37_193:
	s_or_b64 exec, exec, s[4:5]
	s_waitcnt lgkmcnt(0)
	; wave barrier
	buffer_load_dword v87, off, s[0:3], 0 offset:176
	buffer_load_dword v88, off, s[0:3], 0 offset:180
	;; [unrolled: 1-line block ×22, first 2 shown]
	ds_read_b128 v[79:82], v78 offset:480
	ds_read_b128 v[83:86], v78 offset:496
	v_cmp_lt_u32_e32 vcc, 20, v0
	s_waitcnt vmcnt(20) lgkmcnt(1)
	v_fma_f64 v[79:80], v[87:88], v[79:80], 0
	s_waitcnt vmcnt(18)
	v_fma_f64 v[79:80], v[89:90], v[81:82], v[79:80]
	buffer_load_dword v88, off, s[0:3], 0 offset:268
	buffer_load_dword v89, off, s[0:3], 0 offset:288
	;; [unrolled: 1-line block ×8, first 2 shown]
	s_waitcnt vmcnt(24) lgkmcnt(0)
	v_fma_f64 v[79:80], v[91:92], v[83:84], v[79:80]
	s_waitcnt vmcnt(22)
	v_fma_f64 v[91:92], v[93:94], v[85:86], v[79:80]
	ds_read_b128 v[79:82], v78 offset:512
	ds_read_b128 v[83:86], v78 offset:528
	s_waitcnt vmcnt(20) lgkmcnt(1)
	v_fma_f64 v[79:80], v[95:96], v[79:80], v[91:92]
	buffer_load_dword v92, off, s[0:3], 0 offset:300
	buffer_load_dword v91, off, s[0:3], 0 offset:296
	;; [unrolled: 1-line block ×4, first 2 shown]
	s_waitcnt vmcnt(22)
	v_fma_f64 v[79:80], v[97:98], v[81:82], v[79:80]
	s_waitcnt vmcnt(20) lgkmcnt(0)
	v_fma_f64 v[79:80], v[99:100], v[83:84], v[79:80]
	s_waitcnt vmcnt(15)
	v_fma_f64 v[95:96], v[101:102], v[85:86], v[79:80]
	ds_read_b128 v[79:82], v78 offset:544
	ds_read_b128 v[83:86], v78 offset:560
	s_waitcnt vmcnt(14) lgkmcnt(1)
	v_fma_f64 v[79:80], v[107:108], v[79:80], v[95:96]
	s_waitcnt vmcnt(13)
	v_fma_f64 v[79:80], v[105:106], v[81:82], v[79:80]
	s_waitcnt vmcnt(12) lgkmcnt(0)
	v_fma_f64 v[79:80], v[103:104], v[83:84], v[79:80]
	s_waitcnt vmcnt(7)
	v_fma_f64 v[87:88], v[87:88], v[85:86], v[79:80]
	ds_read_b128 v[79:82], v78 offset:576
	ds_read_b128 v[83:86], v78 offset:592
	s_waitcnt vmcnt(6) lgkmcnt(1)
	v_fma_f64 v[78:79], v[111:112], v[79:80], v[87:88]
	s_waitcnt vmcnt(5)
	v_fma_f64 v[78:79], v[109:110], v[81:82], v[78:79]
	s_waitcnt vmcnt(4) lgkmcnt(0)
	v_fma_f64 v[78:79], v[89:90], v[83:84], v[78:79]
	s_waitcnt vmcnt(2)
	v_fma_f64 v[78:79], v[91:92], v[85:86], v[78:79]
	s_waitcnt vmcnt(0)
	v_add_f64 v[78:79], v[93:94], -v[78:79]
	buffer_store_dword v79, off, s[0:3], 0 offset:172
	buffer_store_dword v78, off, s[0:3], 0 offset:168
	s_and_saveexec_b64 s[4:5], vcc
	s_cbranch_execz .LBB37_195
; %bb.194:
	buffer_load_dword v78, off, s[0:3], 0 offset:160
	buffer_load_dword v79, off, s[0:3], 0 offset:164
	v_mov_b32_e32 v80, 0
	buffer_store_dword v80, off, s[0:3], 0 offset:160
	buffer_store_dword v80, off, s[0:3], 0 offset:164
	s_waitcnt vmcnt(2)
	ds_write_b64 v77, v[78:79]
.LBB37_195:
	s_or_b64 exec, exec, s[4:5]
	s_waitcnt lgkmcnt(0)
	; wave barrier
	buffer_load_dword v87, off, s[0:3], 0 offset:168
	buffer_load_dword v88, off, s[0:3], 0 offset:172
	;; [unrolled: 1-line block ×22, first 2 shown]
	v_mov_b32_e32 v78, 0
	ds_read2_b64 v[79:82], v78 offset0:59 offset1:60
	ds_read2_b64 v[83:86], v78 offset0:61 offset1:62
	v_cmp_lt_u32_e32 vcc, 19, v0
	s_waitcnt vmcnt(20) lgkmcnt(1)
	v_fma_f64 v[79:80], v[87:88], v[79:80], 0
	s_waitcnt vmcnt(18)
	v_fma_f64 v[79:80], v[89:90], v[81:82], v[79:80]
	buffer_load_dword v88, off, s[0:3], 0 offset:260
	buffer_load_dword v89, off, s[0:3], 0 offset:280
	;; [unrolled: 1-line block ×7, first 2 shown]
	s_waitcnt vmcnt(23) lgkmcnt(0)
	v_fma_f64 v[79:80], v[91:92], v[83:84], v[79:80]
	s_waitcnt vmcnt(21)
	v_fma_f64 v[90:91], v[93:94], v[85:86], v[79:80]
	ds_read2_b64 v[79:82], v78 offset0:63 offset1:64
	ds_read2_b64 v[83:86], v78 offset0:65 offset1:66
	s_waitcnt vmcnt(19) lgkmcnt(1)
	v_fma_f64 v[79:80], v[95:96], v[79:80], v[90:91]
	buffer_load_dword v90, off, s[0:3], 0 offset:284
	buffer_load_dword v92, off, s[0:3], 0 offset:292
	;; [unrolled: 1-line block ×7, first 2 shown]
	s_waitcnt vmcnt(24)
	v_fma_f64 v[79:80], v[97:98], v[81:82], v[79:80]
	s_waitcnt vmcnt(22) lgkmcnt(0)
	v_fma_f64 v[79:80], v[99:100], v[83:84], v[79:80]
	s_waitcnt vmcnt(17)
	v_fma_f64 v[97:98], v[101:102], v[85:86], v[79:80]
	ds_read2_b64 v[79:82], v78 offset0:67 offset1:68
	ds_read2_b64 v[83:86], v78 offset0:69 offset1:70
	s_waitcnt vmcnt(16) lgkmcnt(1)
	v_fma_f64 v[79:80], v[107:108], v[79:80], v[97:98]
	s_waitcnt vmcnt(15)
	v_fma_f64 v[79:80], v[105:106], v[81:82], v[79:80]
	s_waitcnt vmcnt(14) lgkmcnt(0)
	v_fma_f64 v[79:80], v[103:104], v[83:84], v[79:80]
	s_waitcnt vmcnt(9)
	v_fma_f64 v[87:88], v[87:88], v[85:86], v[79:80]
	ds_read2_b64 v[79:82], v78 offset0:71 offset1:72
	ds_read2_b64 v[83:86], v78 offset0:73 offset1:74
	s_waitcnt vmcnt(8) lgkmcnt(1)
	v_fma_f64 v[79:80], v[111:112], v[79:80], v[87:88]
	s_waitcnt vmcnt(7)
	v_fma_f64 v[79:80], v[109:110], v[81:82], v[79:80]
	ds_read_b64 v[81:82], v78 offset:600
	s_waitcnt vmcnt(6) lgkmcnt(1)
	v_fma_f64 v[79:80], v[89:90], v[83:84], v[79:80]
	s_waitcnt vmcnt(3)
	v_fma_f64 v[79:80], v[91:92], v[85:86], v[79:80]
	s_waitcnt vmcnt(2) lgkmcnt(0)
	v_fma_f64 v[79:80], v[93:94], v[81:82], v[79:80]
	s_waitcnt vmcnt(0)
	v_add_f64 v[79:80], v[95:96], -v[79:80]
	buffer_store_dword v80, off, s[0:3], 0 offset:164
	buffer_store_dword v79, off, s[0:3], 0 offset:160
	s_and_saveexec_b64 s[4:5], vcc
	s_cbranch_execz .LBB37_197
; %bb.196:
	buffer_load_dword v79, off, s[0:3], 0 offset:152
	buffer_load_dword v80, off, s[0:3], 0 offset:156
	s_waitcnt vmcnt(0)
	ds_write_b64 v77, v[79:80]
	buffer_store_dword v78, off, s[0:3], 0 offset:152
	buffer_store_dword v78, off, s[0:3], 0 offset:156
.LBB37_197:
	s_or_b64 exec, exec, s[4:5]
	s_waitcnt lgkmcnt(0)
	; wave barrier
	buffer_load_dword v87, off, s[0:3], 0 offset:160
	buffer_load_dword v88, off, s[0:3], 0 offset:164
	;; [unrolled: 1-line block ×22, first 2 shown]
	ds_read_b128 v[79:82], v78 offset:464
	ds_read_b128 v[83:86], v78 offset:480
	v_cmp_lt_u32_e32 vcc, 18, v0
	s_waitcnt vmcnt(20) lgkmcnt(1)
	v_fma_f64 v[79:80], v[87:88], v[79:80], 0
	s_waitcnt vmcnt(18)
	v_fma_f64 v[79:80], v[89:90], v[81:82], v[79:80]
	buffer_load_dword v88, off, s[0:3], 0 offset:252
	buffer_load_dword v89, off, s[0:3], 0 offset:272
	buffer_load_dword v109, off, s[0:3], 0 offset:264
	buffer_load_dword v111, off, s[0:3], 0 offset:256
	buffer_load_dword v87, off, s[0:3], 0 offset:248
	buffer_load_dword v112, off, s[0:3], 0 offset:260
	buffer_load_dword v110, off, s[0:3], 0 offset:268
	s_waitcnt vmcnt(23) lgkmcnt(0)
	v_fma_f64 v[79:80], v[91:92], v[83:84], v[79:80]
	s_waitcnt vmcnt(21)
	v_fma_f64 v[90:91], v[93:94], v[85:86], v[79:80]
	ds_read_b128 v[79:82], v78 offset:496
	ds_read_b128 v[83:86], v78 offset:512
	s_waitcnt vmcnt(19) lgkmcnt(1)
	v_fma_f64 v[79:80], v[95:96], v[79:80], v[90:91]
	buffer_load_dword v90, off, s[0:3], 0 offset:276
	buffer_load_dword v92, off, s[0:3], 0 offset:284
	;; [unrolled: 1-line block ×7, first 2 shown]
	s_waitcnt vmcnt(24)
	v_fma_f64 v[79:80], v[97:98], v[81:82], v[79:80]
	s_waitcnt vmcnt(22) lgkmcnt(0)
	v_fma_f64 v[79:80], v[99:100], v[83:84], v[79:80]
	s_waitcnt vmcnt(17)
	v_fma_f64 v[97:98], v[101:102], v[85:86], v[79:80]
	ds_read_b128 v[79:82], v78 offset:528
	buffer_load_dword v99, off, s[0:3], 0 offset:152
	buffer_load_dword v100, off, s[0:3], 0 offset:156
	ds_read_b128 v[83:86], v78 offset:544
	s_waitcnt vmcnt(18) lgkmcnt(1)
	v_fma_f64 v[79:80], v[107:108], v[79:80], v[97:98]
	s_waitcnt vmcnt(17)
	v_fma_f64 v[79:80], v[105:106], v[81:82], v[79:80]
	s_waitcnt vmcnt(16) lgkmcnt(0)
	v_fma_f64 v[79:80], v[103:104], v[83:84], v[79:80]
	s_waitcnt vmcnt(11)
	v_fma_f64 v[87:88], v[87:88], v[85:86], v[79:80]
	ds_read_b128 v[79:82], v78 offset:560
	ds_read_b128 v[83:86], v78 offset:576
	s_waitcnt vmcnt(10) lgkmcnt(1)
	v_fma_f64 v[79:80], v[111:112], v[79:80], v[87:88]
	s_waitcnt vmcnt(9)
	v_fma_f64 v[79:80], v[109:110], v[81:82], v[79:80]
	s_waitcnt vmcnt(8) lgkmcnt(0)
	v_fma_f64 v[79:80], v[89:90], v[83:84], v[79:80]
	s_waitcnt vmcnt(4)
	v_fma_f64 v[82:83], v[91:92], v[85:86], v[79:80]
	ds_read_b128 v[78:81], v78 offset:592
	s_waitcnt vmcnt(3) lgkmcnt(0)
	v_fma_f64 v[78:79], v[95:96], v[78:79], v[82:83]
	s_waitcnt vmcnt(2)
	v_fma_f64 v[78:79], v[93:94], v[80:81], v[78:79]
	s_waitcnt vmcnt(0)
	v_add_f64 v[78:79], v[99:100], -v[78:79]
	buffer_store_dword v79, off, s[0:3], 0 offset:156
	buffer_store_dword v78, off, s[0:3], 0 offset:152
	s_and_saveexec_b64 s[4:5], vcc
	s_cbranch_execz .LBB37_199
; %bb.198:
	buffer_load_dword v78, off, s[0:3], 0 offset:144
	buffer_load_dword v79, off, s[0:3], 0 offset:148
	v_mov_b32_e32 v80, 0
	buffer_store_dword v80, off, s[0:3], 0 offset:144
	buffer_store_dword v80, off, s[0:3], 0 offset:148
	s_waitcnt vmcnt(2)
	ds_write_b64 v77, v[78:79]
.LBB37_199:
	s_or_b64 exec, exec, s[4:5]
	s_waitcnt lgkmcnt(0)
	; wave barrier
	buffer_load_dword v87, off, s[0:3], 0 offset:152
	buffer_load_dword v88, off, s[0:3], 0 offset:156
	buffer_load_dword v89, off, s[0:3], 0 offset:160
	buffer_load_dword v90, off, s[0:3], 0 offset:164
	buffer_load_dword v91, off, s[0:3], 0 offset:168
	buffer_load_dword v92, off, s[0:3], 0 offset:172
	buffer_load_dword v93, off, s[0:3], 0 offset:176
	buffer_load_dword v94, off, s[0:3], 0 offset:180
	buffer_load_dword v95, off, s[0:3], 0 offset:184
	buffer_load_dword v96, off, s[0:3], 0 offset:188
	buffer_load_dword v97, off, s[0:3], 0 offset:192
	buffer_load_dword v98, off, s[0:3], 0 offset:196
	buffer_load_dword v99, off, s[0:3], 0 offset:200
	buffer_load_dword v100, off, s[0:3], 0 offset:204
	buffer_load_dword v102, off, s[0:3], 0 offset:212
	buffer_load_dword v103, off, s[0:3], 0 offset:232
	buffer_load_dword v105, off, s[0:3], 0 offset:224
	buffer_load_dword v107, off, s[0:3], 0 offset:216
	buffer_load_dword v101, off, s[0:3], 0 offset:208
	buffer_load_dword v108, off, s[0:3], 0 offset:220
	buffer_load_dword v106, off, s[0:3], 0 offset:228
	buffer_load_dword v104, off, s[0:3], 0 offset:236
	v_mov_b32_e32 v78, 0
	ds_read2_b64 v[79:82], v78 offset0:57 offset1:58
	ds_read2_b64 v[83:86], v78 offset0:59 offset1:60
	v_cmp_lt_u32_e32 vcc, 17, v0
	s_waitcnt vmcnt(20) lgkmcnt(1)
	v_fma_f64 v[79:80], v[87:88], v[79:80], 0
	s_waitcnt vmcnt(18)
	v_fma_f64 v[79:80], v[89:90], v[81:82], v[79:80]
	buffer_load_dword v88, off, s[0:3], 0 offset:244
	buffer_load_dword v89, off, s[0:3], 0 offset:264
	;; [unrolled: 1-line block ×7, first 2 shown]
	s_waitcnt vmcnt(23) lgkmcnt(0)
	v_fma_f64 v[79:80], v[91:92], v[83:84], v[79:80]
	s_waitcnt vmcnt(21)
	v_fma_f64 v[90:91], v[93:94], v[85:86], v[79:80]
	ds_read2_b64 v[79:82], v78 offset0:61 offset1:62
	ds_read2_b64 v[83:86], v78 offset0:63 offset1:64
	s_waitcnt vmcnt(19) lgkmcnt(1)
	v_fma_f64 v[79:80], v[95:96], v[79:80], v[90:91]
	buffer_load_dword v90, off, s[0:3], 0 offset:268
	s_waitcnt vmcnt(18)
	v_fma_f64 v[79:80], v[97:98], v[81:82], v[79:80]
	buffer_load_dword v92, off, s[0:3], 0 offset:276
	buffer_load_dword v93, off, s[0:3], 0 offset:296
	buffer_load_dword v95, off, s[0:3], 0 offset:288
	buffer_load_dword v97, off, s[0:3], 0 offset:280
	buffer_load_dword v91, off, s[0:3], 0 offset:272
	buffer_load_dword v98, off, s[0:3], 0 offset:284
	buffer_load_dword v96, off, s[0:3], 0 offset:292
	buffer_load_dword v94, off, s[0:3], 0 offset:300
	s_waitcnt vmcnt(24) lgkmcnt(0)
	v_fma_f64 v[79:80], v[99:100], v[83:84], v[79:80]
	s_waitcnt vmcnt(19)
	v_fma_f64 v[99:100], v[101:102], v[85:86], v[79:80]
	ds_read2_b64 v[79:82], v78 offset0:65 offset1:66
	ds_read2_b64 v[83:86], v78 offset0:67 offset1:68
	s_waitcnt vmcnt(18) lgkmcnt(1)
	v_fma_f64 v[79:80], v[107:108], v[79:80], v[99:100]
	buffer_load_dword v99, off, s[0:3], 0 offset:144
	buffer_load_dword v100, off, s[0:3], 0 offset:148
	s_waitcnt vmcnt(19)
	v_fma_f64 v[79:80], v[105:106], v[81:82], v[79:80]
	s_waitcnt vmcnt(18) lgkmcnt(0)
	v_fma_f64 v[79:80], v[103:104], v[83:84], v[79:80]
	s_waitcnt vmcnt(13)
	v_fma_f64 v[87:88], v[87:88], v[85:86], v[79:80]
	ds_read2_b64 v[79:82], v78 offset0:69 offset1:70
	ds_read2_b64 v[83:86], v78 offset0:71 offset1:72
	s_waitcnt vmcnt(12) lgkmcnt(1)
	v_fma_f64 v[79:80], v[111:112], v[79:80], v[87:88]
	s_waitcnt vmcnt(11)
	v_fma_f64 v[79:80], v[109:110], v[81:82], v[79:80]
	s_waitcnt vmcnt(10) lgkmcnt(0)
	v_fma_f64 v[79:80], v[89:90], v[83:84], v[79:80]
	s_waitcnt vmcnt(5)
	v_fma_f64 v[83:84], v[91:92], v[85:86], v[79:80]
	ds_read2_b64 v[79:82], v78 offset0:73 offset1:74
	ds_read_b64 v[85:86], v78 offset:600
	s_waitcnt vmcnt(4) lgkmcnt(1)
	v_fma_f64 v[79:80], v[97:98], v[79:80], v[83:84]
	s_waitcnt vmcnt(3)
	v_fma_f64 v[79:80], v[95:96], v[81:82], v[79:80]
	s_waitcnt vmcnt(2) lgkmcnt(0)
	v_fma_f64 v[79:80], v[93:94], v[85:86], v[79:80]
	s_waitcnt vmcnt(0)
	v_add_f64 v[79:80], v[99:100], -v[79:80]
	buffer_store_dword v80, off, s[0:3], 0 offset:148
	buffer_store_dword v79, off, s[0:3], 0 offset:144
	s_and_saveexec_b64 s[4:5], vcc
	s_cbranch_execz .LBB37_201
; %bb.200:
	buffer_load_dword v79, off, s[0:3], 0 offset:136
	buffer_load_dword v80, off, s[0:3], 0 offset:140
	s_waitcnt vmcnt(0)
	ds_write_b64 v77, v[79:80]
	buffer_store_dword v78, off, s[0:3], 0 offset:136
	buffer_store_dword v78, off, s[0:3], 0 offset:140
.LBB37_201:
	s_or_b64 exec, exec, s[4:5]
	s_waitcnt lgkmcnt(0)
	; wave barrier
	buffer_load_dword v87, off, s[0:3], 0 offset:144
	buffer_load_dword v88, off, s[0:3], 0 offset:148
	;; [unrolled: 1-line block ×22, first 2 shown]
	ds_read_b128 v[79:82], v78 offset:448
	ds_read_b128 v[83:86], v78 offset:464
	v_cmp_lt_u32_e32 vcc, 16, v0
	s_waitcnt vmcnt(20) lgkmcnt(1)
	v_fma_f64 v[79:80], v[87:88], v[79:80], 0
	s_waitcnt vmcnt(18)
	v_fma_f64 v[79:80], v[89:90], v[81:82], v[79:80]
	buffer_load_dword v88, off, s[0:3], 0 offset:236
	buffer_load_dword v89, off, s[0:3], 0 offset:256
	;; [unrolled: 1-line block ×7, first 2 shown]
	s_waitcnt vmcnt(23) lgkmcnt(0)
	v_fma_f64 v[79:80], v[91:92], v[83:84], v[79:80]
	s_waitcnt vmcnt(21)
	v_fma_f64 v[90:91], v[93:94], v[85:86], v[79:80]
	ds_read_b128 v[79:82], v78 offset:480
	ds_read_b128 v[83:86], v78 offset:496
	s_waitcnt vmcnt(19) lgkmcnt(1)
	v_fma_f64 v[79:80], v[95:96], v[79:80], v[90:91]
	buffer_load_dword v90, off, s[0:3], 0 offset:260
	s_waitcnt vmcnt(18)
	v_fma_f64 v[79:80], v[97:98], v[81:82], v[79:80]
	buffer_load_dword v92, off, s[0:3], 0 offset:268
	buffer_load_dword v93, off, s[0:3], 0 offset:288
	;; [unrolled: 1-line block ×8, first 2 shown]
	s_waitcnt vmcnt(24) lgkmcnt(0)
	v_fma_f64 v[79:80], v[99:100], v[83:84], v[79:80]
	s_waitcnt vmcnt(19)
	v_fma_f64 v[99:100], v[101:102], v[85:86], v[79:80]
	ds_read_b128 v[79:82], v78 offset:512
	ds_read_b128 v[83:86], v78 offset:528
	s_waitcnt vmcnt(18) lgkmcnt(1)
	v_fma_f64 v[79:80], v[107:108], v[79:80], v[99:100]
	buffer_load_dword v100, off, s[0:3], 0 offset:300
	buffer_load_dword v99, off, s[0:3], 0 offset:296
	;; [unrolled: 1-line block ×4, first 2 shown]
	s_waitcnt vmcnt(21)
	v_fma_f64 v[79:80], v[105:106], v[81:82], v[79:80]
	s_waitcnt vmcnt(20) lgkmcnt(0)
	v_fma_f64 v[79:80], v[103:104], v[83:84], v[79:80]
	s_waitcnt vmcnt(15)
	v_fma_f64 v[87:88], v[87:88], v[85:86], v[79:80]
	ds_read_b128 v[79:82], v78 offset:544
	ds_read_b128 v[83:86], v78 offset:560
	s_waitcnt vmcnt(14) lgkmcnt(1)
	v_fma_f64 v[79:80], v[111:112], v[79:80], v[87:88]
	s_waitcnt vmcnt(13)
	v_fma_f64 v[79:80], v[109:110], v[81:82], v[79:80]
	s_waitcnt vmcnt(12) lgkmcnt(0)
	v_fma_f64 v[79:80], v[89:90], v[83:84], v[79:80]
	s_waitcnt vmcnt(7)
	v_fma_f64 v[87:88], v[91:92], v[85:86], v[79:80]
	ds_read_b128 v[79:82], v78 offset:576
	ds_read_b128 v[83:86], v78 offset:592
	s_waitcnt vmcnt(6) lgkmcnt(1)
	v_fma_f64 v[78:79], v[97:98], v[79:80], v[87:88]
	s_waitcnt vmcnt(5)
	v_fma_f64 v[78:79], v[95:96], v[81:82], v[78:79]
	s_waitcnt vmcnt(4) lgkmcnt(0)
	v_fma_f64 v[78:79], v[93:94], v[83:84], v[78:79]
	s_waitcnt vmcnt(2)
	v_fma_f64 v[78:79], v[99:100], v[85:86], v[78:79]
	s_waitcnt vmcnt(0)
	v_add_f64 v[78:79], v[101:102], -v[78:79]
	buffer_store_dword v79, off, s[0:3], 0 offset:140
	buffer_store_dword v78, off, s[0:3], 0 offset:136
	s_and_saveexec_b64 s[4:5], vcc
	s_cbranch_execz .LBB37_203
; %bb.202:
	buffer_load_dword v78, off, s[0:3], 0 offset:128
	buffer_load_dword v79, off, s[0:3], 0 offset:132
	v_mov_b32_e32 v80, 0
	buffer_store_dword v80, off, s[0:3], 0 offset:128
	buffer_store_dword v80, off, s[0:3], 0 offset:132
	s_waitcnt vmcnt(2)
	ds_write_b64 v77, v[78:79]
.LBB37_203:
	s_or_b64 exec, exec, s[4:5]
	s_waitcnt lgkmcnt(0)
	; wave barrier
	buffer_load_dword v87, off, s[0:3], 0 offset:136
	buffer_load_dword v88, off, s[0:3], 0 offset:140
	;; [unrolled: 1-line block ×21, first 2 shown]
	v_mov_b32_e32 v78, 0
	ds_read2_b64 v[79:82], v78 offset0:55 offset1:56
	ds_read2_b64 v[83:86], v78 offset0:57 offset1:58
	buffer_load_dword v104, off, s[0:3], 0 offset:220
	v_cmp_lt_u32_e32 vcc, 15, v0
	s_waitcnt vmcnt(20) lgkmcnt(1)
	v_fma_f64 v[79:80], v[87:88], v[79:80], 0
	s_waitcnt vmcnt(18)
	v_fma_f64 v[79:80], v[89:90], v[81:82], v[79:80]
	buffer_load_dword v88, off, s[0:3], 0 offset:228
	buffer_load_dword v89, off, s[0:3], 0 offset:248
	;; [unrolled: 1-line block ×7, first 2 shown]
	s_waitcnt vmcnt(23) lgkmcnt(0)
	v_fma_f64 v[79:80], v[91:92], v[83:84], v[79:80]
	s_waitcnt vmcnt(21)
	v_fma_f64 v[90:91], v[93:94], v[85:86], v[79:80]
	ds_read2_b64 v[79:82], v78 offset0:59 offset1:60
	ds_read2_b64 v[83:86], v78 offset0:61 offset1:62
	s_waitcnt vmcnt(19) lgkmcnt(1)
	v_fma_f64 v[79:80], v[95:96], v[79:80], v[90:91]
	buffer_load_dword v90, off, s[0:3], 0 offset:252
	s_waitcnt vmcnt(18)
	v_fma_f64 v[79:80], v[97:98], v[81:82], v[79:80]
	buffer_load_dword v92, off, s[0:3], 0 offset:260
	buffer_load_dword v93, off, s[0:3], 0 offset:280
	;; [unrolled: 1-line block ×7, first 2 shown]
	s_waitcnt vmcnt(23) lgkmcnt(0)
	v_fma_f64 v[79:80], v[99:100], v[83:84], v[79:80]
	s_waitcnt vmcnt(18)
	v_fma_f64 v[99:100], v[101:102], v[85:86], v[79:80]
	ds_read2_b64 v[79:82], v78 offset0:63 offset1:64
	ds_read2_b64 v[83:86], v78 offset0:65 offset1:66
	buffer_load_dword v94, off, s[0:3], 0 offset:284
	s_waitcnt vmcnt(18) lgkmcnt(1)
	v_fma_f64 v[79:80], v[107:108], v[79:80], v[99:100]
	buffer_load_dword v100, off, s[0:3], 0 offset:292
	buffer_load_dword v101, off, s[0:3], 0 offset:296
	;; [unrolled: 1-line block ×4, first 2 shown]
	s_waitcnt vmcnt(21)
	v_fma_f64 v[79:80], v[105:106], v[81:82], v[79:80]
	s_waitcnt vmcnt(20) lgkmcnt(0)
	v_fma_f64 v[79:80], v[103:104], v[83:84], v[79:80]
	buffer_load_dword v103, off, s[0:3], 0 offset:128
	buffer_load_dword v104, off, s[0:3], 0 offset:132
	s_waitcnt vmcnt(17)
	v_fma_f64 v[87:88], v[87:88], v[85:86], v[79:80]
	ds_read2_b64 v[79:82], v78 offset0:67 offset1:68
	ds_read2_b64 v[83:86], v78 offset0:69 offset1:70
	s_waitcnt vmcnt(16) lgkmcnt(1)
	v_fma_f64 v[79:80], v[111:112], v[79:80], v[87:88]
	s_waitcnt vmcnt(15)
	v_fma_f64 v[79:80], v[109:110], v[81:82], v[79:80]
	s_waitcnt vmcnt(14) lgkmcnt(0)
	v_fma_f64 v[79:80], v[89:90], v[83:84], v[79:80]
	s_waitcnt vmcnt(9)
	v_fma_f64 v[87:88], v[91:92], v[85:86], v[79:80]
	ds_read2_b64 v[79:82], v78 offset0:71 offset1:72
	ds_read2_b64 v[83:86], v78 offset0:73 offset1:74
	s_waitcnt vmcnt(8) lgkmcnt(1)
	v_fma_f64 v[79:80], v[97:98], v[79:80], v[87:88]
	s_waitcnt vmcnt(7)
	v_fma_f64 v[79:80], v[95:96], v[81:82], v[79:80]
	ds_read_b64 v[81:82], v78 offset:600
	s_waitcnt vmcnt(6) lgkmcnt(1)
	v_fma_f64 v[79:80], v[93:94], v[83:84], v[79:80]
	s_waitcnt vmcnt(3)
	v_fma_f64 v[79:80], v[99:100], v[85:86], v[79:80]
	s_waitcnt vmcnt(2) lgkmcnt(0)
	v_fma_f64 v[79:80], v[101:102], v[81:82], v[79:80]
	s_waitcnt vmcnt(0)
	v_add_f64 v[79:80], v[103:104], -v[79:80]
	buffer_store_dword v80, off, s[0:3], 0 offset:132
	buffer_store_dword v79, off, s[0:3], 0 offset:128
	s_and_saveexec_b64 s[4:5], vcc
	s_cbranch_execz .LBB37_205
; %bb.204:
	buffer_load_dword v79, off, s[0:3], 0 offset:120
	buffer_load_dword v80, off, s[0:3], 0 offset:124
	s_waitcnt vmcnt(0)
	ds_write_b64 v77, v[79:80]
	buffer_store_dword v78, off, s[0:3], 0 offset:120
	buffer_store_dword v78, off, s[0:3], 0 offset:124
.LBB37_205:
	s_or_b64 exec, exec, s[4:5]
	s_waitcnt lgkmcnt(0)
	; wave barrier
	buffer_load_dword v87, off, s[0:3], 0 offset:128
	buffer_load_dword v88, off, s[0:3], 0 offset:132
	;; [unrolled: 1-line block ×21, first 2 shown]
	ds_read_b128 v[79:82], v78 offset:432
	ds_read_b128 v[83:86], v78 offset:448
	buffer_load_dword v104, off, s[0:3], 0 offset:212
	v_cmp_lt_u32_e32 vcc, 14, v0
	s_waitcnt vmcnt(20) lgkmcnt(1)
	v_fma_f64 v[79:80], v[87:88], v[79:80], 0
	s_waitcnt vmcnt(18)
	v_fma_f64 v[79:80], v[89:90], v[81:82], v[79:80]
	buffer_load_dword v88, off, s[0:3], 0 offset:220
	buffer_load_dword v89, off, s[0:3], 0 offset:240
	;; [unrolled: 1-line block ×7, first 2 shown]
	s_waitcnt vmcnt(23) lgkmcnt(0)
	v_fma_f64 v[79:80], v[91:92], v[83:84], v[79:80]
	s_waitcnt vmcnt(21)
	v_fma_f64 v[90:91], v[93:94], v[85:86], v[79:80]
	ds_read_b128 v[79:82], v78 offset:464
	ds_read_b128 v[83:86], v78 offset:480
	s_waitcnt vmcnt(19) lgkmcnt(1)
	v_fma_f64 v[79:80], v[95:96], v[79:80], v[90:91]
	buffer_load_dword v90, off, s[0:3], 0 offset:244
	s_waitcnt vmcnt(18)
	v_fma_f64 v[79:80], v[97:98], v[81:82], v[79:80]
	buffer_load_dword v92, off, s[0:3], 0 offset:252
	buffer_load_dword v93, off, s[0:3], 0 offset:272
	;; [unrolled: 1-line block ×8, first 2 shown]
	s_waitcnt vmcnt(24) lgkmcnt(0)
	v_fma_f64 v[79:80], v[99:100], v[83:84], v[79:80]
	s_waitcnt vmcnt(19)
	v_fma_f64 v[99:100], v[101:102], v[85:86], v[79:80]
	ds_read_b128 v[79:82], v78 offset:496
	ds_read_b128 v[83:86], v78 offset:512
	s_waitcnt vmcnt(18) lgkmcnt(1)
	v_fma_f64 v[79:80], v[107:108], v[79:80], v[99:100]
	s_waitcnt vmcnt(17)
	v_fma_f64 v[79:80], v[105:106], v[81:82], v[79:80]
	buffer_load_dword v100, off, s[0:3], 0 offset:284
	buffer_load_dword v101, off, s[0:3], 0 offset:296
	;; [unrolled: 1-line block ×6, first 2 shown]
	s_waitcnt vmcnt(22) lgkmcnt(0)
	v_fma_f64 v[79:80], v[103:104], v[83:84], v[79:80]
	s_waitcnt vmcnt(17)
	v_fma_f64 v[87:88], v[87:88], v[85:86], v[79:80]
	ds_read_b128 v[79:82], v78 offset:528
	buffer_load_dword v103, off, s[0:3], 0 offset:120
	buffer_load_dword v104, off, s[0:3], 0 offset:124
	ds_read_b128 v[83:86], v78 offset:544
	s_waitcnt vmcnt(18) lgkmcnt(1)
	v_fma_f64 v[79:80], v[111:112], v[79:80], v[87:88]
	s_waitcnt vmcnt(17)
	v_fma_f64 v[79:80], v[109:110], v[81:82], v[79:80]
	s_waitcnt vmcnt(16) lgkmcnt(0)
	v_fma_f64 v[79:80], v[89:90], v[83:84], v[79:80]
	s_waitcnt vmcnt(11)
	v_fma_f64 v[87:88], v[91:92], v[85:86], v[79:80]
	ds_read_b128 v[79:82], v78 offset:560
	ds_read_b128 v[83:86], v78 offset:576
	s_waitcnt vmcnt(10) lgkmcnt(1)
	v_fma_f64 v[79:80], v[97:98], v[79:80], v[87:88]
	s_waitcnt vmcnt(9)
	v_fma_f64 v[79:80], v[95:96], v[81:82], v[79:80]
	s_waitcnt vmcnt(8) lgkmcnt(0)
	v_fma_f64 v[79:80], v[93:94], v[83:84], v[79:80]
	s_waitcnt vmcnt(4)
	v_fma_f64 v[82:83], v[99:100], v[85:86], v[79:80]
	ds_read_b128 v[78:81], v78 offset:592
	s_waitcnt vmcnt(3) lgkmcnt(0)
	v_fma_f64 v[78:79], v[105:106], v[78:79], v[82:83]
	s_waitcnt vmcnt(2)
	v_fma_f64 v[78:79], v[101:102], v[80:81], v[78:79]
	s_waitcnt vmcnt(0)
	v_add_f64 v[78:79], v[103:104], -v[78:79]
	buffer_store_dword v79, off, s[0:3], 0 offset:124
	buffer_store_dword v78, off, s[0:3], 0 offset:120
	s_and_saveexec_b64 s[4:5], vcc
	s_cbranch_execz .LBB37_207
; %bb.206:
	buffer_load_dword v78, off, s[0:3], 0 offset:112
	buffer_load_dword v79, off, s[0:3], 0 offset:116
	v_mov_b32_e32 v80, 0
	buffer_store_dword v80, off, s[0:3], 0 offset:112
	buffer_store_dword v80, off, s[0:3], 0 offset:116
	s_waitcnt vmcnt(2)
	ds_write_b64 v77, v[78:79]
.LBB37_207:
	s_or_b64 exec, exec, s[4:5]
	s_waitcnt lgkmcnt(0)
	; wave barrier
	buffer_load_dword v87, off, s[0:3], 0 offset:120
	buffer_load_dword v88, off, s[0:3], 0 offset:124
	;; [unrolled: 1-line block ×21, first 2 shown]
	v_mov_b32_e32 v78, 0
	ds_read2_b64 v[79:82], v78 offset0:53 offset1:54
	ds_read2_b64 v[83:86], v78 offset0:55 offset1:56
	buffer_load_dword v104, off, s[0:3], 0 offset:204
	v_cmp_lt_u32_e32 vcc, 13, v0
	s_waitcnt vmcnt(20) lgkmcnt(1)
	v_fma_f64 v[79:80], v[87:88], v[79:80], 0
	s_waitcnt vmcnt(18)
	v_fma_f64 v[79:80], v[89:90], v[81:82], v[79:80]
	buffer_load_dword v88, off, s[0:3], 0 offset:212
	buffer_load_dword v89, off, s[0:3], 0 offset:232
	buffer_load_dword v109, off, s[0:3], 0 offset:224
	buffer_load_dword v111, off, s[0:3], 0 offset:216
	buffer_load_dword v87, off, s[0:3], 0 offset:208
	buffer_load_dword v112, off, s[0:3], 0 offset:220
	buffer_load_dword v110, off, s[0:3], 0 offset:228
	s_waitcnt vmcnt(23) lgkmcnt(0)
	v_fma_f64 v[79:80], v[91:92], v[83:84], v[79:80]
	s_waitcnt vmcnt(21)
	v_fma_f64 v[90:91], v[93:94], v[85:86], v[79:80]
	ds_read2_b64 v[79:82], v78 offset0:57 offset1:58
	ds_read2_b64 v[83:86], v78 offset0:59 offset1:60
	s_waitcnt vmcnt(19) lgkmcnt(1)
	v_fma_f64 v[79:80], v[95:96], v[79:80], v[90:91]
	buffer_load_dword v90, off, s[0:3], 0 offset:236
	s_waitcnt vmcnt(18)
	v_fma_f64 v[79:80], v[97:98], v[81:82], v[79:80]
	buffer_load_dword v92, off, s[0:3], 0 offset:244
	buffer_load_dword v93, off, s[0:3], 0 offset:264
	;; [unrolled: 1-line block ×8, first 2 shown]
	s_waitcnt vmcnt(24) lgkmcnt(0)
	v_fma_f64 v[79:80], v[99:100], v[83:84], v[79:80]
	s_waitcnt vmcnt(19)
	v_fma_f64 v[99:100], v[101:102], v[85:86], v[79:80]
	ds_read2_b64 v[79:82], v78 offset0:61 offset1:62
	ds_read2_b64 v[83:86], v78 offset0:63 offset1:64
	s_waitcnt vmcnt(18) lgkmcnt(1)
	v_fma_f64 v[79:80], v[107:108], v[79:80], v[99:100]
	s_waitcnt vmcnt(17)
	v_fma_f64 v[79:80], v[105:106], v[81:82], v[79:80]
	buffer_load_dword v100, off, s[0:3], 0 offset:276
	buffer_load_dword v101, off, s[0:3], 0 offset:296
	;; [unrolled: 1-line block ×8, first 2 shown]
	s_waitcnt vmcnt(24) lgkmcnt(0)
	v_fma_f64 v[79:80], v[103:104], v[83:84], v[79:80]
	s_waitcnt vmcnt(19)
	v_fma_f64 v[87:88], v[87:88], v[85:86], v[79:80]
	ds_read2_b64 v[79:82], v78 offset0:65 offset1:66
	ds_read2_b64 v[83:86], v78 offset0:67 offset1:68
	s_waitcnt vmcnt(18) lgkmcnt(1)
	v_fma_f64 v[79:80], v[111:112], v[79:80], v[87:88]
	buffer_load_dword v87, off, s[0:3], 0 offset:112
	buffer_load_dword v88, off, s[0:3], 0 offset:116
	s_waitcnt vmcnt(19)
	v_fma_f64 v[79:80], v[109:110], v[81:82], v[79:80]
	s_waitcnt vmcnt(18) lgkmcnt(0)
	v_fma_f64 v[79:80], v[89:90], v[83:84], v[79:80]
	s_waitcnt vmcnt(13)
	v_fma_f64 v[89:90], v[91:92], v[85:86], v[79:80]
	ds_read2_b64 v[79:82], v78 offset0:69 offset1:70
	ds_read2_b64 v[83:86], v78 offset0:71 offset1:72
	s_waitcnt vmcnt(12) lgkmcnt(1)
	v_fma_f64 v[79:80], v[97:98], v[79:80], v[89:90]
	s_waitcnt vmcnt(11)
	v_fma_f64 v[79:80], v[95:96], v[81:82], v[79:80]
	s_waitcnt vmcnt(10) lgkmcnt(0)
	v_fma_f64 v[79:80], v[93:94], v[83:84], v[79:80]
	s_waitcnt vmcnt(5)
	v_fma_f64 v[83:84], v[99:100], v[85:86], v[79:80]
	ds_read2_b64 v[79:82], v78 offset0:73 offset1:74
	ds_read_b64 v[85:86], v78 offset:600
	s_waitcnt vmcnt(4) lgkmcnt(1)
	v_fma_f64 v[79:80], v[107:108], v[79:80], v[83:84]
	s_waitcnt vmcnt(3)
	v_fma_f64 v[79:80], v[105:106], v[81:82], v[79:80]
	s_waitcnt vmcnt(2) lgkmcnt(0)
	v_fma_f64 v[79:80], v[101:102], v[85:86], v[79:80]
	s_waitcnt vmcnt(0)
	v_add_f64 v[79:80], v[87:88], -v[79:80]
	buffer_store_dword v80, off, s[0:3], 0 offset:116
	buffer_store_dword v79, off, s[0:3], 0 offset:112
	s_and_saveexec_b64 s[4:5], vcc
	s_cbranch_execz .LBB37_209
; %bb.208:
	buffer_load_dword v79, off, s[0:3], 0 offset:104
	buffer_load_dword v80, off, s[0:3], 0 offset:108
	s_waitcnt vmcnt(0)
	ds_write_b64 v77, v[79:80]
	buffer_store_dword v78, off, s[0:3], 0 offset:104
	buffer_store_dword v78, off, s[0:3], 0 offset:108
.LBB37_209:
	s_or_b64 exec, exec, s[4:5]
	s_waitcnt lgkmcnt(0)
	; wave barrier
	buffer_load_dword v87, off, s[0:3], 0 offset:112
	buffer_load_dword v88, off, s[0:3], 0 offset:116
	;; [unrolled: 1-line block ×21, first 2 shown]
	ds_read_b128 v[79:82], v78 offset:416
	ds_read_b128 v[83:86], v78 offset:432
	buffer_load_dword v104, off, s[0:3], 0 offset:196
	v_cmp_lt_u32_e32 vcc, 12, v0
	s_waitcnt vmcnt(20) lgkmcnt(1)
	v_fma_f64 v[79:80], v[87:88], v[79:80], 0
	s_waitcnt vmcnt(18)
	v_fma_f64 v[79:80], v[89:90], v[81:82], v[79:80]
	buffer_load_dword v88, off, s[0:3], 0 offset:204
	buffer_load_dword v89, off, s[0:3], 0 offset:224
	;; [unrolled: 1-line block ×7, first 2 shown]
	s_waitcnt vmcnt(23) lgkmcnt(0)
	v_fma_f64 v[79:80], v[91:92], v[83:84], v[79:80]
	s_waitcnt vmcnt(21)
	v_fma_f64 v[90:91], v[93:94], v[85:86], v[79:80]
	ds_read_b128 v[79:82], v78 offset:448
	ds_read_b128 v[83:86], v78 offset:464
	s_waitcnt vmcnt(19) lgkmcnt(1)
	v_fma_f64 v[79:80], v[95:96], v[79:80], v[90:91]
	buffer_load_dword v90, off, s[0:3], 0 offset:228
	s_waitcnt vmcnt(18)
	v_fma_f64 v[79:80], v[97:98], v[81:82], v[79:80]
	buffer_load_dword v92, off, s[0:3], 0 offset:236
	buffer_load_dword v93, off, s[0:3], 0 offset:256
	;; [unrolled: 1-line block ×8, first 2 shown]
	s_waitcnt vmcnt(24) lgkmcnt(0)
	v_fma_f64 v[79:80], v[99:100], v[83:84], v[79:80]
	s_waitcnt vmcnt(19)
	v_fma_f64 v[99:100], v[101:102], v[85:86], v[79:80]
	ds_read_b128 v[79:82], v78 offset:480
	ds_read_b128 v[83:86], v78 offset:496
	s_waitcnt vmcnt(18) lgkmcnt(1)
	v_fma_f64 v[79:80], v[107:108], v[79:80], v[99:100]
	s_waitcnt vmcnt(17)
	v_fma_f64 v[79:80], v[105:106], v[81:82], v[79:80]
	buffer_load_dword v100, off, s[0:3], 0 offset:268
	buffer_load_dword v101, off, s[0:3], 0 offset:288
	buffer_load_dword v105, off, s[0:3], 0 offset:280
	buffer_load_dword v107, off, s[0:3], 0 offset:272
	buffer_load_dword v99, off, s[0:3], 0 offset:264
	buffer_load_dword v108, off, s[0:3], 0 offset:276
	buffer_load_dword v106, off, s[0:3], 0 offset:284
	buffer_load_dword v102, off, s[0:3], 0 offset:292
	s_waitcnt vmcnt(24) lgkmcnt(0)
	v_fma_f64 v[79:80], v[103:104], v[83:84], v[79:80]
	s_waitcnt vmcnt(19)
	v_fma_f64 v[87:88], v[87:88], v[85:86], v[79:80]
	ds_read_b128 v[79:82], v78 offset:512
	ds_read_b128 v[83:86], v78 offset:528
	s_waitcnt vmcnt(18) lgkmcnt(1)
	v_fma_f64 v[79:80], v[111:112], v[79:80], v[87:88]
	buffer_load_dword v88, off, s[0:3], 0 offset:300
	buffer_load_dword v87, off, s[0:3], 0 offset:296
	;; [unrolled: 1-line block ×4, first 2 shown]
	s_waitcnt vmcnt(21)
	v_fma_f64 v[79:80], v[109:110], v[81:82], v[79:80]
	s_waitcnt vmcnt(20) lgkmcnt(0)
	v_fma_f64 v[79:80], v[89:90], v[83:84], v[79:80]
	s_waitcnt vmcnt(15)
	v_fma_f64 v[89:90], v[91:92], v[85:86], v[79:80]
	ds_read_b128 v[79:82], v78 offset:544
	ds_read_b128 v[83:86], v78 offset:560
	s_waitcnt vmcnt(14) lgkmcnt(1)
	v_fma_f64 v[79:80], v[97:98], v[79:80], v[89:90]
	s_waitcnt vmcnt(13)
	v_fma_f64 v[79:80], v[95:96], v[81:82], v[79:80]
	s_waitcnt vmcnt(12) lgkmcnt(0)
	v_fma_f64 v[79:80], v[93:94], v[83:84], v[79:80]
	s_waitcnt vmcnt(7)
	v_fma_f64 v[89:90], v[99:100], v[85:86], v[79:80]
	ds_read_b128 v[79:82], v78 offset:576
	ds_read_b128 v[83:86], v78 offset:592
	s_waitcnt vmcnt(6) lgkmcnt(1)
	v_fma_f64 v[78:79], v[107:108], v[79:80], v[89:90]
	s_waitcnt vmcnt(5)
	v_fma_f64 v[78:79], v[105:106], v[81:82], v[78:79]
	s_waitcnt vmcnt(4) lgkmcnt(0)
	v_fma_f64 v[78:79], v[101:102], v[83:84], v[78:79]
	s_waitcnt vmcnt(2)
	v_fma_f64 v[78:79], v[87:88], v[85:86], v[78:79]
	s_waitcnt vmcnt(0)
	v_add_f64 v[78:79], v[103:104], -v[78:79]
	buffer_store_dword v79, off, s[0:3], 0 offset:108
	buffer_store_dword v78, off, s[0:3], 0 offset:104
	s_and_saveexec_b64 s[4:5], vcc
	s_cbranch_execz .LBB37_211
; %bb.210:
	buffer_load_dword v78, off, s[0:3], 0 offset:96
	buffer_load_dword v79, off, s[0:3], 0 offset:100
	v_mov_b32_e32 v80, 0
	buffer_store_dword v80, off, s[0:3], 0 offset:96
	buffer_store_dword v80, off, s[0:3], 0 offset:100
	s_waitcnt vmcnt(2)
	ds_write_b64 v77, v[78:79]
.LBB37_211:
	s_or_b64 exec, exec, s[4:5]
	s_waitcnt lgkmcnt(0)
	; wave barrier
	buffer_load_dword v87, off, s[0:3], 0 offset:104
	buffer_load_dword v88, off, s[0:3], 0 offset:108
	;; [unrolled: 1-line block ×21, first 2 shown]
	v_mov_b32_e32 v78, 0
	ds_read2_b64 v[79:82], v78 offset0:51 offset1:52
	ds_read2_b64 v[83:86], v78 offset0:53 offset1:54
	buffer_load_dword v104, off, s[0:3], 0 offset:188
	v_cmp_lt_u32_e32 vcc, 11, v0
	s_waitcnt vmcnt(20) lgkmcnt(1)
	v_fma_f64 v[79:80], v[87:88], v[79:80], 0
	s_waitcnt vmcnt(18)
	v_fma_f64 v[79:80], v[89:90], v[81:82], v[79:80]
	buffer_load_dword v88, off, s[0:3], 0 offset:196
	buffer_load_dword v89, off, s[0:3], 0 offset:216
	;; [unrolled: 1-line block ×7, first 2 shown]
	s_waitcnt vmcnt(23) lgkmcnt(0)
	v_fma_f64 v[79:80], v[91:92], v[83:84], v[79:80]
	s_waitcnt vmcnt(21)
	v_fma_f64 v[90:91], v[93:94], v[85:86], v[79:80]
	ds_read2_b64 v[79:82], v78 offset0:55 offset1:56
	ds_read2_b64 v[83:86], v78 offset0:57 offset1:58
	s_waitcnt vmcnt(19) lgkmcnt(1)
	v_fma_f64 v[79:80], v[95:96], v[79:80], v[90:91]
	buffer_load_dword v90, off, s[0:3], 0 offset:220
	s_waitcnt vmcnt(18)
	v_fma_f64 v[79:80], v[97:98], v[81:82], v[79:80]
	buffer_load_dword v92, off, s[0:3], 0 offset:228
	buffer_load_dword v93, off, s[0:3], 0 offset:248
	;; [unrolled: 1-line block ×8, first 2 shown]
	s_waitcnt vmcnt(24) lgkmcnt(0)
	v_fma_f64 v[79:80], v[99:100], v[83:84], v[79:80]
	s_waitcnt vmcnt(19)
	v_fma_f64 v[99:100], v[101:102], v[85:86], v[79:80]
	ds_read2_b64 v[79:82], v78 offset0:59 offset1:60
	ds_read2_b64 v[83:86], v78 offset0:61 offset1:62
	s_waitcnt vmcnt(18) lgkmcnt(1)
	v_fma_f64 v[79:80], v[107:108], v[79:80], v[99:100]
	s_waitcnt vmcnt(17)
	v_fma_f64 v[79:80], v[105:106], v[81:82], v[79:80]
	buffer_load_dword v100, off, s[0:3], 0 offset:260
	buffer_load_dword v101, off, s[0:3], 0 offset:280
	;; [unrolled: 1-line block ×7, first 2 shown]
	s_waitcnt vmcnt(23) lgkmcnt(0)
	v_fma_f64 v[79:80], v[103:104], v[83:84], v[79:80]
	s_waitcnt vmcnt(18)
	v_fma_f64 v[87:88], v[87:88], v[85:86], v[79:80]
	ds_read2_b64 v[79:82], v78 offset0:63 offset1:64
	ds_read2_b64 v[83:86], v78 offset0:65 offset1:66
	buffer_load_dword v102, off, s[0:3], 0 offset:284
	s_waitcnt vmcnt(18) lgkmcnt(1)
	v_fma_f64 v[79:80], v[111:112], v[79:80], v[87:88]
	buffer_load_dword v88, off, s[0:3], 0 offset:292
	buffer_load_dword v103, off, s[0:3], 0 offset:296
	;; [unrolled: 1-line block ×4, first 2 shown]
	s_waitcnt vmcnt(21)
	v_fma_f64 v[79:80], v[109:110], v[81:82], v[79:80]
	s_waitcnt vmcnt(20) lgkmcnt(0)
	v_fma_f64 v[79:80], v[89:90], v[83:84], v[79:80]
	buffer_load_dword v89, off, s[0:3], 0 offset:96
	buffer_load_dword v90, off, s[0:3], 0 offset:100
	s_waitcnt vmcnt(17)
	v_fma_f64 v[91:92], v[91:92], v[85:86], v[79:80]
	ds_read2_b64 v[79:82], v78 offset0:67 offset1:68
	ds_read2_b64 v[83:86], v78 offset0:69 offset1:70
	s_waitcnt vmcnt(16) lgkmcnt(1)
	v_fma_f64 v[79:80], v[97:98], v[79:80], v[91:92]
	s_waitcnt vmcnt(15)
	v_fma_f64 v[79:80], v[95:96], v[81:82], v[79:80]
	s_waitcnt vmcnt(14) lgkmcnt(0)
	v_fma_f64 v[79:80], v[93:94], v[83:84], v[79:80]
	s_waitcnt vmcnt(9)
	v_fma_f64 v[91:92], v[99:100], v[85:86], v[79:80]
	ds_read2_b64 v[79:82], v78 offset0:71 offset1:72
	ds_read2_b64 v[83:86], v78 offset0:73 offset1:74
	s_waitcnt vmcnt(8) lgkmcnt(1)
	v_fma_f64 v[79:80], v[107:108], v[79:80], v[91:92]
	s_waitcnt vmcnt(7)
	v_fma_f64 v[79:80], v[105:106], v[81:82], v[79:80]
	ds_read_b64 v[81:82], v78 offset:600
	s_waitcnt vmcnt(6) lgkmcnt(1)
	v_fma_f64 v[79:80], v[101:102], v[83:84], v[79:80]
	s_waitcnt vmcnt(3)
	v_fma_f64 v[79:80], v[87:88], v[85:86], v[79:80]
	s_waitcnt vmcnt(2) lgkmcnt(0)
	v_fma_f64 v[79:80], v[103:104], v[81:82], v[79:80]
	s_waitcnt vmcnt(0)
	v_add_f64 v[79:80], v[89:90], -v[79:80]
	buffer_store_dword v80, off, s[0:3], 0 offset:100
	buffer_store_dword v79, off, s[0:3], 0 offset:96
	s_and_saveexec_b64 s[4:5], vcc
	s_cbranch_execz .LBB37_213
; %bb.212:
	buffer_load_dword v79, off, s[0:3], 0 offset:88
	buffer_load_dword v80, off, s[0:3], 0 offset:92
	s_waitcnt vmcnt(0)
	ds_write_b64 v77, v[79:80]
	buffer_store_dword v78, off, s[0:3], 0 offset:88
	buffer_store_dword v78, off, s[0:3], 0 offset:92
.LBB37_213:
	s_or_b64 exec, exec, s[4:5]
	s_waitcnt lgkmcnt(0)
	; wave barrier
	buffer_load_dword v87, off, s[0:3], 0 offset:96
	buffer_load_dword v88, off, s[0:3], 0 offset:100
	;; [unrolled: 1-line block ×22, first 2 shown]
	ds_read_b128 v[79:82], v78 offset:400
	ds_read_b128 v[83:86], v78 offset:416
	v_cmp_lt_u32_e32 vcc, 10, v0
	s_waitcnt vmcnt(20) lgkmcnt(1)
	v_fma_f64 v[79:80], v[87:88], v[79:80], 0
	s_waitcnt vmcnt(18)
	v_fma_f64 v[79:80], v[89:90], v[81:82], v[79:80]
	buffer_load_dword v88, off, s[0:3], 0 offset:188
	buffer_load_dword v89, off, s[0:3], 0 offset:208
	;; [unrolled: 1-line block ×7, first 2 shown]
	s_waitcnt vmcnt(23) lgkmcnt(0)
	v_fma_f64 v[79:80], v[91:92], v[83:84], v[79:80]
	s_waitcnt vmcnt(21)
	v_fma_f64 v[90:91], v[93:94], v[85:86], v[79:80]
	ds_read_b128 v[79:82], v78 offset:432
	ds_read_b128 v[83:86], v78 offset:448
	s_waitcnt vmcnt(19) lgkmcnt(1)
	v_fma_f64 v[79:80], v[95:96], v[79:80], v[90:91]
	buffer_load_dword v90, off, s[0:3], 0 offset:212
	s_waitcnt vmcnt(18)
	v_fma_f64 v[79:80], v[97:98], v[81:82], v[79:80]
	buffer_load_dword v92, off, s[0:3], 0 offset:220
	buffer_load_dword v93, off, s[0:3], 0 offset:240
	;; [unrolled: 1-line block ×8, first 2 shown]
	s_waitcnt vmcnt(24) lgkmcnt(0)
	v_fma_f64 v[79:80], v[99:100], v[83:84], v[79:80]
	s_waitcnt vmcnt(19)
	v_fma_f64 v[99:100], v[101:102], v[85:86], v[79:80]
	ds_read_b128 v[79:82], v78 offset:464
	ds_read_b128 v[83:86], v78 offset:480
	s_waitcnt vmcnt(18) lgkmcnt(1)
	v_fma_f64 v[79:80], v[107:108], v[79:80], v[99:100]
	s_waitcnt vmcnt(17)
	v_fma_f64 v[79:80], v[105:106], v[81:82], v[79:80]
	buffer_load_dword v100, off, s[0:3], 0 offset:252
	buffer_load_dword v101, off, s[0:3], 0 offset:272
	;; [unrolled: 1-line block ×8, first 2 shown]
	s_waitcnt vmcnt(24) lgkmcnt(0)
	v_fma_f64 v[79:80], v[103:104], v[83:84], v[79:80]
	s_waitcnt vmcnt(19)
	v_fma_f64 v[87:88], v[87:88], v[85:86], v[79:80]
	ds_read_b128 v[79:82], v78 offset:496
	ds_read_b128 v[83:86], v78 offset:512
	s_waitcnt vmcnt(18) lgkmcnt(1)
	v_fma_f64 v[79:80], v[111:112], v[79:80], v[87:88]
	s_waitcnt vmcnt(17)
	v_fma_f64 v[79:80], v[109:110], v[81:82], v[79:80]
	buffer_load_dword v88, off, s[0:3], 0 offset:284
	buffer_load_dword v103, off, s[0:3], 0 offset:296
	;; [unrolled: 1-line block ×6, first 2 shown]
	s_waitcnt vmcnt(22) lgkmcnt(0)
	v_fma_f64 v[79:80], v[89:90], v[83:84], v[79:80]
	s_waitcnt vmcnt(17)
	v_fma_f64 v[89:90], v[91:92], v[85:86], v[79:80]
	ds_read_b128 v[79:82], v78 offset:528
	buffer_load_dword v91, off, s[0:3], 0 offset:88
	buffer_load_dword v92, off, s[0:3], 0 offset:92
	ds_read_b128 v[83:86], v78 offset:544
	s_waitcnt vmcnt(18) lgkmcnt(1)
	v_fma_f64 v[79:80], v[97:98], v[79:80], v[89:90]
	s_waitcnt vmcnt(17)
	v_fma_f64 v[79:80], v[95:96], v[81:82], v[79:80]
	s_waitcnt vmcnt(16) lgkmcnt(0)
	v_fma_f64 v[79:80], v[93:94], v[83:84], v[79:80]
	s_waitcnt vmcnt(11)
	v_fma_f64 v[89:90], v[99:100], v[85:86], v[79:80]
	ds_read_b128 v[79:82], v78 offset:560
	ds_read_b128 v[83:86], v78 offset:576
	s_waitcnt vmcnt(10) lgkmcnt(1)
	v_fma_f64 v[79:80], v[107:108], v[79:80], v[89:90]
	s_waitcnt vmcnt(9)
	v_fma_f64 v[79:80], v[105:106], v[81:82], v[79:80]
	s_waitcnt vmcnt(8) lgkmcnt(0)
	v_fma_f64 v[79:80], v[101:102], v[83:84], v[79:80]
	s_waitcnt vmcnt(4)
	v_fma_f64 v[82:83], v[87:88], v[85:86], v[79:80]
	ds_read_b128 v[78:81], v78 offset:592
	s_waitcnt vmcnt(3) lgkmcnt(0)
	v_fma_f64 v[78:79], v[109:110], v[78:79], v[82:83]
	s_waitcnt vmcnt(2)
	v_fma_f64 v[78:79], v[103:104], v[80:81], v[78:79]
	s_waitcnt vmcnt(0)
	v_add_f64 v[78:79], v[91:92], -v[78:79]
	buffer_store_dword v79, off, s[0:3], 0 offset:92
	buffer_store_dword v78, off, s[0:3], 0 offset:88
	s_and_saveexec_b64 s[4:5], vcc
	s_cbranch_execz .LBB37_215
; %bb.214:
	buffer_load_dword v78, off, s[0:3], 0 offset:80
	buffer_load_dword v79, off, s[0:3], 0 offset:84
	v_mov_b32_e32 v80, 0
	buffer_store_dword v80, off, s[0:3], 0 offset:80
	buffer_store_dword v80, off, s[0:3], 0 offset:84
	s_waitcnt vmcnt(2)
	ds_write_b64 v77, v[78:79]
.LBB37_215:
	s_or_b64 exec, exec, s[4:5]
	s_waitcnt lgkmcnt(0)
	; wave barrier
	buffer_load_dword v87, off, s[0:3], 0 offset:88
	buffer_load_dword v88, off, s[0:3], 0 offset:92
	buffer_load_dword v89, off, s[0:3], 0 offset:96
	buffer_load_dword v90, off, s[0:3], 0 offset:100
	buffer_load_dword v91, off, s[0:3], 0 offset:104
	buffer_load_dword v92, off, s[0:3], 0 offset:108
	buffer_load_dword v93, off, s[0:3], 0 offset:112
	buffer_load_dword v94, off, s[0:3], 0 offset:116
	buffer_load_dword v95, off, s[0:3], 0 offset:120
	buffer_load_dword v96, off, s[0:3], 0 offset:124
	buffer_load_dword v97, off, s[0:3], 0 offset:128
	buffer_load_dword v98, off, s[0:3], 0 offset:132
	buffer_load_dword v99, off, s[0:3], 0 offset:136
	buffer_load_dword v100, off, s[0:3], 0 offset:140
	buffer_load_dword v102, off, s[0:3], 0 offset:148
	buffer_load_dword v103, off, s[0:3], 0 offset:168
	buffer_load_dword v105, off, s[0:3], 0 offset:160
	buffer_load_dword v107, off, s[0:3], 0 offset:152
	buffer_load_dword v101, off, s[0:3], 0 offset:144
	buffer_load_dword v108, off, s[0:3], 0 offset:156
	buffer_load_dword v106, off, s[0:3], 0 offset:164
	buffer_load_dword v104, off, s[0:3], 0 offset:172
	v_mov_b32_e32 v78, 0
	ds_read2_b64 v[79:82], v78 offset0:49 offset1:50
	ds_read2_b64 v[83:86], v78 offset0:51 offset1:52
	v_cmp_lt_u32_e32 vcc, 9, v0
	s_waitcnt vmcnt(20) lgkmcnt(1)
	v_fma_f64 v[79:80], v[87:88], v[79:80], 0
	s_waitcnt vmcnt(18)
	v_fma_f64 v[79:80], v[89:90], v[81:82], v[79:80]
	buffer_load_dword v88, off, s[0:3], 0 offset:180
	buffer_load_dword v89, off, s[0:3], 0 offset:200
	;; [unrolled: 1-line block ×7, first 2 shown]
	s_waitcnt vmcnt(23) lgkmcnt(0)
	v_fma_f64 v[79:80], v[91:92], v[83:84], v[79:80]
	s_waitcnt vmcnt(21)
	v_fma_f64 v[90:91], v[93:94], v[85:86], v[79:80]
	ds_read2_b64 v[79:82], v78 offset0:53 offset1:54
	ds_read2_b64 v[83:86], v78 offset0:55 offset1:56
	s_waitcnt vmcnt(19) lgkmcnt(1)
	v_fma_f64 v[79:80], v[95:96], v[79:80], v[90:91]
	buffer_load_dword v90, off, s[0:3], 0 offset:204
	s_waitcnt vmcnt(18)
	v_fma_f64 v[79:80], v[97:98], v[81:82], v[79:80]
	buffer_load_dword v92, off, s[0:3], 0 offset:212
	buffer_load_dword v93, off, s[0:3], 0 offset:232
	buffer_load_dword v95, off, s[0:3], 0 offset:224
	buffer_load_dword v97, off, s[0:3], 0 offset:216
	buffer_load_dword v91, off, s[0:3], 0 offset:208
	buffer_load_dword v98, off, s[0:3], 0 offset:220
	buffer_load_dword v96, off, s[0:3], 0 offset:228
	buffer_load_dword v94, off, s[0:3], 0 offset:236
	s_waitcnt vmcnt(24) lgkmcnt(0)
	v_fma_f64 v[79:80], v[99:100], v[83:84], v[79:80]
	s_waitcnt vmcnt(19)
	v_fma_f64 v[99:100], v[101:102], v[85:86], v[79:80]
	ds_read2_b64 v[79:82], v78 offset0:57 offset1:58
	ds_read2_b64 v[83:86], v78 offset0:59 offset1:60
	s_waitcnt vmcnt(18) lgkmcnt(1)
	v_fma_f64 v[79:80], v[107:108], v[79:80], v[99:100]
	s_waitcnt vmcnt(17)
	v_fma_f64 v[79:80], v[105:106], v[81:82], v[79:80]
	buffer_load_dword v100, off, s[0:3], 0 offset:244
	buffer_load_dword v101, off, s[0:3], 0 offset:264
	buffer_load_dword v105, off, s[0:3], 0 offset:256
	buffer_load_dword v107, off, s[0:3], 0 offset:248
	buffer_load_dword v99, off, s[0:3], 0 offset:240
	buffer_load_dword v108, off, s[0:3], 0 offset:252
	buffer_load_dword v106, off, s[0:3], 0 offset:260
	buffer_load_dword v102, off, s[0:3], 0 offset:268
	s_waitcnt vmcnt(24) lgkmcnt(0)
	v_fma_f64 v[79:80], v[103:104], v[83:84], v[79:80]
	s_waitcnt vmcnt(19)
	v_fma_f64 v[87:88], v[87:88], v[85:86], v[79:80]
	ds_read2_b64 v[79:82], v78 offset0:61 offset1:62
	ds_read2_b64 v[83:86], v78 offset0:63 offset1:64
	s_waitcnt vmcnt(18) lgkmcnt(1)
	v_fma_f64 v[79:80], v[111:112], v[79:80], v[87:88]
	;; [unrolled: 18-line block ×3, first 2 shown]
	buffer_load_dword v89, off, s[0:3], 0 offset:80
	buffer_load_dword v90, off, s[0:3], 0 offset:84
	s_waitcnt vmcnt(19)
	v_fma_f64 v[79:80], v[95:96], v[81:82], v[79:80]
	s_waitcnt vmcnt(18) lgkmcnt(0)
	v_fma_f64 v[79:80], v[93:94], v[83:84], v[79:80]
	s_waitcnt vmcnt(13)
	v_fma_f64 v[91:92], v[99:100], v[85:86], v[79:80]
	ds_read2_b64 v[79:82], v78 offset0:69 offset1:70
	ds_read2_b64 v[83:86], v78 offset0:71 offset1:72
	s_waitcnt vmcnt(12) lgkmcnt(1)
	v_fma_f64 v[79:80], v[107:108], v[79:80], v[91:92]
	s_waitcnt vmcnt(11)
	v_fma_f64 v[79:80], v[105:106], v[81:82], v[79:80]
	s_waitcnt vmcnt(10) lgkmcnt(0)
	v_fma_f64 v[79:80], v[101:102], v[83:84], v[79:80]
	s_waitcnt vmcnt(5)
	v_fma_f64 v[83:84], v[87:88], v[85:86], v[79:80]
	ds_read2_b64 v[79:82], v78 offset0:73 offset1:74
	ds_read_b64 v[85:86], v78 offset:600
	s_waitcnt vmcnt(4) lgkmcnt(1)
	v_fma_f64 v[79:80], v[111:112], v[79:80], v[83:84]
	s_waitcnt vmcnt(3)
	v_fma_f64 v[79:80], v[109:110], v[81:82], v[79:80]
	s_waitcnt vmcnt(2) lgkmcnt(0)
	v_fma_f64 v[79:80], v[103:104], v[85:86], v[79:80]
	s_waitcnt vmcnt(0)
	v_add_f64 v[79:80], v[89:90], -v[79:80]
	buffer_store_dword v80, off, s[0:3], 0 offset:84
	buffer_store_dword v79, off, s[0:3], 0 offset:80
	s_and_saveexec_b64 s[4:5], vcc
	s_cbranch_execz .LBB37_217
; %bb.216:
	buffer_load_dword v79, off, s[0:3], 0 offset:72
	buffer_load_dword v80, off, s[0:3], 0 offset:76
	s_waitcnt vmcnt(0)
	ds_write_b64 v77, v[79:80]
	buffer_store_dword v78, off, s[0:3], 0 offset:72
	buffer_store_dword v78, off, s[0:3], 0 offset:76
.LBB37_217:
	s_or_b64 exec, exec, s[4:5]
	s_waitcnt lgkmcnt(0)
	; wave barrier
	buffer_load_dword v87, off, s[0:3], 0 offset:80
	buffer_load_dword v88, off, s[0:3], 0 offset:84
	;; [unrolled: 1-line block ×22, first 2 shown]
	ds_read_b128 v[79:82], v78 offset:384
	ds_read_b128 v[83:86], v78 offset:400
	v_cmp_lt_u32_e32 vcc, 8, v0
	s_waitcnt vmcnt(20) lgkmcnt(1)
	v_fma_f64 v[79:80], v[87:88], v[79:80], 0
	s_waitcnt vmcnt(18)
	v_fma_f64 v[79:80], v[89:90], v[81:82], v[79:80]
	buffer_load_dword v88, off, s[0:3], 0 offset:172
	buffer_load_dword v89, off, s[0:3], 0 offset:192
	;; [unrolled: 1-line block ×7, first 2 shown]
	s_waitcnt vmcnt(23) lgkmcnt(0)
	v_fma_f64 v[79:80], v[91:92], v[83:84], v[79:80]
	s_waitcnt vmcnt(21)
	v_fma_f64 v[90:91], v[93:94], v[85:86], v[79:80]
	ds_read_b128 v[79:82], v78 offset:416
	ds_read_b128 v[83:86], v78 offset:432
	s_waitcnt vmcnt(19) lgkmcnt(1)
	v_fma_f64 v[79:80], v[95:96], v[79:80], v[90:91]
	buffer_load_dword v90, off, s[0:3], 0 offset:196
	s_waitcnt vmcnt(18)
	v_fma_f64 v[79:80], v[97:98], v[81:82], v[79:80]
	buffer_load_dword v92, off, s[0:3], 0 offset:204
	buffer_load_dword v93, off, s[0:3], 0 offset:224
	buffer_load_dword v95, off, s[0:3], 0 offset:216
	buffer_load_dword v97, off, s[0:3], 0 offset:208
	buffer_load_dword v91, off, s[0:3], 0 offset:200
	buffer_load_dword v98, off, s[0:3], 0 offset:212
	buffer_load_dword v96, off, s[0:3], 0 offset:220
	buffer_load_dword v94, off, s[0:3], 0 offset:228
	s_waitcnt vmcnt(24) lgkmcnt(0)
	v_fma_f64 v[79:80], v[99:100], v[83:84], v[79:80]
	s_waitcnt vmcnt(19)
	v_fma_f64 v[99:100], v[101:102], v[85:86], v[79:80]
	ds_read_b128 v[79:82], v78 offset:448
	ds_read_b128 v[83:86], v78 offset:464
	s_waitcnt vmcnt(18) lgkmcnt(1)
	v_fma_f64 v[79:80], v[107:108], v[79:80], v[99:100]
	s_waitcnt vmcnt(17)
	v_fma_f64 v[79:80], v[105:106], v[81:82], v[79:80]
	buffer_load_dword v100, off, s[0:3], 0 offset:236
	buffer_load_dword v101, off, s[0:3], 0 offset:256
	buffer_load_dword v105, off, s[0:3], 0 offset:248
	buffer_load_dword v107, off, s[0:3], 0 offset:240
	buffer_load_dword v99, off, s[0:3], 0 offset:232
	buffer_load_dword v108, off, s[0:3], 0 offset:244
	buffer_load_dword v106, off, s[0:3], 0 offset:252
	buffer_load_dword v102, off, s[0:3], 0 offset:260
	s_waitcnt vmcnt(24) lgkmcnt(0)
	v_fma_f64 v[79:80], v[103:104], v[83:84], v[79:80]
	s_waitcnt vmcnt(19)
	v_fma_f64 v[87:88], v[87:88], v[85:86], v[79:80]
	ds_read_b128 v[79:82], v78 offset:480
	ds_read_b128 v[83:86], v78 offset:496
	s_waitcnt vmcnt(18) lgkmcnt(1)
	v_fma_f64 v[79:80], v[111:112], v[79:80], v[87:88]
	;; [unrolled: 18-line block ×3, first 2 shown]
	buffer_load_dword v90, off, s[0:3], 0 offset:300
	buffer_load_dword v89, off, s[0:3], 0 offset:296
	;; [unrolled: 1-line block ×4, first 2 shown]
	s_waitcnt vmcnt(21)
	v_fma_f64 v[79:80], v[95:96], v[81:82], v[79:80]
	s_waitcnt vmcnt(20) lgkmcnt(0)
	v_fma_f64 v[79:80], v[93:94], v[83:84], v[79:80]
	s_waitcnt vmcnt(15)
	v_fma_f64 v[93:94], v[99:100], v[85:86], v[79:80]
	ds_read_b128 v[79:82], v78 offset:544
	ds_read_b128 v[83:86], v78 offset:560
	s_waitcnt vmcnt(14) lgkmcnt(1)
	v_fma_f64 v[79:80], v[107:108], v[79:80], v[93:94]
	s_waitcnt vmcnt(13)
	v_fma_f64 v[79:80], v[105:106], v[81:82], v[79:80]
	s_waitcnt vmcnt(12) lgkmcnt(0)
	v_fma_f64 v[79:80], v[101:102], v[83:84], v[79:80]
	s_waitcnt vmcnt(7)
	v_fma_f64 v[87:88], v[87:88], v[85:86], v[79:80]
	ds_read_b128 v[79:82], v78 offset:576
	ds_read_b128 v[83:86], v78 offset:592
	s_waitcnt vmcnt(6) lgkmcnt(1)
	v_fma_f64 v[78:79], v[111:112], v[79:80], v[87:88]
	s_waitcnt vmcnt(5)
	v_fma_f64 v[78:79], v[109:110], v[81:82], v[78:79]
	s_waitcnt vmcnt(4) lgkmcnt(0)
	v_fma_f64 v[78:79], v[103:104], v[83:84], v[78:79]
	s_waitcnt vmcnt(2)
	v_fma_f64 v[78:79], v[89:90], v[85:86], v[78:79]
	s_waitcnt vmcnt(0)
	v_add_f64 v[78:79], v[91:92], -v[78:79]
	buffer_store_dword v79, off, s[0:3], 0 offset:76
	buffer_store_dword v78, off, s[0:3], 0 offset:72
	s_and_saveexec_b64 s[4:5], vcc
	s_cbranch_execz .LBB37_219
; %bb.218:
	buffer_load_dword v78, off, s[0:3], 0 offset:64
	buffer_load_dword v79, off, s[0:3], 0 offset:68
	v_mov_b32_e32 v80, 0
	buffer_store_dword v80, off, s[0:3], 0 offset:64
	buffer_store_dword v80, off, s[0:3], 0 offset:68
	s_waitcnt vmcnt(2)
	ds_write_b64 v77, v[78:79]
.LBB37_219:
	s_or_b64 exec, exec, s[4:5]
	s_waitcnt lgkmcnt(0)
	; wave barrier
	buffer_load_dword v87, off, s[0:3], 0 offset:72
	buffer_load_dword v88, off, s[0:3], 0 offset:76
	;; [unrolled: 1-line block ×22, first 2 shown]
	v_mov_b32_e32 v78, 0
	ds_read2_b64 v[79:82], v78 offset0:47 offset1:48
	ds_read2_b64 v[83:86], v78 offset0:49 offset1:50
	v_cmp_lt_u32_e32 vcc, 7, v0
	s_waitcnt vmcnt(20) lgkmcnt(1)
	v_fma_f64 v[79:80], v[87:88], v[79:80], 0
	s_waitcnt vmcnt(18)
	v_fma_f64 v[79:80], v[89:90], v[81:82], v[79:80]
	buffer_load_dword v88, off, s[0:3], 0 offset:164
	buffer_load_dword v89, off, s[0:3], 0 offset:184
	;; [unrolled: 1-line block ×7, first 2 shown]
	s_waitcnt vmcnt(23) lgkmcnt(0)
	v_fma_f64 v[79:80], v[91:92], v[83:84], v[79:80]
	s_waitcnt vmcnt(21)
	v_fma_f64 v[90:91], v[93:94], v[85:86], v[79:80]
	ds_read2_b64 v[79:82], v78 offset0:51 offset1:52
	ds_read2_b64 v[83:86], v78 offset0:53 offset1:54
	s_waitcnt vmcnt(19) lgkmcnt(1)
	v_fma_f64 v[79:80], v[95:96], v[79:80], v[90:91]
	buffer_load_dword v90, off, s[0:3], 0 offset:188
	s_waitcnt vmcnt(18)
	v_fma_f64 v[79:80], v[97:98], v[81:82], v[79:80]
	buffer_load_dword v92, off, s[0:3], 0 offset:196
	buffer_load_dword v93, off, s[0:3], 0 offset:216
	;; [unrolled: 1-line block ×7, first 2 shown]
	s_waitcnt vmcnt(23) lgkmcnt(0)
	v_fma_f64 v[79:80], v[99:100], v[83:84], v[79:80]
	s_waitcnt vmcnt(18)
	v_fma_f64 v[99:100], v[101:102], v[85:86], v[79:80]
	ds_read2_b64 v[79:82], v78 offset0:55 offset1:56
	ds_read2_b64 v[83:86], v78 offset0:57 offset1:58
	buffer_load_dword v94, off, s[0:3], 0 offset:220
	s_waitcnt vmcnt(18) lgkmcnt(1)
	v_fma_f64 v[79:80], v[107:108], v[79:80], v[99:100]
	s_waitcnt vmcnt(17)
	v_fma_f64 v[79:80], v[105:106], v[81:82], v[79:80]
	buffer_load_dword v100, off, s[0:3], 0 offset:228
	buffer_load_dword v101, off, s[0:3], 0 offset:248
	;; [unrolled: 1-line block ×8, first 2 shown]
	s_waitcnt vmcnt(24) lgkmcnt(0)
	v_fma_f64 v[79:80], v[103:104], v[83:84], v[79:80]
	s_waitcnt vmcnt(19)
	v_fma_f64 v[87:88], v[87:88], v[85:86], v[79:80]
	ds_read2_b64 v[79:82], v78 offset0:59 offset1:60
	ds_read2_b64 v[83:86], v78 offset0:61 offset1:62
	s_waitcnt vmcnt(18) lgkmcnt(1)
	v_fma_f64 v[79:80], v[111:112], v[79:80], v[87:88]
	s_waitcnt vmcnt(17)
	v_fma_f64 v[79:80], v[109:110], v[81:82], v[79:80]
	buffer_load_dword v88, off, s[0:3], 0 offset:260
	buffer_load_dword v103, off, s[0:3], 0 offset:280
	;; [unrolled: 1-line block ×7, first 2 shown]
	s_waitcnt vmcnt(23) lgkmcnt(0)
	v_fma_f64 v[79:80], v[89:90], v[83:84], v[79:80]
	s_waitcnt vmcnt(18)
	v_fma_f64 v[89:90], v[91:92], v[85:86], v[79:80]
	ds_read2_b64 v[79:82], v78 offset0:63 offset1:64
	ds_read2_b64 v[83:86], v78 offset0:65 offset1:66
	buffer_load_dword v104, off, s[0:3], 0 offset:284
	s_waitcnt vmcnt(18) lgkmcnt(1)
	v_fma_f64 v[79:80], v[97:98], v[79:80], v[89:90]
	buffer_load_dword v90, off, s[0:3], 0 offset:292
	buffer_load_dword v91, off, s[0:3], 0 offset:296
	;; [unrolled: 1-line block ×4, first 2 shown]
	s_waitcnt vmcnt(21)
	v_fma_f64 v[79:80], v[95:96], v[81:82], v[79:80]
	s_waitcnt vmcnt(20) lgkmcnt(0)
	v_fma_f64 v[79:80], v[93:94], v[83:84], v[79:80]
	buffer_load_dword v93, off, s[0:3], 0 offset:64
	buffer_load_dword v94, off, s[0:3], 0 offset:68
	s_waitcnt vmcnt(17)
	v_fma_f64 v[95:96], v[99:100], v[85:86], v[79:80]
	ds_read2_b64 v[79:82], v78 offset0:67 offset1:68
	ds_read2_b64 v[83:86], v78 offset0:69 offset1:70
	s_waitcnt vmcnt(16) lgkmcnt(1)
	v_fma_f64 v[79:80], v[107:108], v[79:80], v[95:96]
	s_waitcnt vmcnt(15)
	v_fma_f64 v[79:80], v[105:106], v[81:82], v[79:80]
	s_waitcnt vmcnt(14) lgkmcnt(0)
	v_fma_f64 v[79:80], v[101:102], v[83:84], v[79:80]
	s_waitcnt vmcnt(9)
	v_fma_f64 v[87:88], v[87:88], v[85:86], v[79:80]
	ds_read2_b64 v[79:82], v78 offset0:71 offset1:72
	ds_read2_b64 v[83:86], v78 offset0:73 offset1:74
	s_waitcnt vmcnt(8) lgkmcnt(1)
	v_fma_f64 v[79:80], v[111:112], v[79:80], v[87:88]
	s_waitcnt vmcnt(7)
	v_fma_f64 v[79:80], v[109:110], v[81:82], v[79:80]
	ds_read_b64 v[81:82], v78 offset:600
	s_waitcnt vmcnt(6) lgkmcnt(1)
	v_fma_f64 v[79:80], v[103:104], v[83:84], v[79:80]
	s_waitcnt vmcnt(3)
	v_fma_f64 v[79:80], v[89:90], v[85:86], v[79:80]
	s_waitcnt vmcnt(2) lgkmcnt(0)
	v_fma_f64 v[79:80], v[91:92], v[81:82], v[79:80]
	s_waitcnt vmcnt(0)
	v_add_f64 v[79:80], v[93:94], -v[79:80]
	buffer_store_dword v80, off, s[0:3], 0 offset:68
	buffer_store_dword v79, off, s[0:3], 0 offset:64
	s_and_saveexec_b64 s[4:5], vcc
	s_cbranch_execz .LBB37_221
; %bb.220:
	buffer_load_dword v79, off, s[0:3], 0 offset:56
	buffer_load_dword v80, off, s[0:3], 0 offset:60
	s_waitcnt vmcnt(0)
	ds_write_b64 v77, v[79:80]
	buffer_store_dword v78, off, s[0:3], 0 offset:56
	buffer_store_dword v78, off, s[0:3], 0 offset:60
.LBB37_221:
	s_or_b64 exec, exec, s[4:5]
	s_waitcnt lgkmcnt(0)
	; wave barrier
	buffer_load_dword v87, off, s[0:3], 0 offset:64
	buffer_load_dword v88, off, s[0:3], 0 offset:68
	;; [unrolled: 1-line block ×22, first 2 shown]
	ds_read_b128 v[79:82], v78 offset:368
	ds_read_b128 v[83:86], v78 offset:384
	v_cmp_lt_u32_e32 vcc, 6, v0
	s_waitcnt vmcnt(20) lgkmcnt(1)
	v_fma_f64 v[79:80], v[87:88], v[79:80], 0
	s_waitcnt vmcnt(18)
	v_fma_f64 v[79:80], v[89:90], v[81:82], v[79:80]
	buffer_load_dword v88, off, s[0:3], 0 offset:156
	buffer_load_dword v89, off, s[0:3], 0 offset:176
	;; [unrolled: 1-line block ×7, first 2 shown]
	s_waitcnt vmcnt(23) lgkmcnt(0)
	v_fma_f64 v[79:80], v[91:92], v[83:84], v[79:80]
	s_waitcnt vmcnt(21)
	v_fma_f64 v[90:91], v[93:94], v[85:86], v[79:80]
	ds_read_b128 v[79:82], v78 offset:400
	ds_read_b128 v[83:86], v78 offset:416
	s_waitcnt vmcnt(19) lgkmcnt(1)
	v_fma_f64 v[79:80], v[95:96], v[79:80], v[90:91]
	buffer_load_dword v90, off, s[0:3], 0 offset:180
	s_waitcnt vmcnt(18)
	v_fma_f64 v[79:80], v[97:98], v[81:82], v[79:80]
	buffer_load_dword v92, off, s[0:3], 0 offset:188
	buffer_load_dword v93, off, s[0:3], 0 offset:208
	;; [unrolled: 1-line block ×7, first 2 shown]
	s_waitcnt vmcnt(23) lgkmcnt(0)
	v_fma_f64 v[79:80], v[99:100], v[83:84], v[79:80]
	s_waitcnt vmcnt(18)
	v_fma_f64 v[99:100], v[101:102], v[85:86], v[79:80]
	ds_read_b128 v[79:82], v78 offset:432
	ds_read_b128 v[83:86], v78 offset:448
	buffer_load_dword v94, off, s[0:3], 0 offset:212
	s_waitcnt vmcnt(18) lgkmcnt(1)
	v_fma_f64 v[79:80], v[107:108], v[79:80], v[99:100]
	s_waitcnt vmcnt(17)
	v_fma_f64 v[79:80], v[105:106], v[81:82], v[79:80]
	buffer_load_dword v100, off, s[0:3], 0 offset:220
	buffer_load_dword v101, off, s[0:3], 0 offset:240
	buffer_load_dword v105, off, s[0:3], 0 offset:232
	buffer_load_dword v107, off, s[0:3], 0 offset:224
	buffer_load_dword v99, off, s[0:3], 0 offset:216
	buffer_load_dword v108, off, s[0:3], 0 offset:228
	buffer_load_dword v106, off, s[0:3], 0 offset:236
	buffer_load_dword v102, off, s[0:3], 0 offset:244
	s_waitcnt vmcnt(24) lgkmcnt(0)
	v_fma_f64 v[79:80], v[103:104], v[83:84], v[79:80]
	s_waitcnt vmcnt(19)
	v_fma_f64 v[87:88], v[87:88], v[85:86], v[79:80]
	ds_read_b128 v[79:82], v78 offset:464
	ds_read_b128 v[83:86], v78 offset:480
	s_waitcnt vmcnt(18) lgkmcnt(1)
	v_fma_f64 v[79:80], v[111:112], v[79:80], v[87:88]
	s_waitcnt vmcnt(17)
	v_fma_f64 v[79:80], v[109:110], v[81:82], v[79:80]
	buffer_load_dword v88, off, s[0:3], 0 offset:252
	buffer_load_dword v103, off, s[0:3], 0 offset:272
	;; [unrolled: 1-line block ×8, first 2 shown]
	s_waitcnt vmcnt(24) lgkmcnt(0)
	v_fma_f64 v[79:80], v[89:90], v[83:84], v[79:80]
	s_waitcnt vmcnt(19)
	v_fma_f64 v[89:90], v[91:92], v[85:86], v[79:80]
	ds_read_b128 v[79:82], v78 offset:496
	ds_read_b128 v[83:86], v78 offset:512
	s_waitcnt vmcnt(18) lgkmcnt(1)
	v_fma_f64 v[79:80], v[97:98], v[79:80], v[89:90]
	s_waitcnt vmcnt(17)
	v_fma_f64 v[79:80], v[95:96], v[81:82], v[79:80]
	buffer_load_dword v90, off, s[0:3], 0 offset:284
	buffer_load_dword v91, off, s[0:3], 0 offset:296
	;; [unrolled: 1-line block ×6, first 2 shown]
	s_waitcnt vmcnt(22) lgkmcnt(0)
	v_fma_f64 v[79:80], v[93:94], v[83:84], v[79:80]
	s_waitcnt vmcnt(17)
	v_fma_f64 v[93:94], v[99:100], v[85:86], v[79:80]
	ds_read_b128 v[79:82], v78 offset:528
	buffer_load_dword v97, off, s[0:3], 0 offset:56
	buffer_load_dword v98, off, s[0:3], 0 offset:60
	ds_read_b128 v[83:86], v78 offset:544
	s_waitcnt vmcnt(18) lgkmcnt(1)
	v_fma_f64 v[79:80], v[107:108], v[79:80], v[93:94]
	s_waitcnt vmcnt(17)
	v_fma_f64 v[79:80], v[105:106], v[81:82], v[79:80]
	s_waitcnt vmcnt(16) lgkmcnt(0)
	v_fma_f64 v[79:80], v[101:102], v[83:84], v[79:80]
	s_waitcnt vmcnt(11)
	v_fma_f64 v[87:88], v[87:88], v[85:86], v[79:80]
	ds_read_b128 v[79:82], v78 offset:560
	ds_read_b128 v[83:86], v78 offset:576
	s_waitcnt vmcnt(10) lgkmcnt(1)
	v_fma_f64 v[79:80], v[111:112], v[79:80], v[87:88]
	s_waitcnt vmcnt(9)
	v_fma_f64 v[79:80], v[109:110], v[81:82], v[79:80]
	s_waitcnt vmcnt(8) lgkmcnt(0)
	v_fma_f64 v[79:80], v[103:104], v[83:84], v[79:80]
	s_waitcnt vmcnt(4)
	v_fma_f64 v[82:83], v[89:90], v[85:86], v[79:80]
	ds_read_b128 v[78:81], v78 offset:592
	s_waitcnt vmcnt(3) lgkmcnt(0)
	v_fma_f64 v[78:79], v[95:96], v[78:79], v[82:83]
	s_waitcnt vmcnt(2)
	v_fma_f64 v[78:79], v[91:92], v[80:81], v[78:79]
	s_waitcnt vmcnt(0)
	v_add_f64 v[78:79], v[97:98], -v[78:79]
	buffer_store_dword v79, off, s[0:3], 0 offset:60
	buffer_store_dword v78, off, s[0:3], 0 offset:56
	s_and_saveexec_b64 s[4:5], vcc
	s_cbranch_execz .LBB37_223
; %bb.222:
	buffer_load_dword v78, off, s[0:3], 0 offset:48
	buffer_load_dword v79, off, s[0:3], 0 offset:52
	v_mov_b32_e32 v80, 0
	buffer_store_dword v80, off, s[0:3], 0 offset:48
	buffer_store_dword v80, off, s[0:3], 0 offset:52
	s_waitcnt vmcnt(2)
	ds_write_b64 v77, v[78:79]
.LBB37_223:
	s_or_b64 exec, exec, s[4:5]
	s_waitcnt lgkmcnt(0)
	; wave barrier
	buffer_load_dword v87, off, s[0:3], 0 offset:56
	buffer_load_dword v88, off, s[0:3], 0 offset:60
	;; [unrolled: 1-line block ×22, first 2 shown]
	v_mov_b32_e32 v78, 0
	ds_read2_b64 v[79:82], v78 offset0:45 offset1:46
	ds_read2_b64 v[83:86], v78 offset0:47 offset1:48
	v_cmp_lt_u32_e32 vcc, 5, v0
	s_waitcnt vmcnt(20) lgkmcnt(1)
	v_fma_f64 v[79:80], v[87:88], v[79:80], 0
	s_waitcnt vmcnt(18)
	v_fma_f64 v[79:80], v[89:90], v[81:82], v[79:80]
	buffer_load_dword v88, off, s[0:3], 0 offset:148
	buffer_load_dword v89, off, s[0:3], 0 offset:168
	;; [unrolled: 1-line block ×7, first 2 shown]
	s_waitcnt vmcnt(23) lgkmcnt(0)
	v_fma_f64 v[79:80], v[91:92], v[83:84], v[79:80]
	s_waitcnt vmcnt(21)
	v_fma_f64 v[90:91], v[93:94], v[85:86], v[79:80]
	ds_read2_b64 v[79:82], v78 offset0:49 offset1:50
	ds_read2_b64 v[83:86], v78 offset0:51 offset1:52
	s_waitcnt vmcnt(19) lgkmcnt(1)
	v_fma_f64 v[79:80], v[95:96], v[79:80], v[90:91]
	buffer_load_dword v90, off, s[0:3], 0 offset:172
	s_waitcnt vmcnt(18)
	v_fma_f64 v[79:80], v[97:98], v[81:82], v[79:80]
	buffer_load_dword v92, off, s[0:3], 0 offset:180
	buffer_load_dword v93, off, s[0:3], 0 offset:200
	;; [unrolled: 1-line block ×7, first 2 shown]
	s_waitcnt vmcnt(23) lgkmcnt(0)
	v_fma_f64 v[79:80], v[99:100], v[83:84], v[79:80]
	s_waitcnt vmcnt(18)
	v_fma_f64 v[99:100], v[101:102], v[85:86], v[79:80]
	ds_read2_b64 v[79:82], v78 offset0:53 offset1:54
	ds_read2_b64 v[83:86], v78 offset0:55 offset1:56
	buffer_load_dword v94, off, s[0:3], 0 offset:204
	s_waitcnt vmcnt(18) lgkmcnt(1)
	v_fma_f64 v[79:80], v[107:108], v[79:80], v[99:100]
	s_waitcnt vmcnt(17)
	v_fma_f64 v[79:80], v[105:106], v[81:82], v[79:80]
	buffer_load_dword v100, off, s[0:3], 0 offset:212
	buffer_load_dword v101, off, s[0:3], 0 offset:232
	buffer_load_dword v105, off, s[0:3], 0 offset:224
	buffer_load_dword v107, off, s[0:3], 0 offset:216
	buffer_load_dword v99, off, s[0:3], 0 offset:208
	buffer_load_dword v108, off, s[0:3], 0 offset:220
	buffer_load_dword v106, off, s[0:3], 0 offset:228
	buffer_load_dword v102, off, s[0:3], 0 offset:236
	s_waitcnt vmcnt(24) lgkmcnt(0)
	v_fma_f64 v[79:80], v[103:104], v[83:84], v[79:80]
	s_waitcnt vmcnt(19)
	v_fma_f64 v[87:88], v[87:88], v[85:86], v[79:80]
	ds_read2_b64 v[79:82], v78 offset0:57 offset1:58
	ds_read2_b64 v[83:86], v78 offset0:59 offset1:60
	s_waitcnt vmcnt(18) lgkmcnt(1)
	v_fma_f64 v[79:80], v[111:112], v[79:80], v[87:88]
	s_waitcnt vmcnt(17)
	v_fma_f64 v[79:80], v[109:110], v[81:82], v[79:80]
	buffer_load_dword v88, off, s[0:3], 0 offset:244
	buffer_load_dword v103, off, s[0:3], 0 offset:264
	buffer_load_dword v109, off, s[0:3], 0 offset:256
	buffer_load_dword v111, off, s[0:3], 0 offset:248
	buffer_load_dword v87, off, s[0:3], 0 offset:240
	buffer_load_dword v112, off, s[0:3], 0 offset:252
	buffer_load_dword v110, off, s[0:3], 0 offset:260
	buffer_load_dword v104, off, s[0:3], 0 offset:268
	s_waitcnt vmcnt(24) lgkmcnt(0)
	v_fma_f64 v[79:80], v[89:90], v[83:84], v[79:80]
	s_waitcnt vmcnt(19)
	v_fma_f64 v[89:90], v[91:92], v[85:86], v[79:80]
	ds_read2_b64 v[79:82], v78 offset0:61 offset1:62
	ds_read2_b64 v[83:86], v78 offset0:63 offset1:64
	;; [unrolled: 18-line block ×3, first 2 shown]
	s_waitcnt vmcnt(18) lgkmcnt(1)
	v_fma_f64 v[79:80], v[107:108], v[79:80], v[93:94]
	buffer_load_dword v93, off, s[0:3], 0 offset:48
	buffer_load_dword v94, off, s[0:3], 0 offset:52
	s_waitcnt vmcnt(19)
	v_fma_f64 v[79:80], v[105:106], v[81:82], v[79:80]
	s_waitcnt vmcnt(18) lgkmcnt(0)
	v_fma_f64 v[79:80], v[101:102], v[83:84], v[79:80]
	s_waitcnt vmcnt(13)
	v_fma_f64 v[87:88], v[87:88], v[85:86], v[79:80]
	ds_read2_b64 v[79:82], v78 offset0:69 offset1:70
	ds_read2_b64 v[83:86], v78 offset0:71 offset1:72
	s_waitcnt vmcnt(12) lgkmcnt(1)
	v_fma_f64 v[79:80], v[111:112], v[79:80], v[87:88]
	s_waitcnt vmcnt(11)
	v_fma_f64 v[79:80], v[109:110], v[81:82], v[79:80]
	s_waitcnt vmcnt(10) lgkmcnt(0)
	v_fma_f64 v[79:80], v[103:104], v[83:84], v[79:80]
	s_waitcnt vmcnt(5)
	v_fma_f64 v[83:84], v[89:90], v[85:86], v[79:80]
	ds_read2_b64 v[79:82], v78 offset0:73 offset1:74
	ds_read_b64 v[85:86], v78 offset:600
	s_waitcnt vmcnt(4) lgkmcnt(1)
	v_fma_f64 v[79:80], v[97:98], v[79:80], v[83:84]
	s_waitcnt vmcnt(3)
	v_fma_f64 v[79:80], v[95:96], v[81:82], v[79:80]
	s_waitcnt vmcnt(2) lgkmcnt(0)
	v_fma_f64 v[79:80], v[91:92], v[85:86], v[79:80]
	s_waitcnt vmcnt(0)
	v_add_f64 v[79:80], v[93:94], -v[79:80]
	buffer_store_dword v80, off, s[0:3], 0 offset:52
	buffer_store_dword v79, off, s[0:3], 0 offset:48
	s_and_saveexec_b64 s[4:5], vcc
	s_cbranch_execz .LBB37_225
; %bb.224:
	buffer_load_dword v79, off, s[0:3], 0 offset:40
	buffer_load_dword v80, off, s[0:3], 0 offset:44
	s_waitcnt vmcnt(0)
	ds_write_b64 v77, v[79:80]
	buffer_store_dword v78, off, s[0:3], 0 offset:40
	buffer_store_dword v78, off, s[0:3], 0 offset:44
.LBB37_225:
	s_or_b64 exec, exec, s[4:5]
	s_waitcnt lgkmcnt(0)
	; wave barrier
	buffer_load_dword v87, off, s[0:3], 0 offset:48
	buffer_load_dword v88, off, s[0:3], 0 offset:52
	;; [unrolled: 1-line block ×22, first 2 shown]
	ds_read_b128 v[79:82], v78 offset:352
	ds_read_b128 v[83:86], v78 offset:368
	v_cmp_lt_u32_e32 vcc, 4, v0
	s_waitcnt vmcnt(20) lgkmcnt(1)
	v_fma_f64 v[79:80], v[87:88], v[79:80], 0
	s_waitcnt vmcnt(18)
	v_fma_f64 v[79:80], v[89:90], v[81:82], v[79:80]
	buffer_load_dword v88, off, s[0:3], 0 offset:140
	buffer_load_dword v89, off, s[0:3], 0 offset:160
	;; [unrolled: 1-line block ×7, first 2 shown]
	s_waitcnt vmcnt(23) lgkmcnt(0)
	v_fma_f64 v[79:80], v[91:92], v[83:84], v[79:80]
	s_waitcnt vmcnt(21)
	v_fma_f64 v[90:91], v[93:94], v[85:86], v[79:80]
	ds_read_b128 v[79:82], v78 offset:384
	ds_read_b128 v[83:86], v78 offset:400
	s_waitcnt vmcnt(19) lgkmcnt(1)
	v_fma_f64 v[79:80], v[95:96], v[79:80], v[90:91]
	buffer_load_dword v90, off, s[0:3], 0 offset:164
	s_waitcnt vmcnt(18)
	v_fma_f64 v[79:80], v[97:98], v[81:82], v[79:80]
	buffer_load_dword v92, off, s[0:3], 0 offset:172
	buffer_load_dword v93, off, s[0:3], 0 offset:192
	;; [unrolled: 1-line block ×7, first 2 shown]
	s_waitcnt vmcnt(23) lgkmcnt(0)
	v_fma_f64 v[79:80], v[99:100], v[83:84], v[79:80]
	s_waitcnt vmcnt(18)
	v_fma_f64 v[99:100], v[101:102], v[85:86], v[79:80]
	ds_read_b128 v[79:82], v78 offset:416
	ds_read_b128 v[83:86], v78 offset:432
	buffer_load_dword v94, off, s[0:3], 0 offset:196
	s_waitcnt vmcnt(18) lgkmcnt(1)
	v_fma_f64 v[79:80], v[107:108], v[79:80], v[99:100]
	s_waitcnt vmcnt(17)
	v_fma_f64 v[79:80], v[105:106], v[81:82], v[79:80]
	buffer_load_dword v100, off, s[0:3], 0 offset:204
	buffer_load_dword v101, off, s[0:3], 0 offset:224
	buffer_load_dword v105, off, s[0:3], 0 offset:216
	buffer_load_dword v107, off, s[0:3], 0 offset:208
	buffer_load_dword v99, off, s[0:3], 0 offset:200
	buffer_load_dword v108, off, s[0:3], 0 offset:212
	buffer_load_dword v106, off, s[0:3], 0 offset:220
	buffer_load_dword v102, off, s[0:3], 0 offset:228
	s_waitcnt vmcnt(24) lgkmcnt(0)
	v_fma_f64 v[79:80], v[103:104], v[83:84], v[79:80]
	s_waitcnt vmcnt(19)
	v_fma_f64 v[87:88], v[87:88], v[85:86], v[79:80]
	ds_read_b128 v[79:82], v78 offset:448
	ds_read_b128 v[83:86], v78 offset:464
	s_waitcnt vmcnt(18) lgkmcnt(1)
	v_fma_f64 v[79:80], v[111:112], v[79:80], v[87:88]
	s_waitcnt vmcnt(17)
	v_fma_f64 v[79:80], v[109:110], v[81:82], v[79:80]
	buffer_load_dword v88, off, s[0:3], 0 offset:236
	buffer_load_dword v103, off, s[0:3], 0 offset:256
	buffer_load_dword v109, off, s[0:3], 0 offset:248
	buffer_load_dword v111, off, s[0:3], 0 offset:240
	buffer_load_dword v87, off, s[0:3], 0 offset:232
	buffer_load_dword v112, off, s[0:3], 0 offset:244
	buffer_load_dword v110, off, s[0:3], 0 offset:252
	buffer_load_dword v104, off, s[0:3], 0 offset:260
	s_waitcnt vmcnt(24) lgkmcnt(0)
	v_fma_f64 v[79:80], v[89:90], v[83:84], v[79:80]
	s_waitcnt vmcnt(19)
	v_fma_f64 v[89:90], v[91:92], v[85:86], v[79:80]
	ds_read_b128 v[79:82], v78 offset:480
	ds_read_b128 v[83:86], v78 offset:496
	;; [unrolled: 18-line block ×3, first 2 shown]
	s_waitcnt vmcnt(18) lgkmcnt(1)
	v_fma_f64 v[79:80], v[107:108], v[79:80], v[93:94]
	buffer_load_dword v94, off, s[0:3], 0 offset:300
	buffer_load_dword v93, off, s[0:3], 0 offset:296
	;; [unrolled: 1-line block ×4, first 2 shown]
	s_waitcnt vmcnt(21)
	v_fma_f64 v[79:80], v[105:106], v[81:82], v[79:80]
	s_waitcnt vmcnt(20) lgkmcnt(0)
	v_fma_f64 v[79:80], v[101:102], v[83:84], v[79:80]
	s_waitcnt vmcnt(15)
	v_fma_f64 v[87:88], v[87:88], v[85:86], v[79:80]
	ds_read_b128 v[79:82], v78 offset:544
	ds_read_b128 v[83:86], v78 offset:560
	s_waitcnt vmcnt(14) lgkmcnt(1)
	v_fma_f64 v[79:80], v[111:112], v[79:80], v[87:88]
	s_waitcnt vmcnt(13)
	v_fma_f64 v[79:80], v[109:110], v[81:82], v[79:80]
	s_waitcnt vmcnt(12) lgkmcnt(0)
	v_fma_f64 v[79:80], v[103:104], v[83:84], v[79:80]
	s_waitcnt vmcnt(7)
	v_fma_f64 v[87:88], v[89:90], v[85:86], v[79:80]
	ds_read_b128 v[79:82], v78 offset:576
	ds_read_b128 v[83:86], v78 offset:592
	s_waitcnt vmcnt(6) lgkmcnt(1)
	v_fma_f64 v[78:79], v[97:98], v[79:80], v[87:88]
	s_waitcnt vmcnt(5)
	v_fma_f64 v[78:79], v[95:96], v[81:82], v[78:79]
	s_waitcnt vmcnt(4) lgkmcnt(0)
	v_fma_f64 v[78:79], v[91:92], v[83:84], v[78:79]
	s_waitcnt vmcnt(2)
	v_fma_f64 v[78:79], v[93:94], v[85:86], v[78:79]
	s_waitcnt vmcnt(0)
	v_add_f64 v[78:79], v[99:100], -v[78:79]
	buffer_store_dword v79, off, s[0:3], 0 offset:44
	buffer_store_dword v78, off, s[0:3], 0 offset:40
	s_and_saveexec_b64 s[4:5], vcc
	s_cbranch_execz .LBB37_227
; %bb.226:
	buffer_load_dword v78, off, s[0:3], 0 offset:32
	buffer_load_dword v79, off, s[0:3], 0 offset:36
	v_mov_b32_e32 v80, 0
	buffer_store_dword v80, off, s[0:3], 0 offset:32
	buffer_store_dword v80, off, s[0:3], 0 offset:36
	s_waitcnt vmcnt(2)
	ds_write_b64 v77, v[78:79]
.LBB37_227:
	s_or_b64 exec, exec, s[4:5]
	s_waitcnt lgkmcnt(0)
	; wave barrier
	buffer_load_dword v87, off, s[0:3], 0 offset:40
	buffer_load_dword v88, off, s[0:3], 0 offset:44
	;; [unrolled: 1-line block ×21, first 2 shown]
	v_mov_b32_e32 v78, 0
	ds_read2_b64 v[79:82], v78 offset0:43 offset1:44
	ds_read2_b64 v[83:86], v78 offset0:45 offset1:46
	buffer_load_dword v104, off, s[0:3], 0 offset:124
	v_cmp_lt_u32_e32 vcc, 3, v0
	s_waitcnt vmcnt(20) lgkmcnt(1)
	v_fma_f64 v[79:80], v[87:88], v[79:80], 0
	s_waitcnt vmcnt(18)
	v_fma_f64 v[79:80], v[89:90], v[81:82], v[79:80]
	buffer_load_dword v88, off, s[0:3], 0 offset:132
	buffer_load_dword v89, off, s[0:3], 0 offset:152
	buffer_load_dword v109, off, s[0:3], 0 offset:144
	buffer_load_dword v111, off, s[0:3], 0 offset:136
	buffer_load_dword v87, off, s[0:3], 0 offset:128
	buffer_load_dword v112, off, s[0:3], 0 offset:140
	buffer_load_dword v110, off, s[0:3], 0 offset:148
	s_waitcnt vmcnt(23) lgkmcnt(0)
	v_fma_f64 v[79:80], v[91:92], v[83:84], v[79:80]
	s_waitcnt vmcnt(21)
	v_fma_f64 v[90:91], v[93:94], v[85:86], v[79:80]
	ds_read2_b64 v[79:82], v78 offset0:47 offset1:48
	ds_read2_b64 v[83:86], v78 offset0:49 offset1:50
	s_waitcnt vmcnt(19) lgkmcnt(1)
	v_fma_f64 v[79:80], v[95:96], v[79:80], v[90:91]
	buffer_load_dword v90, off, s[0:3], 0 offset:156
	s_waitcnt vmcnt(18)
	v_fma_f64 v[79:80], v[97:98], v[81:82], v[79:80]
	buffer_load_dword v92, off, s[0:3], 0 offset:164
	buffer_load_dword v93, off, s[0:3], 0 offset:184
	;; [unrolled: 1-line block ×7, first 2 shown]
	s_waitcnt vmcnt(23) lgkmcnt(0)
	v_fma_f64 v[79:80], v[99:100], v[83:84], v[79:80]
	s_waitcnt vmcnt(18)
	v_fma_f64 v[99:100], v[101:102], v[85:86], v[79:80]
	ds_read2_b64 v[79:82], v78 offset0:51 offset1:52
	ds_read2_b64 v[83:86], v78 offset0:53 offset1:54
	buffer_load_dword v94, off, s[0:3], 0 offset:188
	s_waitcnt vmcnt(18) lgkmcnt(1)
	v_fma_f64 v[79:80], v[107:108], v[79:80], v[99:100]
	s_waitcnt vmcnt(17)
	v_fma_f64 v[79:80], v[105:106], v[81:82], v[79:80]
	buffer_load_dword v100, off, s[0:3], 0 offset:196
	buffer_load_dword v101, off, s[0:3], 0 offset:216
	;; [unrolled: 1-line block ×7, first 2 shown]
	s_waitcnt vmcnt(23) lgkmcnt(0)
	v_fma_f64 v[79:80], v[103:104], v[83:84], v[79:80]
	s_waitcnt vmcnt(18)
	v_fma_f64 v[87:88], v[87:88], v[85:86], v[79:80]
	ds_read2_b64 v[79:82], v78 offset0:55 offset1:56
	ds_read2_b64 v[83:86], v78 offset0:57 offset1:58
	buffer_load_dword v102, off, s[0:3], 0 offset:220
	s_waitcnt vmcnt(18) lgkmcnt(1)
	v_fma_f64 v[79:80], v[111:112], v[79:80], v[87:88]
	s_waitcnt vmcnt(17)
	v_fma_f64 v[79:80], v[109:110], v[81:82], v[79:80]
	buffer_load_dword v88, off, s[0:3], 0 offset:228
	buffer_load_dword v103, off, s[0:3], 0 offset:248
	;; [unrolled: 1-line block ×8, first 2 shown]
	s_waitcnt vmcnt(24) lgkmcnt(0)
	v_fma_f64 v[79:80], v[89:90], v[83:84], v[79:80]
	s_waitcnt vmcnt(19)
	v_fma_f64 v[89:90], v[91:92], v[85:86], v[79:80]
	ds_read2_b64 v[79:82], v78 offset0:59 offset1:60
	ds_read2_b64 v[83:86], v78 offset0:61 offset1:62
	s_waitcnt vmcnt(18) lgkmcnt(1)
	v_fma_f64 v[79:80], v[97:98], v[79:80], v[89:90]
	s_waitcnt vmcnt(17)
	v_fma_f64 v[79:80], v[95:96], v[81:82], v[79:80]
	buffer_load_dword v90, off, s[0:3], 0 offset:260
	buffer_load_dword v91, off, s[0:3], 0 offset:280
	;; [unrolled: 1-line block ×7, first 2 shown]
	s_waitcnt vmcnt(23) lgkmcnt(0)
	v_fma_f64 v[79:80], v[93:94], v[83:84], v[79:80]
	s_waitcnt vmcnt(18)
	v_fma_f64 v[92:93], v[99:100], v[85:86], v[79:80]
	ds_read2_b64 v[79:82], v78 offset0:63 offset1:64
	ds_read2_b64 v[83:86], v78 offset0:65 offset1:66
	s_waitcnt vmcnt(17) lgkmcnt(1)
	v_fma_f64 v[79:80], v[107:108], v[79:80], v[92:93]
	buffer_load_dword v92, off, s[0:3], 0 offset:284
	buffer_load_dword v94, off, s[0:3], 0 offset:292
	;; [unrolled: 1-line block ×5, first 2 shown]
	s_waitcnt vmcnt(21)
	v_fma_f64 v[79:80], v[105:106], v[81:82], v[79:80]
	s_waitcnt vmcnt(20) lgkmcnt(0)
	v_fma_f64 v[79:80], v[101:102], v[83:84], v[79:80]
	buffer_load_dword v101, off, s[0:3], 0 offset:32
	buffer_load_dword v102, off, s[0:3], 0 offset:36
	s_waitcnt vmcnt(17)
	v_fma_f64 v[87:88], v[87:88], v[85:86], v[79:80]
	ds_read2_b64 v[79:82], v78 offset0:67 offset1:68
	ds_read2_b64 v[83:86], v78 offset0:69 offset1:70
	s_waitcnt vmcnt(16) lgkmcnt(1)
	v_fma_f64 v[79:80], v[111:112], v[79:80], v[87:88]
	s_waitcnt vmcnt(15)
	v_fma_f64 v[79:80], v[109:110], v[81:82], v[79:80]
	s_waitcnt vmcnt(14) lgkmcnt(0)
	v_fma_f64 v[79:80], v[103:104], v[83:84], v[79:80]
	s_waitcnt vmcnt(9)
	v_fma_f64 v[87:88], v[89:90], v[85:86], v[79:80]
	ds_read2_b64 v[79:82], v78 offset0:71 offset1:72
	ds_read2_b64 v[83:86], v78 offset0:73 offset1:74
	s_waitcnt vmcnt(8) lgkmcnt(1)
	v_fma_f64 v[79:80], v[97:98], v[79:80], v[87:88]
	s_waitcnt vmcnt(7)
	v_fma_f64 v[79:80], v[95:96], v[81:82], v[79:80]
	ds_read_b64 v[81:82], v78 offset:600
	s_waitcnt vmcnt(6) lgkmcnt(1)
	v_fma_f64 v[79:80], v[91:92], v[83:84], v[79:80]
	s_waitcnt vmcnt(3)
	v_fma_f64 v[79:80], v[93:94], v[85:86], v[79:80]
	s_waitcnt vmcnt(2) lgkmcnt(0)
	v_fma_f64 v[79:80], v[99:100], v[81:82], v[79:80]
	s_waitcnt vmcnt(0)
	v_add_f64 v[79:80], v[101:102], -v[79:80]
	buffer_store_dword v80, off, s[0:3], 0 offset:36
	buffer_store_dword v79, off, s[0:3], 0 offset:32
	s_and_saveexec_b64 s[4:5], vcc
	s_cbranch_execz .LBB37_229
; %bb.228:
	buffer_load_dword v79, off, s[0:3], 0 offset:24
	buffer_load_dword v80, off, s[0:3], 0 offset:28
	s_waitcnt vmcnt(0)
	ds_write_b64 v77, v[79:80]
	buffer_store_dword v78, off, s[0:3], 0 offset:24
	buffer_store_dword v78, off, s[0:3], 0 offset:28
.LBB37_229:
	s_or_b64 exec, exec, s[4:5]
	s_waitcnt lgkmcnt(0)
	; wave barrier
	buffer_load_dword v87, off, s[0:3], 0 offset:32
	buffer_load_dword v88, off, s[0:3], 0 offset:36
	;; [unrolled: 1-line block ×21, first 2 shown]
	ds_read_b128 v[79:82], v78 offset:336
	ds_read_b128 v[83:86], v78 offset:352
	buffer_load_dword v104, off, s[0:3], 0 offset:116
	v_cmp_lt_u32_e32 vcc, 2, v0
	s_waitcnt vmcnt(20) lgkmcnt(1)
	v_fma_f64 v[79:80], v[87:88], v[79:80], 0
	s_waitcnt vmcnt(18)
	v_fma_f64 v[79:80], v[89:90], v[81:82], v[79:80]
	buffer_load_dword v88, off, s[0:3], 0 offset:124
	buffer_load_dword v89, off, s[0:3], 0 offset:144
	;; [unrolled: 1-line block ×7, first 2 shown]
	s_waitcnt vmcnt(23) lgkmcnt(0)
	v_fma_f64 v[79:80], v[91:92], v[83:84], v[79:80]
	s_waitcnt vmcnt(21)
	v_fma_f64 v[90:91], v[93:94], v[85:86], v[79:80]
	ds_read_b128 v[79:82], v78 offset:368
	ds_read_b128 v[83:86], v78 offset:384
	s_waitcnt vmcnt(19) lgkmcnt(1)
	v_fma_f64 v[79:80], v[95:96], v[79:80], v[90:91]
	buffer_load_dword v90, off, s[0:3], 0 offset:148
	s_waitcnt vmcnt(18)
	v_fma_f64 v[79:80], v[97:98], v[81:82], v[79:80]
	buffer_load_dword v92, off, s[0:3], 0 offset:156
	buffer_load_dword v93, off, s[0:3], 0 offset:176
	;; [unrolled: 1-line block ×8, first 2 shown]
	s_waitcnt vmcnt(24) lgkmcnt(0)
	v_fma_f64 v[79:80], v[99:100], v[83:84], v[79:80]
	s_waitcnt vmcnt(19)
	v_fma_f64 v[99:100], v[101:102], v[85:86], v[79:80]
	ds_read_b128 v[79:82], v78 offset:400
	ds_read_b128 v[83:86], v78 offset:416
	s_waitcnt vmcnt(18) lgkmcnt(1)
	v_fma_f64 v[79:80], v[107:108], v[79:80], v[99:100]
	s_waitcnt vmcnt(17)
	v_fma_f64 v[79:80], v[105:106], v[81:82], v[79:80]
	buffer_load_dword v100, off, s[0:3], 0 offset:188
	buffer_load_dword v101, off, s[0:3], 0 offset:208
	;; [unrolled: 1-line block ×7, first 2 shown]
	s_waitcnt vmcnt(23) lgkmcnt(0)
	v_fma_f64 v[79:80], v[103:104], v[83:84], v[79:80]
	s_waitcnt vmcnt(18)
	v_fma_f64 v[87:88], v[87:88], v[85:86], v[79:80]
	ds_read_b128 v[79:82], v78 offset:432
	ds_read_b128 v[83:86], v78 offset:448
	buffer_load_dword v102, off, s[0:3], 0 offset:212
	s_waitcnt vmcnt(18) lgkmcnt(1)
	v_fma_f64 v[79:80], v[111:112], v[79:80], v[87:88]
	s_waitcnt vmcnt(17)
	v_fma_f64 v[79:80], v[109:110], v[81:82], v[79:80]
	buffer_load_dword v88, off, s[0:3], 0 offset:220
	buffer_load_dword v103, off, s[0:3], 0 offset:240
	;; [unrolled: 1-line block ×8, first 2 shown]
	s_waitcnt vmcnt(24) lgkmcnt(0)
	v_fma_f64 v[79:80], v[89:90], v[83:84], v[79:80]
	s_waitcnt vmcnt(19)
	v_fma_f64 v[89:90], v[91:92], v[85:86], v[79:80]
	ds_read_b128 v[79:82], v78 offset:464
	ds_read_b128 v[83:86], v78 offset:480
	s_waitcnt vmcnt(18) lgkmcnt(1)
	v_fma_f64 v[79:80], v[97:98], v[79:80], v[89:90]
	s_waitcnt vmcnt(17)
	v_fma_f64 v[79:80], v[95:96], v[81:82], v[79:80]
	buffer_load_dword v90, off, s[0:3], 0 offset:252
	buffer_load_dword v91, off, s[0:3], 0 offset:272
	;; [unrolled: 1-line block ×7, first 2 shown]
	s_waitcnt vmcnt(23) lgkmcnt(0)
	v_fma_f64 v[79:80], v[93:94], v[83:84], v[79:80]
	s_waitcnt vmcnt(18)
	v_fma_f64 v[92:93], v[99:100], v[85:86], v[79:80]
	ds_read_b128 v[79:82], v78 offset:496
	ds_read_b128 v[83:86], v78 offset:512
	s_waitcnt vmcnt(17) lgkmcnt(1)
	v_fma_f64 v[79:80], v[107:108], v[79:80], v[92:93]
	buffer_load_dword v92, off, s[0:3], 0 offset:276
	s_waitcnt vmcnt(17)
	v_fma_f64 v[79:80], v[105:106], v[81:82], v[79:80]
	buffer_load_dword v94, off, s[0:3], 0 offset:284
	buffer_load_dword v99, off, s[0:3], 0 offset:296
	buffer_load_dword v105, off, s[0:3], 0 offset:288
	buffer_load_dword v93, off, s[0:3], 0 offset:280
	buffer_load_dword v106, off, s[0:3], 0 offset:292
	buffer_load_dword v100, off, s[0:3], 0 offset:300
	s_waitcnt vmcnt(22) lgkmcnt(0)
	v_fma_f64 v[79:80], v[101:102], v[83:84], v[79:80]
	s_waitcnt vmcnt(17)
	v_fma_f64 v[87:88], v[87:88], v[85:86], v[79:80]
	ds_read_b128 v[79:82], v78 offset:528
	buffer_load_dword v101, off, s[0:3], 0 offset:24
	buffer_load_dword v102, off, s[0:3], 0 offset:28
	ds_read_b128 v[83:86], v78 offset:544
	s_waitcnt vmcnt(18) lgkmcnt(1)
	v_fma_f64 v[79:80], v[111:112], v[79:80], v[87:88]
	s_waitcnt vmcnt(17)
	v_fma_f64 v[79:80], v[109:110], v[81:82], v[79:80]
	s_waitcnt vmcnt(16) lgkmcnt(0)
	v_fma_f64 v[79:80], v[103:104], v[83:84], v[79:80]
	s_waitcnt vmcnt(11)
	v_fma_f64 v[87:88], v[89:90], v[85:86], v[79:80]
	ds_read_b128 v[79:82], v78 offset:560
	ds_read_b128 v[83:86], v78 offset:576
	s_waitcnt vmcnt(10) lgkmcnt(1)
	v_fma_f64 v[79:80], v[97:98], v[79:80], v[87:88]
	s_waitcnt vmcnt(9)
	v_fma_f64 v[79:80], v[95:96], v[81:82], v[79:80]
	s_waitcnt vmcnt(8) lgkmcnt(0)
	v_fma_f64 v[79:80], v[91:92], v[83:84], v[79:80]
	s_waitcnt vmcnt(4)
	v_fma_f64 v[82:83], v[93:94], v[85:86], v[79:80]
	ds_read_b128 v[78:81], v78 offset:592
	s_waitcnt vmcnt(3) lgkmcnt(0)
	v_fma_f64 v[78:79], v[105:106], v[78:79], v[82:83]
	s_waitcnt vmcnt(2)
	v_fma_f64 v[78:79], v[99:100], v[80:81], v[78:79]
	s_waitcnt vmcnt(0)
	v_add_f64 v[78:79], v[101:102], -v[78:79]
	buffer_store_dword v79, off, s[0:3], 0 offset:28
	buffer_store_dword v78, off, s[0:3], 0 offset:24
	s_and_saveexec_b64 s[4:5], vcc
	s_cbranch_execz .LBB37_231
; %bb.230:
	buffer_load_dword v78, off, s[0:3], 0 offset:16
	buffer_load_dword v79, off, s[0:3], 0 offset:20
	v_mov_b32_e32 v80, 0
	buffer_store_dword v80, off, s[0:3], 0 offset:16
	buffer_store_dword v80, off, s[0:3], 0 offset:20
	s_waitcnt vmcnt(2)
	ds_write_b64 v77, v[78:79]
.LBB37_231:
	s_or_b64 exec, exec, s[4:5]
	s_waitcnt lgkmcnt(0)
	; wave barrier
	buffer_load_dword v87, off, s[0:3], 0 offset:24
	buffer_load_dword v88, off, s[0:3], 0 offset:28
	;; [unrolled: 1-line block ×21, first 2 shown]
	v_mov_b32_e32 v78, 0
	ds_read2_b64 v[79:82], v78 offset0:41 offset1:42
	ds_read2_b64 v[83:86], v78 offset0:43 offset1:44
	buffer_load_dword v104, off, s[0:3], 0 offset:108
	v_cmp_lt_u32_e32 vcc, 1, v0
	s_waitcnt vmcnt(20) lgkmcnt(1)
	v_fma_f64 v[79:80], v[87:88], v[79:80], 0
	s_waitcnt vmcnt(18)
	v_fma_f64 v[79:80], v[89:90], v[81:82], v[79:80]
	buffer_load_dword v88, off, s[0:3], 0 offset:116
	buffer_load_dword v89, off, s[0:3], 0 offset:136
	;; [unrolled: 1-line block ×7, first 2 shown]
	s_waitcnt vmcnt(23) lgkmcnt(0)
	v_fma_f64 v[79:80], v[91:92], v[83:84], v[79:80]
	s_waitcnt vmcnt(21)
	v_fma_f64 v[90:91], v[93:94], v[85:86], v[79:80]
	ds_read2_b64 v[79:82], v78 offset0:45 offset1:46
	ds_read2_b64 v[83:86], v78 offset0:47 offset1:48
	s_waitcnt vmcnt(19) lgkmcnt(1)
	v_fma_f64 v[79:80], v[95:96], v[79:80], v[90:91]
	buffer_load_dword v90, off, s[0:3], 0 offset:140
	s_waitcnt vmcnt(18)
	v_fma_f64 v[79:80], v[97:98], v[81:82], v[79:80]
	buffer_load_dword v92, off, s[0:3], 0 offset:148
	buffer_load_dword v93, off, s[0:3], 0 offset:168
	;; [unrolled: 1-line block ×8, first 2 shown]
	s_waitcnt vmcnt(24) lgkmcnt(0)
	v_fma_f64 v[79:80], v[99:100], v[83:84], v[79:80]
	s_waitcnt vmcnt(19)
	v_fma_f64 v[99:100], v[101:102], v[85:86], v[79:80]
	ds_read2_b64 v[79:82], v78 offset0:49 offset1:50
	ds_read2_b64 v[83:86], v78 offset0:51 offset1:52
	s_waitcnt vmcnt(18) lgkmcnt(1)
	v_fma_f64 v[79:80], v[107:108], v[79:80], v[99:100]
	s_waitcnt vmcnt(17)
	v_fma_f64 v[79:80], v[105:106], v[81:82], v[79:80]
	buffer_load_dword v100, off, s[0:3], 0 offset:180
	buffer_load_dword v101, off, s[0:3], 0 offset:200
	;; [unrolled: 1-line block ×7, first 2 shown]
	s_waitcnt vmcnt(23) lgkmcnt(0)
	v_fma_f64 v[79:80], v[103:104], v[83:84], v[79:80]
	s_waitcnt vmcnt(18)
	v_fma_f64 v[87:88], v[87:88], v[85:86], v[79:80]
	ds_read2_b64 v[79:82], v78 offset0:53 offset1:54
	ds_read2_b64 v[83:86], v78 offset0:55 offset1:56
	buffer_load_dword v102, off, s[0:3], 0 offset:204
	s_waitcnt vmcnt(18) lgkmcnt(1)
	v_fma_f64 v[79:80], v[111:112], v[79:80], v[87:88]
	s_waitcnt vmcnt(17)
	v_fma_f64 v[79:80], v[109:110], v[81:82], v[79:80]
	buffer_load_dword v88, off, s[0:3], 0 offset:212
	buffer_load_dword v103, off, s[0:3], 0 offset:232
	;; [unrolled: 1-line block ×8, first 2 shown]
	s_waitcnt vmcnt(24) lgkmcnt(0)
	v_fma_f64 v[79:80], v[89:90], v[83:84], v[79:80]
	s_waitcnt vmcnt(19)
	v_fma_f64 v[89:90], v[91:92], v[85:86], v[79:80]
	ds_read2_b64 v[79:82], v78 offset0:57 offset1:58
	ds_read2_b64 v[83:86], v78 offset0:59 offset1:60
	s_waitcnt vmcnt(18) lgkmcnt(1)
	v_fma_f64 v[79:80], v[97:98], v[79:80], v[89:90]
	s_waitcnt vmcnt(17)
	v_fma_f64 v[79:80], v[95:96], v[81:82], v[79:80]
	buffer_load_dword v90, off, s[0:3], 0 offset:244
	buffer_load_dword v91, off, s[0:3], 0 offset:264
	;; [unrolled: 1-line block ×7, first 2 shown]
	s_waitcnt vmcnt(23) lgkmcnt(0)
	v_fma_f64 v[79:80], v[93:94], v[83:84], v[79:80]
	s_waitcnt vmcnt(18)
	v_fma_f64 v[92:93], v[99:100], v[85:86], v[79:80]
	ds_read2_b64 v[79:82], v78 offset0:61 offset1:62
	ds_read2_b64 v[83:86], v78 offset0:63 offset1:64
	s_waitcnt vmcnt(17) lgkmcnt(1)
	v_fma_f64 v[79:80], v[107:108], v[79:80], v[92:93]
	buffer_load_dword v92, off, s[0:3], 0 offset:268
	s_waitcnt vmcnt(17)
	v_fma_f64 v[79:80], v[105:106], v[81:82], v[79:80]
	buffer_load_dword v94, off, s[0:3], 0 offset:276
	buffer_load_dword v99, off, s[0:3], 0 offset:296
	;; [unrolled: 1-line block ×8, first 2 shown]
	s_waitcnt vmcnt(24) lgkmcnt(0)
	v_fma_f64 v[79:80], v[101:102], v[83:84], v[79:80]
	s_waitcnt vmcnt(19)
	v_fma_f64 v[87:88], v[87:88], v[85:86], v[79:80]
	ds_read2_b64 v[79:82], v78 offset0:65 offset1:66
	ds_read2_b64 v[83:86], v78 offset0:67 offset1:68
	s_waitcnt vmcnt(18) lgkmcnt(1)
	v_fma_f64 v[79:80], v[111:112], v[79:80], v[87:88]
	buffer_load_dword v87, off, s[0:3], 0 offset:16
	buffer_load_dword v88, off, s[0:3], 0 offset:20
	s_waitcnt vmcnt(19)
	v_fma_f64 v[79:80], v[109:110], v[81:82], v[79:80]
	s_waitcnt vmcnt(18) lgkmcnt(0)
	v_fma_f64 v[79:80], v[103:104], v[83:84], v[79:80]
	s_waitcnt vmcnt(13)
	v_fma_f64 v[89:90], v[89:90], v[85:86], v[79:80]
	ds_read2_b64 v[79:82], v78 offset0:69 offset1:70
	ds_read2_b64 v[83:86], v78 offset0:71 offset1:72
	s_waitcnt vmcnt(12) lgkmcnt(1)
	v_fma_f64 v[79:80], v[97:98], v[79:80], v[89:90]
	s_waitcnt vmcnt(11)
	v_fma_f64 v[79:80], v[95:96], v[81:82], v[79:80]
	s_waitcnt vmcnt(10) lgkmcnt(0)
	v_fma_f64 v[79:80], v[91:92], v[83:84], v[79:80]
	s_waitcnt vmcnt(5)
	v_fma_f64 v[83:84], v[93:94], v[85:86], v[79:80]
	ds_read2_b64 v[79:82], v78 offset0:73 offset1:74
	ds_read_b64 v[85:86], v78 offset:600
	s_waitcnt vmcnt(4) lgkmcnt(1)
	v_fma_f64 v[79:80], v[107:108], v[79:80], v[83:84]
	s_waitcnt vmcnt(3)
	v_fma_f64 v[79:80], v[105:106], v[81:82], v[79:80]
	s_waitcnt vmcnt(2) lgkmcnt(0)
	v_fma_f64 v[79:80], v[99:100], v[85:86], v[79:80]
	s_waitcnt vmcnt(0)
	v_add_f64 v[79:80], v[87:88], -v[79:80]
	buffer_store_dword v80, off, s[0:3], 0 offset:20
	buffer_store_dword v79, off, s[0:3], 0 offset:16
	s_and_saveexec_b64 s[4:5], vcc
	s_cbranch_execz .LBB37_233
; %bb.232:
	buffer_load_dword v79, off, s[0:3], 0 offset:8
	buffer_load_dword v80, off, s[0:3], 0 offset:12
	s_waitcnt vmcnt(0)
	ds_write_b64 v77, v[79:80]
	buffer_store_dword v78, off, s[0:3], 0 offset:8
	buffer_store_dword v78, off, s[0:3], 0 offset:12
.LBB37_233:
	s_or_b64 exec, exec, s[4:5]
	s_waitcnt lgkmcnt(0)
	; wave barrier
	buffer_load_dword v87, off, s[0:3], 0 offset:16
	buffer_load_dword v88, off, s[0:3], 0 offset:20
	;; [unrolled: 1-line block ×21, first 2 shown]
	ds_read_b128 v[79:82], v78 offset:320
	ds_read_b128 v[83:86], v78 offset:336
	buffer_load_dword v104, off, s[0:3], 0 offset:100
	v_cmp_ne_u32_e32 vcc, 0, v0
	s_waitcnt vmcnt(20) lgkmcnt(1)
	v_fma_f64 v[79:80], v[87:88], v[79:80], 0
	s_waitcnt vmcnt(18)
	v_fma_f64 v[79:80], v[89:90], v[81:82], v[79:80]
	buffer_load_dword v88, off, s[0:3], 0 offset:108
	buffer_load_dword v89, off, s[0:3], 0 offset:128
	;; [unrolled: 1-line block ×7, first 2 shown]
	s_waitcnt vmcnt(23) lgkmcnt(0)
	v_fma_f64 v[79:80], v[91:92], v[83:84], v[79:80]
	s_waitcnt vmcnt(21)
	v_fma_f64 v[90:91], v[93:94], v[85:86], v[79:80]
	ds_read_b128 v[79:82], v78 offset:352
	ds_read_b128 v[83:86], v78 offset:368
	s_waitcnt vmcnt(19) lgkmcnt(1)
	v_fma_f64 v[79:80], v[95:96], v[79:80], v[90:91]
	buffer_load_dword v90, off, s[0:3], 0 offset:132
	s_waitcnt vmcnt(18)
	v_fma_f64 v[79:80], v[97:98], v[81:82], v[79:80]
	buffer_load_dword v92, off, s[0:3], 0 offset:140
	buffer_load_dword v93, off, s[0:3], 0 offset:160
	;; [unrolled: 1-line block ×8, first 2 shown]
	s_waitcnt vmcnt(24) lgkmcnt(0)
	v_fma_f64 v[79:80], v[99:100], v[83:84], v[79:80]
	s_waitcnt vmcnt(19)
	v_fma_f64 v[99:100], v[101:102], v[85:86], v[79:80]
	ds_read_b128 v[79:82], v78 offset:384
	ds_read_b128 v[83:86], v78 offset:400
	s_waitcnt vmcnt(18) lgkmcnt(1)
	v_fma_f64 v[79:80], v[107:108], v[79:80], v[99:100]
	s_waitcnt vmcnt(17)
	v_fma_f64 v[79:80], v[105:106], v[81:82], v[79:80]
	buffer_load_dword v100, off, s[0:3], 0 offset:172
	buffer_load_dword v101, off, s[0:3], 0 offset:192
	;; [unrolled: 1-line block ×7, first 2 shown]
	s_waitcnt vmcnt(23) lgkmcnt(0)
	v_fma_f64 v[79:80], v[103:104], v[83:84], v[79:80]
	s_waitcnt vmcnt(18)
	v_fma_f64 v[87:88], v[87:88], v[85:86], v[79:80]
	ds_read_b128 v[79:82], v78 offset:416
	ds_read_b128 v[83:86], v78 offset:432
	buffer_load_dword v102, off, s[0:3], 0 offset:196
	s_waitcnt vmcnt(18) lgkmcnt(1)
	v_fma_f64 v[79:80], v[111:112], v[79:80], v[87:88]
	s_waitcnt vmcnt(17)
	v_fma_f64 v[79:80], v[109:110], v[81:82], v[79:80]
	buffer_load_dword v88, off, s[0:3], 0 offset:204
	buffer_load_dword v103, off, s[0:3], 0 offset:224
	buffer_load_dword v109, off, s[0:3], 0 offset:216
	buffer_load_dword v111, off, s[0:3], 0 offset:208
	buffer_load_dword v87, off, s[0:3], 0 offset:200
	buffer_load_dword v112, off, s[0:3], 0 offset:212
	buffer_load_dword v110, off, s[0:3], 0 offset:220
	buffer_load_dword v104, off, s[0:3], 0 offset:228
	s_waitcnt vmcnt(24) lgkmcnt(0)
	v_fma_f64 v[79:80], v[89:90], v[83:84], v[79:80]
	s_waitcnt vmcnt(19)
	v_fma_f64 v[89:90], v[91:92], v[85:86], v[79:80]
	ds_read_b128 v[79:82], v78 offset:448
	ds_read_b128 v[83:86], v78 offset:464
	s_waitcnt vmcnt(18) lgkmcnt(1)
	v_fma_f64 v[79:80], v[97:98], v[79:80], v[89:90]
	s_waitcnt vmcnt(17)
	v_fma_f64 v[79:80], v[95:96], v[81:82], v[79:80]
	buffer_load_dword v90, off, s[0:3], 0 offset:236
	buffer_load_dword v91, off, s[0:3], 0 offset:256
	;; [unrolled: 1-line block ×7, first 2 shown]
	s_waitcnt vmcnt(23) lgkmcnt(0)
	v_fma_f64 v[79:80], v[93:94], v[83:84], v[79:80]
	s_waitcnt vmcnt(18)
	v_fma_f64 v[92:93], v[99:100], v[85:86], v[79:80]
	ds_read_b128 v[79:82], v78 offset:480
	ds_read_b128 v[83:86], v78 offset:496
	s_waitcnt vmcnt(17) lgkmcnt(1)
	v_fma_f64 v[79:80], v[107:108], v[79:80], v[92:93]
	buffer_load_dword v92, off, s[0:3], 0 offset:260
	s_waitcnt vmcnt(17)
	v_fma_f64 v[79:80], v[105:106], v[81:82], v[79:80]
	buffer_load_dword v94, off, s[0:3], 0 offset:268
	buffer_load_dword v99, off, s[0:3], 0 offset:288
	;; [unrolled: 1-line block ×8, first 2 shown]
	s_waitcnt vmcnt(24) lgkmcnt(0)
	v_fma_f64 v[79:80], v[101:102], v[83:84], v[79:80]
	s_waitcnt vmcnt(19)
	v_fma_f64 v[87:88], v[87:88], v[85:86], v[79:80]
	ds_read_b128 v[79:82], v78 offset:512
	ds_read_b128 v[83:86], v78 offset:528
	s_waitcnt vmcnt(18) lgkmcnt(1)
	v_fma_f64 v[79:80], v[111:112], v[79:80], v[87:88]
	buffer_load_dword v88, off, s[0:3], 0 offset:300
	buffer_load_dword v87, off, s[0:3], 0 offset:296
	;; [unrolled: 1-line block ×4, first 2 shown]
	s_waitcnt vmcnt(21)
	v_fma_f64 v[79:80], v[109:110], v[81:82], v[79:80]
	s_waitcnt vmcnt(20) lgkmcnt(0)
	v_fma_f64 v[79:80], v[103:104], v[83:84], v[79:80]
	s_waitcnt vmcnt(15)
	v_fma_f64 v[89:90], v[89:90], v[85:86], v[79:80]
	ds_read_b128 v[79:82], v78 offset:544
	ds_read_b128 v[83:86], v78 offset:560
	s_waitcnt vmcnt(14) lgkmcnt(1)
	v_fma_f64 v[79:80], v[97:98], v[79:80], v[89:90]
	s_waitcnt vmcnt(13)
	v_fma_f64 v[79:80], v[95:96], v[81:82], v[79:80]
	s_waitcnt vmcnt(12) lgkmcnt(0)
	v_fma_f64 v[79:80], v[91:92], v[83:84], v[79:80]
	s_waitcnt vmcnt(7)
	v_fma_f64 v[89:90], v[93:94], v[85:86], v[79:80]
	ds_read_b128 v[79:82], v78 offset:576
	ds_read_b128 v[83:86], v78 offset:592
	s_waitcnt vmcnt(6) lgkmcnt(1)
	v_fma_f64 v[78:79], v[107:108], v[79:80], v[89:90]
	s_waitcnt vmcnt(5)
	v_fma_f64 v[78:79], v[105:106], v[81:82], v[78:79]
	s_waitcnt vmcnt(4) lgkmcnt(0)
	v_fma_f64 v[78:79], v[99:100], v[83:84], v[78:79]
	s_waitcnt vmcnt(2)
	v_fma_f64 v[78:79], v[87:88], v[85:86], v[78:79]
	s_waitcnt vmcnt(0)
	v_add_f64 v[78:79], v[101:102], -v[78:79]
	buffer_store_dword v79, off, s[0:3], 0 offset:12
	buffer_store_dword v78, off, s[0:3], 0 offset:8
	s_and_saveexec_b64 s[4:5], vcc
	s_cbranch_execz .LBB37_235
; %bb.234:
	buffer_load_dword v78, off, s[0:3], 0
	buffer_load_dword v79, off, s[0:3], 0 offset:4
	v_mov_b32_e32 v0, 0
	buffer_store_dword v0, off, s[0:3], 0
	buffer_store_dword v0, off, s[0:3], 0 offset:4
	s_waitcnt vmcnt(2)
	ds_write_b64 v77, v[78:79]
.LBB37_235:
	s_or_b64 exec, exec, s[4:5]
	s_waitcnt lgkmcnt(0)
	; wave barrier
	buffer_load_dword v85, off, s[0:3], 0 offset:8
	buffer_load_dword v86, off, s[0:3], 0 offset:12
	;; [unrolled: 1-line block ×21, first 2 shown]
	v_mov_b32_e32 v0, 0
	ds_read2_b64 v[77:80], v0 offset0:39 offset1:40
	ds_read2_b64 v[81:84], v0 offset0:41 offset1:42
	buffer_load_dword v102, off, s[0:3], 0 offset:92
	s_and_b64 vcc, exec, s[22:23]
	s_waitcnt vmcnt(20) lgkmcnt(1)
	v_fma_f64 v[77:78], v[85:86], v[77:78], 0
	s_waitcnt vmcnt(18)
	v_fma_f64 v[77:78], v[87:88], v[79:80], v[77:78]
	buffer_load_dword v86, off, s[0:3], 0 offset:100
	buffer_load_dword v87, off, s[0:3], 0 offset:120
	;; [unrolled: 1-line block ×7, first 2 shown]
	s_waitcnt vmcnt(23) lgkmcnt(0)
	v_fma_f64 v[77:78], v[89:90], v[81:82], v[77:78]
	s_waitcnt vmcnt(21)
	v_fma_f64 v[88:89], v[91:92], v[83:84], v[77:78]
	ds_read2_b64 v[77:80], v0 offset0:43 offset1:44
	ds_read2_b64 v[81:84], v0 offset0:45 offset1:46
	s_waitcnt vmcnt(19) lgkmcnt(1)
	v_fma_f64 v[77:78], v[93:94], v[77:78], v[88:89]
	buffer_load_dword v88, off, s[0:3], 0 offset:124
	s_waitcnt vmcnt(18)
	v_fma_f64 v[77:78], v[95:96], v[79:80], v[77:78]
	buffer_load_dword v90, off, s[0:3], 0 offset:132
	buffer_load_dword v91, off, s[0:3], 0 offset:152
	;; [unrolled: 1-line block ×8, first 2 shown]
	s_waitcnt vmcnt(24) lgkmcnt(0)
	v_fma_f64 v[77:78], v[97:98], v[81:82], v[77:78]
	s_waitcnt vmcnt(19)
	v_fma_f64 v[97:98], v[99:100], v[83:84], v[77:78]
	ds_read2_b64 v[77:80], v0 offset0:47 offset1:48
	ds_read2_b64 v[81:84], v0 offset0:49 offset1:50
	s_waitcnt vmcnt(18) lgkmcnt(1)
	v_fma_f64 v[77:78], v[105:106], v[77:78], v[97:98]
	s_waitcnt vmcnt(17)
	v_fma_f64 v[77:78], v[103:104], v[79:80], v[77:78]
	buffer_load_dword v98, off, s[0:3], 0 offset:164
	buffer_load_dword v99, off, s[0:3], 0 offset:184
	;; [unrolled: 1-line block ×7, first 2 shown]
	s_waitcnt vmcnt(23) lgkmcnt(0)
	v_fma_f64 v[77:78], v[101:102], v[81:82], v[77:78]
	s_waitcnt vmcnt(18)
	v_fma_f64 v[85:86], v[85:86], v[83:84], v[77:78]
	ds_read2_b64 v[77:80], v0 offset0:51 offset1:52
	ds_read2_b64 v[81:84], v0 offset0:53 offset1:54
	buffer_load_dword v100, off, s[0:3], 0 offset:188
	s_waitcnt vmcnt(18) lgkmcnt(1)
	v_fma_f64 v[77:78], v[109:110], v[77:78], v[85:86]
	s_waitcnt vmcnt(17)
	v_fma_f64 v[77:78], v[107:108], v[79:80], v[77:78]
	buffer_load_dword v86, off, s[0:3], 0 offset:196
	buffer_load_dword v101, off, s[0:3], 0 offset:216
	;; [unrolled: 1-line block ×7, first 2 shown]
	s_waitcnt vmcnt(23) lgkmcnt(0)
	v_fma_f64 v[77:78], v[87:88], v[81:82], v[77:78]
	s_waitcnt vmcnt(18)
	v_fma_f64 v[87:88], v[89:90], v[83:84], v[77:78]
	ds_read2_b64 v[77:80], v0 offset0:55 offset1:56
	ds_read2_b64 v[81:84], v0 offset0:57 offset1:58
	buffer_load_dword v102, off, s[0:3], 0 offset:220
	s_waitcnt vmcnt(18) lgkmcnt(1)
	v_fma_f64 v[77:78], v[95:96], v[77:78], v[87:88]
	s_waitcnt vmcnt(17)
	v_fma_f64 v[77:78], v[93:94], v[79:80], v[77:78]
	buffer_load_dword v88, off, s[0:3], 0 offset:228
	buffer_load_dword v89, off, s[0:3], 0 offset:248
	;; [unrolled: 1-line block ×7, first 2 shown]
	s_waitcnt vmcnt(23) lgkmcnt(0)
	v_fma_f64 v[77:78], v[91:92], v[81:82], v[77:78]
	s_waitcnt vmcnt(18)
	v_fma_f64 v[90:91], v[97:98], v[83:84], v[77:78]
	ds_read2_b64 v[77:80], v0 offset0:59 offset1:60
	ds_read2_b64 v[81:84], v0 offset0:61 offset1:62
	s_waitcnt vmcnt(17) lgkmcnt(1)
	v_fma_f64 v[77:78], v[105:106], v[77:78], v[90:91]
	buffer_load_dword v90, off, s[0:3], 0 offset:252
	s_waitcnt vmcnt(17)
	v_fma_f64 v[77:78], v[103:104], v[79:80], v[77:78]
	buffer_load_dword v92, off, s[0:3], 0 offset:260
	buffer_load_dword v97, off, s[0:3], 0 offset:280
	buffer_load_dword v103, off, s[0:3], 0 offset:272
	buffer_load_dword v105, off, s[0:3], 0 offset:264
	buffer_load_dword v91, off, s[0:3], 0 offset:256
	buffer_load_dword v106, off, s[0:3], 0 offset:268
	buffer_load_dword v104, off, s[0:3], 0 offset:276
	s_waitcnt vmcnt(23) lgkmcnt(0)
	v_fma_f64 v[77:78], v[99:100], v[81:82], v[77:78]
	s_waitcnt vmcnt(18)
	v_fma_f64 v[85:86], v[85:86], v[83:84], v[77:78]
	ds_read2_b64 v[77:80], v0 offset0:63 offset1:64
	ds_read2_b64 v[81:84], v0 offset0:65 offset1:66
	buffer_load_dword v98, off, s[0:3], 0 offset:284
	s_waitcnt vmcnt(18) lgkmcnt(1)
	v_fma_f64 v[77:78], v[109:110], v[77:78], v[85:86]
	s_waitcnt vmcnt(17)
	v_fma_f64 v[79:80], v[107:108], v[79:80], v[77:78]
	buffer_load_dword v78, off, s[0:3], 0 offset:292
	buffer_load_dword v99, off, s[0:3], 0 offset:296
	;; [unrolled: 1-line block ×4, first 2 shown]
	s_waitcnt vmcnt(20) lgkmcnt(0)
	v_fma_f64 v[79:80], v[101:102], v[81:82], v[79:80]
	buffer_load_dword v101, off, s[0:3], 0
	buffer_load_dword v102, off, s[0:3], 0 offset:4
	s_waitcnt vmcnt(17)
	v_fma_f64 v[87:88], v[87:88], v[83:84], v[79:80]
	ds_read2_b64 v[79:82], v0 offset0:67 offset1:68
	ds_read2_b64 v[83:86], v0 offset0:69 offset1:70
	s_waitcnt vmcnt(16) lgkmcnt(1)
	v_fma_f64 v[79:80], v[95:96], v[79:80], v[87:88]
	s_waitcnt vmcnt(15)
	v_fma_f64 v[79:80], v[93:94], v[81:82], v[79:80]
	s_waitcnt vmcnt(14) lgkmcnt(0)
	v_fma_f64 v[79:80], v[89:90], v[83:84], v[79:80]
	s_waitcnt vmcnt(9)
	v_fma_f64 v[87:88], v[91:92], v[85:86], v[79:80]
	ds_read2_b64 v[79:82], v0 offset0:71 offset1:72
	ds_read2_b64 v[83:86], v0 offset0:73 offset1:74
	s_waitcnt vmcnt(8) lgkmcnt(1)
	v_fma_f64 v[79:80], v[105:106], v[79:80], v[87:88]
	s_waitcnt vmcnt(7)
	v_fma_f64 v[79:80], v[103:104], v[81:82], v[79:80]
	ds_read_b64 v[81:82], v0 offset:600
	s_waitcnt vmcnt(6) lgkmcnt(1)
	v_fma_f64 v[79:80], v[97:98], v[83:84], v[79:80]
	s_waitcnt vmcnt(3)
	v_fma_f64 v[79:80], v[77:78], v[85:86], v[79:80]
	s_waitcnt vmcnt(2) lgkmcnt(0)
	v_fma_f64 v[79:80], v[99:100], v[81:82], v[79:80]
	s_waitcnt vmcnt(0)
	v_add_f64 v[79:80], v[101:102], -v[79:80]
	buffer_store_dword v80, off, s[0:3], 0 offset:4
	buffer_store_dword v79, off, s[0:3], 0
	s_cbranch_vccz .LBB37_310
; %bb.236:
	global_load_dword v0, v0, s[20:21] offset:144
	s_waitcnt vmcnt(0)
	v_add_u32_e32 v0, -1, v0
	v_cmp_ne_u32_e32 vcc, 36, v0
	s_cbranch_vccz .LBB37_238
; %bb.237:
	v_lshlrev_b32_e32 v0, 3, v0
	buffer_load_dword v79, v0, s[0:3], 0 offen offset:4
	buffer_load_dword v80, v0, s[0:3], 0 offen
	s_waitcnt vmcnt(1)
	buffer_store_dword v79, off, s[0:3], 0 offset:292
	s_waitcnt vmcnt(1)
	buffer_store_dword v80, off, s[0:3], 0 offset:288
	buffer_store_dword v78, v0, s[0:3], 0 offen offset:4
	buffer_store_dword v77, v0, s[0:3], 0 offen
.LBB37_238:
	v_mov_b32_e32 v0, 0
	global_load_dword v77, v0, s[20:21] offset:140
	s_waitcnt vmcnt(0)
	v_add_u32_e32 v77, -1, v77
	v_cmp_eq_u32_e32 vcc, 35, v77
	s_cbranch_vccnz .LBB37_240
; %bb.239:
	v_lshlrev_b32_e32 v77, 3, v77
	buffer_load_dword v78, v77, s[0:3], 0 offen
	buffer_load_dword v79, v77, s[0:3], 0 offen offset:4
	buffer_load_dword v80, off, s[0:3], 0 offset:280
	buffer_load_dword v81, off, s[0:3], 0 offset:284
	s_waitcnt vmcnt(3)
	buffer_store_dword v78, off, s[0:3], 0 offset:280
	s_waitcnt vmcnt(3)
	buffer_store_dword v79, off, s[0:3], 0 offset:284
	s_waitcnt vmcnt(3)
	buffer_store_dword v80, v77, s[0:3], 0 offen
	s_waitcnt vmcnt(3)
	buffer_store_dword v81, v77, s[0:3], 0 offen offset:4
.LBB37_240:
	global_load_dword v0, v0, s[20:21] offset:136
	s_waitcnt vmcnt(0)
	v_add_u32_e32 v0, -1, v0
	v_cmp_eq_u32_e32 vcc, 34, v0
	s_cbranch_vccnz .LBB37_242
; %bb.241:
	v_lshlrev_b32_e32 v0, 3, v0
	buffer_load_dword v77, v0, s[0:3], 0 offen
	buffer_load_dword v78, v0, s[0:3], 0 offen offset:4
	buffer_load_dword v79, off, s[0:3], 0 offset:276
	buffer_load_dword v80, off, s[0:3], 0 offset:272
	s_waitcnt vmcnt(3)
	buffer_store_dword v77, off, s[0:3], 0 offset:272
	s_waitcnt vmcnt(3)
	buffer_store_dword v78, off, s[0:3], 0 offset:276
	s_waitcnt vmcnt(3)
	buffer_store_dword v79, v0, s[0:3], 0 offen offset:4
	s_waitcnt vmcnt(3)
	buffer_store_dword v80, v0, s[0:3], 0 offen
.LBB37_242:
	v_mov_b32_e32 v0, 0
	global_load_dword v77, v0, s[20:21] offset:132
	s_waitcnt vmcnt(0)
	v_add_u32_e32 v77, -1, v77
	v_cmp_eq_u32_e32 vcc, 33, v77
	s_cbranch_vccnz .LBB37_244
; %bb.243:
	v_lshlrev_b32_e32 v77, 3, v77
	buffer_load_dword v78, v77, s[0:3], 0 offen
	buffer_load_dword v79, v77, s[0:3], 0 offen offset:4
	buffer_load_dword v80, off, s[0:3], 0 offset:264
	buffer_load_dword v81, off, s[0:3], 0 offset:268
	s_waitcnt vmcnt(3)
	buffer_store_dword v78, off, s[0:3], 0 offset:264
	s_waitcnt vmcnt(3)
	buffer_store_dword v79, off, s[0:3], 0 offset:268
	s_waitcnt vmcnt(3)
	buffer_store_dword v80, v77, s[0:3], 0 offen
	s_waitcnt vmcnt(3)
	buffer_store_dword v81, v77, s[0:3], 0 offen offset:4
.LBB37_244:
	global_load_dword v0, v0, s[20:21] offset:128
	s_waitcnt vmcnt(0)
	v_add_u32_e32 v0, -1, v0
	v_cmp_eq_u32_e32 vcc, 32, v0
	s_cbranch_vccnz .LBB37_246
; %bb.245:
	v_lshlrev_b32_e32 v0, 3, v0
	buffer_load_dword v77, v0, s[0:3], 0 offen
	buffer_load_dword v78, v0, s[0:3], 0 offen offset:4
	buffer_load_dword v79, off, s[0:3], 0 offset:260
	buffer_load_dword v80, off, s[0:3], 0 offset:256
	s_waitcnt vmcnt(3)
	buffer_store_dword v77, off, s[0:3], 0 offset:256
	s_waitcnt vmcnt(3)
	buffer_store_dword v78, off, s[0:3], 0 offset:260
	s_waitcnt vmcnt(3)
	buffer_store_dword v79, v0, s[0:3], 0 offen offset:4
	s_waitcnt vmcnt(3)
	buffer_store_dword v80, v0, s[0:3], 0 offen
.LBB37_246:
	;; [unrolled: 41-line block ×17, first 2 shown]
	v_mov_b32_e32 v0, 0
	global_load_dword v77, v0, s[20:21] offset:4
	s_waitcnt vmcnt(0)
	v_add_u32_e32 v77, -1, v77
	v_cmp_eq_u32_e32 vcc, 1, v77
	s_cbranch_vccnz .LBB37_308
; %bb.307:
	v_lshlrev_b32_e32 v77, 3, v77
	buffer_load_dword v78, v77, s[0:3], 0 offen
	buffer_load_dword v79, v77, s[0:3], 0 offen offset:4
	buffer_load_dword v80, off, s[0:3], 0 offset:8
	buffer_load_dword v81, off, s[0:3], 0 offset:12
	s_waitcnt vmcnt(3)
	buffer_store_dword v78, off, s[0:3], 0 offset:8
	s_waitcnt vmcnt(3)
	buffer_store_dword v79, off, s[0:3], 0 offset:12
	s_waitcnt vmcnt(3)
	buffer_store_dword v80, v77, s[0:3], 0 offen
	s_waitcnt vmcnt(3)
	buffer_store_dword v81, v77, s[0:3], 0 offen offset:4
.LBB37_308:
	global_load_dword v0, v0, s[20:21]
	s_nop 0
	buffer_load_dword v79, off, s[0:3], 0
	buffer_load_dword v80, off, s[0:3], 0 offset:4
	s_waitcnt vmcnt(2)
	v_add_u32_e32 v0, -1, v0
	v_cmp_eq_u32_e32 vcc, 0, v0
	s_cbranch_vccnz .LBB37_310
; %bb.309:
	v_lshlrev_b32_e32 v0, 3, v0
	buffer_load_dword v77, v0, s[0:3], 0 offen offset:4
	buffer_load_dword v78, v0, s[0:3], 0 offen
	s_waitcnt vmcnt(1)
	buffer_store_dword v77, off, s[0:3], 0 offset:4
	s_waitcnt vmcnt(1)
	buffer_store_dword v78, off, s[0:3], 0
	buffer_store_dword v80, v0, s[0:3], 0 offen offset:4
	buffer_store_dword v79, v0, s[0:3], 0 offen
	buffer_load_dword v79, off, s[0:3], 0
	s_nop 0
	buffer_load_dword v80, off, s[0:3], 0 offset:4
.LBB37_310:
	buffer_load_dword v77, off, s[0:3], 0 offset:8
	buffer_load_dword v78, off, s[0:3], 0 offset:12
	;; [unrolled: 1-line block ×12, first 2 shown]
	s_waitcnt vmcnt(12)
	global_store_dwordx2 v[17:18], v[79:80], off
	buffer_load_dword v17, off, s[0:3], 0 offset:56
	s_nop 0
	buffer_load_dword v18, off, s[0:3], 0 offset:60
	buffer_load_dword v79, off, s[0:3], 0 offset:64
	;; [unrolled: 1-line block ×35, first 2 shown]
	s_waitcnt vmcnt(47)
	global_store_dwordx2 v[1:2], v[77:78], off
	s_waitcnt vmcnt(46)
	global_store_dwordx2 v[5:6], v[81:82], off
	buffer_load_dword v0, off, s[0:3], 0 offset:200
	buffer_load_dword v1, off, s[0:3], 0 offset:204
	s_nop 0
	buffer_load_dword v5, off, s[0:3], 0 offset:208
	buffer_load_dword v6, off, s[0:3], 0 offset:212
	buffer_load_dword v77, off, s[0:3], 0 offset:216
	buffer_load_dword v78, off, s[0:3], 0 offset:220
	buffer_load_dword v81, off, s[0:3], 0 offset:224
	buffer_load_dword v82, off, s[0:3], 0 offset:228
	s_waitcnt vmcnt(53)
	global_store_dwordx2 v[3:4], v[83:84], off
	s_waitcnt vmcnt(52)
	global_store_dwordx2 v[7:8], v[85:86], off
	buffer_load_dword v2, off, s[0:3], 0 offset:232
	buffer_load_dword v3, off, s[0:3], 0 offset:236
	s_nop 0
	buffer_load_dword v7, off, s[0:3], 0 offset:240
	buffer_load_dword v8, off, s[0:3], 0 offset:244
	buffer_load_dword v83, off, s[0:3], 0 offset:248
	buffer_load_dword v84, off, s[0:3], 0 offset:252
	buffer_load_dword v85, off, s[0:3], 0 offset:256
	buffer_load_dword v86, off, s[0:3], 0 offset:260
	;; [unrolled: 13-line block ×3, first 2 shown]
	buffer_load_dword v123, off, s[0:3], 0 offset:296
	buffer_load_dword v124, off, s[0:3], 0 offset:300
	s_waitcnt vmcnt(62)
	global_store_dwordx2 v[11:12], v[17:18], off
	global_store_dwordx2 v[15:16], v[79:80], off
	;; [unrolled: 1-line block ×3, first 2 shown]
	s_waitcnt vmcnt(62)
	global_store_dwordx2 v[21:22], v[93:94], off
	s_waitcnt vmcnt(62)
	global_store_dwordx2 v[23:24], v[95:96], off
	;; [unrolled: 2-line block ×28, first 2 shown]
	s_endpgm
	.section	.rodata,"a",@progbits
	.p2align	6, 0x0
	.amdhsa_kernel _ZN9rocsolver6v33100L18getri_kernel_smallILi38EdPdEEvT1_iilPiilS4_bb
		.amdhsa_group_segment_fixed_size 616
		.amdhsa_private_segment_fixed_size 320
		.amdhsa_kernarg_size 60
		.amdhsa_user_sgpr_count 6
		.amdhsa_user_sgpr_private_segment_buffer 1
		.amdhsa_user_sgpr_dispatch_ptr 0
		.amdhsa_user_sgpr_queue_ptr 0
		.amdhsa_user_sgpr_kernarg_segment_ptr 1
		.amdhsa_user_sgpr_dispatch_id 0
		.amdhsa_user_sgpr_flat_scratch_init 0
		.amdhsa_user_sgpr_private_segment_size 0
		.amdhsa_uses_dynamic_stack 0
		.amdhsa_system_sgpr_private_segment_wavefront_offset 1
		.amdhsa_system_sgpr_workgroup_id_x 1
		.amdhsa_system_sgpr_workgroup_id_y 0
		.amdhsa_system_sgpr_workgroup_id_z 0
		.amdhsa_system_sgpr_workgroup_info 0
		.amdhsa_system_vgpr_workitem_id 0
		.amdhsa_next_free_vgpr 125
		.amdhsa_next_free_sgpr 24
		.amdhsa_reserve_vcc 1
		.amdhsa_reserve_flat_scratch 0
		.amdhsa_float_round_mode_32 0
		.amdhsa_float_round_mode_16_64 0
		.amdhsa_float_denorm_mode_32 3
		.amdhsa_float_denorm_mode_16_64 3
		.amdhsa_dx10_clamp 1
		.amdhsa_ieee_mode 1
		.amdhsa_fp16_overflow 0
		.amdhsa_exception_fp_ieee_invalid_op 0
		.amdhsa_exception_fp_denorm_src 0
		.amdhsa_exception_fp_ieee_div_zero 0
		.amdhsa_exception_fp_ieee_overflow 0
		.amdhsa_exception_fp_ieee_underflow 0
		.amdhsa_exception_fp_ieee_inexact 0
		.amdhsa_exception_int_div_zero 0
	.end_amdhsa_kernel
	.section	.text._ZN9rocsolver6v33100L18getri_kernel_smallILi38EdPdEEvT1_iilPiilS4_bb,"axG",@progbits,_ZN9rocsolver6v33100L18getri_kernel_smallILi38EdPdEEvT1_iilPiilS4_bb,comdat
.Lfunc_end37:
	.size	_ZN9rocsolver6v33100L18getri_kernel_smallILi38EdPdEEvT1_iilPiilS4_bb, .Lfunc_end37-_ZN9rocsolver6v33100L18getri_kernel_smallILi38EdPdEEvT1_iilPiilS4_bb
                                        ; -- End function
	.set _ZN9rocsolver6v33100L18getri_kernel_smallILi38EdPdEEvT1_iilPiilS4_bb.num_vgpr, 125
	.set _ZN9rocsolver6v33100L18getri_kernel_smallILi38EdPdEEvT1_iilPiilS4_bb.num_agpr, 0
	.set _ZN9rocsolver6v33100L18getri_kernel_smallILi38EdPdEEvT1_iilPiilS4_bb.numbered_sgpr, 24
	.set _ZN9rocsolver6v33100L18getri_kernel_smallILi38EdPdEEvT1_iilPiilS4_bb.num_named_barrier, 0
	.set _ZN9rocsolver6v33100L18getri_kernel_smallILi38EdPdEEvT1_iilPiilS4_bb.private_seg_size, 320
	.set _ZN9rocsolver6v33100L18getri_kernel_smallILi38EdPdEEvT1_iilPiilS4_bb.uses_vcc, 1
	.set _ZN9rocsolver6v33100L18getri_kernel_smallILi38EdPdEEvT1_iilPiilS4_bb.uses_flat_scratch, 0
	.set _ZN9rocsolver6v33100L18getri_kernel_smallILi38EdPdEEvT1_iilPiilS4_bb.has_dyn_sized_stack, 0
	.set _ZN9rocsolver6v33100L18getri_kernel_smallILi38EdPdEEvT1_iilPiilS4_bb.has_recursion, 0
	.set _ZN9rocsolver6v33100L18getri_kernel_smallILi38EdPdEEvT1_iilPiilS4_bb.has_indirect_call, 0
	.section	.AMDGPU.csdata,"",@progbits
; Kernel info:
; codeLenInByte = 41364
; TotalNumSgprs: 28
; NumVgprs: 125
; ScratchSize: 320
; MemoryBound: 1
; FloatMode: 240
; IeeeMode: 1
; LDSByteSize: 616 bytes/workgroup (compile time only)
; SGPRBlocks: 3
; VGPRBlocks: 31
; NumSGPRsForWavesPerEU: 28
; NumVGPRsForWavesPerEU: 125
; Occupancy: 2
; WaveLimiterHint : 1
; COMPUTE_PGM_RSRC2:SCRATCH_EN: 1
; COMPUTE_PGM_RSRC2:USER_SGPR: 6
; COMPUTE_PGM_RSRC2:TRAP_HANDLER: 0
; COMPUTE_PGM_RSRC2:TGID_X_EN: 1
; COMPUTE_PGM_RSRC2:TGID_Y_EN: 0
; COMPUTE_PGM_RSRC2:TGID_Z_EN: 0
; COMPUTE_PGM_RSRC2:TIDIG_COMP_CNT: 0
	.section	.text._ZN9rocsolver6v33100L18getri_kernel_smallILi39EdPdEEvT1_iilPiilS4_bb,"axG",@progbits,_ZN9rocsolver6v33100L18getri_kernel_smallILi39EdPdEEvT1_iilPiilS4_bb,comdat
	.globl	_ZN9rocsolver6v33100L18getri_kernel_smallILi39EdPdEEvT1_iilPiilS4_bb ; -- Begin function _ZN9rocsolver6v33100L18getri_kernel_smallILi39EdPdEEvT1_iilPiilS4_bb
	.p2align	8
	.type	_ZN9rocsolver6v33100L18getri_kernel_smallILi39EdPdEEvT1_iilPiilS4_bb,@function
_ZN9rocsolver6v33100L18getri_kernel_smallILi39EdPdEEvT1_iilPiilS4_bb: ; @_ZN9rocsolver6v33100L18getri_kernel_smallILi39EdPdEEvT1_iilPiilS4_bb
; %bb.0:
	s_add_u32 s0, s0, s7
	s_addc_u32 s1, s1, 0
	v_cmp_gt_u32_e32 vcc, 39, v0
	s_and_saveexec_b64 s[8:9], vcc
	s_cbranch_execz .LBB38_164
; %bb.1:
	s_load_dword s12, s[4:5], 0x38
	s_load_dwordx4 s[16:19], s[4:5], 0x10
	s_load_dwordx4 s[8:11], s[4:5], 0x28
                                        ; implicit-def: $sgpr20_sgpr21
	s_waitcnt lgkmcnt(0)
	s_bitcmp1_b32 s12, 8
	s_cselect_b64 s[22:23], -1, 0
	s_ashr_i32 s7, s6, 31
	s_bfe_u32 s12, s12, 0x10008
	s_cmp_eq_u32 s12, 0
	s_cbranch_scc1 .LBB38_3
; %bb.2:
	s_load_dword s12, s[4:5], 0x20
	s_mul_i32 s13, s8, s7
	s_mul_hi_u32 s14, s8, s6
	s_mul_i32 s9, s9, s6
	s_add_i32 s14, s14, s13
	s_add_i32 s9, s14, s9
	s_mul_i32 s8, s8, s6
	s_waitcnt lgkmcnt(0)
	s_ashr_i32 s13, s12, 31
	s_lshl_b64 s[8:9], s[8:9], 2
	s_add_u32 s14, s18, s8
	s_addc_u32 s15, s19, s9
	s_lshl_b64 s[8:9], s[12:13], 2
	s_add_u32 s20, s14, s8
	s_addc_u32 s21, s15, s9
.LBB38_3:
	s_load_dwordx4 s[12:15], s[4:5], 0x0
	s_load_dword s8, s[4:5], 0x38
	s_mul_i32 s9, s16, s7
	s_mul_hi_u32 s18, s16, s6
	s_add_i32 s9, s18, s9
	s_waitcnt lgkmcnt(0)
	s_ashr_i32 s5, s14, 31
	s_mov_b32 s4, s14
	s_mul_i32 s14, s17, s6
	s_add_i32 s17, s9, s14
	s_mul_i32 s16, s16, s6
	s_lshl_b64 s[16:17], s[16:17], 3
	s_add_u32 s9, s12, s16
	s_addc_u32 s12, s13, s17
	s_lshl_b64 s[4:5], s[4:5], 3
	s_add_u32 s4, s9, s4
	s_addc_u32 s5, s12, s5
	v_lshlrev_b32_e32 v87, 3, v0
	s_add_i32 s9, s15, s15
	v_mov_b32_e32 v1, s5
	v_add_co_u32_e32 v17, vcc, s4, v87
	s_ashr_i32 s13, s15, 31
	s_mov_b32 s12, s15
	v_add_u32_e32 v3, s9, v0
	v_addc_co_u32_e32 v18, vcc, 0, v1, vcc
	s_lshl_b64 s[12:13], s[12:13], 3
	v_ashrrev_i32_e32 v4, 31, v3
	v_mov_b32_e32 v2, s13
	v_add_co_u32_e32 v1, vcc, s12, v17
	v_lshlrev_b64 v[5:6], 3, v[3:4]
	v_addc_co_u32_e32 v2, vcc, v18, v2, vcc
	v_add_u32_e32 v7, s15, v3
	v_mov_b32_e32 v4, s5
	v_add_co_u32_e32 v5, vcc, s4, v5
	v_ashrrev_i32_e32 v8, 31, v7
	v_addc_co_u32_e32 v6, vcc, v4, v6, vcc
	v_lshlrev_b64 v[3:4], 3, v[7:8]
	v_add_u32_e32 v9, s15, v7
	v_mov_b32_e32 v8, s5
	v_add_co_u32_e32 v3, vcc, s4, v3
	v_ashrrev_i32_e32 v10, 31, v9
	v_addc_co_u32_e32 v4, vcc, v8, v4, vcc
	v_lshlrev_b64 v[7:8], 3, v[9:10]
	;; [unrolled: 6-line block ×3, first 2 shown]
	v_mov_b32_e32 v12, s5
	v_add_co_u32_e32 v9, vcc, s4, v9
	v_add_u32_e32 v11, s15, v11
	v_addc_co_u32_e32 v10, vcc, v12, v10, vcc
	v_ashrrev_i32_e32 v12, 31, v11
	v_lshlrev_b64 v[13:14], 3, v[11:12]
	v_add_u32_e32 v15, s15, v11
	v_mov_b32_e32 v12, s5
	v_add_co_u32_e32 v13, vcc, s4, v13
	v_ashrrev_i32_e32 v16, 31, v15
	v_addc_co_u32_e32 v14, vcc, v12, v14, vcc
	v_lshlrev_b64 v[11:12], 3, v[15:16]
	v_add_u32_e32 v19, s15, v15
	v_mov_b32_e32 v16, s5
	v_add_co_u32_e32 v11, vcc, s4, v11
	v_ashrrev_i32_e32 v20, 31, v19
	v_addc_co_u32_e32 v12, vcc, v16, v12, vcc
	v_lshlrev_b64 v[15:16], 3, v[19:20]
	v_add_u32_e32 v21, s15, v19
	v_mov_b32_e32 v20, s5
	v_add_co_u32_e32 v15, vcc, s4, v15
	v_ashrrev_i32_e32 v22, 31, v21
	v_addc_co_u32_e32 v16, vcc, v20, v16, vcc
	v_lshlrev_b64 v[19:20], 3, v[21:22]
	v_add_u32_e32 v23, s15, v21
	v_mov_b32_e32 v22, s5
	v_add_co_u32_e32 v19, vcc, s4, v19
	v_ashrrev_i32_e32 v24, 31, v23
	v_addc_co_u32_e32 v20, vcc, v22, v20, vcc
	v_lshlrev_b64 v[21:22], 3, v[23:24]
	v_add_u32_e32 v25, s15, v23
	v_mov_b32_e32 v24, s5
	v_add_co_u32_e32 v21, vcc, s4, v21
	v_ashrrev_i32_e32 v26, 31, v25
	v_addc_co_u32_e32 v22, vcc, v24, v22, vcc
	v_lshlrev_b64 v[23:24], 3, v[25:26]
	v_add_u32_e32 v27, s15, v25
	v_mov_b32_e32 v26, s5
	v_add_co_u32_e32 v23, vcc, s4, v23
	v_ashrrev_i32_e32 v28, 31, v27
	v_addc_co_u32_e32 v24, vcc, v26, v24, vcc
	v_lshlrev_b64 v[25:26], 3, v[27:28]
	v_mov_b32_e32 v28, s5
	v_add_co_u32_e32 v25, vcc, s4, v25
	global_load_dwordx2 v[33:34], v87, s[4:5]
	global_load_dwordx2 v[35:36], v[1:2], off
	global_load_dwordx2 v[37:38], v[5:6], off
	;; [unrolled: 1-line block ×8, first 2 shown]
	v_addc_co_u32_e32 v26, vcc, v28, v26, vcc
	global_load_dwordx2 v[51:52], v[19:20], off
	global_load_dwordx2 v[53:54], v[21:22], off
	;; [unrolled: 1-line block ×4, first 2 shown]
	v_add_u32_e32 v29, s15, v27
	v_ashrrev_i32_e32 v30, 31, v29
	v_lshlrev_b64 v[27:28], 3, v[29:30]
	v_add_u32_e32 v31, s15, v29
	v_mov_b32_e32 v30, s5
	v_add_co_u32_e32 v27, vcc, s4, v27
	v_ashrrev_i32_e32 v32, 31, v31
	v_addc_co_u32_e32 v28, vcc, v30, v28, vcc
	v_lshlrev_b64 v[29:30], 3, v[31:32]
	v_add_u32_e32 v63, s15, v31
	v_mov_b32_e32 v32, s5
	v_add_co_u32_e32 v29, vcc, s4, v29
	v_ashrrev_i32_e32 v64, 31, v63
	v_addc_co_u32_e32 v30, vcc, v32, v30, vcc
	global_load_dwordx2 v[59:60], v[27:28], off
	global_load_dwordx2 v[61:62], v[29:30], off
	v_lshlrev_b64 v[31:32], 3, v[63:64]
	v_mov_b32_e32 v64, s5
	v_add_co_u32_e32 v31, vcc, s4, v31
	v_addc_co_u32_e32 v32, vcc, v64, v32, vcc
	global_load_dwordx2 v[64:65], v[31:32], off
	s_waitcnt vmcnt(15)
	buffer_store_dword v34, off, s[0:3], 0 offset:4
	buffer_store_dword v33, off, s[0:3], 0
	s_waitcnt vmcnt(16)
	buffer_store_dword v36, off, s[0:3], 0 offset:12
	buffer_store_dword v35, off, s[0:3], 0 offset:8
	s_waitcnt vmcnt(17)
	buffer_store_dword v38, off, s[0:3], 0 offset:20
	buffer_store_dword v37, off, s[0:3], 0 offset:16
	;; [unrolled: 3-line block ×12, first 2 shown]
	v_add_u32_e32 v35, s15, v63
	v_ashrrev_i32_e32 v36, 31, v35
	v_lshlrev_b64 v[33:34], 3, v[35:36]
	v_add_u32_e32 v37, s15, v35
	v_mov_b32_e32 v36, s5
	v_add_co_u32_e32 v33, vcc, s4, v33
	v_ashrrev_i32_e32 v38, 31, v37
	v_addc_co_u32_e32 v34, vcc, v36, v34, vcc
	v_lshlrev_b64 v[35:36], 3, v[37:38]
	v_add_u32_e32 v39, s15, v37
	v_mov_b32_e32 v38, s5
	v_add_co_u32_e32 v35, vcc, s4, v35
	v_ashrrev_i32_e32 v40, 31, v39
	v_addc_co_u32_e32 v36, vcc, v38, v36, vcc
	;; [unrolled: 6-line block ×7, first 2 shown]
	v_lshlrev_b64 v[47:48], 3, v[49:50]
	global_load_dwordx2 v[88:89], v[33:34], off
	v_add_u32_e32 v51, s15, v49
	v_mov_b32_e32 v50, s5
	v_add_co_u32_e32 v47, vcc, s4, v47
	v_ashrrev_i32_e32 v52, 31, v51
	v_addc_co_u32_e32 v48, vcc, v50, v48, vcc
	v_lshlrev_b64 v[49:50], 3, v[51:52]
	v_add_u32_e32 v53, s15, v51
	v_mov_b32_e32 v52, s5
	v_add_co_u32_e32 v49, vcc, s4, v49
	v_ashrrev_i32_e32 v54, 31, v53
	v_addc_co_u32_e32 v50, vcc, v52, v50, vcc
	v_lshlrev_b64 v[51:52], 3, v[53:54]
	;; [unrolled: 6-line block ×4, first 2 shown]
	s_waitcnt vmcnt(29)
	buffer_store_dword v59, off, s[0:3], 0 offset:104
	buffer_store_dword v60, off, s[0:3], 0 offset:108
	s_waitcnt vmcnt(30)
	buffer_store_dword v62, off, s[0:3], 0 offset:116
	buffer_store_dword v61, off, s[0:3], 0 offset:112
	;; [unrolled: 3-line block ×3, first 2 shown]
	v_add_u32_e32 v59, s15, v57
	v_mov_b32_e32 v58, s5
	v_add_co_u32_e32 v55, vcc, s4, v55
	v_ashrrev_i32_e32 v60, 31, v59
	v_addc_co_u32_e32 v56, vcc, v58, v56, vcc
	v_lshlrev_b64 v[57:58], 3, v[59:60]
	v_add_u32_e32 v61, s15, v59
	v_mov_b32_e32 v60, s5
	v_add_co_u32_e32 v57, vcc, s4, v57
	v_ashrrev_i32_e32 v62, 31, v61
	v_addc_co_u32_e32 v58, vcc, v60, v58, vcc
	v_lshlrev_b64 v[59:60], 3, v[61:62]
	;; [unrolled: 6-line block ×8, first 2 shown]
	v_mov_b32_e32 v74, s5
	v_add_co_u32_e32 v71, vcc, s4, v71
	global_load_dwordx2 v[85:86], v[35:36], off
	global_load_dwordx2 v[83:84], v[37:38], off
	;; [unrolled: 1-line block ×16, first 2 shown]
	v_addc_co_u32_e32 v72, vcc, v74, v72, vcc
	global_load_dwordx2 v[114:115], v[67:68], off
	global_load_dwordx2 v[116:117], v[69:70], off
	;; [unrolled: 1-line block ×3, first 2 shown]
	v_add_u32_e32 v75, s15, v73
	v_ashrrev_i32_e32 v76, 31, v75
	v_lshlrev_b64 v[73:74], 3, v[75:76]
	v_add_u32_e32 v77, s15, v75
	v_mov_b32_e32 v76, s5
	v_add_co_u32_e32 v73, vcc, s4, v73
	v_ashrrev_i32_e32 v78, 31, v77
	v_addc_co_u32_e32 v74, vcc, v76, v74, vcc
	v_lshlrev_b64 v[75:76], 3, v[77:78]
	v_mov_b32_e32 v78, s5
	v_add_co_u32_e32 v75, vcc, s4, v75
	v_add_u32_e32 v77, s15, v77
	v_addc_co_u32_e32 v76, vcc, v78, v76, vcc
	v_ashrrev_i32_e32 v78, 31, v77
	v_lshlrev_b64 v[77:78], 3, v[77:78]
	v_mov_b32_e32 v120, s5
	v_add_co_u32_e32 v77, vcc, s4, v77
	v_addc_co_u32_e32 v78, vcc, v120, v78, vcc
	global_load_dwordx2 v[120:121], v[73:74], off
	global_load_dwordx2 v[122:123], v[75:76], off
	s_bitcmp0_b32 s8, 0
	s_waitcnt vmcnt(27)
	buffer_store_dword v88, off, s[0:3], 0 offset:128
	buffer_store_dword v89, off, s[0:3], 0 offset:132
	global_load_dwordx2 v[88:89], v[77:78], off
	s_mov_b64 s[8:9], -1
	s_waitcnt vmcnt(23)
	buffer_store_dword v85, off, s[0:3], 0 offset:136
	buffer_store_dword v86, off, s[0:3], 0 offset:140
	s_waitcnt vmcnt(24)
	buffer_store_dword v83, off, s[0:3], 0 offset:144
	buffer_store_dword v84, off, s[0:3], 0 offset:148
	;; [unrolled: 3-line block ×22, first 2 shown]
	s_cbranch_scc1 .LBB38_162
; %bb.4:
	v_cmp_eq_u32_e64 s[4:5], 0, v0
	s_and_saveexec_b64 s[8:9], s[4:5]
; %bb.5:
	v_mov_b32_e32 v79, 0
	ds_write_b32 v79, v79 offset:312
; %bb.6:
	s_or_b64 exec, exec, s[8:9]
	v_mov_b32_e32 v79, 0
	v_lshl_add_u32 v79, v0, 3, v79
	s_waitcnt lgkmcnt(0)
	; wave barrier
	buffer_load_dword v80, v79, s[0:3], 0 offen
	buffer_load_dword v81, v79, s[0:3], 0 offen offset:4
	s_waitcnt vmcnt(0)
	v_cmp_eq_f64_e32 vcc, 0, v[80:81]
	s_and_saveexec_b64 s[12:13], vcc
	s_cbranch_execz .LBB38_10
; %bb.7:
	v_mov_b32_e32 v80, 0
	ds_read_b32 v82, v80 offset:312
	v_add_u32_e32 v81, 1, v0
	s_waitcnt lgkmcnt(0)
	v_readfirstlane_b32 s8, v82
	s_cmp_eq_u32 s8, 0
	s_cselect_b64 s[14:15], -1, 0
	v_cmp_gt_i32_e32 vcc, s8, v81
	s_or_b64 s[14:15], s[14:15], vcc
	s_and_b64 exec, exec, s[14:15]
	s_cbranch_execz .LBB38_10
; %bb.8:
	s_mov_b64 s[14:15], 0
	v_mov_b32_e32 v82, s8
.LBB38_9:                               ; =>This Inner Loop Header: Depth=1
	ds_cmpst_rtn_b32 v82, v80, v82, v81 offset:312
	s_waitcnt lgkmcnt(0)
	v_cmp_ne_u32_e32 vcc, 0, v82
	v_cmp_le_i32_e64 s[8:9], v82, v81
	s_and_b64 s[8:9], vcc, s[8:9]
	s_and_b64 s[8:9], exec, s[8:9]
	s_or_b64 s[14:15], s[8:9], s[14:15]
	s_andn2_b64 exec, exec, s[14:15]
	s_cbranch_execnz .LBB38_9
.LBB38_10:
	s_or_b64 exec, exec, s[12:13]
	v_mov_b32_e32 v81, 0
	; wave barrier
	ds_read_b32 v80, v81 offset:312
	s_and_saveexec_b64 s[8:9], s[4:5]
	s_cbranch_execz .LBB38_12
; %bb.11:
	s_lshl_b64 s[12:13], s[6:7], 2
	s_add_u32 s12, s10, s12
	s_addc_u32 s13, s11, s13
	s_waitcnt lgkmcnt(0)
	global_store_dword v81, v80, s[12:13]
.LBB38_12:
	s_or_b64 exec, exec, s[8:9]
	s_waitcnt lgkmcnt(0)
	v_cmp_ne_u32_e32 vcc, 0, v80
	s_mov_b64 s[8:9], 0
	s_cbranch_vccnz .LBB38_162
; %bb.13:
	buffer_load_dword v80, v79, s[0:3], 0 offen
	buffer_load_dword v81, v79, s[0:3], 0 offen offset:4
	s_waitcnt vmcnt(0)
	v_div_scale_f64 v[82:83], s[8:9], v[80:81], v[80:81], 1.0
	v_rcp_f64_e32 v[84:85], v[82:83]
	v_fma_f64 v[88:89], -v[82:83], v[84:85], 1.0
	v_fma_f64 v[84:85], v[84:85], v[88:89], v[84:85]
	v_div_scale_f64 v[88:89], vcc, 1.0, v[80:81], 1.0
	v_fma_f64 v[90:91], -v[82:83], v[84:85], 1.0
	v_fma_f64 v[84:85], v[84:85], v[90:91], v[84:85]
	v_mul_f64 v[90:91], v[88:89], v[84:85]
	v_fma_f64 v[82:83], -v[82:83], v[90:91], v[88:89]
	v_div_fmas_f64 v[82:83], v[82:83], v[84:85], v[90:91]
	v_div_fixup_f64 v[82:83], v[82:83], v[80:81], 1.0
	v_add_u32_e32 v81, 0x140, v87
	buffer_store_dword v83, v79, s[0:3], 0 offen offset:4
	buffer_store_dword v82, v79, s[0:3], 0 offen
	buffer_load_dword v85, off, s[0:3], 0 offset:12
	buffer_load_dword v84, off, s[0:3], 0 offset:8
	v_xor_b32_e32 v83, 0x80000000, v83
	s_waitcnt vmcnt(0)
	ds_write2_b64 v87, v[82:83], v[84:85] offset1:40
	s_waitcnt lgkmcnt(0)
	; wave barrier
	s_and_saveexec_b64 s[8:9], s[4:5]
	s_cbranch_execz .LBB38_15
; %bb.14:
	buffer_load_dword v82, v79, s[0:3], 0 offen
	buffer_load_dword v83, v79, s[0:3], 0 offen offset:4
	ds_read_b64 v[84:85], v81
	v_mov_b32_e32 v80, 0
	ds_read_b64 v[88:89], v80 offset:8
	s_waitcnt vmcnt(0) lgkmcnt(1)
	v_fma_f64 v[82:83], v[82:83], v[84:85], 0
	s_waitcnt lgkmcnt(0)
	v_mul_f64 v[82:83], v[82:83], v[88:89]
	buffer_store_dword v82, off, s[0:3], 0 offset:8
	buffer_store_dword v83, off, s[0:3], 0 offset:12
.LBB38_15:
	s_or_b64 exec, exec, s[8:9]
	; wave barrier
	buffer_load_dword v82, off, s[0:3], 0 offset:16
	buffer_load_dword v83, off, s[0:3], 0 offset:20
	v_cmp_gt_u32_e32 vcc, 2, v0
	s_waitcnt vmcnt(0)
	ds_write_b64 v81, v[82:83]
	s_waitcnt lgkmcnt(0)
	; wave barrier
	s_and_saveexec_b64 s[8:9], vcc
	s_cbranch_execz .LBB38_17
; %bb.16:
	buffer_load_dword v82, v79, s[0:3], 0 offen
	buffer_load_dword v83, v79, s[0:3], 0 offen offset:4
                                        ; kill: killed $vgpr79
	s_nop 0
	buffer_load_dword v79, off, s[0:3], 0 offset:8
	buffer_load_dword v80, off, s[0:3], 0 offset:12
	ds_read_b64 v[84:85], v81
	s_waitcnt vmcnt(2) lgkmcnt(0)
	v_fma_f64 v[88:89], v[82:83], v[84:85], 0
	v_mov_b32_e32 v82, 0
	ds_read2_b64 v[82:85], v82 offset0:2 offset1:41
	s_waitcnt vmcnt(0) lgkmcnt(0)
	v_fma_f64 v[79:80], v[79:80], v[84:85], v[88:89]
	v_cndmask_b32_e64 v80, v89, v80, s[4:5]
	v_cndmask_b32_e64 v79, v88, v79, s[4:5]
	v_mul_f64 v[79:80], v[79:80], v[82:83]
	buffer_store_dword v80, off, s[0:3], 0 offset:20
	buffer_store_dword v79, off, s[0:3], 0 offset:16
.LBB38_17:
	s_or_b64 exec, exec, s[8:9]
	; wave barrier
	buffer_load_dword v79, off, s[0:3], 0 offset:24
	buffer_load_dword v80, off, s[0:3], 0 offset:28
	v_cmp_gt_u32_e32 vcc, 3, v0
	v_add_u32_e32 v82, -1, v0
	s_waitcnt vmcnt(0)
	ds_write_b64 v81, v[79:80]
	s_waitcnt lgkmcnt(0)
	; wave barrier
	s_and_saveexec_b64 s[4:5], vcc
	s_cbranch_execz .LBB38_21
; %bb.18:
	v_mov_b32_e32 v79, 0
	v_add_u32_e32 v83, -1, v0
	v_add_u32_e32 v84, 0x140, v87
	v_mov_b32_e32 v85, v87
	v_mov_b32_e32 v80, 0
	s_mov_b64 s[8:9], 0
.LBB38_19:                              ; =>This Inner Loop Header: Depth=1
	buffer_load_dword v88, v85, s[0:3], 0 offen
	buffer_load_dword v89, v85, s[0:3], 0 offen offset:4
	ds_read_b64 v[90:91], v84
	v_add_u32_e32 v83, 1, v83
	v_cmp_lt_u32_e32 vcc, 1, v83
	v_add_u32_e32 v84, 8, v84
	s_or_b64 s[8:9], vcc, s[8:9]
	v_add_u32_e32 v85, 8, v85
	s_waitcnt vmcnt(0) lgkmcnt(0)
	v_fma_f64 v[79:80], v[88:89], v[90:91], v[79:80]
	s_andn2_b64 exec, exec, s[8:9]
	s_cbranch_execnz .LBB38_19
; %bb.20:
	s_or_b64 exec, exec, s[8:9]
	v_mov_b32_e32 v83, 0
	ds_read_b64 v[83:84], v83 offset:24
	s_waitcnt lgkmcnt(0)
	v_mul_f64 v[79:80], v[79:80], v[83:84]
	buffer_store_dword v80, off, s[0:3], 0 offset:28
	buffer_store_dword v79, off, s[0:3], 0 offset:24
.LBB38_21:
	s_or_b64 exec, exec, s[4:5]
	; wave barrier
	buffer_load_dword v79, off, s[0:3], 0 offset:32
	buffer_load_dword v80, off, s[0:3], 0 offset:36
	v_cmp_gt_u32_e32 vcc, 4, v0
	s_waitcnt vmcnt(0)
	ds_write_b64 v81, v[79:80]
	s_waitcnt lgkmcnt(0)
	; wave barrier
	s_and_saveexec_b64 s[4:5], vcc
	s_cbranch_execz .LBB38_25
; %bb.22:
	v_mov_b32_e32 v79, 0
	v_add_u32_e32 v83, -1, v0
	v_add_u32_e32 v84, 0x140, v87
	v_mov_b32_e32 v85, v87
	v_mov_b32_e32 v80, 0
	s_mov_b64 s[8:9], 0
.LBB38_23:                              ; =>This Inner Loop Header: Depth=1
	buffer_load_dword v88, v85, s[0:3], 0 offen
	buffer_load_dword v89, v85, s[0:3], 0 offen offset:4
	ds_read_b64 v[90:91], v84
	v_add_u32_e32 v83, 1, v83
	v_cmp_lt_u32_e32 vcc, 2, v83
	v_add_u32_e32 v84, 8, v84
	s_or_b64 s[8:9], vcc, s[8:9]
	v_add_u32_e32 v85, 8, v85
	s_waitcnt vmcnt(0) lgkmcnt(0)
	v_fma_f64 v[79:80], v[88:89], v[90:91], v[79:80]
	s_andn2_b64 exec, exec, s[8:9]
	s_cbranch_execnz .LBB38_23
; %bb.24:
	s_or_b64 exec, exec, s[8:9]
	v_mov_b32_e32 v83, 0
	ds_read_b64 v[83:84], v83 offset:32
	s_waitcnt lgkmcnt(0)
	v_mul_f64 v[79:80], v[79:80], v[83:84]
	buffer_store_dword v80, off, s[0:3], 0 offset:36
	buffer_store_dword v79, off, s[0:3], 0 offset:32
.LBB38_25:
	s_or_b64 exec, exec, s[4:5]
	; wave barrier
	buffer_load_dword v79, off, s[0:3], 0 offset:40
	buffer_load_dword v80, off, s[0:3], 0 offset:44
	v_cmp_gt_u32_e32 vcc, 5, v0
	;; [unrolled: 40-line block ×21, first 2 shown]
	s_waitcnt vmcnt(0)
	ds_write_b64 v81, v[79:80]
	s_waitcnt lgkmcnt(0)
	; wave barrier
	s_and_saveexec_b64 s[4:5], vcc
	s_cbranch_execz .LBB38_105
; %bb.102:
	v_mov_b32_e32 v79, 0
	v_add_u32_e32 v83, -1, v0
	v_add_u32_e32 v84, 0x140, v87
	v_mov_b32_e32 v85, v87
	v_mov_b32_e32 v80, 0
	s_mov_b64 s[8:9], 0
.LBB38_103:                             ; =>This Inner Loop Header: Depth=1
	buffer_load_dword v88, v85, s[0:3], 0 offen
	buffer_load_dword v89, v85, s[0:3], 0 offen offset:4
	ds_read_b64 v[90:91], v84
	v_add_u32_e32 v83, 1, v83
	v_cmp_lt_u32_e32 vcc, 22, v83
	v_add_u32_e32 v84, 8, v84
	s_or_b64 s[8:9], vcc, s[8:9]
	v_add_u32_e32 v85, 8, v85
	s_waitcnt vmcnt(0) lgkmcnt(0)
	v_fma_f64 v[79:80], v[88:89], v[90:91], v[79:80]
	s_andn2_b64 exec, exec, s[8:9]
	s_cbranch_execnz .LBB38_103
; %bb.104:
	s_or_b64 exec, exec, s[8:9]
	v_mov_b32_e32 v83, 0
	ds_read_b64 v[83:84], v83 offset:192
	s_waitcnt lgkmcnt(0)
	v_mul_f64 v[79:80], v[79:80], v[83:84]
	buffer_store_dword v80, off, s[0:3], 0 offset:196
	buffer_store_dword v79, off, s[0:3], 0 offset:192
.LBB38_105:
	s_or_b64 exec, exec, s[4:5]
	; wave barrier
	buffer_load_dword v79, off, s[0:3], 0 offset:200
	buffer_load_dword v80, off, s[0:3], 0 offset:204
	v_cmp_gt_u32_e32 vcc, 25, v0
	s_waitcnt vmcnt(0)
	ds_write_b64 v81, v[79:80]
	s_waitcnt lgkmcnt(0)
	; wave barrier
	s_and_saveexec_b64 s[4:5], vcc
	s_cbranch_execz .LBB38_109
; %bb.106:
	v_mov_b32_e32 v79, 0
	v_add_u32_e32 v83, -1, v0
	v_add_u32_e32 v84, 0x140, v87
	v_mov_b32_e32 v85, v87
	v_mov_b32_e32 v80, 0
	s_mov_b64 s[8:9], 0
.LBB38_107:                             ; =>This Inner Loop Header: Depth=1
	buffer_load_dword v88, v85, s[0:3], 0 offen
	buffer_load_dword v89, v85, s[0:3], 0 offen offset:4
	ds_read_b64 v[90:91], v84
	v_add_u32_e32 v83, 1, v83
	v_cmp_lt_u32_e32 vcc, 23, v83
	v_add_u32_e32 v84, 8, v84
	s_or_b64 s[8:9], vcc, s[8:9]
	v_add_u32_e32 v85, 8, v85
	s_waitcnt vmcnt(0) lgkmcnt(0)
	v_fma_f64 v[79:80], v[88:89], v[90:91], v[79:80]
	s_andn2_b64 exec, exec, s[8:9]
	s_cbranch_execnz .LBB38_107
; %bb.108:
	s_or_b64 exec, exec, s[8:9]
	v_mov_b32_e32 v83, 0
	ds_read_b64 v[83:84], v83 offset:200
	s_waitcnt lgkmcnt(0)
	v_mul_f64 v[79:80], v[79:80], v[83:84]
	buffer_store_dword v80, off, s[0:3], 0 offset:204
	buffer_store_dword v79, off, s[0:3], 0 offset:200
.LBB38_109:
	s_or_b64 exec, exec, s[4:5]
	; wave barrier
	buffer_load_dword v79, off, s[0:3], 0 offset:208
	buffer_load_dword v80, off, s[0:3], 0 offset:212
	v_cmp_gt_u32_e32 vcc, 26, v0
	;; [unrolled: 40-line block ×13, first 2 shown]
	s_waitcnt vmcnt(0)
	ds_write_b64 v81, v[79:80]
	s_waitcnt lgkmcnt(0)
	; wave barrier
	s_and_saveexec_b64 s[4:5], vcc
	s_cbranch_execz .LBB38_157
; %bb.154:
	v_mov_b32_e32 v79, 0
	v_add_u32_e32 v83, -1, v0
	v_add_u32_e32 v84, 0x140, v87
	v_mov_b32_e32 v85, v87
	v_mov_b32_e32 v80, 0
	s_mov_b64 s[8:9], 0
.LBB38_155:                             ; =>This Inner Loop Header: Depth=1
	buffer_load_dword v88, v85, s[0:3], 0 offen
	buffer_load_dword v89, v85, s[0:3], 0 offen offset:4
	ds_read_b64 v[90:91], v84
	v_add_u32_e32 v83, 1, v83
	v_cmp_lt_u32_e32 vcc, 35, v83
	v_add_u32_e32 v84, 8, v84
	s_or_b64 s[8:9], vcc, s[8:9]
	v_add_u32_e32 v85, 8, v85
	s_waitcnt vmcnt(0) lgkmcnt(0)
	v_fma_f64 v[79:80], v[88:89], v[90:91], v[79:80]
	s_andn2_b64 exec, exec, s[8:9]
	s_cbranch_execnz .LBB38_155
; %bb.156:
	s_or_b64 exec, exec, s[8:9]
	v_mov_b32_e32 v83, 0
	ds_read_b64 v[83:84], v83 offset:296
	s_waitcnt lgkmcnt(0)
	v_mul_f64 v[79:80], v[79:80], v[83:84]
	buffer_store_dword v80, off, s[0:3], 0 offset:300
	buffer_store_dword v79, off, s[0:3], 0 offset:296
.LBB38_157:
	s_or_b64 exec, exec, s[4:5]
	; wave barrier
	buffer_load_dword v79, off, s[0:3], 0 offset:304
	buffer_load_dword v80, off, s[0:3], 0 offset:308
	v_cmp_ne_u32_e32 vcc, 38, v0
	s_waitcnt vmcnt(0)
	ds_write_b64 v81, v[79:80]
	s_waitcnt lgkmcnt(0)
	; wave barrier
	s_and_saveexec_b64 s[4:5], vcc
	s_cbranch_execz .LBB38_161
; %bb.158:
	v_mov_b32_e32 v79, 0
	v_add_u32_e32 v81, 0x140, v87
	v_mov_b32_e32 v83, v87
	v_mov_b32_e32 v80, 0
	s_mov_b64 s[8:9], 0
.LBB38_159:                             ; =>This Inner Loop Header: Depth=1
	buffer_load_dword v84, v83, s[0:3], 0 offen
	buffer_load_dword v85, v83, s[0:3], 0 offen offset:4
	ds_read_b64 v[86:87], v81
	v_add_u32_e32 v82, 1, v82
	v_cmp_lt_u32_e32 vcc, 36, v82
	v_add_u32_e32 v81, 8, v81
	s_or_b64 s[8:9], vcc, s[8:9]
	v_add_u32_e32 v83, 8, v83
	s_waitcnt vmcnt(0) lgkmcnt(0)
	v_fma_f64 v[79:80], v[84:85], v[86:87], v[79:80]
	s_andn2_b64 exec, exec, s[8:9]
	s_cbranch_execnz .LBB38_159
; %bb.160:
	s_or_b64 exec, exec, s[8:9]
	v_mov_b32_e32 v81, 0
	ds_read_b64 v[81:82], v81 offset:304
	s_waitcnt lgkmcnt(0)
	v_mul_f64 v[79:80], v[79:80], v[81:82]
	buffer_store_dword v80, off, s[0:3], 0 offset:308
	buffer_store_dword v79, off, s[0:3], 0 offset:304
.LBB38_161:
	s_or_b64 exec, exec, s[4:5]
	s_mov_b64 s[8:9], -1
	; wave barrier
.LBB38_162:
	s_and_b64 vcc, exec, s[8:9]
	s_cbranch_vccz .LBB38_164
; %bb.163:
	s_lshl_b64 s[4:5], s[6:7], 2
	s_add_u32 s4, s10, s4
	s_addc_u32 s5, s11, s5
	v_mov_b32_e32 v79, 0
	global_load_dword v79, v79, s[4:5]
	s_waitcnt vmcnt(0)
	v_cmp_ne_u32_e32 vcc, 0, v79
	s_cbranch_vccz .LBB38_165
.LBB38_164:
	s_endpgm
.LBB38_165:
	v_mov_b32_e32 v79, 0x140
	v_lshl_add_u32 v79, v0, 3, v79
	v_cmp_eq_u32_e32 vcc, 38, v0
	s_and_saveexec_b64 s[4:5], vcc
	s_cbranch_execz .LBB38_167
; %bb.166:
	buffer_load_dword v80, off, s[0:3], 0 offset:296
	buffer_load_dword v81, off, s[0:3], 0 offset:300
	v_mov_b32_e32 v82, 0
	buffer_store_dword v82, off, s[0:3], 0 offset:296
	buffer_store_dword v82, off, s[0:3], 0 offset:300
	s_waitcnt vmcnt(2)
	ds_write_b64 v79, v[80:81]
.LBB38_167:
	s_or_b64 exec, exec, s[4:5]
	s_waitcnt lgkmcnt(0)
	; wave barrier
	buffer_load_dword v81, off, s[0:3], 0 offset:304
	buffer_load_dword v82, off, s[0:3], 0 offset:308
	;; [unrolled: 1-line block ×4, first 2 shown]
	v_mov_b32_e32 v80, 0
	ds_read_b64 v[85:86], v80 offset:624
	v_cmp_lt_u32_e32 vcc, 36, v0
	s_waitcnt vmcnt(2) lgkmcnt(0)
	v_fma_f64 v[81:82], v[81:82], v[85:86], 0
	s_waitcnt vmcnt(0)
	v_add_f64 v[81:82], v[83:84], -v[81:82]
	buffer_store_dword v81, off, s[0:3], 0 offset:296
	buffer_store_dword v82, off, s[0:3], 0 offset:300
	s_and_saveexec_b64 s[4:5], vcc
	s_cbranch_execz .LBB38_169
; %bb.168:
	buffer_load_dword v81, off, s[0:3], 0 offset:288
	buffer_load_dword v82, off, s[0:3], 0 offset:292
	s_waitcnt vmcnt(0)
	ds_write_b64 v79, v[81:82]
	buffer_store_dword v80, off, s[0:3], 0 offset:288
	buffer_store_dword v80, off, s[0:3], 0 offset:292
.LBB38_169:
	s_or_b64 exec, exec, s[4:5]
	s_waitcnt lgkmcnt(0)
	; wave barrier
	buffer_load_dword v84, off, s[0:3], 0 offset:296
	buffer_load_dword v85, off, s[0:3], 0 offset:300
	;; [unrolled: 1-line block ×6, first 2 shown]
	ds_read2_b64 v[80:83], v80 offset0:77 offset1:78
	v_cmp_lt_u32_e32 vcc, 35, v0
	s_waitcnt vmcnt(4) lgkmcnt(0)
	v_fma_f64 v[80:81], v[84:85], v[80:81], 0
	s_waitcnt vmcnt(2)
	v_fma_f64 v[80:81], v[86:87], v[82:83], v[80:81]
	s_waitcnt vmcnt(0)
	v_add_f64 v[80:81], v[88:89], -v[80:81]
	buffer_store_dword v80, off, s[0:3], 0 offset:288
	buffer_store_dword v81, off, s[0:3], 0 offset:292
	s_and_saveexec_b64 s[4:5], vcc
	s_cbranch_execz .LBB38_171
; %bb.170:
	buffer_load_dword v80, off, s[0:3], 0 offset:280
	buffer_load_dword v81, off, s[0:3], 0 offset:284
	v_mov_b32_e32 v82, 0
	buffer_store_dword v82, off, s[0:3], 0 offset:280
	buffer_store_dword v82, off, s[0:3], 0 offset:284
	s_waitcnt vmcnt(2)
	ds_write_b64 v79, v[80:81]
.LBB38_171:
	s_or_b64 exec, exec, s[4:5]
	s_waitcnt lgkmcnt(0)
	; wave barrier
	buffer_load_dword v85, off, s[0:3], 0 offset:288
	buffer_load_dword v86, off, s[0:3], 0 offset:292
	;; [unrolled: 1-line block ×8, first 2 shown]
	v_mov_b32_e32 v80, 0
	ds_read_b128 v[81:84], v80 offset:608
	ds_read_b64 v[93:94], v80 offset:624
	v_cmp_lt_u32_e32 vcc, 34, v0
	s_waitcnt vmcnt(6) lgkmcnt(1)
	v_fma_f64 v[81:82], v[85:86], v[81:82], 0
	s_waitcnt vmcnt(4)
	v_fma_f64 v[81:82], v[87:88], v[83:84], v[81:82]
	s_waitcnt vmcnt(2) lgkmcnt(0)
	v_fma_f64 v[81:82], v[89:90], v[93:94], v[81:82]
	s_waitcnt vmcnt(0)
	v_add_f64 v[81:82], v[91:92], -v[81:82]
	buffer_store_dword v81, off, s[0:3], 0 offset:280
	buffer_store_dword v82, off, s[0:3], 0 offset:284
	s_and_saveexec_b64 s[4:5], vcc
	s_cbranch_execz .LBB38_173
; %bb.172:
	buffer_load_dword v81, off, s[0:3], 0 offset:272
	buffer_load_dword v82, off, s[0:3], 0 offset:276
	s_waitcnt vmcnt(0)
	ds_write_b64 v79, v[81:82]
	buffer_store_dword v80, off, s[0:3], 0 offset:272
	buffer_store_dword v80, off, s[0:3], 0 offset:276
.LBB38_173:
	s_or_b64 exec, exec, s[4:5]
	s_waitcnt lgkmcnt(0)
	; wave barrier
	buffer_load_dword v89, off, s[0:3], 0 offset:280
	buffer_load_dword v90, off, s[0:3], 0 offset:284
	;; [unrolled: 1-line block ×10, first 2 shown]
	ds_read2_b64 v[81:84], v80 offset0:75 offset1:76
	ds_read2_b64 v[85:88], v80 offset0:77 offset1:78
	v_cmp_lt_u32_e32 vcc, 33, v0
	s_waitcnt vmcnt(8) lgkmcnt(1)
	v_fma_f64 v[80:81], v[89:90], v[81:82], 0
	s_waitcnt vmcnt(6)
	v_fma_f64 v[80:81], v[91:92], v[83:84], v[80:81]
	s_waitcnt vmcnt(4) lgkmcnt(0)
	v_fma_f64 v[80:81], v[93:94], v[85:86], v[80:81]
	s_waitcnt vmcnt(2)
	v_fma_f64 v[80:81], v[95:96], v[87:88], v[80:81]
	s_waitcnt vmcnt(0)
	v_add_f64 v[80:81], v[97:98], -v[80:81]
	buffer_store_dword v80, off, s[0:3], 0 offset:272
	buffer_store_dword v81, off, s[0:3], 0 offset:276
	s_and_saveexec_b64 s[4:5], vcc
	s_cbranch_execz .LBB38_175
; %bb.174:
	buffer_load_dword v80, off, s[0:3], 0 offset:264
	buffer_load_dword v81, off, s[0:3], 0 offset:268
	v_mov_b32_e32 v82, 0
	buffer_store_dword v82, off, s[0:3], 0 offset:264
	buffer_store_dword v82, off, s[0:3], 0 offset:268
	s_waitcnt vmcnt(2)
	ds_write_b64 v79, v[80:81]
.LBB38_175:
	s_or_b64 exec, exec, s[4:5]
	s_waitcnt lgkmcnt(0)
	; wave barrier
	buffer_load_dword v89, off, s[0:3], 0 offset:272
	buffer_load_dword v90, off, s[0:3], 0 offset:276
	;; [unrolled: 1-line block ×12, first 2 shown]
	v_mov_b32_e32 v80, 0
	ds_read_b128 v[81:84], v80 offset:592
	ds_read_b128 v[85:88], v80 offset:608
	v_cmp_lt_u32_e32 vcc, 32, v0
	s_waitcnt vmcnt(10) lgkmcnt(1)
	v_fma_f64 v[81:82], v[89:90], v[81:82], 0
	s_waitcnt vmcnt(8)
	v_fma_f64 v[81:82], v[91:92], v[83:84], v[81:82]
	ds_read_b64 v[83:84], v80 offset:624
	s_waitcnt vmcnt(6) lgkmcnt(1)
	v_fma_f64 v[81:82], v[93:94], v[85:86], v[81:82]
	s_waitcnt vmcnt(4)
	v_fma_f64 v[81:82], v[95:96], v[87:88], v[81:82]
	s_waitcnt vmcnt(2) lgkmcnt(0)
	v_fma_f64 v[81:82], v[97:98], v[83:84], v[81:82]
	s_waitcnt vmcnt(0)
	v_add_f64 v[81:82], v[99:100], -v[81:82]
	buffer_store_dword v81, off, s[0:3], 0 offset:264
	buffer_store_dword v82, off, s[0:3], 0 offset:268
	s_and_saveexec_b64 s[4:5], vcc
	s_cbranch_execz .LBB38_177
; %bb.176:
	buffer_load_dword v81, off, s[0:3], 0 offset:256
	buffer_load_dword v82, off, s[0:3], 0 offset:260
	s_waitcnt vmcnt(0)
	ds_write_b64 v79, v[81:82]
	buffer_store_dword v80, off, s[0:3], 0 offset:256
	buffer_store_dword v80, off, s[0:3], 0 offset:260
.LBB38_177:
	s_or_b64 exec, exec, s[4:5]
	s_waitcnt lgkmcnt(0)
	; wave barrier
	buffer_load_dword v89, off, s[0:3], 0 offset:264
	buffer_load_dword v90, off, s[0:3], 0 offset:268
	;; [unrolled: 1-line block ×14, first 2 shown]
	ds_read2_b64 v[81:84], v80 offset0:73 offset1:74
	ds_read2_b64 v[85:88], v80 offset0:75 offset1:76
	v_cmp_lt_u32_e32 vcc, 31, v0
	s_waitcnt vmcnt(12) lgkmcnt(1)
	v_fma_f64 v[81:82], v[89:90], v[81:82], 0
	s_waitcnt vmcnt(10)
	v_fma_f64 v[81:82], v[91:92], v[83:84], v[81:82]
	s_waitcnt vmcnt(8) lgkmcnt(0)
	v_fma_f64 v[81:82], v[93:94], v[85:86], v[81:82]
	s_waitcnt vmcnt(6)
	v_fma_f64 v[84:85], v[95:96], v[87:88], v[81:82]
	ds_read2_b64 v[80:83], v80 offset0:77 offset1:78
	s_waitcnt vmcnt(4) lgkmcnt(0)
	v_fma_f64 v[80:81], v[97:98], v[80:81], v[84:85]
	s_waitcnt vmcnt(2)
	v_fma_f64 v[80:81], v[99:100], v[82:83], v[80:81]
	s_waitcnt vmcnt(0)
	v_add_f64 v[80:81], v[101:102], -v[80:81]
	buffer_store_dword v80, off, s[0:3], 0 offset:256
	buffer_store_dword v81, off, s[0:3], 0 offset:260
	s_and_saveexec_b64 s[4:5], vcc
	s_cbranch_execz .LBB38_179
; %bb.178:
	buffer_load_dword v80, off, s[0:3], 0 offset:248
	buffer_load_dword v81, off, s[0:3], 0 offset:252
	v_mov_b32_e32 v82, 0
	buffer_store_dword v82, off, s[0:3], 0 offset:248
	buffer_store_dword v82, off, s[0:3], 0 offset:252
	s_waitcnt vmcnt(2)
	ds_write_b64 v79, v[80:81]
.LBB38_179:
	s_or_b64 exec, exec, s[4:5]
	s_waitcnt lgkmcnt(0)
	; wave barrier
	buffer_load_dword v89, off, s[0:3], 0 offset:256
	buffer_load_dword v90, off, s[0:3], 0 offset:260
	;; [unrolled: 1-line block ×16, first 2 shown]
	v_mov_b32_e32 v80, 0
	ds_read_b128 v[81:84], v80 offset:576
	ds_read_b128 v[85:88], v80 offset:592
	v_cmp_lt_u32_e32 vcc, 30, v0
	s_waitcnt vmcnt(14) lgkmcnt(1)
	v_fma_f64 v[81:82], v[89:90], v[81:82], 0
	s_waitcnt vmcnt(12)
	v_fma_f64 v[81:82], v[91:92], v[83:84], v[81:82]
	s_waitcnt vmcnt(10) lgkmcnt(0)
	v_fma_f64 v[81:82], v[93:94], v[85:86], v[81:82]
	s_waitcnt vmcnt(8)
	v_fma_f64 v[85:86], v[95:96], v[87:88], v[81:82]
	ds_read_b128 v[81:84], v80 offset:608
	ds_read_b64 v[87:88], v80 offset:624
	s_waitcnt vmcnt(6) lgkmcnt(1)
	v_fma_f64 v[81:82], v[97:98], v[81:82], v[85:86]
	s_waitcnt vmcnt(4)
	v_fma_f64 v[81:82], v[99:100], v[83:84], v[81:82]
	s_waitcnt vmcnt(2) lgkmcnt(0)
	v_fma_f64 v[81:82], v[101:102], v[87:88], v[81:82]
	s_waitcnt vmcnt(0)
	v_add_f64 v[81:82], v[103:104], -v[81:82]
	buffer_store_dword v81, off, s[0:3], 0 offset:248
	buffer_store_dword v82, off, s[0:3], 0 offset:252
	s_and_saveexec_b64 s[4:5], vcc
	s_cbranch_execz .LBB38_181
; %bb.180:
	buffer_load_dword v81, off, s[0:3], 0 offset:240
	buffer_load_dword v82, off, s[0:3], 0 offset:244
	s_waitcnt vmcnt(0)
	ds_write_b64 v79, v[81:82]
	buffer_store_dword v80, off, s[0:3], 0 offset:240
	buffer_store_dword v80, off, s[0:3], 0 offset:244
.LBB38_181:
	s_or_b64 exec, exec, s[4:5]
	s_waitcnt lgkmcnt(0)
	; wave barrier
	buffer_load_dword v89, off, s[0:3], 0 offset:248
	buffer_load_dword v90, off, s[0:3], 0 offset:252
	;; [unrolled: 1-line block ×18, first 2 shown]
	ds_read2_b64 v[81:84], v80 offset0:71 offset1:72
	ds_read2_b64 v[85:88], v80 offset0:73 offset1:74
	v_cmp_lt_u32_e32 vcc, 29, v0
	s_waitcnt vmcnt(16) lgkmcnt(1)
	v_fma_f64 v[81:82], v[89:90], v[81:82], 0
	s_waitcnt vmcnt(14)
	v_fma_f64 v[81:82], v[91:92], v[83:84], v[81:82]
	s_waitcnt vmcnt(12) lgkmcnt(0)
	v_fma_f64 v[81:82], v[93:94], v[85:86], v[81:82]
	s_waitcnt vmcnt(10)
	v_fma_f64 v[89:90], v[95:96], v[87:88], v[81:82]
	ds_read2_b64 v[81:84], v80 offset0:75 offset1:76
	ds_read2_b64 v[85:88], v80 offset0:77 offset1:78
	s_waitcnt vmcnt(8) lgkmcnt(1)
	v_fma_f64 v[80:81], v[97:98], v[81:82], v[89:90]
	s_waitcnt vmcnt(6)
	v_fma_f64 v[80:81], v[99:100], v[83:84], v[80:81]
	s_waitcnt vmcnt(4) lgkmcnt(0)
	v_fma_f64 v[80:81], v[101:102], v[85:86], v[80:81]
	s_waitcnt vmcnt(2)
	v_fma_f64 v[80:81], v[103:104], v[87:88], v[80:81]
	s_waitcnt vmcnt(0)
	v_add_f64 v[80:81], v[105:106], -v[80:81]
	buffer_store_dword v80, off, s[0:3], 0 offset:240
	buffer_store_dword v81, off, s[0:3], 0 offset:244
	s_and_saveexec_b64 s[4:5], vcc
	s_cbranch_execz .LBB38_183
; %bb.182:
	buffer_load_dword v80, off, s[0:3], 0 offset:232
	buffer_load_dword v81, off, s[0:3], 0 offset:236
	v_mov_b32_e32 v82, 0
	buffer_store_dword v82, off, s[0:3], 0 offset:232
	buffer_store_dword v82, off, s[0:3], 0 offset:236
	s_waitcnt vmcnt(2)
	ds_write_b64 v79, v[80:81]
.LBB38_183:
	s_or_b64 exec, exec, s[4:5]
	s_waitcnt lgkmcnt(0)
	; wave barrier
	buffer_load_dword v89, off, s[0:3], 0 offset:240
	buffer_load_dword v90, off, s[0:3], 0 offset:244
	;; [unrolled: 1-line block ×20, first 2 shown]
	v_mov_b32_e32 v80, 0
	ds_read_b128 v[81:84], v80 offset:560
	ds_read_b128 v[85:88], v80 offset:576
	v_cmp_lt_u32_e32 vcc, 28, v0
	s_waitcnt vmcnt(18) lgkmcnt(1)
	v_fma_f64 v[81:82], v[89:90], v[81:82], 0
	s_waitcnt vmcnt(16)
	v_fma_f64 v[81:82], v[91:92], v[83:84], v[81:82]
	s_waitcnt vmcnt(14) lgkmcnt(0)
	v_fma_f64 v[81:82], v[93:94], v[85:86], v[81:82]
	s_waitcnt vmcnt(12)
	v_fma_f64 v[89:90], v[95:96], v[87:88], v[81:82]
	ds_read_b128 v[81:84], v80 offset:592
	ds_read_b128 v[85:88], v80 offset:608
	s_waitcnt vmcnt(10) lgkmcnt(1)
	v_fma_f64 v[81:82], v[97:98], v[81:82], v[89:90]
	s_waitcnt vmcnt(8)
	v_fma_f64 v[81:82], v[99:100], v[83:84], v[81:82]
	ds_read_b64 v[83:84], v80 offset:624
	s_waitcnt vmcnt(6) lgkmcnt(1)
	v_fma_f64 v[81:82], v[101:102], v[85:86], v[81:82]
	s_waitcnt vmcnt(3)
	v_fma_f64 v[81:82], v[103:104], v[87:88], v[81:82]
	s_waitcnt vmcnt(2) lgkmcnt(0)
	v_fma_f64 v[81:82], v[105:106], v[83:84], v[81:82]
	s_waitcnt vmcnt(0)
	v_add_f64 v[81:82], v[107:108], -v[81:82]
	buffer_store_dword v81, off, s[0:3], 0 offset:232
	buffer_store_dword v82, off, s[0:3], 0 offset:236
	s_and_saveexec_b64 s[4:5], vcc
	s_cbranch_execz .LBB38_185
; %bb.184:
	buffer_load_dword v81, off, s[0:3], 0 offset:224
	buffer_load_dword v82, off, s[0:3], 0 offset:228
	s_waitcnt vmcnt(0)
	ds_write_b64 v79, v[81:82]
	buffer_store_dword v80, off, s[0:3], 0 offset:224
	buffer_store_dword v80, off, s[0:3], 0 offset:228
.LBB38_185:
	s_or_b64 exec, exec, s[4:5]
	s_waitcnt lgkmcnt(0)
	; wave barrier
	buffer_load_dword v89, off, s[0:3], 0 offset:232
	buffer_load_dword v90, off, s[0:3], 0 offset:236
	;; [unrolled: 1-line block ×20, first 2 shown]
	ds_read2_b64 v[81:84], v80 offset0:69 offset1:70
	buffer_load_dword v109, off, s[0:3], 0 offset:224
	buffer_load_dword v110, off, s[0:3], 0 offset:228
	ds_read2_b64 v[85:88], v80 offset0:71 offset1:72
	v_cmp_lt_u32_e32 vcc, 27, v0
	s_waitcnt vmcnt(20) lgkmcnt(1)
	v_fma_f64 v[81:82], v[89:90], v[81:82], 0
	s_waitcnt vmcnt(18)
	v_fma_f64 v[81:82], v[91:92], v[83:84], v[81:82]
	s_waitcnt vmcnt(16) lgkmcnt(0)
	v_fma_f64 v[81:82], v[93:94], v[85:86], v[81:82]
	s_waitcnt vmcnt(14)
	v_fma_f64 v[89:90], v[95:96], v[87:88], v[81:82]
	ds_read2_b64 v[81:84], v80 offset0:73 offset1:74
	ds_read2_b64 v[85:88], v80 offset0:75 offset1:76
	s_waitcnt vmcnt(12) lgkmcnt(1)
	v_fma_f64 v[81:82], v[97:98], v[81:82], v[89:90]
	s_waitcnt vmcnt(10)
	v_fma_f64 v[81:82], v[99:100], v[83:84], v[81:82]
	s_waitcnt vmcnt(8) lgkmcnt(0)
	v_fma_f64 v[81:82], v[101:102], v[85:86], v[81:82]
	s_waitcnt vmcnt(4)
	v_fma_f64 v[84:85], v[103:104], v[87:88], v[81:82]
	ds_read2_b64 v[80:83], v80 offset0:77 offset1:78
	s_waitcnt vmcnt(3) lgkmcnt(0)
	v_fma_f64 v[80:81], v[107:108], v[80:81], v[84:85]
	s_waitcnt vmcnt(2)
	v_fma_f64 v[80:81], v[105:106], v[82:83], v[80:81]
	s_waitcnt vmcnt(0)
	v_add_f64 v[80:81], v[109:110], -v[80:81]
	buffer_store_dword v80, off, s[0:3], 0 offset:224
	buffer_store_dword v81, off, s[0:3], 0 offset:228
	s_and_saveexec_b64 s[4:5], vcc
	s_cbranch_execz .LBB38_187
; %bb.186:
	buffer_load_dword v80, off, s[0:3], 0 offset:216
	buffer_load_dword v81, off, s[0:3], 0 offset:220
	v_mov_b32_e32 v82, 0
	buffer_store_dword v82, off, s[0:3], 0 offset:216
	buffer_store_dword v82, off, s[0:3], 0 offset:220
	s_waitcnt vmcnt(2)
	ds_write_b64 v79, v[80:81]
.LBB38_187:
	s_or_b64 exec, exec, s[4:5]
	s_waitcnt lgkmcnt(0)
	; wave barrier
	buffer_load_dword v89, off, s[0:3], 0 offset:224
	buffer_load_dword v90, off, s[0:3], 0 offset:228
	;; [unrolled: 1-line block ×21, first 2 shown]
	v_mov_b32_e32 v80, 0
	ds_read_b128 v[81:84], v80 offset:544
	ds_read_b128 v[85:88], v80 offset:560
	buffer_load_dword v106, off, s[0:3], 0 offset:308
	v_cmp_lt_u32_e32 vcc, 26, v0
	s_waitcnt vmcnt(20) lgkmcnt(1)
	v_fma_f64 v[81:82], v[89:90], v[81:82], 0
	buffer_load_dword v89, off, s[0:3], 0 offset:216
	buffer_load_dword v90, off, s[0:3], 0 offset:220
	s_waitcnt vmcnt(20)
	v_fma_f64 v[81:82], v[91:92], v[83:84], v[81:82]
	s_waitcnt vmcnt(18) lgkmcnt(0)
	v_fma_f64 v[81:82], v[93:94], v[85:86], v[81:82]
	s_waitcnt vmcnt(16)
	v_fma_f64 v[91:92], v[95:96], v[87:88], v[81:82]
	ds_read_b128 v[81:84], v80 offset:576
	ds_read_b128 v[85:88], v80 offset:592
	s_waitcnt vmcnt(14) lgkmcnt(1)
	v_fma_f64 v[81:82], v[97:98], v[81:82], v[91:92]
	s_waitcnt vmcnt(12)
	v_fma_f64 v[81:82], v[99:100], v[83:84], v[81:82]
	s_waitcnt vmcnt(10) lgkmcnt(0)
	v_fma_f64 v[81:82], v[101:102], v[85:86], v[81:82]
	s_waitcnt vmcnt(5)
	v_fma_f64 v[85:86], v[103:104], v[87:88], v[81:82]
	ds_read_b128 v[81:84], v80 offset:608
	ds_read_b64 v[87:88], v80 offset:624
	s_waitcnt vmcnt(4) lgkmcnt(1)
	v_fma_f64 v[81:82], v[109:110], v[81:82], v[85:86]
	s_waitcnt vmcnt(3)
	v_fma_f64 v[81:82], v[107:108], v[83:84], v[81:82]
	s_waitcnt vmcnt(2) lgkmcnt(0)
	v_fma_f64 v[81:82], v[105:106], v[87:88], v[81:82]
	s_waitcnt vmcnt(0)
	v_add_f64 v[81:82], v[89:90], -v[81:82]
	buffer_store_dword v82, off, s[0:3], 0 offset:220
	buffer_store_dword v81, off, s[0:3], 0 offset:216
	s_and_saveexec_b64 s[4:5], vcc
	s_cbranch_execz .LBB38_189
; %bb.188:
	buffer_load_dword v81, off, s[0:3], 0 offset:208
	buffer_load_dword v82, off, s[0:3], 0 offset:212
	s_waitcnt vmcnt(0)
	ds_write_b64 v79, v[81:82]
	buffer_store_dword v80, off, s[0:3], 0 offset:208
	buffer_store_dword v80, off, s[0:3], 0 offset:212
.LBB38_189:
	s_or_b64 exec, exec, s[4:5]
	s_waitcnt lgkmcnt(0)
	; wave barrier
	buffer_load_dword v89, off, s[0:3], 0 offset:216
	buffer_load_dword v90, off, s[0:3], 0 offset:220
	;; [unrolled: 1-line block ×21, first 2 shown]
	ds_read2_b64 v[81:84], v80 offset0:67 offset1:68
	ds_read2_b64 v[85:88], v80 offset0:69 offset1:70
	buffer_load_dword v106, off, s[0:3], 0 offset:300
	v_cmp_lt_u32_e32 vcc, 25, v0
	s_waitcnt vmcnt(20) lgkmcnt(1)
	v_fma_f64 v[81:82], v[89:90], v[81:82], 0
	buffer_load_dword v90, off, s[0:3], 0 offset:308
	buffer_load_dword v89, off, s[0:3], 0 offset:304
	s_waitcnt vmcnt(20)
	v_fma_f64 v[81:82], v[91:92], v[83:84], v[81:82]
	buffer_load_dword v91, off, s[0:3], 0 offset:208
	buffer_load_dword v92, off, s[0:3], 0 offset:212
	s_waitcnt vmcnt(20) lgkmcnt(0)
	v_fma_f64 v[81:82], v[93:94], v[85:86], v[81:82]
	s_waitcnt vmcnt(18)
	v_fma_f64 v[93:94], v[95:96], v[87:88], v[81:82]
	ds_read2_b64 v[81:84], v80 offset0:71 offset1:72
	ds_read2_b64 v[85:88], v80 offset0:73 offset1:74
	s_waitcnt vmcnt(16) lgkmcnt(1)
	v_fma_f64 v[81:82], v[97:98], v[81:82], v[93:94]
	s_waitcnt vmcnt(14)
	v_fma_f64 v[81:82], v[99:100], v[83:84], v[81:82]
	s_waitcnt vmcnt(12) lgkmcnt(0)
	v_fma_f64 v[81:82], v[101:102], v[85:86], v[81:82]
	s_waitcnt vmcnt(7)
	v_fma_f64 v[93:94], v[103:104], v[87:88], v[81:82]
	ds_read2_b64 v[81:84], v80 offset0:75 offset1:76
	ds_read2_b64 v[85:88], v80 offset0:77 offset1:78
	s_waitcnt vmcnt(6) lgkmcnt(1)
	v_fma_f64 v[80:81], v[109:110], v[81:82], v[93:94]
	s_waitcnt vmcnt(5)
	v_fma_f64 v[80:81], v[107:108], v[83:84], v[80:81]
	s_waitcnt vmcnt(4) lgkmcnt(0)
	v_fma_f64 v[80:81], v[105:106], v[85:86], v[80:81]
	s_waitcnt vmcnt(2)
	v_fma_f64 v[80:81], v[89:90], v[87:88], v[80:81]
	s_waitcnt vmcnt(0)
	v_add_f64 v[80:81], v[91:92], -v[80:81]
	buffer_store_dword v81, off, s[0:3], 0 offset:212
	buffer_store_dword v80, off, s[0:3], 0 offset:208
	s_and_saveexec_b64 s[4:5], vcc
	s_cbranch_execz .LBB38_191
; %bb.190:
	buffer_load_dword v80, off, s[0:3], 0 offset:200
	buffer_load_dword v81, off, s[0:3], 0 offset:204
	v_mov_b32_e32 v82, 0
	buffer_store_dword v82, off, s[0:3], 0 offset:200
	buffer_store_dword v82, off, s[0:3], 0 offset:204
	s_waitcnt vmcnt(2)
	ds_write_b64 v79, v[80:81]
.LBB38_191:
	s_or_b64 exec, exec, s[4:5]
	s_waitcnt lgkmcnt(0)
	; wave barrier
	buffer_load_dword v89, off, s[0:3], 0 offset:208
	buffer_load_dword v90, off, s[0:3], 0 offset:212
	;; [unrolled: 1-line block ×21, first 2 shown]
	v_mov_b32_e32 v80, 0
	ds_read_b128 v[81:84], v80 offset:528
	ds_read_b128 v[85:88], v80 offset:544
	buffer_load_dword v106, off, s[0:3], 0 offset:292
	v_cmp_lt_u32_e32 vcc, 24, v0
	s_waitcnt vmcnt(20) lgkmcnt(1)
	v_fma_f64 v[81:82], v[89:90], v[81:82], 0
	s_waitcnt vmcnt(18)
	v_fma_f64 v[81:82], v[91:92], v[83:84], v[81:82]
	buffer_load_dword v90, off, s[0:3], 0 offset:300
	buffer_load_dword v91, off, s[0:3], 0 offset:304
	buffer_load_dword v89, off, s[0:3], 0 offset:296
	buffer_load_dword v92, off, s[0:3], 0 offset:308
	s_waitcnt vmcnt(20) lgkmcnt(0)
	v_fma_f64 v[81:82], v[93:94], v[85:86], v[81:82]
	buffer_load_dword v93, off, s[0:3], 0 offset:200
	buffer_load_dword v94, off, s[0:3], 0 offset:204
	s_waitcnt vmcnt(20)
	v_fma_f64 v[95:96], v[95:96], v[87:88], v[81:82]
	ds_read_b128 v[81:84], v80 offset:560
	ds_read_b128 v[85:88], v80 offset:576
	s_waitcnt vmcnt(18) lgkmcnt(1)
	v_fma_f64 v[81:82], v[97:98], v[81:82], v[95:96]
	s_waitcnt vmcnt(16)
	v_fma_f64 v[81:82], v[99:100], v[83:84], v[81:82]
	s_waitcnt vmcnt(14) lgkmcnt(0)
	v_fma_f64 v[81:82], v[101:102], v[85:86], v[81:82]
	s_waitcnt vmcnt(9)
	v_fma_f64 v[95:96], v[103:104], v[87:88], v[81:82]
	ds_read_b128 v[81:84], v80 offset:592
	ds_read_b128 v[85:88], v80 offset:608
	s_waitcnt vmcnt(8) lgkmcnt(1)
	v_fma_f64 v[81:82], v[109:110], v[81:82], v[95:96]
	s_waitcnt vmcnt(7)
	v_fma_f64 v[81:82], v[107:108], v[83:84], v[81:82]
	ds_read_b64 v[83:84], v80 offset:624
	s_waitcnt vmcnt(6) lgkmcnt(1)
	v_fma_f64 v[81:82], v[105:106], v[85:86], v[81:82]
	s_waitcnt vmcnt(3)
	v_fma_f64 v[81:82], v[89:90], v[87:88], v[81:82]
	s_waitcnt vmcnt(2) lgkmcnt(0)
	v_fma_f64 v[81:82], v[91:92], v[83:84], v[81:82]
	s_waitcnt vmcnt(0)
	v_add_f64 v[81:82], v[93:94], -v[81:82]
	buffer_store_dword v82, off, s[0:3], 0 offset:204
	buffer_store_dword v81, off, s[0:3], 0 offset:200
	s_and_saveexec_b64 s[4:5], vcc
	s_cbranch_execz .LBB38_193
; %bb.192:
	buffer_load_dword v81, off, s[0:3], 0 offset:192
	buffer_load_dword v82, off, s[0:3], 0 offset:196
	s_waitcnt vmcnt(0)
	ds_write_b64 v79, v[81:82]
	buffer_store_dword v80, off, s[0:3], 0 offset:192
	buffer_store_dword v80, off, s[0:3], 0 offset:196
.LBB38_193:
	s_or_b64 exec, exec, s[4:5]
	s_waitcnt lgkmcnt(0)
	; wave barrier
	buffer_load_dword v89, off, s[0:3], 0 offset:200
	buffer_load_dword v90, off, s[0:3], 0 offset:204
	;; [unrolled: 1-line block ×22, first 2 shown]
	ds_read2_b64 v[81:84], v80 offset0:65 offset1:66
	ds_read2_b64 v[85:88], v80 offset0:67 offset1:68
	v_cmp_lt_u32_e32 vcc, 23, v0
	s_waitcnt vmcnt(20) lgkmcnt(1)
	v_fma_f64 v[81:82], v[89:90], v[81:82], 0
	s_waitcnt vmcnt(18)
	v_fma_f64 v[81:82], v[91:92], v[83:84], v[81:82]
	buffer_load_dword v90, off, s[0:3], 0 offset:292
	buffer_load_dword v91, off, s[0:3], 0 offset:304
	;; [unrolled: 1-line block ×6, first 2 shown]
	s_waitcnt vmcnt(22) lgkmcnt(0)
	v_fma_f64 v[81:82], v[93:94], v[85:86], v[81:82]
	s_waitcnt vmcnt(20)
	v_fma_f64 v[93:94], v[95:96], v[87:88], v[81:82]
	ds_read2_b64 v[81:84], v80 offset0:69 offset1:70
	buffer_load_dword v95, off, s[0:3], 0 offset:192
	buffer_load_dword v96, off, s[0:3], 0 offset:196
	ds_read2_b64 v[85:88], v80 offset0:71 offset1:72
	s_waitcnt vmcnt(20) lgkmcnt(1)
	v_fma_f64 v[81:82], v[97:98], v[81:82], v[93:94]
	s_waitcnt vmcnt(18)
	v_fma_f64 v[81:82], v[99:100], v[83:84], v[81:82]
	s_waitcnt vmcnt(16) lgkmcnt(0)
	v_fma_f64 v[81:82], v[101:102], v[85:86], v[81:82]
	s_waitcnt vmcnt(11)
	v_fma_f64 v[93:94], v[103:104], v[87:88], v[81:82]
	ds_read2_b64 v[81:84], v80 offset0:73 offset1:74
	ds_read2_b64 v[85:88], v80 offset0:75 offset1:76
	s_waitcnt vmcnt(10) lgkmcnt(1)
	v_fma_f64 v[81:82], v[109:110], v[81:82], v[93:94]
	s_waitcnt vmcnt(9)
	v_fma_f64 v[81:82], v[107:108], v[83:84], v[81:82]
	s_waitcnt vmcnt(8) lgkmcnt(0)
	v_fma_f64 v[81:82], v[105:106], v[85:86], v[81:82]
	s_waitcnt vmcnt(4)
	v_fma_f64 v[84:85], v[89:90], v[87:88], v[81:82]
	ds_read2_b64 v[80:83], v80 offset0:77 offset1:78
	s_waitcnt vmcnt(3) lgkmcnt(0)
	v_fma_f64 v[80:81], v[111:112], v[80:81], v[84:85]
	s_waitcnt vmcnt(2)
	v_fma_f64 v[80:81], v[91:92], v[82:83], v[80:81]
	s_waitcnt vmcnt(0)
	v_add_f64 v[80:81], v[95:96], -v[80:81]
	buffer_store_dword v81, off, s[0:3], 0 offset:196
	buffer_store_dword v80, off, s[0:3], 0 offset:192
	s_and_saveexec_b64 s[4:5], vcc
	s_cbranch_execz .LBB38_195
; %bb.194:
	buffer_load_dword v80, off, s[0:3], 0 offset:184
	buffer_load_dword v81, off, s[0:3], 0 offset:188
	v_mov_b32_e32 v82, 0
	buffer_store_dword v82, off, s[0:3], 0 offset:184
	buffer_store_dword v82, off, s[0:3], 0 offset:188
	s_waitcnt vmcnt(2)
	ds_write_b64 v79, v[80:81]
.LBB38_195:
	s_or_b64 exec, exec, s[4:5]
	s_waitcnt lgkmcnt(0)
	; wave barrier
	buffer_load_dword v89, off, s[0:3], 0 offset:192
	buffer_load_dword v90, off, s[0:3], 0 offset:196
	;; [unrolled: 1-line block ×22, first 2 shown]
	v_mov_b32_e32 v80, 0
	ds_read_b128 v[81:84], v80 offset:512
	ds_read_b128 v[85:88], v80 offset:528
	v_cmp_lt_u32_e32 vcc, 22, v0
	s_waitcnt vmcnt(20) lgkmcnt(1)
	v_fma_f64 v[81:82], v[89:90], v[81:82], 0
	s_waitcnt vmcnt(18)
	v_fma_f64 v[81:82], v[91:92], v[83:84], v[81:82]
	buffer_load_dword v90, off, s[0:3], 0 offset:284
	buffer_load_dword v91, off, s[0:3], 0 offset:304
	;; [unrolled: 1-line block ×8, first 2 shown]
	s_waitcnt vmcnt(24) lgkmcnt(0)
	v_fma_f64 v[81:82], v[93:94], v[85:86], v[81:82]
	s_waitcnt vmcnt(22)
	v_fma_f64 v[93:94], v[95:96], v[87:88], v[81:82]
	ds_read_b128 v[81:84], v80 offset:544
	ds_read_b128 v[85:88], v80 offset:560
	s_waitcnt vmcnt(20) lgkmcnt(1)
	v_fma_f64 v[81:82], v[97:98], v[81:82], v[93:94]
	buffer_load_dword v93, off, s[0:3], 0 offset:184
	buffer_load_dword v94, off, s[0:3], 0 offset:188
	s_waitcnt vmcnt(20)
	v_fma_f64 v[81:82], v[99:100], v[83:84], v[81:82]
	s_waitcnt vmcnt(18) lgkmcnt(0)
	v_fma_f64 v[81:82], v[101:102], v[85:86], v[81:82]
	s_waitcnt vmcnt(13)
	v_fma_f64 v[95:96], v[103:104], v[87:88], v[81:82]
	ds_read_b128 v[81:84], v80 offset:576
	ds_read_b128 v[85:88], v80 offset:592
	s_waitcnt vmcnt(12) lgkmcnt(1)
	v_fma_f64 v[81:82], v[109:110], v[81:82], v[95:96]
	s_waitcnt vmcnt(11)
	v_fma_f64 v[81:82], v[107:108], v[83:84], v[81:82]
	s_waitcnt vmcnt(10) lgkmcnt(0)
	v_fma_f64 v[81:82], v[105:106], v[85:86], v[81:82]
	s_waitcnt vmcnt(5)
	v_fma_f64 v[85:86], v[89:90], v[87:88], v[81:82]
	ds_read_b128 v[81:84], v80 offset:608
	ds_read_b64 v[87:88], v80 offset:624
	s_waitcnt vmcnt(4) lgkmcnt(1)
	v_fma_f64 v[81:82], v[113:114], v[81:82], v[85:86]
	s_waitcnt vmcnt(3)
	v_fma_f64 v[81:82], v[111:112], v[83:84], v[81:82]
	s_waitcnt vmcnt(2) lgkmcnt(0)
	v_fma_f64 v[81:82], v[91:92], v[87:88], v[81:82]
	s_waitcnt vmcnt(0)
	v_add_f64 v[81:82], v[93:94], -v[81:82]
	buffer_store_dword v82, off, s[0:3], 0 offset:188
	buffer_store_dword v81, off, s[0:3], 0 offset:184
	s_and_saveexec_b64 s[4:5], vcc
	s_cbranch_execz .LBB38_197
; %bb.196:
	buffer_load_dword v81, off, s[0:3], 0 offset:176
	buffer_load_dword v82, off, s[0:3], 0 offset:180
	s_waitcnt vmcnt(0)
	ds_write_b64 v79, v[81:82]
	buffer_store_dword v80, off, s[0:3], 0 offset:176
	buffer_store_dword v80, off, s[0:3], 0 offset:180
.LBB38_197:
	s_or_b64 exec, exec, s[4:5]
	s_waitcnt lgkmcnt(0)
	; wave barrier
	buffer_load_dword v89, off, s[0:3], 0 offset:184
	buffer_load_dword v90, off, s[0:3], 0 offset:188
	;; [unrolled: 1-line block ×22, first 2 shown]
	ds_read2_b64 v[81:84], v80 offset0:63 offset1:64
	ds_read2_b64 v[85:88], v80 offset0:65 offset1:66
	v_cmp_lt_u32_e32 vcc, 21, v0
	s_waitcnt vmcnt(20) lgkmcnt(1)
	v_fma_f64 v[81:82], v[89:90], v[81:82], 0
	s_waitcnt vmcnt(18)
	v_fma_f64 v[81:82], v[91:92], v[83:84], v[81:82]
	buffer_load_dword v90, off, s[0:3], 0 offset:276
	buffer_load_dword v91, off, s[0:3], 0 offset:296
	;; [unrolled: 1-line block ×8, first 2 shown]
	s_waitcnt vmcnt(24) lgkmcnt(0)
	v_fma_f64 v[81:82], v[93:94], v[85:86], v[81:82]
	s_waitcnt vmcnt(22)
	v_fma_f64 v[93:94], v[95:96], v[87:88], v[81:82]
	ds_read2_b64 v[81:84], v80 offset0:67 offset1:68
	ds_read2_b64 v[85:88], v80 offset0:69 offset1:70
	s_waitcnt vmcnt(20) lgkmcnt(1)
	v_fma_f64 v[81:82], v[97:98], v[81:82], v[93:94]
	buffer_load_dword v94, off, s[0:3], 0 offset:308
	buffer_load_dword v93, off, s[0:3], 0 offset:304
	;; [unrolled: 1-line block ×4, first 2 shown]
	s_waitcnt vmcnt(22)
	v_fma_f64 v[81:82], v[99:100], v[83:84], v[81:82]
	s_waitcnt vmcnt(20) lgkmcnt(0)
	v_fma_f64 v[81:82], v[101:102], v[85:86], v[81:82]
	s_waitcnt vmcnt(15)
	v_fma_f64 v[97:98], v[103:104], v[87:88], v[81:82]
	ds_read2_b64 v[81:84], v80 offset0:71 offset1:72
	ds_read2_b64 v[85:88], v80 offset0:73 offset1:74
	s_waitcnt vmcnt(14) lgkmcnt(1)
	v_fma_f64 v[81:82], v[109:110], v[81:82], v[97:98]
	s_waitcnt vmcnt(13)
	v_fma_f64 v[81:82], v[107:108], v[83:84], v[81:82]
	s_waitcnt vmcnt(12) lgkmcnt(0)
	v_fma_f64 v[81:82], v[105:106], v[85:86], v[81:82]
	s_waitcnt vmcnt(7)
	v_fma_f64 v[89:90], v[89:90], v[87:88], v[81:82]
	ds_read2_b64 v[81:84], v80 offset0:75 offset1:76
	ds_read2_b64 v[85:88], v80 offset0:77 offset1:78
	s_waitcnt vmcnt(6) lgkmcnt(1)
	v_fma_f64 v[80:81], v[113:114], v[81:82], v[89:90]
	s_waitcnt vmcnt(5)
	v_fma_f64 v[80:81], v[111:112], v[83:84], v[80:81]
	s_waitcnt vmcnt(4) lgkmcnt(0)
	v_fma_f64 v[80:81], v[91:92], v[85:86], v[80:81]
	s_waitcnt vmcnt(2)
	v_fma_f64 v[80:81], v[93:94], v[87:88], v[80:81]
	s_waitcnt vmcnt(0)
	v_add_f64 v[80:81], v[95:96], -v[80:81]
	buffer_store_dword v81, off, s[0:3], 0 offset:180
	buffer_store_dword v80, off, s[0:3], 0 offset:176
	s_and_saveexec_b64 s[4:5], vcc
	s_cbranch_execz .LBB38_199
; %bb.198:
	buffer_load_dword v80, off, s[0:3], 0 offset:168
	buffer_load_dword v81, off, s[0:3], 0 offset:172
	v_mov_b32_e32 v82, 0
	buffer_store_dword v82, off, s[0:3], 0 offset:168
	buffer_store_dword v82, off, s[0:3], 0 offset:172
	s_waitcnt vmcnt(2)
	ds_write_b64 v79, v[80:81]
.LBB38_199:
	s_or_b64 exec, exec, s[4:5]
	s_waitcnt lgkmcnt(0)
	; wave barrier
	buffer_load_dword v89, off, s[0:3], 0 offset:176
	buffer_load_dword v90, off, s[0:3], 0 offset:180
	;; [unrolled: 1-line block ×22, first 2 shown]
	v_mov_b32_e32 v80, 0
	ds_read_b128 v[81:84], v80 offset:496
	ds_read_b128 v[85:88], v80 offset:512
	v_cmp_lt_u32_e32 vcc, 20, v0
	s_waitcnt vmcnt(20) lgkmcnt(1)
	v_fma_f64 v[81:82], v[89:90], v[81:82], 0
	s_waitcnt vmcnt(18)
	v_fma_f64 v[81:82], v[91:92], v[83:84], v[81:82]
	buffer_load_dword v90, off, s[0:3], 0 offset:268
	buffer_load_dword v91, off, s[0:3], 0 offset:288
	;; [unrolled: 1-line block ×7, first 2 shown]
	s_waitcnt vmcnt(23) lgkmcnt(0)
	v_fma_f64 v[81:82], v[93:94], v[85:86], v[81:82]
	s_waitcnt vmcnt(21)
	v_fma_f64 v[92:93], v[95:96], v[87:88], v[81:82]
	ds_read_b128 v[81:84], v80 offset:528
	ds_read_b128 v[85:88], v80 offset:544
	s_waitcnt vmcnt(19) lgkmcnt(1)
	v_fma_f64 v[81:82], v[97:98], v[81:82], v[92:93]
	buffer_load_dword v92, off, s[0:3], 0 offset:292
	buffer_load_dword v94, off, s[0:3], 0 offset:300
	;; [unrolled: 1-line block ×7, first 2 shown]
	s_waitcnt vmcnt(24)
	v_fma_f64 v[81:82], v[99:100], v[83:84], v[81:82]
	s_waitcnt vmcnt(22) lgkmcnt(0)
	v_fma_f64 v[81:82], v[101:102], v[85:86], v[81:82]
	s_waitcnt vmcnt(17)
	v_fma_f64 v[99:100], v[103:104], v[87:88], v[81:82]
	ds_read_b128 v[81:84], v80 offset:560
	ds_read_b128 v[85:88], v80 offset:576
	s_waitcnt vmcnt(16) lgkmcnt(1)
	v_fma_f64 v[81:82], v[109:110], v[81:82], v[99:100]
	s_waitcnt vmcnt(15)
	v_fma_f64 v[81:82], v[107:108], v[83:84], v[81:82]
	s_waitcnt vmcnt(14) lgkmcnt(0)
	v_fma_f64 v[81:82], v[105:106], v[85:86], v[81:82]
	s_waitcnt vmcnt(9)
	v_fma_f64 v[89:90], v[89:90], v[87:88], v[81:82]
	ds_read_b128 v[81:84], v80 offset:592
	ds_read_b128 v[85:88], v80 offset:608
	s_waitcnt vmcnt(8) lgkmcnt(1)
	v_fma_f64 v[81:82], v[113:114], v[81:82], v[89:90]
	s_waitcnt vmcnt(7)
	v_fma_f64 v[81:82], v[111:112], v[83:84], v[81:82]
	ds_read_b64 v[83:84], v80 offset:624
	s_waitcnt vmcnt(6) lgkmcnt(1)
	v_fma_f64 v[81:82], v[91:92], v[85:86], v[81:82]
	s_waitcnt vmcnt(3)
	v_fma_f64 v[81:82], v[93:94], v[87:88], v[81:82]
	s_waitcnt vmcnt(2) lgkmcnt(0)
	v_fma_f64 v[81:82], v[95:96], v[83:84], v[81:82]
	s_waitcnt vmcnt(0)
	v_add_f64 v[81:82], v[97:98], -v[81:82]
	buffer_store_dword v82, off, s[0:3], 0 offset:172
	buffer_store_dword v81, off, s[0:3], 0 offset:168
	s_and_saveexec_b64 s[4:5], vcc
	s_cbranch_execz .LBB38_201
; %bb.200:
	buffer_load_dword v81, off, s[0:3], 0 offset:160
	buffer_load_dword v82, off, s[0:3], 0 offset:164
	s_waitcnt vmcnt(0)
	ds_write_b64 v79, v[81:82]
	buffer_store_dword v80, off, s[0:3], 0 offset:160
	buffer_store_dword v80, off, s[0:3], 0 offset:164
.LBB38_201:
	s_or_b64 exec, exec, s[4:5]
	s_waitcnt lgkmcnt(0)
	; wave barrier
	buffer_load_dword v89, off, s[0:3], 0 offset:168
	buffer_load_dword v90, off, s[0:3], 0 offset:172
	;; [unrolled: 1-line block ×22, first 2 shown]
	ds_read2_b64 v[81:84], v80 offset0:61 offset1:62
	ds_read2_b64 v[85:88], v80 offset0:63 offset1:64
	v_cmp_lt_u32_e32 vcc, 19, v0
	s_waitcnt vmcnt(20) lgkmcnt(1)
	v_fma_f64 v[81:82], v[89:90], v[81:82], 0
	s_waitcnt vmcnt(18)
	v_fma_f64 v[81:82], v[91:92], v[83:84], v[81:82]
	buffer_load_dword v90, off, s[0:3], 0 offset:260
	buffer_load_dword v91, off, s[0:3], 0 offset:280
	;; [unrolled: 1-line block ×7, first 2 shown]
	s_waitcnt vmcnt(23) lgkmcnt(0)
	v_fma_f64 v[81:82], v[93:94], v[85:86], v[81:82]
	s_waitcnt vmcnt(21)
	v_fma_f64 v[92:93], v[95:96], v[87:88], v[81:82]
	ds_read2_b64 v[81:84], v80 offset0:65 offset1:66
	ds_read2_b64 v[85:88], v80 offset0:67 offset1:68
	s_waitcnt vmcnt(19) lgkmcnt(1)
	v_fma_f64 v[81:82], v[97:98], v[81:82], v[92:93]
	buffer_load_dword v92, off, s[0:3], 0 offset:284
	buffer_load_dword v94, off, s[0:3], 0 offset:292
	;; [unrolled: 1-line block ×7, first 2 shown]
	s_waitcnt vmcnt(24)
	v_fma_f64 v[81:82], v[99:100], v[83:84], v[81:82]
	s_waitcnt vmcnt(22) lgkmcnt(0)
	v_fma_f64 v[81:82], v[101:102], v[85:86], v[81:82]
	s_waitcnt vmcnt(17)
	v_fma_f64 v[99:100], v[103:104], v[87:88], v[81:82]
	ds_read2_b64 v[81:84], v80 offset0:69 offset1:70
	buffer_load_dword v101, off, s[0:3], 0 offset:160
	buffer_load_dword v102, off, s[0:3], 0 offset:164
	ds_read2_b64 v[85:88], v80 offset0:71 offset1:72
	s_waitcnt vmcnt(18) lgkmcnt(1)
	v_fma_f64 v[81:82], v[109:110], v[81:82], v[99:100]
	s_waitcnt vmcnt(17)
	v_fma_f64 v[81:82], v[107:108], v[83:84], v[81:82]
	s_waitcnt vmcnt(16) lgkmcnt(0)
	v_fma_f64 v[81:82], v[105:106], v[85:86], v[81:82]
	s_waitcnt vmcnt(11)
	v_fma_f64 v[89:90], v[89:90], v[87:88], v[81:82]
	ds_read2_b64 v[81:84], v80 offset0:73 offset1:74
	ds_read2_b64 v[85:88], v80 offset0:75 offset1:76
	s_waitcnt vmcnt(10) lgkmcnt(1)
	v_fma_f64 v[81:82], v[113:114], v[81:82], v[89:90]
	s_waitcnt vmcnt(9)
	v_fma_f64 v[81:82], v[111:112], v[83:84], v[81:82]
	s_waitcnt vmcnt(8) lgkmcnt(0)
	v_fma_f64 v[81:82], v[91:92], v[85:86], v[81:82]
	s_waitcnt vmcnt(4)
	v_fma_f64 v[84:85], v[93:94], v[87:88], v[81:82]
	ds_read2_b64 v[80:83], v80 offset0:77 offset1:78
	s_waitcnt vmcnt(3) lgkmcnt(0)
	v_fma_f64 v[80:81], v[97:98], v[80:81], v[84:85]
	s_waitcnt vmcnt(2)
	v_fma_f64 v[80:81], v[95:96], v[82:83], v[80:81]
	s_waitcnt vmcnt(0)
	v_add_f64 v[80:81], v[101:102], -v[80:81]
	buffer_store_dword v81, off, s[0:3], 0 offset:164
	buffer_store_dword v80, off, s[0:3], 0 offset:160
	s_and_saveexec_b64 s[4:5], vcc
	s_cbranch_execz .LBB38_203
; %bb.202:
	buffer_load_dword v80, off, s[0:3], 0 offset:152
	buffer_load_dword v81, off, s[0:3], 0 offset:156
	v_mov_b32_e32 v82, 0
	buffer_store_dword v82, off, s[0:3], 0 offset:152
	buffer_store_dword v82, off, s[0:3], 0 offset:156
	s_waitcnt vmcnt(2)
	ds_write_b64 v79, v[80:81]
.LBB38_203:
	s_or_b64 exec, exec, s[4:5]
	s_waitcnt lgkmcnt(0)
	; wave barrier
	buffer_load_dword v89, off, s[0:3], 0 offset:160
	buffer_load_dword v90, off, s[0:3], 0 offset:164
	;; [unrolled: 1-line block ×22, first 2 shown]
	v_mov_b32_e32 v80, 0
	ds_read_b128 v[81:84], v80 offset:480
	ds_read_b128 v[85:88], v80 offset:496
	v_cmp_lt_u32_e32 vcc, 18, v0
	s_waitcnt vmcnt(20) lgkmcnt(1)
	v_fma_f64 v[81:82], v[89:90], v[81:82], 0
	s_waitcnt vmcnt(18)
	v_fma_f64 v[81:82], v[91:92], v[83:84], v[81:82]
	buffer_load_dword v90, off, s[0:3], 0 offset:252
	buffer_load_dword v91, off, s[0:3], 0 offset:272
	;; [unrolled: 1-line block ×7, first 2 shown]
	s_waitcnt vmcnt(23) lgkmcnt(0)
	v_fma_f64 v[81:82], v[93:94], v[85:86], v[81:82]
	s_waitcnt vmcnt(21)
	v_fma_f64 v[92:93], v[95:96], v[87:88], v[81:82]
	ds_read_b128 v[81:84], v80 offset:512
	ds_read_b128 v[85:88], v80 offset:528
	s_waitcnt vmcnt(19) lgkmcnt(1)
	v_fma_f64 v[81:82], v[97:98], v[81:82], v[92:93]
	buffer_load_dword v92, off, s[0:3], 0 offset:276
	s_waitcnt vmcnt(18)
	v_fma_f64 v[81:82], v[99:100], v[83:84], v[81:82]
	buffer_load_dword v94, off, s[0:3], 0 offset:284
	buffer_load_dword v95, off, s[0:3], 0 offset:304
	;; [unrolled: 1-line block ×8, first 2 shown]
	s_waitcnt vmcnt(24) lgkmcnt(0)
	v_fma_f64 v[81:82], v[101:102], v[85:86], v[81:82]
	s_waitcnt vmcnt(19)
	v_fma_f64 v[101:102], v[103:104], v[87:88], v[81:82]
	ds_read_b128 v[81:84], v80 offset:544
	ds_read_b128 v[85:88], v80 offset:560
	s_waitcnt vmcnt(18) lgkmcnt(1)
	v_fma_f64 v[81:82], v[109:110], v[81:82], v[101:102]
	buffer_load_dword v101, off, s[0:3], 0 offset:152
	buffer_load_dword v102, off, s[0:3], 0 offset:156
	s_waitcnt vmcnt(19)
	v_fma_f64 v[81:82], v[107:108], v[83:84], v[81:82]
	s_waitcnt vmcnt(18) lgkmcnt(0)
	v_fma_f64 v[81:82], v[105:106], v[85:86], v[81:82]
	s_waitcnt vmcnt(13)
	v_fma_f64 v[89:90], v[89:90], v[87:88], v[81:82]
	ds_read_b128 v[81:84], v80 offset:576
	ds_read_b128 v[85:88], v80 offset:592
	s_waitcnt vmcnt(12) lgkmcnt(1)
	v_fma_f64 v[81:82], v[113:114], v[81:82], v[89:90]
	s_waitcnt vmcnt(11)
	v_fma_f64 v[81:82], v[111:112], v[83:84], v[81:82]
	s_waitcnt vmcnt(10) lgkmcnt(0)
	v_fma_f64 v[81:82], v[91:92], v[85:86], v[81:82]
	s_waitcnt vmcnt(5)
	v_fma_f64 v[85:86], v[93:94], v[87:88], v[81:82]
	ds_read_b128 v[81:84], v80 offset:608
	ds_read_b64 v[87:88], v80 offset:624
	s_waitcnt vmcnt(4) lgkmcnt(1)
	v_fma_f64 v[81:82], v[99:100], v[81:82], v[85:86]
	s_waitcnt vmcnt(3)
	v_fma_f64 v[81:82], v[97:98], v[83:84], v[81:82]
	s_waitcnt vmcnt(2) lgkmcnt(0)
	v_fma_f64 v[81:82], v[95:96], v[87:88], v[81:82]
	s_waitcnt vmcnt(0)
	v_add_f64 v[81:82], v[101:102], -v[81:82]
	buffer_store_dword v82, off, s[0:3], 0 offset:156
	buffer_store_dword v81, off, s[0:3], 0 offset:152
	s_and_saveexec_b64 s[4:5], vcc
	s_cbranch_execz .LBB38_205
; %bb.204:
	buffer_load_dword v81, off, s[0:3], 0 offset:144
	buffer_load_dword v82, off, s[0:3], 0 offset:148
	s_waitcnt vmcnt(0)
	ds_write_b64 v79, v[81:82]
	buffer_store_dword v80, off, s[0:3], 0 offset:144
	buffer_store_dword v80, off, s[0:3], 0 offset:148
.LBB38_205:
	s_or_b64 exec, exec, s[4:5]
	s_waitcnt lgkmcnt(0)
	; wave barrier
	buffer_load_dword v89, off, s[0:3], 0 offset:152
	buffer_load_dword v90, off, s[0:3], 0 offset:156
	;; [unrolled: 1-line block ×22, first 2 shown]
	ds_read2_b64 v[81:84], v80 offset0:59 offset1:60
	ds_read2_b64 v[85:88], v80 offset0:61 offset1:62
	v_cmp_lt_u32_e32 vcc, 17, v0
	s_waitcnt vmcnt(20) lgkmcnt(1)
	v_fma_f64 v[81:82], v[89:90], v[81:82], 0
	s_waitcnt vmcnt(18)
	v_fma_f64 v[81:82], v[91:92], v[83:84], v[81:82]
	buffer_load_dword v90, off, s[0:3], 0 offset:244
	buffer_load_dword v91, off, s[0:3], 0 offset:264
	;; [unrolled: 1-line block ×7, first 2 shown]
	s_waitcnt vmcnt(23) lgkmcnt(0)
	v_fma_f64 v[81:82], v[93:94], v[85:86], v[81:82]
	s_waitcnt vmcnt(21)
	v_fma_f64 v[92:93], v[95:96], v[87:88], v[81:82]
	ds_read2_b64 v[81:84], v80 offset0:63 offset1:64
	ds_read2_b64 v[85:88], v80 offset0:65 offset1:66
	s_waitcnt vmcnt(19) lgkmcnt(1)
	v_fma_f64 v[81:82], v[97:98], v[81:82], v[92:93]
	buffer_load_dword v92, off, s[0:3], 0 offset:268
	s_waitcnt vmcnt(18)
	v_fma_f64 v[81:82], v[99:100], v[83:84], v[81:82]
	buffer_load_dword v94, off, s[0:3], 0 offset:276
	buffer_load_dword v95, off, s[0:3], 0 offset:296
	;; [unrolled: 1-line block ×8, first 2 shown]
	s_waitcnt vmcnt(24) lgkmcnt(0)
	v_fma_f64 v[81:82], v[101:102], v[85:86], v[81:82]
	s_waitcnt vmcnt(19)
	v_fma_f64 v[101:102], v[103:104], v[87:88], v[81:82]
	ds_read2_b64 v[81:84], v80 offset0:67 offset1:68
	ds_read2_b64 v[85:88], v80 offset0:69 offset1:70
	s_waitcnt vmcnt(18) lgkmcnt(1)
	v_fma_f64 v[81:82], v[109:110], v[81:82], v[101:102]
	buffer_load_dword v102, off, s[0:3], 0 offset:308
	buffer_load_dword v101, off, s[0:3], 0 offset:304
	;; [unrolled: 1-line block ×4, first 2 shown]
	s_waitcnt vmcnt(21)
	v_fma_f64 v[81:82], v[107:108], v[83:84], v[81:82]
	s_waitcnt vmcnt(20) lgkmcnt(0)
	v_fma_f64 v[81:82], v[105:106], v[85:86], v[81:82]
	s_waitcnt vmcnt(15)
	v_fma_f64 v[89:90], v[89:90], v[87:88], v[81:82]
	ds_read2_b64 v[81:84], v80 offset0:71 offset1:72
	ds_read2_b64 v[85:88], v80 offset0:73 offset1:74
	s_waitcnt vmcnt(14) lgkmcnt(1)
	v_fma_f64 v[81:82], v[113:114], v[81:82], v[89:90]
	s_waitcnt vmcnt(13)
	v_fma_f64 v[81:82], v[111:112], v[83:84], v[81:82]
	s_waitcnt vmcnt(12) lgkmcnt(0)
	v_fma_f64 v[81:82], v[91:92], v[85:86], v[81:82]
	s_waitcnt vmcnt(7)
	v_fma_f64 v[89:90], v[93:94], v[87:88], v[81:82]
	ds_read2_b64 v[81:84], v80 offset0:75 offset1:76
	ds_read2_b64 v[85:88], v80 offset0:77 offset1:78
	s_waitcnt vmcnt(6) lgkmcnt(1)
	v_fma_f64 v[80:81], v[99:100], v[81:82], v[89:90]
	s_waitcnt vmcnt(5)
	v_fma_f64 v[80:81], v[97:98], v[83:84], v[80:81]
	s_waitcnt vmcnt(4) lgkmcnt(0)
	v_fma_f64 v[80:81], v[95:96], v[85:86], v[80:81]
	s_waitcnt vmcnt(2)
	v_fma_f64 v[80:81], v[101:102], v[87:88], v[80:81]
	s_waitcnt vmcnt(0)
	v_add_f64 v[80:81], v[103:104], -v[80:81]
	buffer_store_dword v81, off, s[0:3], 0 offset:148
	buffer_store_dword v80, off, s[0:3], 0 offset:144
	s_and_saveexec_b64 s[4:5], vcc
	s_cbranch_execz .LBB38_207
; %bb.206:
	buffer_load_dword v80, off, s[0:3], 0 offset:136
	buffer_load_dword v81, off, s[0:3], 0 offset:140
	v_mov_b32_e32 v82, 0
	buffer_store_dword v82, off, s[0:3], 0 offset:136
	buffer_store_dword v82, off, s[0:3], 0 offset:140
	s_waitcnt vmcnt(2)
	ds_write_b64 v79, v[80:81]
.LBB38_207:
	s_or_b64 exec, exec, s[4:5]
	s_waitcnt lgkmcnt(0)
	; wave barrier
	buffer_load_dword v89, off, s[0:3], 0 offset:144
	buffer_load_dword v90, off, s[0:3], 0 offset:148
	;; [unrolled: 1-line block ×21, first 2 shown]
	v_mov_b32_e32 v80, 0
	ds_read_b128 v[81:84], v80 offset:464
	ds_read_b128 v[85:88], v80 offset:480
	buffer_load_dword v106, off, s[0:3], 0 offset:228
	v_cmp_lt_u32_e32 vcc, 16, v0
	s_waitcnt vmcnt(20) lgkmcnt(1)
	v_fma_f64 v[81:82], v[89:90], v[81:82], 0
	s_waitcnt vmcnt(18)
	v_fma_f64 v[81:82], v[91:92], v[83:84], v[81:82]
	buffer_load_dword v90, off, s[0:3], 0 offset:236
	buffer_load_dword v91, off, s[0:3], 0 offset:256
	;; [unrolled: 1-line block ×7, first 2 shown]
	s_waitcnt vmcnt(23) lgkmcnt(0)
	v_fma_f64 v[81:82], v[93:94], v[85:86], v[81:82]
	s_waitcnt vmcnt(21)
	v_fma_f64 v[92:93], v[95:96], v[87:88], v[81:82]
	ds_read_b128 v[81:84], v80 offset:496
	ds_read_b128 v[85:88], v80 offset:512
	s_waitcnt vmcnt(19) lgkmcnt(1)
	v_fma_f64 v[81:82], v[97:98], v[81:82], v[92:93]
	buffer_load_dword v92, off, s[0:3], 0 offset:260
	s_waitcnt vmcnt(18)
	v_fma_f64 v[81:82], v[99:100], v[83:84], v[81:82]
	buffer_load_dword v94, off, s[0:3], 0 offset:268
	buffer_load_dword v95, off, s[0:3], 0 offset:288
	buffer_load_dword v97, off, s[0:3], 0 offset:280
	buffer_load_dword v99, off, s[0:3], 0 offset:272
	buffer_load_dword v93, off, s[0:3], 0 offset:264
	buffer_load_dword v100, off, s[0:3], 0 offset:276
	buffer_load_dword v98, off, s[0:3], 0 offset:284
	s_waitcnt vmcnt(23) lgkmcnt(0)
	v_fma_f64 v[81:82], v[101:102], v[85:86], v[81:82]
	s_waitcnt vmcnt(18)
	v_fma_f64 v[101:102], v[103:104], v[87:88], v[81:82]
	ds_read_b128 v[81:84], v80 offset:528
	ds_read_b128 v[85:88], v80 offset:544
	buffer_load_dword v96, off, s[0:3], 0 offset:292
	s_waitcnt vmcnt(18) lgkmcnt(1)
	v_fma_f64 v[81:82], v[109:110], v[81:82], v[101:102]
	buffer_load_dword v102, off, s[0:3], 0 offset:300
	buffer_load_dword v103, off, s[0:3], 0 offset:304
	;; [unrolled: 1-line block ×4, first 2 shown]
	s_waitcnt vmcnt(21)
	v_fma_f64 v[81:82], v[107:108], v[83:84], v[81:82]
	s_waitcnt vmcnt(20) lgkmcnt(0)
	v_fma_f64 v[81:82], v[105:106], v[85:86], v[81:82]
	buffer_load_dword v105, off, s[0:3], 0 offset:136
	buffer_load_dword v106, off, s[0:3], 0 offset:140
	s_waitcnt vmcnt(17)
	v_fma_f64 v[89:90], v[89:90], v[87:88], v[81:82]
	ds_read_b128 v[81:84], v80 offset:560
	ds_read_b128 v[85:88], v80 offset:576
	s_waitcnt vmcnt(16) lgkmcnt(1)
	v_fma_f64 v[81:82], v[113:114], v[81:82], v[89:90]
	s_waitcnt vmcnt(15)
	v_fma_f64 v[81:82], v[111:112], v[83:84], v[81:82]
	s_waitcnt vmcnt(14) lgkmcnt(0)
	v_fma_f64 v[81:82], v[91:92], v[85:86], v[81:82]
	s_waitcnt vmcnt(9)
	v_fma_f64 v[89:90], v[93:94], v[87:88], v[81:82]
	ds_read_b128 v[81:84], v80 offset:592
	ds_read_b128 v[85:88], v80 offset:608
	s_waitcnt vmcnt(8) lgkmcnt(1)
	v_fma_f64 v[81:82], v[99:100], v[81:82], v[89:90]
	s_waitcnt vmcnt(7)
	v_fma_f64 v[81:82], v[97:98], v[83:84], v[81:82]
	ds_read_b64 v[83:84], v80 offset:624
	s_waitcnt vmcnt(6) lgkmcnt(1)
	v_fma_f64 v[81:82], v[95:96], v[85:86], v[81:82]
	s_waitcnt vmcnt(3)
	v_fma_f64 v[81:82], v[101:102], v[87:88], v[81:82]
	s_waitcnt vmcnt(2) lgkmcnt(0)
	v_fma_f64 v[81:82], v[103:104], v[83:84], v[81:82]
	s_waitcnt vmcnt(0)
	v_add_f64 v[81:82], v[105:106], -v[81:82]
	buffer_store_dword v82, off, s[0:3], 0 offset:140
	buffer_store_dword v81, off, s[0:3], 0 offset:136
	s_and_saveexec_b64 s[4:5], vcc
	s_cbranch_execz .LBB38_209
; %bb.208:
	buffer_load_dword v81, off, s[0:3], 0 offset:128
	buffer_load_dword v82, off, s[0:3], 0 offset:132
	s_waitcnt vmcnt(0)
	ds_write_b64 v79, v[81:82]
	buffer_store_dword v80, off, s[0:3], 0 offset:128
	buffer_store_dword v80, off, s[0:3], 0 offset:132
.LBB38_209:
	s_or_b64 exec, exec, s[4:5]
	s_waitcnt lgkmcnt(0)
	; wave barrier
	buffer_load_dword v89, off, s[0:3], 0 offset:136
	buffer_load_dword v90, off, s[0:3], 0 offset:140
	;; [unrolled: 1-line block ×21, first 2 shown]
	ds_read2_b64 v[81:84], v80 offset0:57 offset1:58
	ds_read2_b64 v[85:88], v80 offset0:59 offset1:60
	buffer_load_dword v106, off, s[0:3], 0 offset:220
	v_cmp_lt_u32_e32 vcc, 15, v0
	s_waitcnt vmcnt(20) lgkmcnt(1)
	v_fma_f64 v[81:82], v[89:90], v[81:82], 0
	s_waitcnt vmcnt(18)
	v_fma_f64 v[81:82], v[91:92], v[83:84], v[81:82]
	buffer_load_dword v90, off, s[0:3], 0 offset:228
	buffer_load_dword v91, off, s[0:3], 0 offset:248
	;; [unrolled: 1-line block ×7, first 2 shown]
	s_waitcnt vmcnt(23) lgkmcnt(0)
	v_fma_f64 v[81:82], v[93:94], v[85:86], v[81:82]
	s_waitcnt vmcnt(21)
	v_fma_f64 v[92:93], v[95:96], v[87:88], v[81:82]
	ds_read2_b64 v[81:84], v80 offset0:61 offset1:62
	ds_read2_b64 v[85:88], v80 offset0:63 offset1:64
	s_waitcnt vmcnt(19) lgkmcnt(1)
	v_fma_f64 v[81:82], v[97:98], v[81:82], v[92:93]
	buffer_load_dword v92, off, s[0:3], 0 offset:252
	s_waitcnt vmcnt(18)
	v_fma_f64 v[81:82], v[99:100], v[83:84], v[81:82]
	buffer_load_dword v94, off, s[0:3], 0 offset:260
	buffer_load_dword v95, off, s[0:3], 0 offset:280
	;; [unrolled: 1-line block ×8, first 2 shown]
	s_waitcnt vmcnt(24) lgkmcnt(0)
	v_fma_f64 v[81:82], v[101:102], v[85:86], v[81:82]
	s_waitcnt vmcnt(19)
	v_fma_f64 v[101:102], v[103:104], v[87:88], v[81:82]
	ds_read2_b64 v[81:84], v80 offset0:65 offset1:66
	ds_read2_b64 v[85:88], v80 offset0:67 offset1:68
	s_waitcnt vmcnt(18) lgkmcnt(1)
	v_fma_f64 v[81:82], v[109:110], v[81:82], v[101:102]
	s_waitcnt vmcnt(17)
	v_fma_f64 v[81:82], v[107:108], v[83:84], v[81:82]
	buffer_load_dword v102, off, s[0:3], 0 offset:292
	buffer_load_dword v103, off, s[0:3], 0 offset:304
	;; [unrolled: 1-line block ×6, first 2 shown]
	s_waitcnt vmcnt(22) lgkmcnt(0)
	v_fma_f64 v[81:82], v[105:106], v[85:86], v[81:82]
	s_waitcnt vmcnt(17)
	v_fma_f64 v[89:90], v[89:90], v[87:88], v[81:82]
	ds_read2_b64 v[81:84], v80 offset0:69 offset1:70
	buffer_load_dword v105, off, s[0:3], 0 offset:128
	buffer_load_dword v106, off, s[0:3], 0 offset:132
	ds_read2_b64 v[85:88], v80 offset0:71 offset1:72
	s_waitcnt vmcnt(18) lgkmcnt(1)
	v_fma_f64 v[81:82], v[113:114], v[81:82], v[89:90]
	s_waitcnt vmcnt(17)
	v_fma_f64 v[81:82], v[111:112], v[83:84], v[81:82]
	s_waitcnt vmcnt(16) lgkmcnt(0)
	v_fma_f64 v[81:82], v[91:92], v[85:86], v[81:82]
	s_waitcnt vmcnt(11)
	v_fma_f64 v[89:90], v[93:94], v[87:88], v[81:82]
	ds_read2_b64 v[81:84], v80 offset0:73 offset1:74
	ds_read2_b64 v[85:88], v80 offset0:75 offset1:76
	s_waitcnt vmcnt(10) lgkmcnt(1)
	v_fma_f64 v[81:82], v[99:100], v[81:82], v[89:90]
	s_waitcnt vmcnt(9)
	v_fma_f64 v[81:82], v[97:98], v[83:84], v[81:82]
	s_waitcnt vmcnt(8) lgkmcnt(0)
	v_fma_f64 v[81:82], v[95:96], v[85:86], v[81:82]
	s_waitcnt vmcnt(4)
	v_fma_f64 v[84:85], v[101:102], v[87:88], v[81:82]
	ds_read2_b64 v[80:83], v80 offset0:77 offset1:78
	s_waitcnt vmcnt(3) lgkmcnt(0)
	v_fma_f64 v[80:81], v[107:108], v[80:81], v[84:85]
	s_waitcnt vmcnt(2)
	v_fma_f64 v[80:81], v[103:104], v[82:83], v[80:81]
	s_waitcnt vmcnt(0)
	v_add_f64 v[80:81], v[105:106], -v[80:81]
	buffer_store_dword v81, off, s[0:3], 0 offset:132
	buffer_store_dword v80, off, s[0:3], 0 offset:128
	s_and_saveexec_b64 s[4:5], vcc
	s_cbranch_execz .LBB38_211
; %bb.210:
	buffer_load_dword v80, off, s[0:3], 0 offset:120
	buffer_load_dword v81, off, s[0:3], 0 offset:124
	v_mov_b32_e32 v82, 0
	buffer_store_dword v82, off, s[0:3], 0 offset:120
	buffer_store_dword v82, off, s[0:3], 0 offset:124
	s_waitcnt vmcnt(2)
	ds_write_b64 v79, v[80:81]
.LBB38_211:
	s_or_b64 exec, exec, s[4:5]
	s_waitcnt lgkmcnt(0)
	; wave barrier
	buffer_load_dword v89, off, s[0:3], 0 offset:128
	buffer_load_dword v90, off, s[0:3], 0 offset:132
	;; [unrolled: 1-line block ×21, first 2 shown]
	v_mov_b32_e32 v80, 0
	ds_read_b128 v[81:84], v80 offset:448
	ds_read_b128 v[85:88], v80 offset:464
	buffer_load_dword v106, off, s[0:3], 0 offset:212
	v_cmp_lt_u32_e32 vcc, 14, v0
	s_waitcnt vmcnt(20) lgkmcnt(1)
	v_fma_f64 v[81:82], v[89:90], v[81:82], 0
	s_waitcnt vmcnt(18)
	v_fma_f64 v[81:82], v[91:92], v[83:84], v[81:82]
	buffer_load_dword v90, off, s[0:3], 0 offset:220
	buffer_load_dword v91, off, s[0:3], 0 offset:240
	;; [unrolled: 1-line block ×7, first 2 shown]
	s_waitcnt vmcnt(23) lgkmcnt(0)
	v_fma_f64 v[81:82], v[93:94], v[85:86], v[81:82]
	s_waitcnt vmcnt(21)
	v_fma_f64 v[92:93], v[95:96], v[87:88], v[81:82]
	ds_read_b128 v[81:84], v80 offset:480
	ds_read_b128 v[85:88], v80 offset:496
	s_waitcnt vmcnt(19) lgkmcnt(1)
	v_fma_f64 v[81:82], v[97:98], v[81:82], v[92:93]
	buffer_load_dword v92, off, s[0:3], 0 offset:244
	s_waitcnt vmcnt(18)
	v_fma_f64 v[81:82], v[99:100], v[83:84], v[81:82]
	buffer_load_dword v94, off, s[0:3], 0 offset:252
	buffer_load_dword v95, off, s[0:3], 0 offset:272
	buffer_load_dword v97, off, s[0:3], 0 offset:264
	buffer_load_dword v99, off, s[0:3], 0 offset:256
	buffer_load_dword v93, off, s[0:3], 0 offset:248
	buffer_load_dword v100, off, s[0:3], 0 offset:260
	buffer_load_dword v98, off, s[0:3], 0 offset:268
	buffer_load_dword v96, off, s[0:3], 0 offset:276
	s_waitcnt vmcnt(24) lgkmcnt(0)
	v_fma_f64 v[81:82], v[101:102], v[85:86], v[81:82]
	s_waitcnt vmcnt(19)
	v_fma_f64 v[101:102], v[103:104], v[87:88], v[81:82]
	ds_read_b128 v[81:84], v80 offset:512
	ds_read_b128 v[85:88], v80 offset:528
	s_waitcnt vmcnt(18) lgkmcnt(1)
	v_fma_f64 v[81:82], v[109:110], v[81:82], v[101:102]
	s_waitcnt vmcnt(17)
	v_fma_f64 v[81:82], v[107:108], v[83:84], v[81:82]
	buffer_load_dword v102, off, s[0:3], 0 offset:284
	buffer_load_dword v103, off, s[0:3], 0 offset:304
	buffer_load_dword v107, off, s[0:3], 0 offset:296
	buffer_load_dword v109, off, s[0:3], 0 offset:288
	buffer_load_dword v101, off, s[0:3], 0 offset:280
	buffer_load_dword v110, off, s[0:3], 0 offset:292
	buffer_load_dword v108, off, s[0:3], 0 offset:300
	buffer_load_dword v104, off, s[0:3], 0 offset:308
	s_waitcnt vmcnt(24) lgkmcnt(0)
	v_fma_f64 v[81:82], v[105:106], v[85:86], v[81:82]
	s_waitcnt vmcnt(19)
	v_fma_f64 v[89:90], v[89:90], v[87:88], v[81:82]
	ds_read_b128 v[81:84], v80 offset:544
	ds_read_b128 v[85:88], v80 offset:560
	s_waitcnt vmcnt(18) lgkmcnt(1)
	v_fma_f64 v[81:82], v[113:114], v[81:82], v[89:90]
	buffer_load_dword v89, off, s[0:3], 0 offset:120
	buffer_load_dword v90, off, s[0:3], 0 offset:124
	s_waitcnt vmcnt(19)
	v_fma_f64 v[81:82], v[111:112], v[83:84], v[81:82]
	s_waitcnt vmcnt(18) lgkmcnt(0)
	v_fma_f64 v[81:82], v[91:92], v[85:86], v[81:82]
	s_waitcnt vmcnt(13)
	v_fma_f64 v[91:92], v[93:94], v[87:88], v[81:82]
	ds_read_b128 v[81:84], v80 offset:576
	ds_read_b128 v[85:88], v80 offset:592
	s_waitcnt vmcnt(12) lgkmcnt(1)
	v_fma_f64 v[81:82], v[99:100], v[81:82], v[91:92]
	s_waitcnt vmcnt(11)
	v_fma_f64 v[81:82], v[97:98], v[83:84], v[81:82]
	s_waitcnt vmcnt(10) lgkmcnt(0)
	v_fma_f64 v[81:82], v[95:96], v[85:86], v[81:82]
	s_waitcnt vmcnt(5)
	v_fma_f64 v[85:86], v[101:102], v[87:88], v[81:82]
	ds_read_b128 v[81:84], v80 offset:608
	ds_read_b64 v[87:88], v80 offset:624
	s_waitcnt vmcnt(4) lgkmcnt(1)
	v_fma_f64 v[81:82], v[109:110], v[81:82], v[85:86]
	s_waitcnt vmcnt(3)
	v_fma_f64 v[81:82], v[107:108], v[83:84], v[81:82]
	s_waitcnt vmcnt(2) lgkmcnt(0)
	v_fma_f64 v[81:82], v[103:104], v[87:88], v[81:82]
	s_waitcnt vmcnt(0)
	v_add_f64 v[81:82], v[89:90], -v[81:82]
	buffer_store_dword v82, off, s[0:3], 0 offset:124
	buffer_store_dword v81, off, s[0:3], 0 offset:120
	s_and_saveexec_b64 s[4:5], vcc
	s_cbranch_execz .LBB38_213
; %bb.212:
	buffer_load_dword v81, off, s[0:3], 0 offset:112
	buffer_load_dword v82, off, s[0:3], 0 offset:116
	s_waitcnt vmcnt(0)
	ds_write_b64 v79, v[81:82]
	buffer_store_dword v80, off, s[0:3], 0 offset:112
	buffer_store_dword v80, off, s[0:3], 0 offset:116
.LBB38_213:
	s_or_b64 exec, exec, s[4:5]
	s_waitcnt lgkmcnt(0)
	; wave barrier
	buffer_load_dword v89, off, s[0:3], 0 offset:120
	buffer_load_dword v90, off, s[0:3], 0 offset:124
	;; [unrolled: 1-line block ×21, first 2 shown]
	ds_read2_b64 v[81:84], v80 offset0:55 offset1:56
	ds_read2_b64 v[85:88], v80 offset0:57 offset1:58
	buffer_load_dword v106, off, s[0:3], 0 offset:204
	v_cmp_lt_u32_e32 vcc, 13, v0
	s_waitcnt vmcnt(20) lgkmcnt(1)
	v_fma_f64 v[81:82], v[89:90], v[81:82], 0
	s_waitcnt vmcnt(18)
	v_fma_f64 v[81:82], v[91:92], v[83:84], v[81:82]
	buffer_load_dword v90, off, s[0:3], 0 offset:212
	buffer_load_dword v91, off, s[0:3], 0 offset:232
	;; [unrolled: 1-line block ×7, first 2 shown]
	s_waitcnt vmcnt(23) lgkmcnt(0)
	v_fma_f64 v[81:82], v[93:94], v[85:86], v[81:82]
	s_waitcnt vmcnt(21)
	v_fma_f64 v[92:93], v[95:96], v[87:88], v[81:82]
	ds_read2_b64 v[81:84], v80 offset0:59 offset1:60
	ds_read2_b64 v[85:88], v80 offset0:61 offset1:62
	s_waitcnt vmcnt(19) lgkmcnt(1)
	v_fma_f64 v[81:82], v[97:98], v[81:82], v[92:93]
	buffer_load_dword v92, off, s[0:3], 0 offset:236
	s_waitcnt vmcnt(18)
	v_fma_f64 v[81:82], v[99:100], v[83:84], v[81:82]
	buffer_load_dword v94, off, s[0:3], 0 offset:244
	buffer_load_dword v95, off, s[0:3], 0 offset:264
	;; [unrolled: 1-line block ×8, first 2 shown]
	s_waitcnt vmcnt(24) lgkmcnt(0)
	v_fma_f64 v[81:82], v[101:102], v[85:86], v[81:82]
	s_waitcnt vmcnt(19)
	v_fma_f64 v[101:102], v[103:104], v[87:88], v[81:82]
	ds_read2_b64 v[81:84], v80 offset0:63 offset1:64
	ds_read2_b64 v[85:88], v80 offset0:65 offset1:66
	s_waitcnt vmcnt(18) lgkmcnt(1)
	v_fma_f64 v[81:82], v[109:110], v[81:82], v[101:102]
	s_waitcnt vmcnt(17)
	v_fma_f64 v[81:82], v[107:108], v[83:84], v[81:82]
	buffer_load_dword v102, off, s[0:3], 0 offset:276
	buffer_load_dword v103, off, s[0:3], 0 offset:296
	;; [unrolled: 1-line block ×8, first 2 shown]
	s_waitcnt vmcnt(24) lgkmcnt(0)
	v_fma_f64 v[81:82], v[105:106], v[85:86], v[81:82]
	s_waitcnt vmcnt(19)
	v_fma_f64 v[89:90], v[89:90], v[87:88], v[81:82]
	ds_read2_b64 v[81:84], v80 offset0:67 offset1:68
	ds_read2_b64 v[85:88], v80 offset0:69 offset1:70
	s_waitcnt vmcnt(18) lgkmcnt(1)
	v_fma_f64 v[81:82], v[113:114], v[81:82], v[89:90]
	buffer_load_dword v90, off, s[0:3], 0 offset:308
	buffer_load_dword v89, off, s[0:3], 0 offset:304
	;; [unrolled: 1-line block ×4, first 2 shown]
	s_waitcnt vmcnt(21)
	v_fma_f64 v[81:82], v[111:112], v[83:84], v[81:82]
	s_waitcnt vmcnt(20) lgkmcnt(0)
	v_fma_f64 v[81:82], v[91:92], v[85:86], v[81:82]
	s_waitcnt vmcnt(15)
	v_fma_f64 v[91:92], v[93:94], v[87:88], v[81:82]
	ds_read2_b64 v[81:84], v80 offset0:71 offset1:72
	ds_read2_b64 v[85:88], v80 offset0:73 offset1:74
	s_waitcnt vmcnt(14) lgkmcnt(1)
	v_fma_f64 v[81:82], v[99:100], v[81:82], v[91:92]
	s_waitcnt vmcnt(13)
	v_fma_f64 v[81:82], v[97:98], v[83:84], v[81:82]
	s_waitcnt vmcnt(12) lgkmcnt(0)
	v_fma_f64 v[81:82], v[95:96], v[85:86], v[81:82]
	s_waitcnt vmcnt(7)
	v_fma_f64 v[91:92], v[101:102], v[87:88], v[81:82]
	ds_read2_b64 v[81:84], v80 offset0:75 offset1:76
	ds_read2_b64 v[85:88], v80 offset0:77 offset1:78
	s_waitcnt vmcnt(6) lgkmcnt(1)
	v_fma_f64 v[80:81], v[109:110], v[81:82], v[91:92]
	s_waitcnt vmcnt(5)
	v_fma_f64 v[80:81], v[107:108], v[83:84], v[80:81]
	s_waitcnt vmcnt(4) lgkmcnt(0)
	v_fma_f64 v[80:81], v[103:104], v[85:86], v[80:81]
	s_waitcnt vmcnt(2)
	v_fma_f64 v[80:81], v[89:90], v[87:88], v[80:81]
	s_waitcnt vmcnt(0)
	v_add_f64 v[80:81], v[105:106], -v[80:81]
	buffer_store_dword v81, off, s[0:3], 0 offset:116
	buffer_store_dword v80, off, s[0:3], 0 offset:112
	s_and_saveexec_b64 s[4:5], vcc
	s_cbranch_execz .LBB38_215
; %bb.214:
	buffer_load_dword v80, off, s[0:3], 0 offset:104
	buffer_load_dword v81, off, s[0:3], 0 offset:108
	v_mov_b32_e32 v82, 0
	buffer_store_dword v82, off, s[0:3], 0 offset:104
	buffer_store_dword v82, off, s[0:3], 0 offset:108
	s_waitcnt vmcnt(2)
	ds_write_b64 v79, v[80:81]
.LBB38_215:
	s_or_b64 exec, exec, s[4:5]
	s_waitcnt lgkmcnt(0)
	; wave barrier
	buffer_load_dword v89, off, s[0:3], 0 offset:112
	buffer_load_dword v90, off, s[0:3], 0 offset:116
	;; [unrolled: 1-line block ×21, first 2 shown]
	v_mov_b32_e32 v80, 0
	ds_read_b128 v[81:84], v80 offset:432
	ds_read_b128 v[85:88], v80 offset:448
	buffer_load_dword v106, off, s[0:3], 0 offset:196
	v_cmp_lt_u32_e32 vcc, 12, v0
	s_waitcnt vmcnt(20) lgkmcnt(1)
	v_fma_f64 v[81:82], v[89:90], v[81:82], 0
	s_waitcnt vmcnt(18)
	v_fma_f64 v[81:82], v[91:92], v[83:84], v[81:82]
	buffer_load_dword v90, off, s[0:3], 0 offset:204
	buffer_load_dword v91, off, s[0:3], 0 offset:224
	;; [unrolled: 1-line block ×7, first 2 shown]
	s_waitcnt vmcnt(23) lgkmcnt(0)
	v_fma_f64 v[81:82], v[93:94], v[85:86], v[81:82]
	s_waitcnt vmcnt(21)
	v_fma_f64 v[92:93], v[95:96], v[87:88], v[81:82]
	ds_read_b128 v[81:84], v80 offset:464
	ds_read_b128 v[85:88], v80 offset:480
	s_waitcnt vmcnt(19) lgkmcnt(1)
	v_fma_f64 v[81:82], v[97:98], v[81:82], v[92:93]
	buffer_load_dword v92, off, s[0:3], 0 offset:228
	s_waitcnt vmcnt(18)
	v_fma_f64 v[81:82], v[99:100], v[83:84], v[81:82]
	buffer_load_dword v94, off, s[0:3], 0 offset:236
	buffer_load_dword v95, off, s[0:3], 0 offset:256
	;; [unrolled: 1-line block ×8, first 2 shown]
	s_waitcnt vmcnt(24) lgkmcnt(0)
	v_fma_f64 v[81:82], v[101:102], v[85:86], v[81:82]
	s_waitcnt vmcnt(19)
	v_fma_f64 v[101:102], v[103:104], v[87:88], v[81:82]
	ds_read_b128 v[81:84], v80 offset:496
	ds_read_b128 v[85:88], v80 offset:512
	s_waitcnt vmcnt(18) lgkmcnt(1)
	v_fma_f64 v[81:82], v[109:110], v[81:82], v[101:102]
	s_waitcnt vmcnt(17)
	v_fma_f64 v[81:82], v[107:108], v[83:84], v[81:82]
	buffer_load_dword v102, off, s[0:3], 0 offset:268
	buffer_load_dword v103, off, s[0:3], 0 offset:288
	;; [unrolled: 1-line block ×7, first 2 shown]
	s_waitcnt vmcnt(23) lgkmcnt(0)
	v_fma_f64 v[81:82], v[105:106], v[85:86], v[81:82]
	s_waitcnt vmcnt(18)
	v_fma_f64 v[89:90], v[89:90], v[87:88], v[81:82]
	ds_read_b128 v[81:84], v80 offset:528
	ds_read_b128 v[85:88], v80 offset:544
	buffer_load_dword v104, off, s[0:3], 0 offset:292
	s_waitcnt vmcnt(18) lgkmcnt(1)
	v_fma_f64 v[81:82], v[113:114], v[81:82], v[89:90]
	buffer_load_dword v90, off, s[0:3], 0 offset:300
	buffer_load_dword v105, off, s[0:3], 0 offset:304
	;; [unrolled: 1-line block ×4, first 2 shown]
	s_waitcnt vmcnt(21)
	v_fma_f64 v[81:82], v[111:112], v[83:84], v[81:82]
	s_waitcnt vmcnt(20) lgkmcnt(0)
	v_fma_f64 v[81:82], v[91:92], v[85:86], v[81:82]
	buffer_load_dword v91, off, s[0:3], 0 offset:104
	buffer_load_dword v92, off, s[0:3], 0 offset:108
	s_waitcnt vmcnt(17)
	v_fma_f64 v[93:94], v[93:94], v[87:88], v[81:82]
	ds_read_b128 v[81:84], v80 offset:560
	ds_read_b128 v[85:88], v80 offset:576
	s_waitcnt vmcnt(16) lgkmcnt(1)
	v_fma_f64 v[81:82], v[99:100], v[81:82], v[93:94]
	s_waitcnt vmcnt(15)
	v_fma_f64 v[81:82], v[97:98], v[83:84], v[81:82]
	s_waitcnt vmcnt(14) lgkmcnt(0)
	v_fma_f64 v[81:82], v[95:96], v[85:86], v[81:82]
	s_waitcnt vmcnt(9)
	v_fma_f64 v[93:94], v[101:102], v[87:88], v[81:82]
	ds_read_b128 v[81:84], v80 offset:592
	ds_read_b128 v[85:88], v80 offset:608
	s_waitcnt vmcnt(8) lgkmcnt(1)
	v_fma_f64 v[81:82], v[109:110], v[81:82], v[93:94]
	s_waitcnt vmcnt(7)
	v_fma_f64 v[81:82], v[107:108], v[83:84], v[81:82]
	ds_read_b64 v[83:84], v80 offset:624
	s_waitcnt vmcnt(6) lgkmcnt(1)
	v_fma_f64 v[81:82], v[103:104], v[85:86], v[81:82]
	s_waitcnt vmcnt(3)
	v_fma_f64 v[81:82], v[89:90], v[87:88], v[81:82]
	s_waitcnt vmcnt(2) lgkmcnt(0)
	v_fma_f64 v[81:82], v[105:106], v[83:84], v[81:82]
	s_waitcnt vmcnt(0)
	v_add_f64 v[81:82], v[91:92], -v[81:82]
	buffer_store_dword v82, off, s[0:3], 0 offset:108
	buffer_store_dword v81, off, s[0:3], 0 offset:104
	s_and_saveexec_b64 s[4:5], vcc
	s_cbranch_execz .LBB38_217
; %bb.216:
	buffer_load_dword v81, off, s[0:3], 0 offset:96
	buffer_load_dword v82, off, s[0:3], 0 offset:100
	s_waitcnt vmcnt(0)
	ds_write_b64 v79, v[81:82]
	buffer_store_dword v80, off, s[0:3], 0 offset:96
	buffer_store_dword v80, off, s[0:3], 0 offset:100
.LBB38_217:
	s_or_b64 exec, exec, s[4:5]
	s_waitcnt lgkmcnt(0)
	; wave barrier
	buffer_load_dword v89, off, s[0:3], 0 offset:104
	buffer_load_dword v90, off, s[0:3], 0 offset:108
	;; [unrolled: 1-line block ×22, first 2 shown]
	ds_read2_b64 v[81:84], v80 offset0:53 offset1:54
	ds_read2_b64 v[85:88], v80 offset0:55 offset1:56
	v_cmp_lt_u32_e32 vcc, 11, v0
	s_waitcnt vmcnt(20) lgkmcnt(1)
	v_fma_f64 v[81:82], v[89:90], v[81:82], 0
	s_waitcnt vmcnt(18)
	v_fma_f64 v[81:82], v[91:92], v[83:84], v[81:82]
	buffer_load_dword v90, off, s[0:3], 0 offset:196
	buffer_load_dword v91, off, s[0:3], 0 offset:216
	;; [unrolled: 1-line block ×7, first 2 shown]
	s_waitcnt vmcnt(23) lgkmcnt(0)
	v_fma_f64 v[81:82], v[93:94], v[85:86], v[81:82]
	s_waitcnt vmcnt(21)
	v_fma_f64 v[92:93], v[95:96], v[87:88], v[81:82]
	ds_read2_b64 v[81:84], v80 offset0:57 offset1:58
	ds_read2_b64 v[85:88], v80 offset0:59 offset1:60
	s_waitcnt vmcnt(19) lgkmcnt(1)
	v_fma_f64 v[81:82], v[97:98], v[81:82], v[92:93]
	buffer_load_dword v92, off, s[0:3], 0 offset:220
	s_waitcnt vmcnt(18)
	v_fma_f64 v[81:82], v[99:100], v[83:84], v[81:82]
	buffer_load_dword v94, off, s[0:3], 0 offset:228
	buffer_load_dword v95, off, s[0:3], 0 offset:248
	;; [unrolled: 1-line block ×8, first 2 shown]
	s_waitcnt vmcnt(24) lgkmcnt(0)
	v_fma_f64 v[81:82], v[101:102], v[85:86], v[81:82]
	s_waitcnt vmcnt(19)
	v_fma_f64 v[101:102], v[103:104], v[87:88], v[81:82]
	ds_read2_b64 v[81:84], v80 offset0:61 offset1:62
	ds_read2_b64 v[85:88], v80 offset0:63 offset1:64
	s_waitcnt vmcnt(18) lgkmcnt(1)
	v_fma_f64 v[81:82], v[109:110], v[81:82], v[101:102]
	s_waitcnt vmcnt(17)
	v_fma_f64 v[81:82], v[107:108], v[83:84], v[81:82]
	buffer_load_dword v102, off, s[0:3], 0 offset:260
	buffer_load_dword v103, off, s[0:3], 0 offset:280
	;; [unrolled: 1-line block ×8, first 2 shown]
	s_waitcnt vmcnt(24) lgkmcnt(0)
	v_fma_f64 v[81:82], v[105:106], v[85:86], v[81:82]
	s_waitcnt vmcnt(19)
	v_fma_f64 v[89:90], v[89:90], v[87:88], v[81:82]
	ds_read2_b64 v[81:84], v80 offset0:65 offset1:66
	ds_read2_b64 v[85:88], v80 offset0:67 offset1:68
	s_waitcnt vmcnt(18) lgkmcnt(1)
	v_fma_f64 v[81:82], v[113:114], v[81:82], v[89:90]
	s_waitcnt vmcnt(17)
	v_fma_f64 v[81:82], v[111:112], v[83:84], v[81:82]
	buffer_load_dword v90, off, s[0:3], 0 offset:292
	buffer_load_dword v105, off, s[0:3], 0 offset:304
	;; [unrolled: 1-line block ×6, first 2 shown]
	s_waitcnt vmcnt(22) lgkmcnt(0)
	v_fma_f64 v[81:82], v[91:92], v[85:86], v[81:82]
	s_waitcnt vmcnt(17)
	v_fma_f64 v[91:92], v[93:94], v[87:88], v[81:82]
	ds_read2_b64 v[81:84], v80 offset0:69 offset1:70
	buffer_load_dword v93, off, s[0:3], 0 offset:96
	buffer_load_dword v94, off, s[0:3], 0 offset:100
	ds_read2_b64 v[85:88], v80 offset0:71 offset1:72
	s_waitcnt vmcnt(18) lgkmcnt(1)
	v_fma_f64 v[81:82], v[99:100], v[81:82], v[91:92]
	s_waitcnt vmcnt(17)
	v_fma_f64 v[81:82], v[97:98], v[83:84], v[81:82]
	s_waitcnt vmcnt(16) lgkmcnt(0)
	v_fma_f64 v[81:82], v[95:96], v[85:86], v[81:82]
	s_waitcnt vmcnt(11)
	v_fma_f64 v[91:92], v[101:102], v[87:88], v[81:82]
	ds_read2_b64 v[81:84], v80 offset0:73 offset1:74
	ds_read2_b64 v[85:88], v80 offset0:75 offset1:76
	s_waitcnt vmcnt(10) lgkmcnt(1)
	v_fma_f64 v[81:82], v[109:110], v[81:82], v[91:92]
	s_waitcnt vmcnt(9)
	v_fma_f64 v[81:82], v[107:108], v[83:84], v[81:82]
	s_waitcnt vmcnt(8) lgkmcnt(0)
	v_fma_f64 v[81:82], v[103:104], v[85:86], v[81:82]
	s_waitcnt vmcnt(4)
	v_fma_f64 v[84:85], v[89:90], v[87:88], v[81:82]
	ds_read2_b64 v[80:83], v80 offset0:77 offset1:78
	s_waitcnt vmcnt(3) lgkmcnt(0)
	v_fma_f64 v[80:81], v[111:112], v[80:81], v[84:85]
	s_waitcnt vmcnt(2)
	v_fma_f64 v[80:81], v[105:106], v[82:83], v[80:81]
	s_waitcnt vmcnt(0)
	v_add_f64 v[80:81], v[93:94], -v[80:81]
	buffer_store_dword v81, off, s[0:3], 0 offset:100
	buffer_store_dword v80, off, s[0:3], 0 offset:96
	s_and_saveexec_b64 s[4:5], vcc
	s_cbranch_execz .LBB38_219
; %bb.218:
	buffer_load_dword v80, off, s[0:3], 0 offset:88
	buffer_load_dword v81, off, s[0:3], 0 offset:92
	v_mov_b32_e32 v82, 0
	buffer_store_dword v82, off, s[0:3], 0 offset:88
	buffer_store_dword v82, off, s[0:3], 0 offset:92
	s_waitcnt vmcnt(2)
	ds_write_b64 v79, v[80:81]
.LBB38_219:
	s_or_b64 exec, exec, s[4:5]
	s_waitcnt lgkmcnt(0)
	; wave barrier
	buffer_load_dword v89, off, s[0:3], 0 offset:96
	buffer_load_dword v90, off, s[0:3], 0 offset:100
	;; [unrolled: 1-line block ×22, first 2 shown]
	v_mov_b32_e32 v80, 0
	ds_read_b128 v[81:84], v80 offset:416
	ds_read_b128 v[85:88], v80 offset:432
	v_cmp_lt_u32_e32 vcc, 10, v0
	s_waitcnt vmcnt(20) lgkmcnt(1)
	v_fma_f64 v[81:82], v[89:90], v[81:82], 0
	s_waitcnt vmcnt(18)
	v_fma_f64 v[81:82], v[91:92], v[83:84], v[81:82]
	buffer_load_dword v90, off, s[0:3], 0 offset:188
	buffer_load_dword v91, off, s[0:3], 0 offset:208
	;; [unrolled: 1-line block ×7, first 2 shown]
	s_waitcnt vmcnt(23) lgkmcnt(0)
	v_fma_f64 v[81:82], v[93:94], v[85:86], v[81:82]
	s_waitcnt vmcnt(21)
	v_fma_f64 v[92:93], v[95:96], v[87:88], v[81:82]
	ds_read_b128 v[81:84], v80 offset:448
	ds_read_b128 v[85:88], v80 offset:464
	s_waitcnt vmcnt(19) lgkmcnt(1)
	v_fma_f64 v[81:82], v[97:98], v[81:82], v[92:93]
	buffer_load_dword v92, off, s[0:3], 0 offset:212
	s_waitcnt vmcnt(18)
	v_fma_f64 v[81:82], v[99:100], v[83:84], v[81:82]
	buffer_load_dword v94, off, s[0:3], 0 offset:220
	buffer_load_dword v95, off, s[0:3], 0 offset:240
	buffer_load_dword v97, off, s[0:3], 0 offset:232
	buffer_load_dword v99, off, s[0:3], 0 offset:224
	buffer_load_dword v93, off, s[0:3], 0 offset:216
	buffer_load_dword v100, off, s[0:3], 0 offset:228
	buffer_load_dword v98, off, s[0:3], 0 offset:236
	buffer_load_dword v96, off, s[0:3], 0 offset:244
	s_waitcnt vmcnt(24) lgkmcnt(0)
	v_fma_f64 v[81:82], v[101:102], v[85:86], v[81:82]
	s_waitcnt vmcnt(19)
	v_fma_f64 v[101:102], v[103:104], v[87:88], v[81:82]
	ds_read_b128 v[81:84], v80 offset:480
	ds_read_b128 v[85:88], v80 offset:496
	s_waitcnt vmcnt(18) lgkmcnt(1)
	v_fma_f64 v[81:82], v[109:110], v[81:82], v[101:102]
	s_waitcnt vmcnt(17)
	v_fma_f64 v[81:82], v[107:108], v[83:84], v[81:82]
	buffer_load_dword v102, off, s[0:3], 0 offset:252
	buffer_load_dword v103, off, s[0:3], 0 offset:272
	buffer_load_dword v107, off, s[0:3], 0 offset:264
	buffer_load_dword v109, off, s[0:3], 0 offset:256
	buffer_load_dword v101, off, s[0:3], 0 offset:248
	buffer_load_dword v110, off, s[0:3], 0 offset:260
	buffer_load_dword v108, off, s[0:3], 0 offset:268
	buffer_load_dword v104, off, s[0:3], 0 offset:276
	s_waitcnt vmcnt(24) lgkmcnt(0)
	v_fma_f64 v[81:82], v[105:106], v[85:86], v[81:82]
	s_waitcnt vmcnt(19)
	v_fma_f64 v[89:90], v[89:90], v[87:88], v[81:82]
	ds_read_b128 v[81:84], v80 offset:512
	ds_read_b128 v[85:88], v80 offset:528
	s_waitcnt vmcnt(18) lgkmcnt(1)
	v_fma_f64 v[81:82], v[113:114], v[81:82], v[89:90]
	;; [unrolled: 18-line block ×3, first 2 shown]
	buffer_load_dword v91, off, s[0:3], 0 offset:88
	buffer_load_dword v92, off, s[0:3], 0 offset:92
	s_waitcnt vmcnt(19)
	v_fma_f64 v[81:82], v[97:98], v[83:84], v[81:82]
	s_waitcnt vmcnt(18) lgkmcnt(0)
	v_fma_f64 v[81:82], v[95:96], v[85:86], v[81:82]
	s_waitcnt vmcnt(13)
	v_fma_f64 v[93:94], v[101:102], v[87:88], v[81:82]
	ds_read_b128 v[81:84], v80 offset:576
	ds_read_b128 v[85:88], v80 offset:592
	s_waitcnt vmcnt(12) lgkmcnt(1)
	v_fma_f64 v[81:82], v[109:110], v[81:82], v[93:94]
	s_waitcnt vmcnt(11)
	v_fma_f64 v[81:82], v[107:108], v[83:84], v[81:82]
	s_waitcnt vmcnt(10) lgkmcnt(0)
	v_fma_f64 v[81:82], v[103:104], v[85:86], v[81:82]
	s_waitcnt vmcnt(5)
	v_fma_f64 v[85:86], v[89:90], v[87:88], v[81:82]
	ds_read_b128 v[81:84], v80 offset:608
	ds_read_b64 v[87:88], v80 offset:624
	s_waitcnt vmcnt(4) lgkmcnt(1)
	v_fma_f64 v[81:82], v[113:114], v[81:82], v[85:86]
	s_waitcnt vmcnt(3)
	v_fma_f64 v[81:82], v[111:112], v[83:84], v[81:82]
	s_waitcnt vmcnt(2) lgkmcnt(0)
	v_fma_f64 v[81:82], v[105:106], v[87:88], v[81:82]
	s_waitcnt vmcnt(0)
	v_add_f64 v[81:82], v[91:92], -v[81:82]
	buffer_store_dword v82, off, s[0:3], 0 offset:92
	buffer_store_dword v81, off, s[0:3], 0 offset:88
	s_and_saveexec_b64 s[4:5], vcc
	s_cbranch_execz .LBB38_221
; %bb.220:
	buffer_load_dword v81, off, s[0:3], 0 offset:80
	buffer_load_dword v82, off, s[0:3], 0 offset:84
	s_waitcnt vmcnt(0)
	ds_write_b64 v79, v[81:82]
	buffer_store_dword v80, off, s[0:3], 0 offset:80
	buffer_store_dword v80, off, s[0:3], 0 offset:84
.LBB38_221:
	s_or_b64 exec, exec, s[4:5]
	s_waitcnt lgkmcnt(0)
	; wave barrier
	buffer_load_dword v89, off, s[0:3], 0 offset:88
	buffer_load_dword v90, off, s[0:3], 0 offset:92
	buffer_load_dword v91, off, s[0:3], 0 offset:96
	buffer_load_dword v92, off, s[0:3], 0 offset:100
	buffer_load_dword v93, off, s[0:3], 0 offset:104
	buffer_load_dword v94, off, s[0:3], 0 offset:108
	buffer_load_dword v95, off, s[0:3], 0 offset:112
	buffer_load_dword v96, off, s[0:3], 0 offset:116
	buffer_load_dword v97, off, s[0:3], 0 offset:120
	buffer_load_dword v98, off, s[0:3], 0 offset:124
	buffer_load_dword v99, off, s[0:3], 0 offset:128
	buffer_load_dword v100, off, s[0:3], 0 offset:132
	buffer_load_dword v101, off, s[0:3], 0 offset:136
	buffer_load_dword v102, off, s[0:3], 0 offset:140
	buffer_load_dword v104, off, s[0:3], 0 offset:148
	buffer_load_dword v105, off, s[0:3], 0 offset:168
	buffer_load_dword v107, off, s[0:3], 0 offset:160
	buffer_load_dword v109, off, s[0:3], 0 offset:152
	buffer_load_dword v103, off, s[0:3], 0 offset:144
	buffer_load_dword v110, off, s[0:3], 0 offset:156
	buffer_load_dword v108, off, s[0:3], 0 offset:164
	buffer_load_dword v106, off, s[0:3], 0 offset:172
	ds_read2_b64 v[81:84], v80 offset0:51 offset1:52
	ds_read2_b64 v[85:88], v80 offset0:53 offset1:54
	v_cmp_lt_u32_e32 vcc, 9, v0
	s_waitcnt vmcnt(20) lgkmcnt(1)
	v_fma_f64 v[81:82], v[89:90], v[81:82], 0
	s_waitcnt vmcnt(18)
	v_fma_f64 v[81:82], v[91:92], v[83:84], v[81:82]
	buffer_load_dword v90, off, s[0:3], 0 offset:180
	buffer_load_dword v91, off, s[0:3], 0 offset:200
	;; [unrolled: 1-line block ×7, first 2 shown]
	s_waitcnt vmcnt(23) lgkmcnt(0)
	v_fma_f64 v[81:82], v[93:94], v[85:86], v[81:82]
	s_waitcnt vmcnt(21)
	v_fma_f64 v[92:93], v[95:96], v[87:88], v[81:82]
	ds_read2_b64 v[81:84], v80 offset0:55 offset1:56
	ds_read2_b64 v[85:88], v80 offset0:57 offset1:58
	s_waitcnt vmcnt(19) lgkmcnt(1)
	v_fma_f64 v[81:82], v[97:98], v[81:82], v[92:93]
	buffer_load_dword v92, off, s[0:3], 0 offset:204
	s_waitcnt vmcnt(18)
	v_fma_f64 v[81:82], v[99:100], v[83:84], v[81:82]
	buffer_load_dword v94, off, s[0:3], 0 offset:212
	buffer_load_dword v95, off, s[0:3], 0 offset:232
	buffer_load_dword v97, off, s[0:3], 0 offset:224
	buffer_load_dword v99, off, s[0:3], 0 offset:216
	buffer_load_dword v93, off, s[0:3], 0 offset:208
	buffer_load_dword v100, off, s[0:3], 0 offset:220
	buffer_load_dword v98, off, s[0:3], 0 offset:228
	buffer_load_dword v96, off, s[0:3], 0 offset:236
	s_waitcnt vmcnt(24) lgkmcnt(0)
	v_fma_f64 v[81:82], v[101:102], v[85:86], v[81:82]
	s_waitcnt vmcnt(19)
	v_fma_f64 v[101:102], v[103:104], v[87:88], v[81:82]
	ds_read2_b64 v[81:84], v80 offset0:59 offset1:60
	ds_read2_b64 v[85:88], v80 offset0:61 offset1:62
	s_waitcnt vmcnt(18) lgkmcnt(1)
	v_fma_f64 v[81:82], v[109:110], v[81:82], v[101:102]
	s_waitcnt vmcnt(17)
	v_fma_f64 v[81:82], v[107:108], v[83:84], v[81:82]
	buffer_load_dword v102, off, s[0:3], 0 offset:244
	buffer_load_dword v103, off, s[0:3], 0 offset:264
	buffer_load_dword v107, off, s[0:3], 0 offset:256
	buffer_load_dword v109, off, s[0:3], 0 offset:248
	buffer_load_dword v101, off, s[0:3], 0 offset:240
	buffer_load_dword v110, off, s[0:3], 0 offset:252
	buffer_load_dword v108, off, s[0:3], 0 offset:260
	buffer_load_dword v104, off, s[0:3], 0 offset:268
	s_waitcnt vmcnt(24) lgkmcnt(0)
	v_fma_f64 v[81:82], v[105:106], v[85:86], v[81:82]
	s_waitcnt vmcnt(19)
	v_fma_f64 v[89:90], v[89:90], v[87:88], v[81:82]
	ds_read2_b64 v[81:84], v80 offset0:63 offset1:64
	ds_read2_b64 v[85:88], v80 offset0:65 offset1:66
	s_waitcnt vmcnt(18) lgkmcnt(1)
	v_fma_f64 v[81:82], v[113:114], v[81:82], v[89:90]
	;; [unrolled: 18-line block ×3, first 2 shown]
	buffer_load_dword v92, off, s[0:3], 0 offset:308
	buffer_load_dword v91, off, s[0:3], 0 offset:304
	;; [unrolled: 1-line block ×4, first 2 shown]
	s_waitcnt vmcnt(21)
	v_fma_f64 v[81:82], v[97:98], v[83:84], v[81:82]
	s_waitcnt vmcnt(20) lgkmcnt(0)
	v_fma_f64 v[81:82], v[95:96], v[85:86], v[81:82]
	s_waitcnt vmcnt(15)
	v_fma_f64 v[95:96], v[101:102], v[87:88], v[81:82]
	ds_read2_b64 v[81:84], v80 offset0:71 offset1:72
	ds_read2_b64 v[85:88], v80 offset0:73 offset1:74
	s_waitcnt vmcnt(14) lgkmcnt(1)
	v_fma_f64 v[81:82], v[109:110], v[81:82], v[95:96]
	s_waitcnt vmcnt(13)
	v_fma_f64 v[81:82], v[107:108], v[83:84], v[81:82]
	s_waitcnt vmcnt(12) lgkmcnt(0)
	v_fma_f64 v[81:82], v[103:104], v[85:86], v[81:82]
	s_waitcnt vmcnt(7)
	v_fma_f64 v[89:90], v[89:90], v[87:88], v[81:82]
	ds_read2_b64 v[81:84], v80 offset0:75 offset1:76
	ds_read2_b64 v[85:88], v80 offset0:77 offset1:78
	s_waitcnt vmcnt(6) lgkmcnt(1)
	v_fma_f64 v[80:81], v[113:114], v[81:82], v[89:90]
	s_waitcnt vmcnt(5)
	v_fma_f64 v[80:81], v[111:112], v[83:84], v[80:81]
	s_waitcnt vmcnt(4) lgkmcnt(0)
	v_fma_f64 v[80:81], v[105:106], v[85:86], v[80:81]
	s_waitcnt vmcnt(2)
	v_fma_f64 v[80:81], v[91:92], v[87:88], v[80:81]
	s_waitcnt vmcnt(0)
	v_add_f64 v[80:81], v[93:94], -v[80:81]
	buffer_store_dword v81, off, s[0:3], 0 offset:84
	buffer_store_dword v80, off, s[0:3], 0 offset:80
	s_and_saveexec_b64 s[4:5], vcc
	s_cbranch_execz .LBB38_223
; %bb.222:
	buffer_load_dword v80, off, s[0:3], 0 offset:72
	buffer_load_dword v81, off, s[0:3], 0 offset:76
	v_mov_b32_e32 v82, 0
	buffer_store_dword v82, off, s[0:3], 0 offset:72
	buffer_store_dword v82, off, s[0:3], 0 offset:76
	s_waitcnt vmcnt(2)
	ds_write_b64 v79, v[80:81]
.LBB38_223:
	s_or_b64 exec, exec, s[4:5]
	s_waitcnt lgkmcnt(0)
	; wave barrier
	buffer_load_dword v89, off, s[0:3], 0 offset:80
	buffer_load_dword v90, off, s[0:3], 0 offset:84
	buffer_load_dword v91, off, s[0:3], 0 offset:88
	buffer_load_dword v92, off, s[0:3], 0 offset:92
	buffer_load_dword v93, off, s[0:3], 0 offset:96
	buffer_load_dword v94, off, s[0:3], 0 offset:100
	buffer_load_dword v95, off, s[0:3], 0 offset:104
	buffer_load_dword v96, off, s[0:3], 0 offset:108
	buffer_load_dword v97, off, s[0:3], 0 offset:112
	buffer_load_dword v98, off, s[0:3], 0 offset:116
	buffer_load_dword v99, off, s[0:3], 0 offset:120
	buffer_load_dword v100, off, s[0:3], 0 offset:124
	buffer_load_dword v101, off, s[0:3], 0 offset:128
	buffer_load_dword v102, off, s[0:3], 0 offset:132
	buffer_load_dword v104, off, s[0:3], 0 offset:140
	buffer_load_dword v105, off, s[0:3], 0 offset:160
	buffer_load_dword v107, off, s[0:3], 0 offset:152
	buffer_load_dword v109, off, s[0:3], 0 offset:144
	buffer_load_dword v103, off, s[0:3], 0 offset:136
	buffer_load_dword v110, off, s[0:3], 0 offset:148
	buffer_load_dword v108, off, s[0:3], 0 offset:156
	buffer_load_dword v106, off, s[0:3], 0 offset:164
	v_mov_b32_e32 v80, 0
	ds_read_b128 v[81:84], v80 offset:400
	ds_read_b128 v[85:88], v80 offset:416
	v_cmp_lt_u32_e32 vcc, 8, v0
	s_waitcnt vmcnt(20) lgkmcnt(1)
	v_fma_f64 v[81:82], v[89:90], v[81:82], 0
	s_waitcnt vmcnt(18)
	v_fma_f64 v[81:82], v[91:92], v[83:84], v[81:82]
	buffer_load_dword v90, off, s[0:3], 0 offset:172
	buffer_load_dword v91, off, s[0:3], 0 offset:192
	;; [unrolled: 1-line block ×7, first 2 shown]
	s_waitcnt vmcnt(23) lgkmcnt(0)
	v_fma_f64 v[81:82], v[93:94], v[85:86], v[81:82]
	s_waitcnt vmcnt(21)
	v_fma_f64 v[92:93], v[95:96], v[87:88], v[81:82]
	ds_read_b128 v[81:84], v80 offset:432
	ds_read_b128 v[85:88], v80 offset:448
	s_waitcnt vmcnt(19) lgkmcnt(1)
	v_fma_f64 v[81:82], v[97:98], v[81:82], v[92:93]
	buffer_load_dword v92, off, s[0:3], 0 offset:196
	s_waitcnt vmcnt(18)
	v_fma_f64 v[81:82], v[99:100], v[83:84], v[81:82]
	buffer_load_dword v94, off, s[0:3], 0 offset:204
	buffer_load_dword v95, off, s[0:3], 0 offset:224
	;; [unrolled: 1-line block ×7, first 2 shown]
	s_waitcnt vmcnt(23) lgkmcnt(0)
	v_fma_f64 v[81:82], v[101:102], v[85:86], v[81:82]
	s_waitcnt vmcnt(18)
	v_fma_f64 v[101:102], v[103:104], v[87:88], v[81:82]
	ds_read_b128 v[81:84], v80 offset:464
	ds_read_b128 v[85:88], v80 offset:480
	buffer_load_dword v96, off, s[0:3], 0 offset:228
	s_waitcnt vmcnt(18) lgkmcnt(1)
	v_fma_f64 v[81:82], v[109:110], v[81:82], v[101:102]
	s_waitcnt vmcnt(17)
	v_fma_f64 v[81:82], v[107:108], v[83:84], v[81:82]
	buffer_load_dword v102, off, s[0:3], 0 offset:236
	buffer_load_dword v103, off, s[0:3], 0 offset:256
	;; [unrolled: 1-line block ×8, first 2 shown]
	s_waitcnt vmcnt(24) lgkmcnt(0)
	v_fma_f64 v[81:82], v[105:106], v[85:86], v[81:82]
	s_waitcnt vmcnt(19)
	v_fma_f64 v[89:90], v[89:90], v[87:88], v[81:82]
	ds_read_b128 v[81:84], v80 offset:496
	ds_read_b128 v[85:88], v80 offset:512
	s_waitcnt vmcnt(18) lgkmcnt(1)
	v_fma_f64 v[81:82], v[113:114], v[81:82], v[89:90]
	s_waitcnt vmcnt(17)
	v_fma_f64 v[81:82], v[111:112], v[83:84], v[81:82]
	buffer_load_dword v90, off, s[0:3], 0 offset:268
	buffer_load_dword v105, off, s[0:3], 0 offset:288
	buffer_load_dword v111, off, s[0:3], 0 offset:280
	buffer_load_dword v113, off, s[0:3], 0 offset:272
	buffer_load_dword v89, off, s[0:3], 0 offset:264
	buffer_load_dword v114, off, s[0:3], 0 offset:276
	buffer_load_dword v112, off, s[0:3], 0 offset:284
	s_waitcnt vmcnt(23) lgkmcnt(0)
	v_fma_f64 v[81:82], v[91:92], v[85:86], v[81:82]
	s_waitcnt vmcnt(18)
	v_fma_f64 v[91:92], v[93:94], v[87:88], v[81:82]
	ds_read_b128 v[81:84], v80 offset:528
	ds_read_b128 v[85:88], v80 offset:544
	buffer_load_dword v106, off, s[0:3], 0 offset:292
	s_waitcnt vmcnt(18) lgkmcnt(1)
	v_fma_f64 v[81:82], v[99:100], v[81:82], v[91:92]
	buffer_load_dword v92, off, s[0:3], 0 offset:300
	buffer_load_dword v93, off, s[0:3], 0 offset:304
	;; [unrolled: 1-line block ×4, first 2 shown]
	s_waitcnt vmcnt(21)
	v_fma_f64 v[81:82], v[97:98], v[83:84], v[81:82]
	s_waitcnt vmcnt(20) lgkmcnt(0)
	v_fma_f64 v[81:82], v[95:96], v[85:86], v[81:82]
	buffer_load_dword v95, off, s[0:3], 0 offset:72
	buffer_load_dword v96, off, s[0:3], 0 offset:76
	s_waitcnt vmcnt(17)
	v_fma_f64 v[97:98], v[101:102], v[87:88], v[81:82]
	ds_read_b128 v[81:84], v80 offset:560
	ds_read_b128 v[85:88], v80 offset:576
	s_waitcnt vmcnt(16) lgkmcnt(1)
	v_fma_f64 v[81:82], v[109:110], v[81:82], v[97:98]
	s_waitcnt vmcnt(15)
	v_fma_f64 v[81:82], v[107:108], v[83:84], v[81:82]
	s_waitcnt vmcnt(14) lgkmcnt(0)
	v_fma_f64 v[81:82], v[103:104], v[85:86], v[81:82]
	s_waitcnt vmcnt(9)
	v_fma_f64 v[89:90], v[89:90], v[87:88], v[81:82]
	ds_read_b128 v[81:84], v80 offset:592
	ds_read_b128 v[85:88], v80 offset:608
	s_waitcnt vmcnt(8) lgkmcnt(1)
	v_fma_f64 v[81:82], v[113:114], v[81:82], v[89:90]
	s_waitcnt vmcnt(7)
	v_fma_f64 v[81:82], v[111:112], v[83:84], v[81:82]
	ds_read_b64 v[83:84], v80 offset:624
	s_waitcnt vmcnt(6) lgkmcnt(1)
	v_fma_f64 v[81:82], v[105:106], v[85:86], v[81:82]
	s_waitcnt vmcnt(3)
	v_fma_f64 v[81:82], v[91:92], v[87:88], v[81:82]
	s_waitcnt vmcnt(2) lgkmcnt(0)
	v_fma_f64 v[81:82], v[93:94], v[83:84], v[81:82]
	s_waitcnt vmcnt(0)
	v_add_f64 v[81:82], v[95:96], -v[81:82]
	buffer_store_dword v82, off, s[0:3], 0 offset:76
	buffer_store_dword v81, off, s[0:3], 0 offset:72
	s_and_saveexec_b64 s[4:5], vcc
	s_cbranch_execz .LBB38_225
; %bb.224:
	buffer_load_dword v81, off, s[0:3], 0 offset:64
	buffer_load_dword v82, off, s[0:3], 0 offset:68
	s_waitcnt vmcnt(0)
	ds_write_b64 v79, v[81:82]
	buffer_store_dword v80, off, s[0:3], 0 offset:64
	buffer_store_dword v80, off, s[0:3], 0 offset:68
.LBB38_225:
	s_or_b64 exec, exec, s[4:5]
	s_waitcnt lgkmcnt(0)
	; wave barrier
	buffer_load_dword v89, off, s[0:3], 0 offset:72
	buffer_load_dword v90, off, s[0:3], 0 offset:76
	;; [unrolled: 1-line block ×22, first 2 shown]
	ds_read2_b64 v[81:84], v80 offset0:49 offset1:50
	ds_read2_b64 v[85:88], v80 offset0:51 offset1:52
	v_cmp_lt_u32_e32 vcc, 7, v0
	s_waitcnt vmcnt(20) lgkmcnt(1)
	v_fma_f64 v[81:82], v[89:90], v[81:82], 0
	s_waitcnt vmcnt(18)
	v_fma_f64 v[81:82], v[91:92], v[83:84], v[81:82]
	buffer_load_dword v90, off, s[0:3], 0 offset:164
	buffer_load_dword v91, off, s[0:3], 0 offset:184
	;; [unrolled: 1-line block ×7, first 2 shown]
	s_waitcnt vmcnt(23) lgkmcnt(0)
	v_fma_f64 v[81:82], v[93:94], v[85:86], v[81:82]
	s_waitcnt vmcnt(21)
	v_fma_f64 v[92:93], v[95:96], v[87:88], v[81:82]
	ds_read2_b64 v[81:84], v80 offset0:53 offset1:54
	ds_read2_b64 v[85:88], v80 offset0:55 offset1:56
	s_waitcnt vmcnt(19) lgkmcnt(1)
	v_fma_f64 v[81:82], v[97:98], v[81:82], v[92:93]
	buffer_load_dword v92, off, s[0:3], 0 offset:188
	s_waitcnt vmcnt(18)
	v_fma_f64 v[81:82], v[99:100], v[83:84], v[81:82]
	buffer_load_dword v94, off, s[0:3], 0 offset:196
	buffer_load_dword v95, off, s[0:3], 0 offset:216
	;; [unrolled: 1-line block ×7, first 2 shown]
	s_waitcnt vmcnt(23) lgkmcnt(0)
	v_fma_f64 v[81:82], v[101:102], v[85:86], v[81:82]
	s_waitcnt vmcnt(18)
	v_fma_f64 v[101:102], v[103:104], v[87:88], v[81:82]
	ds_read2_b64 v[81:84], v80 offset0:57 offset1:58
	ds_read2_b64 v[85:88], v80 offset0:59 offset1:60
	buffer_load_dword v96, off, s[0:3], 0 offset:220
	s_waitcnt vmcnt(18) lgkmcnt(1)
	v_fma_f64 v[81:82], v[109:110], v[81:82], v[101:102]
	s_waitcnt vmcnt(17)
	v_fma_f64 v[81:82], v[107:108], v[83:84], v[81:82]
	buffer_load_dword v102, off, s[0:3], 0 offset:228
	buffer_load_dword v103, off, s[0:3], 0 offset:248
	;; [unrolled: 1-line block ×8, first 2 shown]
	s_waitcnt vmcnt(24) lgkmcnt(0)
	v_fma_f64 v[81:82], v[105:106], v[85:86], v[81:82]
	s_waitcnt vmcnt(19)
	v_fma_f64 v[89:90], v[89:90], v[87:88], v[81:82]
	ds_read2_b64 v[81:84], v80 offset0:61 offset1:62
	ds_read2_b64 v[85:88], v80 offset0:63 offset1:64
	s_waitcnt vmcnt(18) lgkmcnt(1)
	v_fma_f64 v[81:82], v[113:114], v[81:82], v[89:90]
	s_waitcnt vmcnt(17)
	v_fma_f64 v[81:82], v[111:112], v[83:84], v[81:82]
	buffer_load_dword v90, off, s[0:3], 0 offset:260
	buffer_load_dword v105, off, s[0:3], 0 offset:280
	;; [unrolled: 1-line block ×8, first 2 shown]
	s_waitcnt vmcnt(24) lgkmcnt(0)
	v_fma_f64 v[81:82], v[91:92], v[85:86], v[81:82]
	s_waitcnt vmcnt(19)
	v_fma_f64 v[91:92], v[93:94], v[87:88], v[81:82]
	ds_read2_b64 v[81:84], v80 offset0:65 offset1:66
	ds_read2_b64 v[85:88], v80 offset0:67 offset1:68
	s_waitcnt vmcnt(18) lgkmcnt(1)
	v_fma_f64 v[81:82], v[99:100], v[81:82], v[91:92]
	s_waitcnt vmcnt(17)
	v_fma_f64 v[81:82], v[97:98], v[83:84], v[81:82]
	buffer_load_dword v92, off, s[0:3], 0 offset:292
	buffer_load_dword v93, off, s[0:3], 0 offset:304
	;; [unrolled: 1-line block ×6, first 2 shown]
	s_waitcnt vmcnt(22) lgkmcnt(0)
	v_fma_f64 v[81:82], v[95:96], v[85:86], v[81:82]
	s_waitcnt vmcnt(17)
	v_fma_f64 v[95:96], v[101:102], v[87:88], v[81:82]
	ds_read2_b64 v[81:84], v80 offset0:69 offset1:70
	buffer_load_dword v99, off, s[0:3], 0 offset:64
	buffer_load_dword v100, off, s[0:3], 0 offset:68
	ds_read2_b64 v[85:88], v80 offset0:71 offset1:72
	s_waitcnt vmcnt(18) lgkmcnt(1)
	v_fma_f64 v[81:82], v[109:110], v[81:82], v[95:96]
	s_waitcnt vmcnt(17)
	v_fma_f64 v[81:82], v[107:108], v[83:84], v[81:82]
	s_waitcnt vmcnt(16) lgkmcnt(0)
	v_fma_f64 v[81:82], v[103:104], v[85:86], v[81:82]
	s_waitcnt vmcnt(11)
	v_fma_f64 v[89:90], v[89:90], v[87:88], v[81:82]
	ds_read2_b64 v[81:84], v80 offset0:73 offset1:74
	ds_read2_b64 v[85:88], v80 offset0:75 offset1:76
	s_waitcnt vmcnt(10) lgkmcnt(1)
	v_fma_f64 v[81:82], v[113:114], v[81:82], v[89:90]
	s_waitcnt vmcnt(9)
	v_fma_f64 v[81:82], v[111:112], v[83:84], v[81:82]
	s_waitcnt vmcnt(8) lgkmcnt(0)
	v_fma_f64 v[81:82], v[105:106], v[85:86], v[81:82]
	s_waitcnt vmcnt(4)
	v_fma_f64 v[84:85], v[91:92], v[87:88], v[81:82]
	ds_read2_b64 v[80:83], v80 offset0:77 offset1:78
	s_waitcnt vmcnt(3) lgkmcnt(0)
	v_fma_f64 v[80:81], v[97:98], v[80:81], v[84:85]
	s_waitcnt vmcnt(2)
	v_fma_f64 v[80:81], v[93:94], v[82:83], v[80:81]
	s_waitcnt vmcnt(0)
	v_add_f64 v[80:81], v[99:100], -v[80:81]
	buffer_store_dword v81, off, s[0:3], 0 offset:68
	buffer_store_dword v80, off, s[0:3], 0 offset:64
	s_and_saveexec_b64 s[4:5], vcc
	s_cbranch_execz .LBB38_227
; %bb.226:
	buffer_load_dword v80, off, s[0:3], 0 offset:56
	buffer_load_dword v81, off, s[0:3], 0 offset:60
	v_mov_b32_e32 v82, 0
	buffer_store_dword v82, off, s[0:3], 0 offset:56
	buffer_store_dword v82, off, s[0:3], 0 offset:60
	s_waitcnt vmcnt(2)
	ds_write_b64 v79, v[80:81]
.LBB38_227:
	s_or_b64 exec, exec, s[4:5]
	s_waitcnt lgkmcnt(0)
	; wave barrier
	buffer_load_dword v89, off, s[0:3], 0 offset:64
	buffer_load_dword v90, off, s[0:3], 0 offset:68
	;; [unrolled: 1-line block ×22, first 2 shown]
	v_mov_b32_e32 v80, 0
	ds_read_b128 v[81:84], v80 offset:384
	ds_read_b128 v[85:88], v80 offset:400
	v_cmp_lt_u32_e32 vcc, 6, v0
	s_waitcnt vmcnt(20) lgkmcnt(1)
	v_fma_f64 v[81:82], v[89:90], v[81:82], 0
	s_waitcnt vmcnt(18)
	v_fma_f64 v[81:82], v[91:92], v[83:84], v[81:82]
	buffer_load_dword v90, off, s[0:3], 0 offset:156
	buffer_load_dword v91, off, s[0:3], 0 offset:176
	;; [unrolled: 1-line block ×7, first 2 shown]
	s_waitcnt vmcnt(23) lgkmcnt(0)
	v_fma_f64 v[81:82], v[93:94], v[85:86], v[81:82]
	s_waitcnt vmcnt(21)
	v_fma_f64 v[92:93], v[95:96], v[87:88], v[81:82]
	ds_read_b128 v[81:84], v80 offset:416
	ds_read_b128 v[85:88], v80 offset:432
	s_waitcnt vmcnt(19) lgkmcnt(1)
	v_fma_f64 v[81:82], v[97:98], v[81:82], v[92:93]
	buffer_load_dword v92, off, s[0:3], 0 offset:180
	s_waitcnt vmcnt(18)
	v_fma_f64 v[81:82], v[99:100], v[83:84], v[81:82]
	buffer_load_dword v94, off, s[0:3], 0 offset:188
	buffer_load_dword v95, off, s[0:3], 0 offset:208
	;; [unrolled: 1-line block ×7, first 2 shown]
	s_waitcnt vmcnt(23) lgkmcnt(0)
	v_fma_f64 v[81:82], v[101:102], v[85:86], v[81:82]
	s_waitcnt vmcnt(18)
	v_fma_f64 v[101:102], v[103:104], v[87:88], v[81:82]
	ds_read_b128 v[81:84], v80 offset:448
	ds_read_b128 v[85:88], v80 offset:464
	buffer_load_dword v96, off, s[0:3], 0 offset:212
	s_waitcnt vmcnt(18) lgkmcnt(1)
	v_fma_f64 v[81:82], v[109:110], v[81:82], v[101:102]
	s_waitcnt vmcnt(17)
	v_fma_f64 v[81:82], v[107:108], v[83:84], v[81:82]
	buffer_load_dword v102, off, s[0:3], 0 offset:220
	buffer_load_dword v103, off, s[0:3], 0 offset:240
	buffer_load_dword v107, off, s[0:3], 0 offset:232
	buffer_load_dword v109, off, s[0:3], 0 offset:224
	buffer_load_dword v101, off, s[0:3], 0 offset:216
	buffer_load_dword v110, off, s[0:3], 0 offset:228
	buffer_load_dword v108, off, s[0:3], 0 offset:236
	buffer_load_dword v104, off, s[0:3], 0 offset:244
	s_waitcnt vmcnt(24) lgkmcnt(0)
	v_fma_f64 v[81:82], v[105:106], v[85:86], v[81:82]
	s_waitcnt vmcnt(19)
	v_fma_f64 v[89:90], v[89:90], v[87:88], v[81:82]
	ds_read_b128 v[81:84], v80 offset:480
	ds_read_b128 v[85:88], v80 offset:496
	s_waitcnt vmcnt(18) lgkmcnt(1)
	v_fma_f64 v[81:82], v[113:114], v[81:82], v[89:90]
	s_waitcnt vmcnt(17)
	v_fma_f64 v[81:82], v[111:112], v[83:84], v[81:82]
	buffer_load_dword v90, off, s[0:3], 0 offset:252
	buffer_load_dword v105, off, s[0:3], 0 offset:272
	buffer_load_dword v111, off, s[0:3], 0 offset:264
	buffer_load_dword v113, off, s[0:3], 0 offset:256
	buffer_load_dword v89, off, s[0:3], 0 offset:248
	buffer_load_dword v114, off, s[0:3], 0 offset:260
	buffer_load_dword v112, off, s[0:3], 0 offset:268
	buffer_load_dword v106, off, s[0:3], 0 offset:276
	s_waitcnt vmcnt(24) lgkmcnt(0)
	v_fma_f64 v[81:82], v[91:92], v[85:86], v[81:82]
	s_waitcnt vmcnt(19)
	v_fma_f64 v[91:92], v[93:94], v[87:88], v[81:82]
	ds_read_b128 v[81:84], v80 offset:512
	ds_read_b128 v[85:88], v80 offset:528
	;; [unrolled: 18-line block ×3, first 2 shown]
	s_waitcnt vmcnt(18) lgkmcnt(1)
	v_fma_f64 v[81:82], v[109:110], v[81:82], v[95:96]
	buffer_load_dword v95, off, s[0:3], 0 offset:56
	buffer_load_dword v96, off, s[0:3], 0 offset:60
	s_waitcnt vmcnt(19)
	v_fma_f64 v[81:82], v[107:108], v[83:84], v[81:82]
	s_waitcnt vmcnt(18) lgkmcnt(0)
	v_fma_f64 v[81:82], v[103:104], v[85:86], v[81:82]
	s_waitcnt vmcnt(13)
	v_fma_f64 v[89:90], v[89:90], v[87:88], v[81:82]
	ds_read_b128 v[81:84], v80 offset:576
	ds_read_b128 v[85:88], v80 offset:592
	s_waitcnt vmcnt(12) lgkmcnt(1)
	v_fma_f64 v[81:82], v[113:114], v[81:82], v[89:90]
	s_waitcnt vmcnt(11)
	v_fma_f64 v[81:82], v[111:112], v[83:84], v[81:82]
	s_waitcnt vmcnt(10) lgkmcnt(0)
	v_fma_f64 v[81:82], v[105:106], v[85:86], v[81:82]
	s_waitcnt vmcnt(5)
	v_fma_f64 v[85:86], v[91:92], v[87:88], v[81:82]
	ds_read_b128 v[81:84], v80 offset:608
	ds_read_b64 v[87:88], v80 offset:624
	s_waitcnt vmcnt(4) lgkmcnt(1)
	v_fma_f64 v[81:82], v[99:100], v[81:82], v[85:86]
	s_waitcnt vmcnt(3)
	v_fma_f64 v[81:82], v[97:98], v[83:84], v[81:82]
	s_waitcnt vmcnt(2) lgkmcnt(0)
	v_fma_f64 v[81:82], v[93:94], v[87:88], v[81:82]
	s_waitcnt vmcnt(0)
	v_add_f64 v[81:82], v[95:96], -v[81:82]
	buffer_store_dword v82, off, s[0:3], 0 offset:60
	buffer_store_dword v81, off, s[0:3], 0 offset:56
	s_and_saveexec_b64 s[4:5], vcc
	s_cbranch_execz .LBB38_229
; %bb.228:
	buffer_load_dword v81, off, s[0:3], 0 offset:48
	buffer_load_dword v82, off, s[0:3], 0 offset:52
	s_waitcnt vmcnt(0)
	ds_write_b64 v79, v[81:82]
	buffer_store_dword v80, off, s[0:3], 0 offset:48
	buffer_store_dword v80, off, s[0:3], 0 offset:52
.LBB38_229:
	s_or_b64 exec, exec, s[4:5]
	s_waitcnt lgkmcnt(0)
	; wave barrier
	buffer_load_dword v89, off, s[0:3], 0 offset:56
	buffer_load_dword v90, off, s[0:3], 0 offset:60
	;; [unrolled: 1-line block ×22, first 2 shown]
	ds_read2_b64 v[81:84], v80 offset0:47 offset1:48
	ds_read2_b64 v[85:88], v80 offset0:49 offset1:50
	v_cmp_lt_u32_e32 vcc, 5, v0
	s_waitcnt vmcnt(20) lgkmcnt(1)
	v_fma_f64 v[81:82], v[89:90], v[81:82], 0
	s_waitcnt vmcnt(18)
	v_fma_f64 v[81:82], v[91:92], v[83:84], v[81:82]
	buffer_load_dword v90, off, s[0:3], 0 offset:148
	buffer_load_dword v91, off, s[0:3], 0 offset:168
	;; [unrolled: 1-line block ×7, first 2 shown]
	s_waitcnt vmcnt(23) lgkmcnt(0)
	v_fma_f64 v[81:82], v[93:94], v[85:86], v[81:82]
	s_waitcnt vmcnt(21)
	v_fma_f64 v[92:93], v[95:96], v[87:88], v[81:82]
	ds_read2_b64 v[81:84], v80 offset0:51 offset1:52
	ds_read2_b64 v[85:88], v80 offset0:53 offset1:54
	s_waitcnt vmcnt(19) lgkmcnt(1)
	v_fma_f64 v[81:82], v[97:98], v[81:82], v[92:93]
	buffer_load_dword v92, off, s[0:3], 0 offset:172
	s_waitcnt vmcnt(18)
	v_fma_f64 v[81:82], v[99:100], v[83:84], v[81:82]
	buffer_load_dword v94, off, s[0:3], 0 offset:180
	buffer_load_dword v95, off, s[0:3], 0 offset:200
	;; [unrolled: 1-line block ×7, first 2 shown]
	s_waitcnt vmcnt(23) lgkmcnt(0)
	v_fma_f64 v[81:82], v[101:102], v[85:86], v[81:82]
	s_waitcnt vmcnt(18)
	v_fma_f64 v[101:102], v[103:104], v[87:88], v[81:82]
	ds_read2_b64 v[81:84], v80 offset0:55 offset1:56
	ds_read2_b64 v[85:88], v80 offset0:57 offset1:58
	buffer_load_dword v96, off, s[0:3], 0 offset:204
	s_waitcnt vmcnt(18) lgkmcnt(1)
	v_fma_f64 v[81:82], v[109:110], v[81:82], v[101:102]
	s_waitcnt vmcnt(17)
	v_fma_f64 v[81:82], v[107:108], v[83:84], v[81:82]
	buffer_load_dword v102, off, s[0:3], 0 offset:212
	buffer_load_dword v103, off, s[0:3], 0 offset:232
	buffer_load_dword v107, off, s[0:3], 0 offset:224
	buffer_load_dword v109, off, s[0:3], 0 offset:216
	buffer_load_dword v101, off, s[0:3], 0 offset:208
	buffer_load_dword v110, off, s[0:3], 0 offset:220
	buffer_load_dword v108, off, s[0:3], 0 offset:228
	buffer_load_dword v104, off, s[0:3], 0 offset:236
	s_waitcnt vmcnt(24) lgkmcnt(0)
	v_fma_f64 v[81:82], v[105:106], v[85:86], v[81:82]
	s_waitcnt vmcnt(19)
	v_fma_f64 v[89:90], v[89:90], v[87:88], v[81:82]
	ds_read2_b64 v[81:84], v80 offset0:59 offset1:60
	ds_read2_b64 v[85:88], v80 offset0:61 offset1:62
	s_waitcnt vmcnt(18) lgkmcnt(1)
	v_fma_f64 v[81:82], v[113:114], v[81:82], v[89:90]
	s_waitcnt vmcnt(17)
	v_fma_f64 v[81:82], v[111:112], v[83:84], v[81:82]
	buffer_load_dword v90, off, s[0:3], 0 offset:244
	buffer_load_dword v105, off, s[0:3], 0 offset:264
	buffer_load_dword v111, off, s[0:3], 0 offset:256
	buffer_load_dword v113, off, s[0:3], 0 offset:248
	buffer_load_dword v89, off, s[0:3], 0 offset:240
	buffer_load_dword v114, off, s[0:3], 0 offset:252
	buffer_load_dword v112, off, s[0:3], 0 offset:260
	buffer_load_dword v106, off, s[0:3], 0 offset:268
	s_waitcnt vmcnt(24) lgkmcnt(0)
	v_fma_f64 v[81:82], v[91:92], v[85:86], v[81:82]
	s_waitcnt vmcnt(19)
	v_fma_f64 v[91:92], v[93:94], v[87:88], v[81:82]
	ds_read2_b64 v[81:84], v80 offset0:63 offset1:64
	ds_read2_b64 v[85:88], v80 offset0:65 offset1:66
	s_waitcnt vmcnt(18) lgkmcnt(1)
	v_fma_f64 v[81:82], v[99:100], v[81:82], v[91:92]
	s_waitcnt vmcnt(17)
	v_fma_f64 v[81:82], v[97:98], v[83:84], v[81:82]
	buffer_load_dword v92, off, s[0:3], 0 offset:276
	buffer_load_dword v93, off, s[0:3], 0 offset:296
	buffer_load_dword v97, off, s[0:3], 0 offset:288
	buffer_load_dword v99, off, s[0:3], 0 offset:280
	buffer_load_dword v91, off, s[0:3], 0 offset:272
	buffer_load_dword v100, off, s[0:3], 0 offset:284
	buffer_load_dword v98, off, s[0:3], 0 offset:292
	buffer_load_dword v94, off, s[0:3], 0 offset:300
	s_waitcnt vmcnt(24) lgkmcnt(0)
	v_fma_f64 v[81:82], v[95:96], v[85:86], v[81:82]
	s_waitcnt vmcnt(19)
	v_fma_f64 v[95:96], v[101:102], v[87:88], v[81:82]
	ds_read2_b64 v[81:84], v80 offset0:67 offset1:68
	ds_read2_b64 v[85:88], v80 offset0:69 offset1:70
	s_waitcnt vmcnt(18) lgkmcnt(1)
	v_fma_f64 v[81:82], v[109:110], v[81:82], v[95:96]
	buffer_load_dword v96, off, s[0:3], 0 offset:308
	buffer_load_dword v95, off, s[0:3], 0 offset:304
	;; [unrolled: 1-line block ×4, first 2 shown]
	s_waitcnt vmcnt(21)
	v_fma_f64 v[81:82], v[107:108], v[83:84], v[81:82]
	s_waitcnt vmcnt(20) lgkmcnt(0)
	v_fma_f64 v[81:82], v[103:104], v[85:86], v[81:82]
	s_waitcnt vmcnt(15)
	v_fma_f64 v[89:90], v[89:90], v[87:88], v[81:82]
	ds_read2_b64 v[81:84], v80 offset0:71 offset1:72
	ds_read2_b64 v[85:88], v80 offset0:73 offset1:74
	s_waitcnt vmcnt(14) lgkmcnt(1)
	v_fma_f64 v[81:82], v[113:114], v[81:82], v[89:90]
	s_waitcnt vmcnt(13)
	v_fma_f64 v[81:82], v[111:112], v[83:84], v[81:82]
	s_waitcnt vmcnt(12) lgkmcnt(0)
	v_fma_f64 v[81:82], v[105:106], v[85:86], v[81:82]
	s_waitcnt vmcnt(7)
	v_fma_f64 v[89:90], v[91:92], v[87:88], v[81:82]
	ds_read2_b64 v[81:84], v80 offset0:75 offset1:76
	ds_read2_b64 v[85:88], v80 offset0:77 offset1:78
	s_waitcnt vmcnt(6) lgkmcnt(1)
	v_fma_f64 v[80:81], v[99:100], v[81:82], v[89:90]
	s_waitcnt vmcnt(5)
	v_fma_f64 v[80:81], v[97:98], v[83:84], v[80:81]
	s_waitcnt vmcnt(4) lgkmcnt(0)
	v_fma_f64 v[80:81], v[93:94], v[85:86], v[80:81]
	s_waitcnt vmcnt(2)
	v_fma_f64 v[80:81], v[95:96], v[87:88], v[80:81]
	s_waitcnt vmcnt(0)
	v_add_f64 v[80:81], v[101:102], -v[80:81]
	buffer_store_dword v81, off, s[0:3], 0 offset:52
	buffer_store_dword v80, off, s[0:3], 0 offset:48
	s_and_saveexec_b64 s[4:5], vcc
	s_cbranch_execz .LBB38_231
; %bb.230:
	buffer_load_dword v80, off, s[0:3], 0 offset:40
	buffer_load_dword v81, off, s[0:3], 0 offset:44
	v_mov_b32_e32 v82, 0
	buffer_store_dword v82, off, s[0:3], 0 offset:40
	buffer_store_dword v82, off, s[0:3], 0 offset:44
	s_waitcnt vmcnt(2)
	ds_write_b64 v79, v[80:81]
.LBB38_231:
	s_or_b64 exec, exec, s[4:5]
	s_waitcnt lgkmcnt(0)
	; wave barrier
	buffer_load_dword v89, off, s[0:3], 0 offset:48
	buffer_load_dword v90, off, s[0:3], 0 offset:52
	;; [unrolled: 1-line block ×21, first 2 shown]
	v_mov_b32_e32 v80, 0
	ds_read_b128 v[81:84], v80 offset:368
	ds_read_b128 v[85:88], v80 offset:384
	buffer_load_dword v106, off, s[0:3], 0 offset:132
	v_cmp_lt_u32_e32 vcc, 4, v0
	s_waitcnt vmcnt(20) lgkmcnt(1)
	v_fma_f64 v[81:82], v[89:90], v[81:82], 0
	s_waitcnt vmcnt(18)
	v_fma_f64 v[81:82], v[91:92], v[83:84], v[81:82]
	buffer_load_dword v90, off, s[0:3], 0 offset:140
	buffer_load_dword v91, off, s[0:3], 0 offset:160
	;; [unrolled: 1-line block ×7, first 2 shown]
	s_waitcnt vmcnt(23) lgkmcnt(0)
	v_fma_f64 v[81:82], v[93:94], v[85:86], v[81:82]
	s_waitcnt vmcnt(21)
	v_fma_f64 v[92:93], v[95:96], v[87:88], v[81:82]
	ds_read_b128 v[81:84], v80 offset:400
	ds_read_b128 v[85:88], v80 offset:416
	s_waitcnt vmcnt(19) lgkmcnt(1)
	v_fma_f64 v[81:82], v[97:98], v[81:82], v[92:93]
	buffer_load_dword v92, off, s[0:3], 0 offset:164
	s_waitcnt vmcnt(18)
	v_fma_f64 v[81:82], v[99:100], v[83:84], v[81:82]
	buffer_load_dword v94, off, s[0:3], 0 offset:172
	buffer_load_dword v95, off, s[0:3], 0 offset:192
	;; [unrolled: 1-line block ×7, first 2 shown]
	s_waitcnt vmcnt(23) lgkmcnt(0)
	v_fma_f64 v[81:82], v[101:102], v[85:86], v[81:82]
	s_waitcnt vmcnt(18)
	v_fma_f64 v[101:102], v[103:104], v[87:88], v[81:82]
	ds_read_b128 v[81:84], v80 offset:432
	ds_read_b128 v[85:88], v80 offset:448
	buffer_load_dword v96, off, s[0:3], 0 offset:196
	s_waitcnt vmcnt(18) lgkmcnt(1)
	v_fma_f64 v[81:82], v[109:110], v[81:82], v[101:102]
	s_waitcnt vmcnt(17)
	v_fma_f64 v[81:82], v[107:108], v[83:84], v[81:82]
	buffer_load_dword v102, off, s[0:3], 0 offset:204
	buffer_load_dword v103, off, s[0:3], 0 offset:224
	;; [unrolled: 1-line block ×7, first 2 shown]
	s_waitcnt vmcnt(23) lgkmcnt(0)
	v_fma_f64 v[81:82], v[105:106], v[85:86], v[81:82]
	s_waitcnt vmcnt(18)
	v_fma_f64 v[89:90], v[89:90], v[87:88], v[81:82]
	ds_read_b128 v[81:84], v80 offset:464
	ds_read_b128 v[85:88], v80 offset:480
	buffer_load_dword v104, off, s[0:3], 0 offset:228
	s_waitcnt vmcnt(18) lgkmcnt(1)
	v_fma_f64 v[81:82], v[113:114], v[81:82], v[89:90]
	s_waitcnt vmcnt(17)
	v_fma_f64 v[81:82], v[111:112], v[83:84], v[81:82]
	buffer_load_dword v90, off, s[0:3], 0 offset:236
	buffer_load_dword v105, off, s[0:3], 0 offset:256
	;; [unrolled: 1-line block ×8, first 2 shown]
	s_waitcnt vmcnt(24) lgkmcnt(0)
	v_fma_f64 v[81:82], v[91:92], v[85:86], v[81:82]
	s_waitcnt vmcnt(19)
	v_fma_f64 v[91:92], v[93:94], v[87:88], v[81:82]
	ds_read_b128 v[81:84], v80 offset:496
	ds_read_b128 v[85:88], v80 offset:512
	s_waitcnt vmcnt(18) lgkmcnt(1)
	v_fma_f64 v[81:82], v[99:100], v[81:82], v[91:92]
	s_waitcnt vmcnt(17)
	v_fma_f64 v[81:82], v[97:98], v[83:84], v[81:82]
	buffer_load_dword v92, off, s[0:3], 0 offset:268
	buffer_load_dword v93, off, s[0:3], 0 offset:288
	buffer_load_dword v97, off, s[0:3], 0 offset:280
	buffer_load_dword v99, off, s[0:3], 0 offset:272
	buffer_load_dword v91, off, s[0:3], 0 offset:264
	buffer_load_dword v100, off, s[0:3], 0 offset:276
	buffer_load_dword v98, off, s[0:3], 0 offset:284
	s_waitcnt vmcnt(23) lgkmcnt(0)
	v_fma_f64 v[81:82], v[95:96], v[85:86], v[81:82]
	s_waitcnt vmcnt(18)
	v_fma_f64 v[94:95], v[101:102], v[87:88], v[81:82]
	ds_read_b128 v[81:84], v80 offset:528
	ds_read_b128 v[85:88], v80 offset:544
	s_waitcnt vmcnt(17) lgkmcnt(1)
	v_fma_f64 v[81:82], v[109:110], v[81:82], v[94:95]
	buffer_load_dword v94, off, s[0:3], 0 offset:292
	buffer_load_dword v96, off, s[0:3], 0 offset:300
	;; [unrolled: 1-line block ×5, first 2 shown]
	s_waitcnt vmcnt(21)
	v_fma_f64 v[81:82], v[107:108], v[83:84], v[81:82]
	s_waitcnt vmcnt(20) lgkmcnt(0)
	v_fma_f64 v[81:82], v[103:104], v[85:86], v[81:82]
	buffer_load_dword v103, off, s[0:3], 0 offset:40
	buffer_load_dword v104, off, s[0:3], 0 offset:44
	s_waitcnt vmcnt(17)
	v_fma_f64 v[89:90], v[89:90], v[87:88], v[81:82]
	ds_read_b128 v[81:84], v80 offset:560
	ds_read_b128 v[85:88], v80 offset:576
	s_waitcnt vmcnt(16) lgkmcnt(1)
	v_fma_f64 v[81:82], v[113:114], v[81:82], v[89:90]
	s_waitcnt vmcnt(15)
	v_fma_f64 v[81:82], v[111:112], v[83:84], v[81:82]
	s_waitcnt vmcnt(14) lgkmcnt(0)
	v_fma_f64 v[81:82], v[105:106], v[85:86], v[81:82]
	s_waitcnt vmcnt(9)
	v_fma_f64 v[89:90], v[91:92], v[87:88], v[81:82]
	ds_read_b128 v[81:84], v80 offset:592
	ds_read_b128 v[85:88], v80 offset:608
	s_waitcnt vmcnt(8) lgkmcnt(1)
	v_fma_f64 v[81:82], v[99:100], v[81:82], v[89:90]
	s_waitcnt vmcnt(7)
	v_fma_f64 v[81:82], v[97:98], v[83:84], v[81:82]
	ds_read_b64 v[83:84], v80 offset:624
	s_waitcnt vmcnt(6) lgkmcnt(1)
	v_fma_f64 v[81:82], v[93:94], v[85:86], v[81:82]
	s_waitcnt vmcnt(3)
	v_fma_f64 v[81:82], v[95:96], v[87:88], v[81:82]
	s_waitcnt vmcnt(2) lgkmcnt(0)
	v_fma_f64 v[81:82], v[101:102], v[83:84], v[81:82]
	s_waitcnt vmcnt(0)
	v_add_f64 v[81:82], v[103:104], -v[81:82]
	buffer_store_dword v82, off, s[0:3], 0 offset:44
	buffer_store_dword v81, off, s[0:3], 0 offset:40
	s_and_saveexec_b64 s[4:5], vcc
	s_cbranch_execz .LBB38_233
; %bb.232:
	buffer_load_dword v81, off, s[0:3], 0 offset:32
	buffer_load_dword v82, off, s[0:3], 0 offset:36
	s_waitcnt vmcnt(0)
	ds_write_b64 v79, v[81:82]
	buffer_store_dword v80, off, s[0:3], 0 offset:32
	buffer_store_dword v80, off, s[0:3], 0 offset:36
.LBB38_233:
	s_or_b64 exec, exec, s[4:5]
	s_waitcnt lgkmcnt(0)
	; wave barrier
	buffer_load_dword v89, off, s[0:3], 0 offset:40
	buffer_load_dword v90, off, s[0:3], 0 offset:44
	;; [unrolled: 1-line block ×21, first 2 shown]
	ds_read2_b64 v[81:84], v80 offset0:45 offset1:46
	ds_read2_b64 v[85:88], v80 offset0:47 offset1:48
	buffer_load_dword v106, off, s[0:3], 0 offset:124
	v_cmp_lt_u32_e32 vcc, 3, v0
	s_waitcnt vmcnt(20) lgkmcnt(1)
	v_fma_f64 v[81:82], v[89:90], v[81:82], 0
	s_waitcnt vmcnt(18)
	v_fma_f64 v[81:82], v[91:92], v[83:84], v[81:82]
	buffer_load_dword v90, off, s[0:3], 0 offset:132
	buffer_load_dword v91, off, s[0:3], 0 offset:152
	;; [unrolled: 1-line block ×7, first 2 shown]
	s_waitcnt vmcnt(23) lgkmcnt(0)
	v_fma_f64 v[81:82], v[93:94], v[85:86], v[81:82]
	s_waitcnt vmcnt(21)
	v_fma_f64 v[92:93], v[95:96], v[87:88], v[81:82]
	ds_read2_b64 v[81:84], v80 offset0:49 offset1:50
	ds_read2_b64 v[85:88], v80 offset0:51 offset1:52
	s_waitcnt vmcnt(19) lgkmcnt(1)
	v_fma_f64 v[81:82], v[97:98], v[81:82], v[92:93]
	buffer_load_dword v92, off, s[0:3], 0 offset:156
	s_waitcnt vmcnt(18)
	v_fma_f64 v[81:82], v[99:100], v[83:84], v[81:82]
	buffer_load_dword v94, off, s[0:3], 0 offset:164
	buffer_load_dword v95, off, s[0:3], 0 offset:184
	;; [unrolled: 1-line block ×8, first 2 shown]
	s_waitcnt vmcnt(24) lgkmcnt(0)
	v_fma_f64 v[81:82], v[101:102], v[85:86], v[81:82]
	s_waitcnt vmcnt(19)
	v_fma_f64 v[101:102], v[103:104], v[87:88], v[81:82]
	ds_read2_b64 v[81:84], v80 offset0:53 offset1:54
	ds_read2_b64 v[85:88], v80 offset0:55 offset1:56
	s_waitcnt vmcnt(18) lgkmcnt(1)
	v_fma_f64 v[81:82], v[109:110], v[81:82], v[101:102]
	s_waitcnt vmcnt(17)
	v_fma_f64 v[81:82], v[107:108], v[83:84], v[81:82]
	buffer_load_dword v102, off, s[0:3], 0 offset:196
	buffer_load_dword v103, off, s[0:3], 0 offset:216
	;; [unrolled: 1-line block ×7, first 2 shown]
	s_waitcnt vmcnt(23) lgkmcnt(0)
	v_fma_f64 v[81:82], v[105:106], v[85:86], v[81:82]
	s_waitcnt vmcnt(18)
	v_fma_f64 v[89:90], v[89:90], v[87:88], v[81:82]
	ds_read2_b64 v[81:84], v80 offset0:57 offset1:58
	ds_read2_b64 v[85:88], v80 offset0:59 offset1:60
	buffer_load_dword v104, off, s[0:3], 0 offset:220
	s_waitcnt vmcnt(18) lgkmcnt(1)
	v_fma_f64 v[81:82], v[113:114], v[81:82], v[89:90]
	s_waitcnt vmcnt(17)
	v_fma_f64 v[81:82], v[111:112], v[83:84], v[81:82]
	buffer_load_dword v90, off, s[0:3], 0 offset:228
	buffer_load_dword v105, off, s[0:3], 0 offset:248
	;; [unrolled: 1-line block ×8, first 2 shown]
	s_waitcnt vmcnt(24) lgkmcnt(0)
	v_fma_f64 v[81:82], v[91:92], v[85:86], v[81:82]
	s_waitcnt vmcnt(19)
	v_fma_f64 v[91:92], v[93:94], v[87:88], v[81:82]
	ds_read2_b64 v[81:84], v80 offset0:61 offset1:62
	ds_read2_b64 v[85:88], v80 offset0:63 offset1:64
	s_waitcnt vmcnt(18) lgkmcnt(1)
	v_fma_f64 v[81:82], v[99:100], v[81:82], v[91:92]
	s_waitcnt vmcnt(17)
	v_fma_f64 v[81:82], v[97:98], v[83:84], v[81:82]
	buffer_load_dword v92, off, s[0:3], 0 offset:260
	buffer_load_dword v93, off, s[0:3], 0 offset:280
	;; [unrolled: 1-line block ×7, first 2 shown]
	s_waitcnt vmcnt(23) lgkmcnt(0)
	v_fma_f64 v[81:82], v[95:96], v[85:86], v[81:82]
	s_waitcnt vmcnt(18)
	v_fma_f64 v[94:95], v[101:102], v[87:88], v[81:82]
	ds_read2_b64 v[81:84], v80 offset0:65 offset1:66
	ds_read2_b64 v[85:88], v80 offset0:67 offset1:68
	s_waitcnt vmcnt(17) lgkmcnt(1)
	v_fma_f64 v[81:82], v[109:110], v[81:82], v[94:95]
	buffer_load_dword v94, off, s[0:3], 0 offset:284
	s_waitcnt vmcnt(17)
	v_fma_f64 v[81:82], v[107:108], v[83:84], v[81:82]
	buffer_load_dword v96, off, s[0:3], 0 offset:292
	buffer_load_dword v101, off, s[0:3], 0 offset:304
	;; [unrolled: 1-line block ×6, first 2 shown]
	s_waitcnt vmcnt(22) lgkmcnt(0)
	v_fma_f64 v[81:82], v[103:104], v[85:86], v[81:82]
	s_waitcnt vmcnt(17)
	v_fma_f64 v[89:90], v[89:90], v[87:88], v[81:82]
	ds_read2_b64 v[81:84], v80 offset0:69 offset1:70
	buffer_load_dword v103, off, s[0:3], 0 offset:32
	buffer_load_dword v104, off, s[0:3], 0 offset:36
	ds_read2_b64 v[85:88], v80 offset0:71 offset1:72
	s_waitcnt vmcnt(18) lgkmcnt(1)
	v_fma_f64 v[81:82], v[113:114], v[81:82], v[89:90]
	s_waitcnt vmcnt(17)
	v_fma_f64 v[81:82], v[111:112], v[83:84], v[81:82]
	s_waitcnt vmcnt(16) lgkmcnt(0)
	v_fma_f64 v[81:82], v[105:106], v[85:86], v[81:82]
	s_waitcnt vmcnt(11)
	v_fma_f64 v[89:90], v[91:92], v[87:88], v[81:82]
	ds_read2_b64 v[81:84], v80 offset0:73 offset1:74
	ds_read2_b64 v[85:88], v80 offset0:75 offset1:76
	s_waitcnt vmcnt(10) lgkmcnt(1)
	v_fma_f64 v[81:82], v[99:100], v[81:82], v[89:90]
	s_waitcnt vmcnt(9)
	v_fma_f64 v[81:82], v[97:98], v[83:84], v[81:82]
	s_waitcnt vmcnt(8) lgkmcnt(0)
	v_fma_f64 v[81:82], v[93:94], v[85:86], v[81:82]
	s_waitcnt vmcnt(4)
	v_fma_f64 v[84:85], v[95:96], v[87:88], v[81:82]
	ds_read2_b64 v[80:83], v80 offset0:77 offset1:78
	s_waitcnt vmcnt(3) lgkmcnt(0)
	v_fma_f64 v[80:81], v[107:108], v[80:81], v[84:85]
	s_waitcnt vmcnt(2)
	v_fma_f64 v[80:81], v[101:102], v[82:83], v[80:81]
	s_waitcnt vmcnt(0)
	v_add_f64 v[80:81], v[103:104], -v[80:81]
	buffer_store_dword v81, off, s[0:3], 0 offset:36
	buffer_store_dword v80, off, s[0:3], 0 offset:32
	s_and_saveexec_b64 s[4:5], vcc
	s_cbranch_execz .LBB38_235
; %bb.234:
	buffer_load_dword v80, off, s[0:3], 0 offset:24
	buffer_load_dword v81, off, s[0:3], 0 offset:28
	v_mov_b32_e32 v82, 0
	buffer_store_dword v82, off, s[0:3], 0 offset:24
	buffer_store_dword v82, off, s[0:3], 0 offset:28
	s_waitcnt vmcnt(2)
	ds_write_b64 v79, v[80:81]
.LBB38_235:
	s_or_b64 exec, exec, s[4:5]
	s_waitcnt lgkmcnt(0)
	; wave barrier
	buffer_load_dword v89, off, s[0:3], 0 offset:32
	buffer_load_dword v90, off, s[0:3], 0 offset:36
	buffer_load_dword v91, off, s[0:3], 0 offset:40
	buffer_load_dword v92, off, s[0:3], 0 offset:44
	buffer_load_dword v93, off, s[0:3], 0 offset:48
	buffer_load_dword v94, off, s[0:3], 0 offset:52
	buffer_load_dword v95, off, s[0:3], 0 offset:56
	buffer_load_dword v96, off, s[0:3], 0 offset:60
	buffer_load_dword v97, off, s[0:3], 0 offset:64
	buffer_load_dword v98, off, s[0:3], 0 offset:68
	buffer_load_dword v99, off, s[0:3], 0 offset:72
	buffer_load_dword v100, off, s[0:3], 0 offset:76
	buffer_load_dword v101, off, s[0:3], 0 offset:80
	buffer_load_dword v102, off, s[0:3], 0 offset:84
	buffer_load_dword v104, off, s[0:3], 0 offset:92
	buffer_load_dword v105, off, s[0:3], 0 offset:112
	buffer_load_dword v107, off, s[0:3], 0 offset:104
	buffer_load_dword v109, off, s[0:3], 0 offset:96
	buffer_load_dword v103, off, s[0:3], 0 offset:88
	buffer_load_dword v110, off, s[0:3], 0 offset:100
	buffer_load_dword v108, off, s[0:3], 0 offset:108
	v_mov_b32_e32 v80, 0
	ds_read_b128 v[81:84], v80 offset:352
	ds_read_b128 v[85:88], v80 offset:368
	buffer_load_dword v106, off, s[0:3], 0 offset:116
	v_cmp_lt_u32_e32 vcc, 2, v0
	s_waitcnt vmcnt(20) lgkmcnt(1)
	v_fma_f64 v[81:82], v[89:90], v[81:82], 0
	s_waitcnt vmcnt(18)
	v_fma_f64 v[81:82], v[91:92], v[83:84], v[81:82]
	buffer_load_dword v90, off, s[0:3], 0 offset:124
	buffer_load_dword v91, off, s[0:3], 0 offset:144
	;; [unrolled: 1-line block ×7, first 2 shown]
	s_waitcnt vmcnt(23) lgkmcnt(0)
	v_fma_f64 v[81:82], v[93:94], v[85:86], v[81:82]
	s_waitcnt vmcnt(21)
	v_fma_f64 v[92:93], v[95:96], v[87:88], v[81:82]
	ds_read_b128 v[81:84], v80 offset:384
	ds_read_b128 v[85:88], v80 offset:400
	s_waitcnt vmcnt(19) lgkmcnt(1)
	v_fma_f64 v[81:82], v[97:98], v[81:82], v[92:93]
	buffer_load_dword v92, off, s[0:3], 0 offset:148
	s_waitcnt vmcnt(18)
	v_fma_f64 v[81:82], v[99:100], v[83:84], v[81:82]
	buffer_load_dword v94, off, s[0:3], 0 offset:156
	buffer_load_dword v95, off, s[0:3], 0 offset:176
	;; [unrolled: 1-line block ×8, first 2 shown]
	s_waitcnt vmcnt(24) lgkmcnt(0)
	v_fma_f64 v[81:82], v[101:102], v[85:86], v[81:82]
	s_waitcnt vmcnt(19)
	v_fma_f64 v[101:102], v[103:104], v[87:88], v[81:82]
	ds_read_b128 v[81:84], v80 offset:416
	ds_read_b128 v[85:88], v80 offset:432
	s_waitcnt vmcnt(18) lgkmcnt(1)
	v_fma_f64 v[81:82], v[109:110], v[81:82], v[101:102]
	s_waitcnt vmcnt(17)
	v_fma_f64 v[81:82], v[107:108], v[83:84], v[81:82]
	buffer_load_dword v102, off, s[0:3], 0 offset:188
	buffer_load_dword v103, off, s[0:3], 0 offset:208
	;; [unrolled: 1-line block ×7, first 2 shown]
	s_waitcnt vmcnt(23) lgkmcnt(0)
	v_fma_f64 v[81:82], v[105:106], v[85:86], v[81:82]
	s_waitcnt vmcnt(18)
	v_fma_f64 v[89:90], v[89:90], v[87:88], v[81:82]
	ds_read_b128 v[81:84], v80 offset:448
	ds_read_b128 v[85:88], v80 offset:464
	buffer_load_dword v104, off, s[0:3], 0 offset:212
	s_waitcnt vmcnt(18) lgkmcnt(1)
	v_fma_f64 v[81:82], v[113:114], v[81:82], v[89:90]
	s_waitcnt vmcnt(17)
	v_fma_f64 v[81:82], v[111:112], v[83:84], v[81:82]
	buffer_load_dword v90, off, s[0:3], 0 offset:220
	buffer_load_dword v105, off, s[0:3], 0 offset:240
	;; [unrolled: 1-line block ×8, first 2 shown]
	s_waitcnt vmcnt(24) lgkmcnt(0)
	v_fma_f64 v[81:82], v[91:92], v[85:86], v[81:82]
	s_waitcnt vmcnt(19)
	v_fma_f64 v[91:92], v[93:94], v[87:88], v[81:82]
	ds_read_b128 v[81:84], v80 offset:480
	ds_read_b128 v[85:88], v80 offset:496
	s_waitcnt vmcnt(18) lgkmcnt(1)
	v_fma_f64 v[81:82], v[99:100], v[81:82], v[91:92]
	s_waitcnt vmcnt(17)
	v_fma_f64 v[81:82], v[97:98], v[83:84], v[81:82]
	buffer_load_dword v92, off, s[0:3], 0 offset:252
	buffer_load_dword v93, off, s[0:3], 0 offset:272
	;; [unrolled: 1-line block ×7, first 2 shown]
	s_waitcnt vmcnt(23) lgkmcnt(0)
	v_fma_f64 v[81:82], v[95:96], v[85:86], v[81:82]
	s_waitcnt vmcnt(18)
	v_fma_f64 v[94:95], v[101:102], v[87:88], v[81:82]
	ds_read_b128 v[81:84], v80 offset:512
	ds_read_b128 v[85:88], v80 offset:528
	s_waitcnt vmcnt(17) lgkmcnt(1)
	v_fma_f64 v[81:82], v[109:110], v[81:82], v[94:95]
	buffer_load_dword v94, off, s[0:3], 0 offset:276
	s_waitcnt vmcnt(17)
	v_fma_f64 v[81:82], v[107:108], v[83:84], v[81:82]
	buffer_load_dword v96, off, s[0:3], 0 offset:284
	buffer_load_dword v101, off, s[0:3], 0 offset:304
	buffer_load_dword v107, off, s[0:3], 0 offset:296
	buffer_load_dword v109, off, s[0:3], 0 offset:288
	buffer_load_dword v95, off, s[0:3], 0 offset:280
	buffer_load_dword v110, off, s[0:3], 0 offset:292
	buffer_load_dword v108, off, s[0:3], 0 offset:300
	buffer_load_dword v102, off, s[0:3], 0 offset:308
	s_waitcnt vmcnt(24) lgkmcnt(0)
	v_fma_f64 v[81:82], v[103:104], v[85:86], v[81:82]
	s_waitcnt vmcnt(19)
	v_fma_f64 v[89:90], v[89:90], v[87:88], v[81:82]
	ds_read_b128 v[81:84], v80 offset:544
	ds_read_b128 v[85:88], v80 offset:560
	s_waitcnt vmcnt(18) lgkmcnt(1)
	v_fma_f64 v[81:82], v[113:114], v[81:82], v[89:90]
	buffer_load_dword v89, off, s[0:3], 0 offset:24
	buffer_load_dword v90, off, s[0:3], 0 offset:28
	s_waitcnt vmcnt(19)
	v_fma_f64 v[81:82], v[111:112], v[83:84], v[81:82]
	s_waitcnt vmcnt(18) lgkmcnt(0)
	v_fma_f64 v[81:82], v[105:106], v[85:86], v[81:82]
	s_waitcnt vmcnt(13)
	v_fma_f64 v[91:92], v[91:92], v[87:88], v[81:82]
	ds_read_b128 v[81:84], v80 offset:576
	ds_read_b128 v[85:88], v80 offset:592
	s_waitcnt vmcnt(12) lgkmcnt(1)
	v_fma_f64 v[81:82], v[99:100], v[81:82], v[91:92]
	s_waitcnt vmcnt(11)
	v_fma_f64 v[81:82], v[97:98], v[83:84], v[81:82]
	s_waitcnt vmcnt(10) lgkmcnt(0)
	v_fma_f64 v[81:82], v[93:94], v[85:86], v[81:82]
	s_waitcnt vmcnt(5)
	v_fma_f64 v[85:86], v[95:96], v[87:88], v[81:82]
	ds_read_b128 v[81:84], v80 offset:608
	ds_read_b64 v[87:88], v80 offset:624
	s_waitcnt vmcnt(4) lgkmcnt(1)
	v_fma_f64 v[81:82], v[109:110], v[81:82], v[85:86]
	s_waitcnt vmcnt(3)
	v_fma_f64 v[81:82], v[107:108], v[83:84], v[81:82]
	s_waitcnt vmcnt(2) lgkmcnt(0)
	v_fma_f64 v[81:82], v[101:102], v[87:88], v[81:82]
	s_waitcnt vmcnt(0)
	v_add_f64 v[81:82], v[89:90], -v[81:82]
	buffer_store_dword v82, off, s[0:3], 0 offset:28
	buffer_store_dword v81, off, s[0:3], 0 offset:24
	s_and_saveexec_b64 s[4:5], vcc
	s_cbranch_execz .LBB38_237
; %bb.236:
	buffer_load_dword v81, off, s[0:3], 0 offset:16
	buffer_load_dword v82, off, s[0:3], 0 offset:20
	s_waitcnt vmcnt(0)
	ds_write_b64 v79, v[81:82]
	buffer_store_dword v80, off, s[0:3], 0 offset:16
	buffer_store_dword v80, off, s[0:3], 0 offset:20
.LBB38_237:
	s_or_b64 exec, exec, s[4:5]
	s_waitcnt lgkmcnt(0)
	; wave barrier
	buffer_load_dword v89, off, s[0:3], 0 offset:24
	buffer_load_dword v90, off, s[0:3], 0 offset:28
	;; [unrolled: 1-line block ×21, first 2 shown]
	ds_read2_b64 v[81:84], v80 offset0:43 offset1:44
	ds_read2_b64 v[85:88], v80 offset0:45 offset1:46
	buffer_load_dword v106, off, s[0:3], 0 offset:108
	v_cmp_lt_u32_e32 vcc, 1, v0
	s_waitcnt vmcnt(20) lgkmcnt(1)
	v_fma_f64 v[81:82], v[89:90], v[81:82], 0
	s_waitcnt vmcnt(18)
	v_fma_f64 v[81:82], v[91:92], v[83:84], v[81:82]
	buffer_load_dword v90, off, s[0:3], 0 offset:116
	buffer_load_dword v91, off, s[0:3], 0 offset:136
	;; [unrolled: 1-line block ×7, first 2 shown]
	s_waitcnt vmcnt(23) lgkmcnt(0)
	v_fma_f64 v[81:82], v[93:94], v[85:86], v[81:82]
	s_waitcnt vmcnt(21)
	v_fma_f64 v[92:93], v[95:96], v[87:88], v[81:82]
	ds_read2_b64 v[81:84], v80 offset0:47 offset1:48
	ds_read2_b64 v[85:88], v80 offset0:49 offset1:50
	s_waitcnt vmcnt(19) lgkmcnt(1)
	v_fma_f64 v[81:82], v[97:98], v[81:82], v[92:93]
	buffer_load_dword v92, off, s[0:3], 0 offset:140
	s_waitcnt vmcnt(18)
	v_fma_f64 v[81:82], v[99:100], v[83:84], v[81:82]
	buffer_load_dword v94, off, s[0:3], 0 offset:148
	buffer_load_dword v95, off, s[0:3], 0 offset:168
	;; [unrolled: 1-line block ×8, first 2 shown]
	s_waitcnt vmcnt(24) lgkmcnt(0)
	v_fma_f64 v[81:82], v[101:102], v[85:86], v[81:82]
	s_waitcnt vmcnt(19)
	v_fma_f64 v[101:102], v[103:104], v[87:88], v[81:82]
	ds_read2_b64 v[81:84], v80 offset0:51 offset1:52
	ds_read2_b64 v[85:88], v80 offset0:53 offset1:54
	s_waitcnt vmcnt(18) lgkmcnt(1)
	v_fma_f64 v[81:82], v[109:110], v[81:82], v[101:102]
	s_waitcnt vmcnt(17)
	v_fma_f64 v[81:82], v[107:108], v[83:84], v[81:82]
	buffer_load_dword v102, off, s[0:3], 0 offset:180
	buffer_load_dword v103, off, s[0:3], 0 offset:200
	;; [unrolled: 1-line block ×7, first 2 shown]
	s_waitcnt vmcnt(23) lgkmcnt(0)
	v_fma_f64 v[81:82], v[105:106], v[85:86], v[81:82]
	s_waitcnt vmcnt(18)
	v_fma_f64 v[89:90], v[89:90], v[87:88], v[81:82]
	ds_read2_b64 v[81:84], v80 offset0:55 offset1:56
	ds_read2_b64 v[85:88], v80 offset0:57 offset1:58
	buffer_load_dword v104, off, s[0:3], 0 offset:204
	s_waitcnt vmcnt(18) lgkmcnt(1)
	v_fma_f64 v[81:82], v[113:114], v[81:82], v[89:90]
	s_waitcnt vmcnt(17)
	v_fma_f64 v[81:82], v[111:112], v[83:84], v[81:82]
	buffer_load_dword v90, off, s[0:3], 0 offset:212
	buffer_load_dword v105, off, s[0:3], 0 offset:232
	;; [unrolled: 1-line block ×8, first 2 shown]
	s_waitcnt vmcnt(24) lgkmcnt(0)
	v_fma_f64 v[81:82], v[91:92], v[85:86], v[81:82]
	s_waitcnt vmcnt(19)
	v_fma_f64 v[91:92], v[93:94], v[87:88], v[81:82]
	ds_read2_b64 v[81:84], v80 offset0:59 offset1:60
	ds_read2_b64 v[85:88], v80 offset0:61 offset1:62
	s_waitcnt vmcnt(18) lgkmcnt(1)
	v_fma_f64 v[81:82], v[99:100], v[81:82], v[91:92]
	s_waitcnt vmcnt(17)
	v_fma_f64 v[81:82], v[97:98], v[83:84], v[81:82]
	buffer_load_dword v92, off, s[0:3], 0 offset:244
	buffer_load_dword v93, off, s[0:3], 0 offset:264
	;; [unrolled: 1-line block ×7, first 2 shown]
	s_waitcnt vmcnt(23) lgkmcnt(0)
	v_fma_f64 v[81:82], v[95:96], v[85:86], v[81:82]
	s_waitcnt vmcnt(18)
	v_fma_f64 v[94:95], v[101:102], v[87:88], v[81:82]
	ds_read2_b64 v[81:84], v80 offset0:63 offset1:64
	ds_read2_b64 v[85:88], v80 offset0:65 offset1:66
	s_waitcnt vmcnt(17) lgkmcnt(1)
	v_fma_f64 v[81:82], v[109:110], v[81:82], v[94:95]
	buffer_load_dword v94, off, s[0:3], 0 offset:268
	s_waitcnt vmcnt(17)
	v_fma_f64 v[81:82], v[107:108], v[83:84], v[81:82]
	buffer_load_dword v96, off, s[0:3], 0 offset:276
	buffer_load_dword v101, off, s[0:3], 0 offset:296
	buffer_load_dword v107, off, s[0:3], 0 offset:288
	buffer_load_dword v109, off, s[0:3], 0 offset:280
	buffer_load_dword v95, off, s[0:3], 0 offset:272
	buffer_load_dword v110, off, s[0:3], 0 offset:284
	buffer_load_dword v108, off, s[0:3], 0 offset:292
	buffer_load_dword v102, off, s[0:3], 0 offset:300
	s_waitcnt vmcnt(24) lgkmcnt(0)
	v_fma_f64 v[81:82], v[103:104], v[85:86], v[81:82]
	s_waitcnt vmcnt(19)
	v_fma_f64 v[89:90], v[89:90], v[87:88], v[81:82]
	ds_read2_b64 v[81:84], v80 offset0:67 offset1:68
	ds_read2_b64 v[85:88], v80 offset0:69 offset1:70
	s_waitcnt vmcnt(18) lgkmcnt(1)
	v_fma_f64 v[81:82], v[113:114], v[81:82], v[89:90]
	buffer_load_dword v90, off, s[0:3], 0 offset:308
	buffer_load_dword v89, off, s[0:3], 0 offset:304
	;; [unrolled: 1-line block ×4, first 2 shown]
	s_waitcnt vmcnt(21)
	v_fma_f64 v[81:82], v[111:112], v[83:84], v[81:82]
	s_waitcnt vmcnt(20) lgkmcnt(0)
	v_fma_f64 v[81:82], v[105:106], v[85:86], v[81:82]
	s_waitcnt vmcnt(15)
	v_fma_f64 v[91:92], v[91:92], v[87:88], v[81:82]
	ds_read2_b64 v[81:84], v80 offset0:71 offset1:72
	ds_read2_b64 v[85:88], v80 offset0:73 offset1:74
	s_waitcnt vmcnt(14) lgkmcnt(1)
	v_fma_f64 v[81:82], v[99:100], v[81:82], v[91:92]
	s_waitcnt vmcnt(13)
	v_fma_f64 v[81:82], v[97:98], v[83:84], v[81:82]
	s_waitcnt vmcnt(12) lgkmcnt(0)
	v_fma_f64 v[81:82], v[93:94], v[85:86], v[81:82]
	s_waitcnt vmcnt(7)
	v_fma_f64 v[91:92], v[95:96], v[87:88], v[81:82]
	ds_read2_b64 v[81:84], v80 offset0:75 offset1:76
	ds_read2_b64 v[85:88], v80 offset0:77 offset1:78
	s_waitcnt vmcnt(6) lgkmcnt(1)
	v_fma_f64 v[80:81], v[109:110], v[81:82], v[91:92]
	s_waitcnt vmcnt(5)
	v_fma_f64 v[80:81], v[107:108], v[83:84], v[80:81]
	s_waitcnt vmcnt(4) lgkmcnt(0)
	v_fma_f64 v[80:81], v[101:102], v[85:86], v[80:81]
	s_waitcnt vmcnt(2)
	v_fma_f64 v[80:81], v[89:90], v[87:88], v[80:81]
	s_waitcnt vmcnt(0)
	v_add_f64 v[80:81], v[103:104], -v[80:81]
	buffer_store_dword v81, off, s[0:3], 0 offset:20
	buffer_store_dword v80, off, s[0:3], 0 offset:16
	s_and_saveexec_b64 s[4:5], vcc
	s_cbranch_execz .LBB38_239
; %bb.238:
	buffer_load_dword v80, off, s[0:3], 0 offset:8
	buffer_load_dword v81, off, s[0:3], 0 offset:12
	v_mov_b32_e32 v82, 0
	buffer_store_dword v82, off, s[0:3], 0 offset:8
	buffer_store_dword v82, off, s[0:3], 0 offset:12
	s_waitcnt vmcnt(2)
	ds_write_b64 v79, v[80:81]
.LBB38_239:
	s_or_b64 exec, exec, s[4:5]
	s_waitcnt lgkmcnt(0)
	; wave barrier
	buffer_load_dword v89, off, s[0:3], 0 offset:16
	buffer_load_dword v90, off, s[0:3], 0 offset:20
	;; [unrolled: 1-line block ×21, first 2 shown]
	v_mov_b32_e32 v80, 0
	ds_read_b128 v[81:84], v80 offset:336
	ds_read_b128 v[85:88], v80 offset:352
	buffer_load_dword v106, off, s[0:3], 0 offset:100
	v_cmp_ne_u32_e32 vcc, 0, v0
	s_waitcnt vmcnt(20) lgkmcnt(1)
	v_fma_f64 v[81:82], v[89:90], v[81:82], 0
	s_waitcnt vmcnt(18)
	v_fma_f64 v[81:82], v[91:92], v[83:84], v[81:82]
	buffer_load_dword v90, off, s[0:3], 0 offset:108
	buffer_load_dword v91, off, s[0:3], 0 offset:128
	;; [unrolled: 1-line block ×7, first 2 shown]
	s_waitcnt vmcnt(23) lgkmcnt(0)
	v_fma_f64 v[81:82], v[93:94], v[85:86], v[81:82]
	s_waitcnt vmcnt(21)
	v_fma_f64 v[92:93], v[95:96], v[87:88], v[81:82]
	ds_read_b128 v[81:84], v80 offset:368
	ds_read_b128 v[85:88], v80 offset:384
	s_waitcnt vmcnt(19) lgkmcnt(1)
	v_fma_f64 v[81:82], v[97:98], v[81:82], v[92:93]
	buffer_load_dword v92, off, s[0:3], 0 offset:132
	s_waitcnt vmcnt(18)
	v_fma_f64 v[81:82], v[99:100], v[83:84], v[81:82]
	buffer_load_dword v94, off, s[0:3], 0 offset:140
	buffer_load_dword v95, off, s[0:3], 0 offset:160
	buffer_load_dword v97, off, s[0:3], 0 offset:152
	buffer_load_dword v99, off, s[0:3], 0 offset:144
	buffer_load_dword v93, off, s[0:3], 0 offset:136
	buffer_load_dword v100, off, s[0:3], 0 offset:148
	buffer_load_dword v98, off, s[0:3], 0 offset:156
	buffer_load_dword v96, off, s[0:3], 0 offset:164
	s_waitcnt vmcnt(24) lgkmcnt(0)
	v_fma_f64 v[81:82], v[101:102], v[85:86], v[81:82]
	s_waitcnt vmcnt(19)
	v_fma_f64 v[101:102], v[103:104], v[87:88], v[81:82]
	ds_read_b128 v[81:84], v80 offset:400
	ds_read_b128 v[85:88], v80 offset:416
	s_waitcnt vmcnt(18) lgkmcnt(1)
	v_fma_f64 v[81:82], v[109:110], v[81:82], v[101:102]
	s_waitcnt vmcnt(17)
	v_fma_f64 v[81:82], v[107:108], v[83:84], v[81:82]
	buffer_load_dword v102, off, s[0:3], 0 offset:172
	buffer_load_dword v103, off, s[0:3], 0 offset:192
	;; [unrolled: 1-line block ×7, first 2 shown]
	s_waitcnt vmcnt(23) lgkmcnt(0)
	v_fma_f64 v[81:82], v[105:106], v[85:86], v[81:82]
	s_waitcnt vmcnt(18)
	v_fma_f64 v[89:90], v[89:90], v[87:88], v[81:82]
	ds_read_b128 v[81:84], v80 offset:432
	ds_read_b128 v[85:88], v80 offset:448
	buffer_load_dword v104, off, s[0:3], 0 offset:196
	s_waitcnt vmcnt(18) lgkmcnt(1)
	v_fma_f64 v[81:82], v[113:114], v[81:82], v[89:90]
	s_waitcnt vmcnt(17)
	v_fma_f64 v[81:82], v[111:112], v[83:84], v[81:82]
	buffer_load_dword v90, off, s[0:3], 0 offset:204
	buffer_load_dword v105, off, s[0:3], 0 offset:224
	;; [unrolled: 1-line block ×7, first 2 shown]
	s_waitcnt vmcnt(23) lgkmcnt(0)
	v_fma_f64 v[81:82], v[91:92], v[85:86], v[81:82]
	s_waitcnt vmcnt(18)
	v_fma_f64 v[91:92], v[93:94], v[87:88], v[81:82]
	ds_read_b128 v[81:84], v80 offset:464
	ds_read_b128 v[85:88], v80 offset:480
	buffer_load_dword v106, off, s[0:3], 0 offset:228
	s_waitcnt vmcnt(18) lgkmcnt(1)
	v_fma_f64 v[81:82], v[99:100], v[81:82], v[91:92]
	s_waitcnt vmcnt(17)
	v_fma_f64 v[81:82], v[97:98], v[83:84], v[81:82]
	buffer_load_dword v92, off, s[0:3], 0 offset:236
	buffer_load_dword v93, off, s[0:3], 0 offset:256
	;; [unrolled: 1-line block ×7, first 2 shown]
	s_waitcnt vmcnt(23) lgkmcnt(0)
	v_fma_f64 v[81:82], v[95:96], v[85:86], v[81:82]
	s_waitcnt vmcnt(18)
	v_fma_f64 v[94:95], v[101:102], v[87:88], v[81:82]
	ds_read_b128 v[81:84], v80 offset:496
	ds_read_b128 v[85:88], v80 offset:512
	s_waitcnt vmcnt(17) lgkmcnt(1)
	v_fma_f64 v[81:82], v[109:110], v[81:82], v[94:95]
	buffer_load_dword v94, off, s[0:3], 0 offset:260
	s_waitcnt vmcnt(17)
	v_fma_f64 v[81:82], v[107:108], v[83:84], v[81:82]
	buffer_load_dword v96, off, s[0:3], 0 offset:268
	buffer_load_dword v101, off, s[0:3], 0 offset:288
	;; [unrolled: 1-line block ×7, first 2 shown]
	s_waitcnt vmcnt(23) lgkmcnt(0)
	v_fma_f64 v[81:82], v[103:104], v[85:86], v[81:82]
	s_waitcnt vmcnt(18)
	v_fma_f64 v[89:90], v[89:90], v[87:88], v[81:82]
	ds_read_b128 v[81:84], v80 offset:528
	ds_read_b128 v[85:88], v80 offset:544
	buffer_load_dword v102, off, s[0:3], 0 offset:292
	s_waitcnt vmcnt(18) lgkmcnt(1)
	v_fma_f64 v[81:82], v[113:114], v[81:82], v[89:90]
	buffer_load_dword v90, off, s[0:3], 0 offset:300
	buffer_load_dword v103, off, s[0:3], 0 offset:304
	buffer_load_dword v89, off, s[0:3], 0 offset:296
	buffer_load_dword v104, off, s[0:3], 0 offset:308
	s_waitcnt vmcnt(21)
	v_fma_f64 v[81:82], v[111:112], v[83:84], v[81:82]
	s_waitcnt vmcnt(20) lgkmcnt(0)
	v_fma_f64 v[81:82], v[105:106], v[85:86], v[81:82]
	buffer_load_dword v105, off, s[0:3], 0 offset:8
	buffer_load_dword v106, off, s[0:3], 0 offset:12
	s_waitcnt vmcnt(17)
	v_fma_f64 v[91:92], v[91:92], v[87:88], v[81:82]
	ds_read_b128 v[81:84], v80 offset:560
	ds_read_b128 v[85:88], v80 offset:576
	s_waitcnt vmcnt(16) lgkmcnt(1)
	v_fma_f64 v[81:82], v[99:100], v[81:82], v[91:92]
	s_waitcnt vmcnt(15)
	v_fma_f64 v[81:82], v[97:98], v[83:84], v[81:82]
	s_waitcnt vmcnt(14) lgkmcnt(0)
	v_fma_f64 v[81:82], v[93:94], v[85:86], v[81:82]
	s_waitcnt vmcnt(9)
	v_fma_f64 v[91:92], v[95:96], v[87:88], v[81:82]
	ds_read_b128 v[81:84], v80 offset:592
	ds_read_b128 v[85:88], v80 offset:608
	s_waitcnt vmcnt(8) lgkmcnt(1)
	v_fma_f64 v[81:82], v[109:110], v[81:82], v[91:92]
	s_waitcnt vmcnt(7)
	v_fma_f64 v[81:82], v[107:108], v[83:84], v[81:82]
	ds_read_b64 v[83:84], v80 offset:624
	s_waitcnt vmcnt(6) lgkmcnt(1)
	v_fma_f64 v[81:82], v[101:102], v[85:86], v[81:82]
	s_waitcnt vmcnt(3)
	v_fma_f64 v[81:82], v[89:90], v[87:88], v[81:82]
	s_waitcnt vmcnt(2) lgkmcnt(0)
	v_fma_f64 v[81:82], v[103:104], v[83:84], v[81:82]
	s_waitcnt vmcnt(0)
	v_add_f64 v[81:82], v[105:106], -v[81:82]
	buffer_store_dword v82, off, s[0:3], 0 offset:12
	buffer_store_dword v81, off, s[0:3], 0 offset:8
	s_and_saveexec_b64 s[4:5], vcc
	s_cbranch_execz .LBB38_241
; %bb.240:
	buffer_load_dword v81, off, s[0:3], 0
	buffer_load_dword v82, off, s[0:3], 0 offset:4
	s_waitcnt vmcnt(0)
	ds_write_b64 v79, v[81:82]
	buffer_store_dword v80, off, s[0:3], 0
	buffer_store_dword v80, off, s[0:3], 0 offset:4
.LBB38_241:
	s_or_b64 exec, exec, s[4:5]
	s_waitcnt lgkmcnt(0)
	; wave barrier
	buffer_load_dword v89, off, s[0:3], 0 offset:8
	buffer_load_dword v90, off, s[0:3], 0 offset:12
	;; [unrolled: 1-line block ×22, first 2 shown]
	ds_read2_b64 v[81:84], v80 offset0:41 offset1:42
	ds_read2_b64 v[85:88], v80 offset0:43 offset1:44
	s_and_b64 vcc, exec, s[22:23]
	s_waitcnt vmcnt(20) lgkmcnt(1)
	v_fma_f64 v[81:82], v[89:90], v[81:82], 0
	s_waitcnt vmcnt(18)
	v_fma_f64 v[81:82], v[91:92], v[83:84], v[81:82]
	buffer_load_dword v90, off, s[0:3], 0 offset:100
	buffer_load_dword v91, off, s[0:3], 0 offset:120
	;; [unrolled: 1-line block ×7, first 2 shown]
	s_waitcnt vmcnt(23) lgkmcnt(0)
	v_fma_f64 v[81:82], v[93:94], v[85:86], v[81:82]
	s_waitcnt vmcnt(21)
	v_fma_f64 v[92:93], v[95:96], v[87:88], v[81:82]
	ds_read2_b64 v[81:84], v80 offset0:45 offset1:46
	ds_read2_b64 v[85:88], v80 offset0:47 offset1:48
	s_waitcnt vmcnt(19) lgkmcnt(1)
	v_fma_f64 v[81:82], v[97:98], v[81:82], v[92:93]
	buffer_load_dword v92, off, s[0:3], 0 offset:124
	s_waitcnt vmcnt(18)
	v_fma_f64 v[81:82], v[99:100], v[83:84], v[81:82]
	buffer_load_dword v94, off, s[0:3], 0 offset:132
	buffer_load_dword v95, off, s[0:3], 0 offset:152
	;; [unrolled: 1-line block ×8, first 2 shown]
	s_waitcnt vmcnt(24) lgkmcnt(0)
	v_fma_f64 v[81:82], v[101:102], v[85:86], v[81:82]
	s_waitcnt vmcnt(19)
	v_fma_f64 v[101:102], v[103:104], v[87:88], v[81:82]
	ds_read2_b64 v[81:84], v80 offset0:49 offset1:50
	ds_read2_b64 v[85:88], v80 offset0:51 offset1:52
	s_waitcnt vmcnt(18) lgkmcnt(1)
	v_fma_f64 v[81:82], v[109:110], v[81:82], v[101:102]
	s_waitcnt vmcnt(17)
	v_fma_f64 v[81:82], v[107:108], v[83:84], v[81:82]
	buffer_load_dword v102, off, s[0:3], 0 offset:164
	buffer_load_dword v103, off, s[0:3], 0 offset:184
	;; [unrolled: 1-line block ×8, first 2 shown]
	s_waitcnt vmcnt(24) lgkmcnt(0)
	v_fma_f64 v[81:82], v[105:106], v[85:86], v[81:82]
	s_waitcnt vmcnt(19)
	v_fma_f64 v[89:90], v[89:90], v[87:88], v[81:82]
	ds_read2_b64 v[81:84], v80 offset0:53 offset1:54
	ds_read2_b64 v[85:88], v80 offset0:55 offset1:56
	s_waitcnt vmcnt(18) lgkmcnt(1)
	v_fma_f64 v[81:82], v[113:114], v[81:82], v[89:90]
	s_waitcnt vmcnt(17)
	v_fma_f64 v[81:82], v[111:112], v[83:84], v[81:82]
	buffer_load_dword v90, off, s[0:3], 0 offset:196
	buffer_load_dword v105, off, s[0:3], 0 offset:216
	;; [unrolled: 1-line block ×7, first 2 shown]
	s_waitcnt vmcnt(23) lgkmcnt(0)
	v_fma_f64 v[81:82], v[91:92], v[85:86], v[81:82]
	s_waitcnt vmcnt(18)
	v_fma_f64 v[91:92], v[93:94], v[87:88], v[81:82]
	ds_read2_b64 v[81:84], v80 offset0:57 offset1:58
	ds_read2_b64 v[85:88], v80 offset0:59 offset1:60
	buffer_load_dword v106, off, s[0:3], 0 offset:220
	s_waitcnt vmcnt(18) lgkmcnt(1)
	v_fma_f64 v[81:82], v[99:100], v[81:82], v[91:92]
	s_waitcnt vmcnt(17)
	v_fma_f64 v[81:82], v[97:98], v[83:84], v[81:82]
	buffer_load_dword v92, off, s[0:3], 0 offset:228
	buffer_load_dword v93, off, s[0:3], 0 offset:248
	;; [unrolled: 1-line block ×7, first 2 shown]
	s_waitcnt vmcnt(23) lgkmcnt(0)
	v_fma_f64 v[81:82], v[95:96], v[85:86], v[81:82]
	s_waitcnt vmcnt(18)
	v_fma_f64 v[94:95], v[101:102], v[87:88], v[81:82]
	ds_read2_b64 v[81:84], v80 offset0:61 offset1:62
	ds_read2_b64 v[85:88], v80 offset0:63 offset1:64
	s_waitcnt vmcnt(17) lgkmcnt(1)
	v_fma_f64 v[81:82], v[109:110], v[81:82], v[94:95]
	buffer_load_dword v94, off, s[0:3], 0 offset:252
	s_waitcnt vmcnt(17)
	v_fma_f64 v[81:82], v[107:108], v[83:84], v[81:82]
	buffer_load_dword v96, off, s[0:3], 0 offset:260
	buffer_load_dword v101, off, s[0:3], 0 offset:280
	;; [unrolled: 1-line block ×8, first 2 shown]
	s_waitcnt vmcnt(24) lgkmcnt(0)
	v_fma_f64 v[81:82], v[103:104], v[85:86], v[81:82]
	s_waitcnt vmcnt(19)
	v_fma_f64 v[89:90], v[89:90], v[87:88], v[81:82]
	ds_read2_b64 v[81:84], v80 offset0:65 offset1:66
	ds_read2_b64 v[85:88], v80 offset0:67 offset1:68
	s_waitcnt vmcnt(18) lgkmcnt(1)
	v_fma_f64 v[81:82], v[113:114], v[81:82], v[89:90]
	s_waitcnt vmcnt(17)
	v_fma_f64 v[82:83], v[111:112], v[83:84], v[81:82]
	buffer_load_dword v104, off, s[0:3], 0 offset:292
	buffer_load_dword v111, off, s[0:3], 0 offset:304
	;; [unrolled: 1-line block ×4, first 2 shown]
	s_waitcnt vmcnt(20) lgkmcnt(0)
	v_fma_f64 v[83:84], v[105:106], v[85:86], v[82:83]
	buffer_load_dword v82, off, s[0:3], 0 offset:300
	buffer_load_dword v112, off, s[0:3], 0 offset:308
	s_waitcnt vmcnt(17)
	v_fma_f64 v[91:92], v[91:92], v[87:88], v[83:84]
	ds_read2_b64 v[83:86], v80 offset0:69 offset1:70
	buffer_load_dword v105, off, s[0:3], 0
	buffer_load_dword v106, off, s[0:3], 0 offset:4
	ds_read2_b64 v[87:90], v80 offset0:71 offset1:72
	s_waitcnt vmcnt(18) lgkmcnt(1)
	v_fma_f64 v[83:84], v[99:100], v[83:84], v[91:92]
	s_waitcnt vmcnt(17)
	v_fma_f64 v[83:84], v[97:98], v[85:86], v[83:84]
	s_waitcnt vmcnt(16) lgkmcnt(0)
	v_fma_f64 v[83:84], v[93:94], v[87:88], v[83:84]
	s_waitcnt vmcnt(11)
	v_fma_f64 v[91:92], v[95:96], v[89:90], v[83:84]
	ds_read2_b64 v[83:86], v80 offset0:73 offset1:74
	ds_read2_b64 v[87:90], v80 offset0:75 offset1:76
	s_waitcnt vmcnt(10) lgkmcnt(1)
	v_fma_f64 v[83:84], v[109:110], v[83:84], v[91:92]
	s_waitcnt vmcnt(9)
	v_fma_f64 v[83:84], v[107:108], v[85:86], v[83:84]
	s_waitcnt vmcnt(8) lgkmcnt(0)
	v_fma_f64 v[83:84], v[101:102], v[87:88], v[83:84]
	s_waitcnt vmcnt(4)
	v_fma_f64 v[87:88], v[103:104], v[89:90], v[83:84]
	ds_read2_b64 v[83:86], v80 offset0:77 offset1:78
	s_waitcnt vmcnt(3) lgkmcnt(0)
	v_fma_f64 v[79:80], v[81:82], v[83:84], v[87:88]
	s_waitcnt vmcnt(2)
	v_fma_f64 v[79:80], v[111:112], v[85:86], v[79:80]
	s_waitcnt vmcnt(0)
	v_add_f64 v[79:80], v[105:106], -v[79:80]
	buffer_store_dword v80, off, s[0:3], 0 offset:4
	buffer_store_dword v79, off, s[0:3], 0
	s_cbranch_vccz .LBB38_318
; %bb.242:
	v_mov_b32_e32 v0, 0
	global_load_dword v79, v0, s[20:21] offset:148
	s_waitcnt vmcnt(0)
	v_add_u32_e32 v79, -1, v79
	v_cmp_ne_u32_e32 vcc, 37, v79
	s_cbranch_vccz .LBB38_244
; %bb.243:
	v_lshlrev_b32_e32 v79, 3, v79
	buffer_load_dword v80, v79, s[0:3], 0 offen
	buffer_load_dword v83, v79, s[0:3], 0 offen offset:4
	s_waitcnt vmcnt(1)
	buffer_store_dword v80, off, s[0:3], 0 offset:296
	s_waitcnt vmcnt(1)
	buffer_store_dword v83, off, s[0:3], 0 offset:300
	buffer_store_dword v81, v79, s[0:3], 0 offen
	buffer_store_dword v82, v79, s[0:3], 0 offen offset:4
.LBB38_244:
	global_load_dword v0, v0, s[20:21] offset:144
	s_waitcnt vmcnt(0)
	v_add_u32_e32 v0, -1, v0
	v_cmp_eq_u32_e32 vcc, 36, v0
	s_cbranch_vccnz .LBB38_246
; %bb.245:
	v_lshlrev_b32_e32 v0, 3, v0
	buffer_load_dword v79, v0, s[0:3], 0 offen
	buffer_load_dword v80, v0, s[0:3], 0 offen offset:4
	buffer_load_dword v81, off, s[0:3], 0 offset:292
	buffer_load_dword v82, off, s[0:3], 0 offset:288
	s_waitcnt vmcnt(3)
	buffer_store_dword v79, off, s[0:3], 0 offset:288
	s_waitcnt vmcnt(3)
	buffer_store_dword v80, off, s[0:3], 0 offset:292
	s_waitcnt vmcnt(3)
	buffer_store_dword v81, v0, s[0:3], 0 offen offset:4
	s_waitcnt vmcnt(3)
	buffer_store_dword v82, v0, s[0:3], 0 offen
.LBB38_246:
	v_mov_b32_e32 v0, 0
	global_load_dword v79, v0, s[20:21] offset:140
	s_waitcnt vmcnt(0)
	v_add_u32_e32 v79, -1, v79
	v_cmp_eq_u32_e32 vcc, 35, v79
	s_cbranch_vccnz .LBB38_248
; %bb.247:
	v_lshlrev_b32_e32 v79, 3, v79
	buffer_load_dword v80, v79, s[0:3], 0 offen
	buffer_load_dword v81, v79, s[0:3], 0 offen offset:4
	buffer_load_dword v82, off, s[0:3], 0 offset:280
	buffer_load_dword v83, off, s[0:3], 0 offset:284
	s_waitcnt vmcnt(3)
	buffer_store_dword v80, off, s[0:3], 0 offset:280
	s_waitcnt vmcnt(3)
	buffer_store_dword v81, off, s[0:3], 0 offset:284
	s_waitcnt vmcnt(3)
	buffer_store_dword v82, v79, s[0:3], 0 offen
	s_waitcnt vmcnt(3)
	buffer_store_dword v83, v79, s[0:3], 0 offen offset:4
.LBB38_248:
	global_load_dword v0, v0, s[20:21] offset:136
	s_waitcnt vmcnt(0)
	v_add_u32_e32 v0, -1, v0
	v_cmp_eq_u32_e32 vcc, 34, v0
	s_cbranch_vccnz .LBB38_250
; %bb.249:
	v_lshlrev_b32_e32 v0, 3, v0
	buffer_load_dword v79, v0, s[0:3], 0 offen
	buffer_load_dword v80, v0, s[0:3], 0 offen offset:4
	buffer_load_dword v81, off, s[0:3], 0 offset:276
	buffer_load_dword v82, off, s[0:3], 0 offset:272
	s_waitcnt vmcnt(3)
	buffer_store_dword v79, off, s[0:3], 0 offset:272
	s_waitcnt vmcnt(3)
	buffer_store_dword v80, off, s[0:3], 0 offset:276
	s_waitcnt vmcnt(3)
	buffer_store_dword v81, v0, s[0:3], 0 offen offset:4
	s_waitcnt vmcnt(3)
	buffer_store_dword v82, v0, s[0:3], 0 offen
.LBB38_250:
	v_mov_b32_e32 v0, 0
	global_load_dword v79, v0, s[20:21] offset:132
	s_waitcnt vmcnt(0)
	v_add_u32_e32 v79, -1, v79
	v_cmp_eq_u32_e32 vcc, 33, v79
	s_cbranch_vccnz .LBB38_252
; %bb.251:
	v_lshlrev_b32_e32 v79, 3, v79
	buffer_load_dword v80, v79, s[0:3], 0 offen
	buffer_load_dword v81, v79, s[0:3], 0 offen offset:4
	buffer_load_dword v82, off, s[0:3], 0 offset:264
	buffer_load_dword v83, off, s[0:3], 0 offset:268
	s_waitcnt vmcnt(3)
	buffer_store_dword v80, off, s[0:3], 0 offset:264
	s_waitcnt vmcnt(3)
	buffer_store_dword v81, off, s[0:3], 0 offset:268
	s_waitcnt vmcnt(3)
	buffer_store_dword v82, v79, s[0:3], 0 offen
	s_waitcnt vmcnt(3)
	buffer_store_dword v83, v79, s[0:3], 0 offen offset:4
.LBB38_252:
	;; [unrolled: 41-line block ×18, first 2 shown]
	global_load_dword v0, v0, s[20:21]
	s_nop 0
	buffer_load_dword v79, off, s[0:3], 0
	buffer_load_dword v80, off, s[0:3], 0 offset:4
	s_waitcnt vmcnt(2)
	v_add_u32_e32 v0, -1, v0
	v_cmp_eq_u32_e32 vcc, 0, v0
	s_cbranch_vccnz .LBB38_318
; %bb.317:
	v_lshlrev_b32_e32 v0, 3, v0
	buffer_load_dword v81, v0, s[0:3], 0 offen offset:4
	buffer_load_dword v82, v0, s[0:3], 0 offen
	s_waitcnt vmcnt(1)
	buffer_store_dword v81, off, s[0:3], 0 offset:4
	s_waitcnt vmcnt(1)
	buffer_store_dword v82, off, s[0:3], 0
	buffer_store_dword v80, v0, s[0:3], 0 offen offset:4
	buffer_store_dword v79, v0, s[0:3], 0 offen
	buffer_load_dword v79, off, s[0:3], 0
	s_nop 0
	buffer_load_dword v80, off, s[0:3], 0 offset:4
.LBB38_318:
	buffer_load_dword v81, off, s[0:3], 0 offset:8
	buffer_load_dword v82, off, s[0:3], 0 offset:12
	buffer_load_dword v83, off, s[0:3], 0 offset:16
	buffer_load_dword v84, off, s[0:3], 0 offset:20
	buffer_load_dword v85, off, s[0:3], 0 offset:24
	buffer_load_dword v86, off, s[0:3], 0 offset:28
	buffer_load_dword v87, off, s[0:3], 0 offset:32
	buffer_load_dword v88, off, s[0:3], 0 offset:36
	buffer_load_dword v89, off, s[0:3], 0 offset:40
	buffer_load_dword v90, off, s[0:3], 0 offset:44
	buffer_load_dword v91, off, s[0:3], 0 offset:48
	buffer_load_dword v92, off, s[0:3], 0 offset:52
	buffer_load_dword v93, off, s[0:3], 0 offset:56
	buffer_load_dword v94, off, s[0:3], 0 offset:60
	s_waitcnt vmcnt(14)
	global_store_dwordx2 v[17:18], v[79:80], off
	buffer_load_dword v17, off, s[0:3], 0 offset:64
	s_nop 0
	buffer_load_dword v18, off, s[0:3], 0 offset:68
	buffer_load_dword v79, off, s[0:3], 0 offset:72
	;; [unrolled: 1-line block ×33, first 2 shown]
	s_waitcnt vmcnt(47)
	global_store_dwordx2 v[1:2], v[81:82], off
	s_waitcnt vmcnt(46)
	global_store_dwordx2 v[5:6], v[83:84], off
	buffer_load_dword v0, off, s[0:3], 0 offset:200
	buffer_load_dword v1, off, s[0:3], 0 offset:204
	s_nop 0
	buffer_load_dword v5, off, s[0:3], 0 offset:208
	buffer_load_dword v6, off, s[0:3], 0 offset:212
	buffer_load_dword v81, off, s[0:3], 0 offset:216
	buffer_load_dword v82, off, s[0:3], 0 offset:220
	buffer_load_dword v83, off, s[0:3], 0 offset:224
	buffer_load_dword v84, off, s[0:3], 0 offset:228
	s_waitcnt vmcnt(53)
	global_store_dwordx2 v[3:4], v[85:86], off
	s_waitcnt vmcnt(52)
	global_store_dwordx2 v[7:8], v[87:88], off
	buffer_load_dword v2, off, s[0:3], 0 offset:232
	buffer_load_dword v3, off, s[0:3], 0 offset:236
	s_nop 0
	buffer_load_dword v7, off, s[0:3], 0 offset:240
	buffer_load_dword v8, off, s[0:3], 0 offset:244
	buffer_load_dword v85, off, s[0:3], 0 offset:248
	buffer_load_dword v86, off, s[0:3], 0 offset:252
	buffer_load_dword v87, off, s[0:3], 0 offset:256
	buffer_load_dword v88, off, s[0:3], 0 offset:260
	;; [unrolled: 13-line block ×3, first 2 shown]
	s_waitcnt vmcnt(62)
	global_store_dwordx2 v[11:12], v[93:94], off
	buffer_load_dword v11, off, s[0:3], 0 offset:296
	s_nop 0
	buffer_load_dword v12, off, s[0:3], 0 offset:300
	buffer_load_dword v93, off, s[0:3], 0 offset:304
	;; [unrolled: 1-line block ×3, first 2 shown]
	s_nop 0
	global_store_dwordx2 v[15:16], v[17:18], off
	s_waitcnt vmcnt(62)
	global_store_dwordx2 v[19:20], v[79:80], off
	global_store_dwordx2 v[21:22], v[95:96], off
	;; [unrolled: 1-line block ×3, first 2 shown]
	s_waitcnt vmcnt(62)
	global_store_dwordx2 v[25:26], v[99:100], off
	s_waitcnt vmcnt(62)
	global_store_dwordx2 v[27:28], v[101:102], off
	;; [unrolled: 2-line block ×27, first 2 shown]
	s_endpgm
	.section	.rodata,"a",@progbits
	.p2align	6, 0x0
	.amdhsa_kernel _ZN9rocsolver6v33100L18getri_kernel_smallILi39EdPdEEvT1_iilPiilS4_bb
		.amdhsa_group_segment_fixed_size 632
		.amdhsa_private_segment_fixed_size 320
		.amdhsa_kernarg_size 60
		.amdhsa_user_sgpr_count 6
		.amdhsa_user_sgpr_private_segment_buffer 1
		.amdhsa_user_sgpr_dispatch_ptr 0
		.amdhsa_user_sgpr_queue_ptr 0
		.amdhsa_user_sgpr_kernarg_segment_ptr 1
		.amdhsa_user_sgpr_dispatch_id 0
		.amdhsa_user_sgpr_flat_scratch_init 0
		.amdhsa_user_sgpr_private_segment_size 0
		.amdhsa_uses_dynamic_stack 0
		.amdhsa_system_sgpr_private_segment_wavefront_offset 1
		.amdhsa_system_sgpr_workgroup_id_x 1
		.amdhsa_system_sgpr_workgroup_id_y 0
		.amdhsa_system_sgpr_workgroup_id_z 0
		.amdhsa_system_sgpr_workgroup_info 0
		.amdhsa_system_vgpr_workitem_id 0
		.amdhsa_next_free_vgpr 125
		.amdhsa_next_free_sgpr 24
		.amdhsa_reserve_vcc 1
		.amdhsa_reserve_flat_scratch 0
		.amdhsa_float_round_mode_32 0
		.amdhsa_float_round_mode_16_64 0
		.amdhsa_float_denorm_mode_32 3
		.amdhsa_float_denorm_mode_16_64 3
		.amdhsa_dx10_clamp 1
		.amdhsa_ieee_mode 1
		.amdhsa_fp16_overflow 0
		.amdhsa_exception_fp_ieee_invalid_op 0
		.amdhsa_exception_fp_denorm_src 0
		.amdhsa_exception_fp_ieee_div_zero 0
		.amdhsa_exception_fp_ieee_overflow 0
		.amdhsa_exception_fp_ieee_underflow 0
		.amdhsa_exception_fp_ieee_inexact 0
		.amdhsa_exception_int_div_zero 0
	.end_amdhsa_kernel
	.section	.text._ZN9rocsolver6v33100L18getri_kernel_smallILi39EdPdEEvT1_iilPiilS4_bb,"axG",@progbits,_ZN9rocsolver6v33100L18getri_kernel_smallILi39EdPdEEvT1_iilPiilS4_bb,comdat
.Lfunc_end38:
	.size	_ZN9rocsolver6v33100L18getri_kernel_smallILi39EdPdEEvT1_iilPiilS4_bb, .Lfunc_end38-_ZN9rocsolver6v33100L18getri_kernel_smallILi39EdPdEEvT1_iilPiilS4_bb
                                        ; -- End function
	.set _ZN9rocsolver6v33100L18getri_kernel_smallILi39EdPdEEvT1_iilPiilS4_bb.num_vgpr, 125
	.set _ZN9rocsolver6v33100L18getri_kernel_smallILi39EdPdEEvT1_iilPiilS4_bb.num_agpr, 0
	.set _ZN9rocsolver6v33100L18getri_kernel_smallILi39EdPdEEvT1_iilPiilS4_bb.numbered_sgpr, 24
	.set _ZN9rocsolver6v33100L18getri_kernel_smallILi39EdPdEEvT1_iilPiilS4_bb.num_named_barrier, 0
	.set _ZN9rocsolver6v33100L18getri_kernel_smallILi39EdPdEEvT1_iilPiilS4_bb.private_seg_size, 320
	.set _ZN9rocsolver6v33100L18getri_kernel_smallILi39EdPdEEvT1_iilPiilS4_bb.uses_vcc, 1
	.set _ZN9rocsolver6v33100L18getri_kernel_smallILi39EdPdEEvT1_iilPiilS4_bb.uses_flat_scratch, 0
	.set _ZN9rocsolver6v33100L18getri_kernel_smallILi39EdPdEEvT1_iilPiilS4_bb.has_dyn_sized_stack, 0
	.set _ZN9rocsolver6v33100L18getri_kernel_smallILi39EdPdEEvT1_iilPiilS4_bb.has_recursion, 0
	.set _ZN9rocsolver6v33100L18getri_kernel_smallILi39EdPdEEvT1_iilPiilS4_bb.has_indirect_call, 0
	.section	.AMDGPU.csdata,"",@progbits
; Kernel info:
; codeLenInByte = 43076
; TotalNumSgprs: 28
; NumVgprs: 125
; ScratchSize: 320
; MemoryBound: 1
; FloatMode: 240
; IeeeMode: 1
; LDSByteSize: 632 bytes/workgroup (compile time only)
; SGPRBlocks: 3
; VGPRBlocks: 31
; NumSGPRsForWavesPerEU: 28
; NumVGPRsForWavesPerEU: 125
; Occupancy: 2
; WaveLimiterHint : 1
; COMPUTE_PGM_RSRC2:SCRATCH_EN: 1
; COMPUTE_PGM_RSRC2:USER_SGPR: 6
; COMPUTE_PGM_RSRC2:TRAP_HANDLER: 0
; COMPUTE_PGM_RSRC2:TGID_X_EN: 1
; COMPUTE_PGM_RSRC2:TGID_Y_EN: 0
; COMPUTE_PGM_RSRC2:TGID_Z_EN: 0
; COMPUTE_PGM_RSRC2:TIDIG_COMP_CNT: 0
	.section	.text._ZN9rocsolver6v33100L18getri_kernel_smallILi40EdPdEEvT1_iilPiilS4_bb,"axG",@progbits,_ZN9rocsolver6v33100L18getri_kernel_smallILi40EdPdEEvT1_iilPiilS4_bb,comdat
	.globl	_ZN9rocsolver6v33100L18getri_kernel_smallILi40EdPdEEvT1_iilPiilS4_bb ; -- Begin function _ZN9rocsolver6v33100L18getri_kernel_smallILi40EdPdEEvT1_iilPiilS4_bb
	.p2align	8
	.type	_ZN9rocsolver6v33100L18getri_kernel_smallILi40EdPdEEvT1_iilPiilS4_bb,@function
_ZN9rocsolver6v33100L18getri_kernel_smallILi40EdPdEEvT1_iilPiilS4_bb: ; @_ZN9rocsolver6v33100L18getri_kernel_smallILi40EdPdEEvT1_iilPiilS4_bb
; %bb.0:
	s_add_u32 s0, s0, s7
	s_addc_u32 s1, s1, 0
	v_cmp_gt_u32_e32 vcc, 40, v0
	s_and_saveexec_b64 s[8:9], vcc
	s_cbranch_execz .LBB39_168
; %bb.1:
	s_load_dword s12, s[4:5], 0x38
	s_load_dwordx4 s[16:19], s[4:5], 0x10
	s_load_dwordx4 s[8:11], s[4:5], 0x28
                                        ; implicit-def: $sgpr20_sgpr21
	s_waitcnt lgkmcnt(0)
	s_bitcmp1_b32 s12, 8
	s_cselect_b64 s[22:23], -1, 0
	s_ashr_i32 s7, s6, 31
	s_bfe_u32 s12, s12, 0x10008
	s_cmp_eq_u32 s12, 0
	s_cbranch_scc1 .LBB39_3
; %bb.2:
	s_load_dword s12, s[4:5], 0x20
	s_mul_i32 s13, s8, s7
	s_mul_hi_u32 s14, s8, s6
	s_mul_i32 s9, s9, s6
	s_add_i32 s14, s14, s13
	s_add_i32 s9, s14, s9
	s_mul_i32 s8, s8, s6
	s_waitcnt lgkmcnt(0)
	s_ashr_i32 s13, s12, 31
	s_lshl_b64 s[8:9], s[8:9], 2
	s_add_u32 s14, s18, s8
	s_addc_u32 s15, s19, s9
	s_lshl_b64 s[8:9], s[12:13], 2
	s_add_u32 s20, s14, s8
	s_addc_u32 s21, s15, s9
.LBB39_3:
	s_load_dwordx4 s[12:15], s[4:5], 0x0
	s_load_dword s8, s[4:5], 0x38
	s_mul_i32 s9, s16, s7
	s_mul_hi_u32 s18, s16, s6
	s_add_i32 s9, s18, s9
	s_waitcnt lgkmcnt(0)
	s_ashr_i32 s5, s14, 31
	s_mov_b32 s4, s14
	s_mul_i32 s14, s17, s6
	s_add_i32 s17, s9, s14
	s_mul_i32 s16, s16, s6
	s_lshl_b64 s[16:17], s[16:17], 3
	s_add_u32 s9, s12, s16
	s_addc_u32 s12, s13, s17
	s_lshl_b64 s[4:5], s[4:5], 3
	s_add_u32 s4, s9, s4
	s_addc_u32 s5, s12, s5
	v_lshlrev_b32_e32 v85, 3, v0
	s_add_i32 s9, s15, s15
	v_mov_b32_e32 v1, s5
	v_add_co_u32_e32 v17, vcc, s4, v85
	s_ashr_i32 s13, s15, 31
	s_mov_b32 s12, s15
	v_add_u32_e32 v5, s9, v0
	v_addc_co_u32_e32 v18, vcc, 0, v1, vcc
	s_lshl_b64 s[12:13], s[12:13], 3
	v_ashrrev_i32_e32 v6, 31, v5
	v_mov_b32_e32 v2, s13
	v_add_co_u32_e32 v1, vcc, s12, v17
	v_lshlrev_b64 v[3:4], 3, v[5:6]
	v_addc_co_u32_e32 v2, vcc, v18, v2, vcc
	v_mov_b32_e32 v6, s5
	v_add_co_u32_e32 v3, vcc, s4, v3
	v_add_u32_e32 v5, s15, v5
	v_addc_co_u32_e32 v4, vcc, v6, v4, vcc
	v_ashrrev_i32_e32 v6, 31, v5
	v_lshlrev_b64 v[7:8], 3, v[5:6]
	v_add_u32_e32 v9, s15, v5
	v_mov_b32_e32 v6, s5
	v_add_co_u32_e32 v7, vcc, s4, v7
	v_ashrrev_i32_e32 v10, 31, v9
	v_addc_co_u32_e32 v8, vcc, v6, v8, vcc
	v_lshlrev_b64 v[5:6], 3, v[9:10]
	v_mov_b32_e32 v10, s5
	v_add_co_u32_e32 v5, vcc, s4, v5
	v_add_u32_e32 v9, s15, v9
	v_addc_co_u32_e32 v6, vcc, v10, v6, vcc
	v_ashrrev_i32_e32 v10, 31, v9
	v_lshlrev_b64 v[11:12], 3, v[9:10]
	v_add_u32_e32 v13, s15, v9
	v_mov_b32_e32 v10, s5
	v_add_co_u32_e32 v11, vcc, s4, v11
	v_ashrrev_i32_e32 v14, 31, v13
	v_addc_co_u32_e32 v12, vcc, v10, v12, vcc
	v_lshlrev_b64 v[9:10], 3, v[13:14]
	;; [unrolled: 12-line block ×3, first 2 shown]
	v_add_u32_e32 v21, s15, v19
	v_mov_b32_e32 v20, s5
	v_add_co_u32_e32 v13, vcc, s4, v13
	v_ashrrev_i32_e32 v22, 31, v21
	v_addc_co_u32_e32 v14, vcc, v20, v14, vcc
	v_lshlrev_b64 v[19:20], 3, v[21:22]
	v_add_u32_e32 v23, s15, v21
	v_mov_b32_e32 v22, s5
	v_add_co_u32_e32 v19, vcc, s4, v19
	v_ashrrev_i32_e32 v24, 31, v23
	v_addc_co_u32_e32 v20, vcc, v22, v20, vcc
	v_lshlrev_b64 v[21:22], 3, v[23:24]
	;; [unrolled: 6-line block ×7, first 2 shown]
	v_mov_b32_e32 v34, s5
	v_add_co_u32_e32 v31, vcc, s4, v31
	global_load_dwordx2 v[37:38], v85, s[4:5]
	global_load_dwordx2 v[39:40], v[1:2], off
	global_load_dwordx2 v[41:42], v[3:4], off
	;; [unrolled: 1-line block ×12, first 2 shown]
	v_addc_co_u32_e32 v32, vcc, v34, v32, vcc
	global_load_dwordx2 v[63:64], v[27:28], off
	global_load_dwordx2 v[65:66], v[29:30], off
	;; [unrolled: 1-line block ×3, first 2 shown]
	v_add_u32_e32 v35, s15, v33
	v_ashrrev_i32_e32 v36, 31, v35
	v_lshlrev_b64 v[33:34], 3, v[35:36]
	v_mov_b32_e32 v36, s5
	v_add_co_u32_e32 v33, vcc, s4, v33
	v_addc_co_u32_e32 v34, vcc, v36, v34, vcc
	global_load_dwordx2 v[69:70], v[33:34], off
	v_add_u32_e32 v71, s15, v35
	v_ashrrev_i32_e32 v72, 31, v71
	v_lshlrev_b64 v[35:36], 3, v[71:72]
	v_mov_b32_e32 v72, s5
	v_add_co_u32_e32 v35, vcc, s4, v35
	v_addc_co_u32_e32 v36, vcc, v72, v36, vcc
	global_load_dwordx2 v[72:73], v[35:36], off
	s_waitcnt vmcnt(17)
	buffer_store_dword v38, off, s[0:3], 0 offset:4
	buffer_store_dword v37, off, s[0:3], 0
	s_waitcnt vmcnt(18)
	buffer_store_dword v40, off, s[0:3], 0 offset:12
	buffer_store_dword v39, off, s[0:3], 0 offset:8
	s_waitcnt vmcnt(19)
	buffer_store_dword v42, off, s[0:3], 0 offset:20
	buffer_store_dword v41, off, s[0:3], 0 offset:16
	;; [unrolled: 3-line block ×16, first 2 shown]
	v_add_u32_e32 v39, s15, v71
	v_ashrrev_i32_e32 v40, 31, v39
	v_lshlrev_b64 v[37:38], 3, v[39:40]
	v_add_u32_e32 v41, s15, v39
	v_mov_b32_e32 v40, s5
	v_add_co_u32_e32 v37, vcc, s4, v37
	v_ashrrev_i32_e32 v42, 31, v41
	v_addc_co_u32_e32 v38, vcc, v40, v38, vcc
	v_lshlrev_b64 v[39:40], 3, v[41:42]
	v_add_u32_e32 v43, s15, v41
	v_mov_b32_e32 v42, s5
	v_add_co_u32_e32 v39, vcc, s4, v39
	v_ashrrev_i32_e32 v44, 31, v43
	v_addc_co_u32_e32 v40, vcc, v42, v40, vcc
	;; [unrolled: 6-line block ×6, first 2 shown]
	v_lshlrev_b64 v[49:50], 3, v[51:52]
	global_load_dwordx2 v[86:87], v[37:38], off
	global_load_dwordx2 v[83:84], v[39:40], off
	;; [unrolled: 1-line block ×3, first 2 shown]
	v_add_u32_e32 v53, s15, v51
	v_mov_b32_e32 v52, s5
	v_add_co_u32_e32 v49, vcc, s4, v49
	v_ashrrev_i32_e32 v54, 31, v53
	v_addc_co_u32_e32 v50, vcc, v52, v50, vcc
	v_lshlrev_b64 v[51:52], 3, v[53:54]
	v_add_u32_e32 v55, s15, v53
	v_mov_b32_e32 v54, s5
	v_add_co_u32_e32 v51, vcc, s4, v51
	v_ashrrev_i32_e32 v56, 31, v55
	v_addc_co_u32_e32 v52, vcc, v54, v52, vcc
	v_lshlrev_b64 v[53:54], 3, v[55:56]
	;; [unrolled: 6-line block ×9, first 2 shown]
	v_add_u32_e32 v71, s15, v69
	s_waitcnt vmcnt(37)
	buffer_store_dword v72, off, s[0:3], 0 offset:136
	buffer_store_dword v73, off, s[0:3], 0 offset:140
	v_mov_b32_e32 v70, s5
	v_add_co_u32_e32 v67, vcc, s4, v67
	v_ashrrev_i32_e32 v72, 31, v71
	v_addc_co_u32_e32 v68, vcc, v70, v68, vcc
	v_lshlrev_b64 v[69:70], 3, v[71:72]
	v_add_u32_e32 v73, s15, v71
	v_mov_b32_e32 v72, s5
	v_add_co_u32_e32 v69, vcc, s4, v69
	v_ashrrev_i32_e32 v74, 31, v73
	v_addc_co_u32_e32 v70, vcc, v72, v70, vcc
	v_lshlrev_b64 v[71:72], 3, v[73:74]
	v_add_u32_e32 v75, s15, v73
	v_mov_b32_e32 v74, s5
	v_add_co_u32_e32 v71, vcc, s4, v71
	v_ashrrev_i32_e32 v76, 31, v75
	v_addc_co_u32_e32 v72, vcc, v74, v72, vcc
	v_lshlrev_b64 v[73:74], 3, v[75:76]
	v_mov_b32_e32 v76, s5
	v_add_co_u32_e32 v73, vcc, s4, v73
	global_load_dwordx2 v[88:89], v[43:44], off
	global_load_dwordx2 v[90:91], v[45:46], off
	;; [unrolled: 1-line block ×12, first 2 shown]
	v_addc_co_u32_e32 v74, vcc, v76, v74, vcc
	global_load_dwordx2 v[112:113], v[67:68], off
	global_load_dwordx2 v[114:115], v[69:70], off
	;; [unrolled: 1-line block ×4, first 2 shown]
	v_add_u32_e32 v77, s15, v75
	v_ashrrev_i32_e32 v78, 31, v77
	v_lshlrev_b64 v[75:76], 3, v[77:78]
	v_add_u32_e32 v79, s15, v77
	v_mov_b32_e32 v78, s5
	v_add_co_u32_e32 v75, vcc, s4, v75
	v_ashrrev_i32_e32 v80, 31, v79
	v_addc_co_u32_e32 v76, vcc, v78, v76, vcc
	v_lshlrev_b64 v[77:78], 3, v[79:80]
	v_mov_b32_e32 v80, s5
	v_add_co_u32_e32 v77, vcc, s4, v77
	v_add_u32_e32 v79, s15, v79
	v_addc_co_u32_e32 v78, vcc, v80, v78, vcc
	v_ashrrev_i32_e32 v80, 31, v79
	v_lshlrev_b64 v[79:80], 3, v[79:80]
	v_mov_b32_e32 v120, s5
	v_add_co_u32_e32 v79, vcc, s4, v79
	v_addc_co_u32_e32 v80, vcc, v120, v80, vcc
	global_load_dwordx2 v[120:121], v[75:76], off
	global_load_dwordx2 v[122:123], v[77:78], off
	s_bitcmp0_b32 s8, 0
	s_waitcnt vmcnt(22)
	buffer_store_dword v86, off, s[0:3], 0 offset:144
	buffer_store_dword v87, off, s[0:3], 0 offset:148
	global_load_dwordx2 v[86:87], v[79:80], off
	s_mov_b64 s[8:9], -1
	s_waitcnt vmcnt(24)
	buffer_store_dword v84, off, s[0:3], 0 offset:156
	buffer_store_dword v83, off, s[0:3], 0 offset:152
	s_waitcnt vmcnt(25)
	buffer_store_dword v82, off, s[0:3], 0 offset:164
	buffer_store_dword v81, off, s[0:3], 0 offset:160
	;; [unrolled: 3-line block ×21, first 2 shown]
	s_cbranch_scc1 .LBB39_166
; %bb.4:
	v_cmp_eq_u32_e64 s[4:5], 0, v0
	s_and_saveexec_b64 s[8:9], s[4:5]
; %bb.5:
	v_mov_b32_e32 v81, 0
	ds_write_b32 v81, v81 offset:640
; %bb.6:
	s_or_b64 exec, exec, s[8:9]
	v_mov_b32_e32 v81, 0
	v_lshl_add_u32 v81, v0, 3, v81
	s_waitcnt lgkmcnt(0)
	; wave barrier
	buffer_load_dword v82, v81, s[0:3], 0 offen
	buffer_load_dword v83, v81, s[0:3], 0 offen offset:4
	s_waitcnt vmcnt(0)
	v_cmp_eq_f64_e32 vcc, 0, v[82:83]
	s_and_saveexec_b64 s[12:13], vcc
	s_cbranch_execz .LBB39_10
; %bb.7:
	v_mov_b32_e32 v82, 0
	ds_read_b32 v84, v82 offset:640
	v_add_u32_e32 v83, 1, v0
	s_waitcnt lgkmcnt(0)
	v_readfirstlane_b32 s8, v84
	s_cmp_eq_u32 s8, 0
	s_cselect_b64 s[14:15], -1, 0
	v_cmp_gt_i32_e32 vcc, s8, v83
	s_or_b64 s[14:15], s[14:15], vcc
	s_and_b64 exec, exec, s[14:15]
	s_cbranch_execz .LBB39_10
; %bb.8:
	s_mov_b64 s[14:15], 0
	v_mov_b32_e32 v84, s8
.LBB39_9:                               ; =>This Inner Loop Header: Depth=1
	ds_cmpst_rtn_b32 v84, v82, v84, v83 offset:640
	s_waitcnt lgkmcnt(0)
	v_cmp_ne_u32_e32 vcc, 0, v84
	v_cmp_le_i32_e64 s[8:9], v84, v83
	s_and_b64 s[8:9], vcc, s[8:9]
	s_and_b64 s[8:9], exec, s[8:9]
	s_or_b64 s[14:15], s[8:9], s[14:15]
	s_andn2_b64 exec, exec, s[14:15]
	s_cbranch_execnz .LBB39_9
.LBB39_10:
	s_or_b64 exec, exec, s[12:13]
	v_mov_b32_e32 v83, 0
	; wave barrier
	ds_read_b32 v82, v83 offset:640
	s_and_saveexec_b64 s[8:9], s[4:5]
	s_cbranch_execz .LBB39_12
; %bb.11:
	s_lshl_b64 s[12:13], s[6:7], 2
	s_add_u32 s12, s10, s12
	s_addc_u32 s13, s11, s13
	s_waitcnt lgkmcnt(0)
	global_store_dword v83, v82, s[12:13]
.LBB39_12:
	s_or_b64 exec, exec, s[8:9]
	s_waitcnt lgkmcnt(0)
	v_cmp_ne_u32_e32 vcc, 0, v82
	s_mov_b64 s[8:9], 0
	s_cbranch_vccnz .LBB39_166
; %bb.13:
	buffer_load_dword v82, v81, s[0:3], 0 offen
	buffer_load_dword v83, v81, s[0:3], 0 offen offset:4
	s_waitcnt vmcnt(0)
	v_div_scale_f64 v[86:87], s[8:9], v[82:83], v[82:83], 1.0
	v_rcp_f64_e32 v[88:89], v[86:87]
	v_fma_f64 v[90:91], -v[86:87], v[88:89], 1.0
	v_fma_f64 v[88:89], v[88:89], v[90:91], v[88:89]
	v_div_scale_f64 v[90:91], vcc, 1.0, v[82:83], 1.0
	v_fma_f64 v[92:93], -v[86:87], v[88:89], 1.0
	v_fma_f64 v[88:89], v[88:89], v[92:93], v[88:89]
	v_mul_f64 v[92:93], v[90:91], v[88:89]
	v_fma_f64 v[86:87], -v[86:87], v[92:93], v[90:91]
	v_div_fmas_f64 v[86:87], v[86:87], v[88:89], v[92:93]
	v_div_fixup_f64 v[86:87], v[86:87], v[82:83], 1.0
	v_add_u32_e32 v83, 0x140, v85
	buffer_store_dword v87, v81, s[0:3], 0 offen offset:4
	buffer_store_dword v86, v81, s[0:3], 0 offen
	buffer_load_dword v89, off, s[0:3], 0 offset:12
	buffer_load_dword v88, off, s[0:3], 0 offset:8
	v_xor_b32_e32 v87, 0x80000000, v87
	s_waitcnt vmcnt(0)
	ds_write2_b64 v85, v[86:87], v[88:89] offset1:40
	s_waitcnt lgkmcnt(0)
	; wave barrier
	s_and_saveexec_b64 s[8:9], s[4:5]
	s_cbranch_execz .LBB39_15
; %bb.14:
	buffer_load_dword v86, v81, s[0:3], 0 offen
	buffer_load_dword v87, v81, s[0:3], 0 offen offset:4
	ds_read_b64 v[88:89], v83
	v_mov_b32_e32 v82, 0
	ds_read_b64 v[90:91], v82 offset:8
	s_waitcnt vmcnt(0) lgkmcnt(1)
	v_fma_f64 v[86:87], v[86:87], v[88:89], 0
	s_waitcnt lgkmcnt(0)
	v_mul_f64 v[86:87], v[86:87], v[90:91]
	buffer_store_dword v86, off, s[0:3], 0 offset:8
	buffer_store_dword v87, off, s[0:3], 0 offset:12
.LBB39_15:
	s_or_b64 exec, exec, s[8:9]
	; wave barrier
	buffer_load_dword v86, off, s[0:3], 0 offset:16
	buffer_load_dword v87, off, s[0:3], 0 offset:20
	v_cmp_gt_u32_e32 vcc, 2, v0
	s_waitcnt vmcnt(0)
	ds_write_b64 v83, v[86:87]
	s_waitcnt lgkmcnt(0)
	; wave barrier
	s_and_saveexec_b64 s[8:9], vcc
	s_cbranch_execz .LBB39_17
; %bb.16:
	buffer_load_dword v86, v81, s[0:3], 0 offen
	buffer_load_dword v87, v81, s[0:3], 0 offen offset:4
                                        ; kill: killed $vgpr81
	s_nop 0
	buffer_load_dword v81, off, s[0:3], 0 offset:8
	buffer_load_dword v82, off, s[0:3], 0 offset:12
	ds_read_b64 v[88:89], v83
	v_mov_b32_e32 v84, 0
	s_waitcnt vmcnt(2) lgkmcnt(0)
	v_fma_f64 v[90:91], v[86:87], v[88:89], 0
	ds_read2_b64 v[86:89], v84 offset0:2 offset1:41
	s_waitcnt vmcnt(0) lgkmcnt(0)
	v_fma_f64 v[81:82], v[81:82], v[88:89], v[90:91]
	v_cndmask_b32_e64 v82, v91, v82, s[4:5]
	v_cndmask_b32_e64 v81, v90, v81, s[4:5]
	v_mul_f64 v[81:82], v[81:82], v[86:87]
	buffer_store_dword v82, off, s[0:3], 0 offset:20
	buffer_store_dword v81, off, s[0:3], 0 offset:16
.LBB39_17:
	s_or_b64 exec, exec, s[8:9]
	; wave barrier
	buffer_load_dword v81, off, s[0:3], 0 offset:24
	buffer_load_dword v82, off, s[0:3], 0 offset:28
	v_cmp_gt_u32_e32 vcc, 3, v0
	v_add_u32_e32 v84, -1, v0
	s_waitcnt vmcnt(0)
	ds_write_b64 v83, v[81:82]
	s_waitcnt lgkmcnt(0)
	; wave barrier
	s_and_saveexec_b64 s[4:5], vcc
	s_cbranch_execz .LBB39_21
; %bb.18:
	v_mov_b32_e32 v81, 0
	v_add_u32_e32 v86, -1, v0
	v_add_u32_e32 v87, 0x140, v85
	v_mov_b32_e32 v88, v85
	v_mov_b32_e32 v82, 0
	s_mov_b64 s[8:9], 0
.LBB39_19:                              ; =>This Inner Loop Header: Depth=1
	buffer_load_dword v89, v88, s[0:3], 0 offen
	buffer_load_dword v90, v88, s[0:3], 0 offen offset:4
	ds_read_b64 v[91:92], v87
	v_add_u32_e32 v86, 1, v86
	v_cmp_lt_u32_e32 vcc, 1, v86
	v_add_u32_e32 v87, 8, v87
	s_or_b64 s[8:9], vcc, s[8:9]
	v_add_u32_e32 v88, 8, v88
	s_waitcnt vmcnt(0) lgkmcnt(0)
	v_fma_f64 v[81:82], v[89:90], v[91:92], v[81:82]
	s_andn2_b64 exec, exec, s[8:9]
	s_cbranch_execnz .LBB39_19
; %bb.20:
	s_or_b64 exec, exec, s[8:9]
	v_mov_b32_e32 v86, 0
	ds_read_b64 v[86:87], v86 offset:24
	s_waitcnt lgkmcnt(0)
	v_mul_f64 v[81:82], v[81:82], v[86:87]
	buffer_store_dword v82, off, s[0:3], 0 offset:28
	buffer_store_dword v81, off, s[0:3], 0 offset:24
.LBB39_21:
	s_or_b64 exec, exec, s[4:5]
	; wave barrier
	buffer_load_dword v81, off, s[0:3], 0 offset:32
	buffer_load_dword v82, off, s[0:3], 0 offset:36
	v_cmp_gt_u32_e32 vcc, 4, v0
	s_waitcnt vmcnt(0)
	ds_write_b64 v83, v[81:82]
	s_waitcnt lgkmcnt(0)
	; wave barrier
	s_and_saveexec_b64 s[4:5], vcc
	s_cbranch_execz .LBB39_25
; %bb.22:
	v_mov_b32_e32 v81, 0
	v_add_u32_e32 v86, -1, v0
	v_add_u32_e32 v87, 0x140, v85
	v_mov_b32_e32 v88, v85
	v_mov_b32_e32 v82, 0
	s_mov_b64 s[8:9], 0
.LBB39_23:                              ; =>This Inner Loop Header: Depth=1
	buffer_load_dword v89, v88, s[0:3], 0 offen
	buffer_load_dword v90, v88, s[0:3], 0 offen offset:4
	ds_read_b64 v[91:92], v87
	v_add_u32_e32 v86, 1, v86
	v_cmp_lt_u32_e32 vcc, 2, v86
	v_add_u32_e32 v87, 8, v87
	s_or_b64 s[8:9], vcc, s[8:9]
	v_add_u32_e32 v88, 8, v88
	s_waitcnt vmcnt(0) lgkmcnt(0)
	v_fma_f64 v[81:82], v[89:90], v[91:92], v[81:82]
	s_andn2_b64 exec, exec, s[8:9]
	s_cbranch_execnz .LBB39_23
; %bb.24:
	s_or_b64 exec, exec, s[8:9]
	v_mov_b32_e32 v86, 0
	ds_read_b64 v[86:87], v86 offset:32
	s_waitcnt lgkmcnt(0)
	v_mul_f64 v[81:82], v[81:82], v[86:87]
	buffer_store_dword v82, off, s[0:3], 0 offset:36
	buffer_store_dword v81, off, s[0:3], 0 offset:32
.LBB39_25:
	s_or_b64 exec, exec, s[4:5]
	; wave barrier
	buffer_load_dword v81, off, s[0:3], 0 offset:40
	buffer_load_dword v82, off, s[0:3], 0 offset:44
	v_cmp_gt_u32_e32 vcc, 5, v0
	s_waitcnt vmcnt(0)
	ds_write_b64 v83, v[81:82]
	s_waitcnt lgkmcnt(0)
	; wave barrier
	s_and_saveexec_b64 s[4:5], vcc
	s_cbranch_execz .LBB39_29
; %bb.26:
	v_mov_b32_e32 v81, 0
	v_add_u32_e32 v86, -1, v0
	v_add_u32_e32 v87, 0x140, v85
	v_mov_b32_e32 v88, v85
	v_mov_b32_e32 v82, 0
	s_mov_b64 s[8:9], 0
.LBB39_27:                              ; =>This Inner Loop Header: Depth=1
	buffer_load_dword v89, v88, s[0:3], 0 offen
	buffer_load_dword v90, v88, s[0:3], 0 offen offset:4
	ds_read_b64 v[91:92], v87
	v_add_u32_e32 v86, 1, v86
	v_cmp_lt_u32_e32 vcc, 3, v86
	v_add_u32_e32 v87, 8, v87
	s_or_b64 s[8:9], vcc, s[8:9]
	v_add_u32_e32 v88, 8, v88
	s_waitcnt vmcnt(0) lgkmcnt(0)
	v_fma_f64 v[81:82], v[89:90], v[91:92], v[81:82]
	s_andn2_b64 exec, exec, s[8:9]
	s_cbranch_execnz .LBB39_27
; %bb.28:
	s_or_b64 exec, exec, s[8:9]
	v_mov_b32_e32 v86, 0
	ds_read_b64 v[86:87], v86 offset:40
	s_waitcnt lgkmcnt(0)
	v_mul_f64 v[81:82], v[81:82], v[86:87]
	buffer_store_dword v82, off, s[0:3], 0 offset:44
	buffer_store_dword v81, off, s[0:3], 0 offset:40
.LBB39_29:
	s_or_b64 exec, exec, s[4:5]
	; wave barrier
	buffer_load_dword v81, off, s[0:3], 0 offset:48
	buffer_load_dword v82, off, s[0:3], 0 offset:52
	v_cmp_gt_u32_e32 vcc, 6, v0
	s_waitcnt vmcnt(0)
	ds_write_b64 v83, v[81:82]
	s_waitcnt lgkmcnt(0)
	; wave barrier
	s_and_saveexec_b64 s[4:5], vcc
	s_cbranch_execz .LBB39_33
; %bb.30:
	v_mov_b32_e32 v81, 0
	v_add_u32_e32 v86, -1, v0
	v_add_u32_e32 v87, 0x140, v85
	v_mov_b32_e32 v88, v85
	v_mov_b32_e32 v82, 0
	s_mov_b64 s[8:9], 0
.LBB39_31:                              ; =>This Inner Loop Header: Depth=1
	buffer_load_dword v89, v88, s[0:3], 0 offen
	buffer_load_dword v90, v88, s[0:3], 0 offen offset:4
	ds_read_b64 v[91:92], v87
	v_add_u32_e32 v86, 1, v86
	v_cmp_lt_u32_e32 vcc, 4, v86
	v_add_u32_e32 v87, 8, v87
	s_or_b64 s[8:9], vcc, s[8:9]
	v_add_u32_e32 v88, 8, v88
	s_waitcnt vmcnt(0) lgkmcnt(0)
	v_fma_f64 v[81:82], v[89:90], v[91:92], v[81:82]
	s_andn2_b64 exec, exec, s[8:9]
	s_cbranch_execnz .LBB39_31
; %bb.32:
	s_or_b64 exec, exec, s[8:9]
	v_mov_b32_e32 v86, 0
	ds_read_b64 v[86:87], v86 offset:48
	s_waitcnt lgkmcnt(0)
	v_mul_f64 v[81:82], v[81:82], v[86:87]
	buffer_store_dword v82, off, s[0:3], 0 offset:52
	buffer_store_dword v81, off, s[0:3], 0 offset:48
.LBB39_33:
	s_or_b64 exec, exec, s[4:5]
	; wave barrier
	buffer_load_dword v81, off, s[0:3], 0 offset:56
	buffer_load_dword v82, off, s[0:3], 0 offset:60
	v_cmp_gt_u32_e32 vcc, 7, v0
	s_waitcnt vmcnt(0)
	ds_write_b64 v83, v[81:82]
	s_waitcnt lgkmcnt(0)
	; wave barrier
	s_and_saveexec_b64 s[4:5], vcc
	s_cbranch_execz .LBB39_37
; %bb.34:
	v_mov_b32_e32 v81, 0
	v_add_u32_e32 v86, -1, v0
	v_add_u32_e32 v87, 0x140, v85
	v_mov_b32_e32 v88, v85
	v_mov_b32_e32 v82, 0
	s_mov_b64 s[8:9], 0
.LBB39_35:                              ; =>This Inner Loop Header: Depth=1
	buffer_load_dword v89, v88, s[0:3], 0 offen
	buffer_load_dword v90, v88, s[0:3], 0 offen offset:4
	ds_read_b64 v[91:92], v87
	v_add_u32_e32 v86, 1, v86
	v_cmp_lt_u32_e32 vcc, 5, v86
	v_add_u32_e32 v87, 8, v87
	s_or_b64 s[8:9], vcc, s[8:9]
	v_add_u32_e32 v88, 8, v88
	s_waitcnt vmcnt(0) lgkmcnt(0)
	v_fma_f64 v[81:82], v[89:90], v[91:92], v[81:82]
	s_andn2_b64 exec, exec, s[8:9]
	s_cbranch_execnz .LBB39_35
; %bb.36:
	s_or_b64 exec, exec, s[8:9]
	v_mov_b32_e32 v86, 0
	ds_read_b64 v[86:87], v86 offset:56
	s_waitcnt lgkmcnt(0)
	v_mul_f64 v[81:82], v[81:82], v[86:87]
	buffer_store_dword v82, off, s[0:3], 0 offset:60
	buffer_store_dword v81, off, s[0:3], 0 offset:56
.LBB39_37:
	s_or_b64 exec, exec, s[4:5]
	; wave barrier
	buffer_load_dword v81, off, s[0:3], 0 offset:64
	buffer_load_dword v82, off, s[0:3], 0 offset:68
	v_cmp_gt_u32_e32 vcc, 8, v0
	s_waitcnt vmcnt(0)
	ds_write_b64 v83, v[81:82]
	s_waitcnt lgkmcnt(0)
	; wave barrier
	s_and_saveexec_b64 s[4:5], vcc
	s_cbranch_execz .LBB39_41
; %bb.38:
	v_mov_b32_e32 v81, 0
	v_add_u32_e32 v86, -1, v0
	v_add_u32_e32 v87, 0x140, v85
	v_mov_b32_e32 v88, v85
	v_mov_b32_e32 v82, 0
	s_mov_b64 s[8:9], 0
.LBB39_39:                              ; =>This Inner Loop Header: Depth=1
	buffer_load_dword v89, v88, s[0:3], 0 offen
	buffer_load_dword v90, v88, s[0:3], 0 offen offset:4
	ds_read_b64 v[91:92], v87
	v_add_u32_e32 v86, 1, v86
	v_cmp_lt_u32_e32 vcc, 6, v86
	v_add_u32_e32 v87, 8, v87
	s_or_b64 s[8:9], vcc, s[8:9]
	v_add_u32_e32 v88, 8, v88
	s_waitcnt vmcnt(0) lgkmcnt(0)
	v_fma_f64 v[81:82], v[89:90], v[91:92], v[81:82]
	s_andn2_b64 exec, exec, s[8:9]
	s_cbranch_execnz .LBB39_39
; %bb.40:
	s_or_b64 exec, exec, s[8:9]
	v_mov_b32_e32 v86, 0
	ds_read_b64 v[86:87], v86 offset:64
	s_waitcnt lgkmcnt(0)
	v_mul_f64 v[81:82], v[81:82], v[86:87]
	buffer_store_dword v82, off, s[0:3], 0 offset:68
	buffer_store_dword v81, off, s[0:3], 0 offset:64
.LBB39_41:
	s_or_b64 exec, exec, s[4:5]
	; wave barrier
	buffer_load_dword v81, off, s[0:3], 0 offset:72
	buffer_load_dword v82, off, s[0:3], 0 offset:76
	v_cmp_gt_u32_e32 vcc, 9, v0
	s_waitcnt vmcnt(0)
	ds_write_b64 v83, v[81:82]
	s_waitcnt lgkmcnt(0)
	; wave barrier
	s_and_saveexec_b64 s[4:5], vcc
	s_cbranch_execz .LBB39_45
; %bb.42:
	v_mov_b32_e32 v81, 0
	v_add_u32_e32 v86, -1, v0
	v_add_u32_e32 v87, 0x140, v85
	v_mov_b32_e32 v88, v85
	v_mov_b32_e32 v82, 0
	s_mov_b64 s[8:9], 0
.LBB39_43:                              ; =>This Inner Loop Header: Depth=1
	buffer_load_dword v89, v88, s[0:3], 0 offen
	buffer_load_dword v90, v88, s[0:3], 0 offen offset:4
	ds_read_b64 v[91:92], v87
	v_add_u32_e32 v86, 1, v86
	v_cmp_lt_u32_e32 vcc, 7, v86
	v_add_u32_e32 v87, 8, v87
	s_or_b64 s[8:9], vcc, s[8:9]
	v_add_u32_e32 v88, 8, v88
	s_waitcnt vmcnt(0) lgkmcnt(0)
	v_fma_f64 v[81:82], v[89:90], v[91:92], v[81:82]
	s_andn2_b64 exec, exec, s[8:9]
	s_cbranch_execnz .LBB39_43
; %bb.44:
	s_or_b64 exec, exec, s[8:9]
	v_mov_b32_e32 v86, 0
	ds_read_b64 v[86:87], v86 offset:72
	s_waitcnt lgkmcnt(0)
	v_mul_f64 v[81:82], v[81:82], v[86:87]
	buffer_store_dword v82, off, s[0:3], 0 offset:76
	buffer_store_dword v81, off, s[0:3], 0 offset:72
.LBB39_45:
	s_or_b64 exec, exec, s[4:5]
	; wave barrier
	buffer_load_dword v81, off, s[0:3], 0 offset:80
	buffer_load_dword v82, off, s[0:3], 0 offset:84
	v_cmp_gt_u32_e32 vcc, 10, v0
	s_waitcnt vmcnt(0)
	ds_write_b64 v83, v[81:82]
	s_waitcnt lgkmcnt(0)
	; wave barrier
	s_and_saveexec_b64 s[4:5], vcc
	s_cbranch_execz .LBB39_49
; %bb.46:
	v_mov_b32_e32 v81, 0
	v_add_u32_e32 v86, -1, v0
	v_add_u32_e32 v87, 0x140, v85
	v_mov_b32_e32 v88, v85
	v_mov_b32_e32 v82, 0
	s_mov_b64 s[8:9], 0
.LBB39_47:                              ; =>This Inner Loop Header: Depth=1
	buffer_load_dword v89, v88, s[0:3], 0 offen
	buffer_load_dword v90, v88, s[0:3], 0 offen offset:4
	ds_read_b64 v[91:92], v87
	v_add_u32_e32 v86, 1, v86
	v_cmp_lt_u32_e32 vcc, 8, v86
	v_add_u32_e32 v87, 8, v87
	s_or_b64 s[8:9], vcc, s[8:9]
	v_add_u32_e32 v88, 8, v88
	s_waitcnt vmcnt(0) lgkmcnt(0)
	v_fma_f64 v[81:82], v[89:90], v[91:92], v[81:82]
	s_andn2_b64 exec, exec, s[8:9]
	s_cbranch_execnz .LBB39_47
; %bb.48:
	s_or_b64 exec, exec, s[8:9]
	v_mov_b32_e32 v86, 0
	ds_read_b64 v[86:87], v86 offset:80
	s_waitcnt lgkmcnt(0)
	v_mul_f64 v[81:82], v[81:82], v[86:87]
	buffer_store_dword v82, off, s[0:3], 0 offset:84
	buffer_store_dword v81, off, s[0:3], 0 offset:80
.LBB39_49:
	s_or_b64 exec, exec, s[4:5]
	; wave barrier
	buffer_load_dword v81, off, s[0:3], 0 offset:88
	buffer_load_dword v82, off, s[0:3], 0 offset:92
	v_cmp_gt_u32_e32 vcc, 11, v0
	s_waitcnt vmcnt(0)
	ds_write_b64 v83, v[81:82]
	s_waitcnt lgkmcnt(0)
	; wave barrier
	s_and_saveexec_b64 s[4:5], vcc
	s_cbranch_execz .LBB39_53
; %bb.50:
	v_mov_b32_e32 v81, 0
	v_add_u32_e32 v86, -1, v0
	v_add_u32_e32 v87, 0x140, v85
	v_mov_b32_e32 v88, v85
	v_mov_b32_e32 v82, 0
	s_mov_b64 s[8:9], 0
.LBB39_51:                              ; =>This Inner Loop Header: Depth=1
	buffer_load_dword v89, v88, s[0:3], 0 offen
	buffer_load_dword v90, v88, s[0:3], 0 offen offset:4
	ds_read_b64 v[91:92], v87
	v_add_u32_e32 v86, 1, v86
	v_cmp_lt_u32_e32 vcc, 9, v86
	v_add_u32_e32 v87, 8, v87
	s_or_b64 s[8:9], vcc, s[8:9]
	v_add_u32_e32 v88, 8, v88
	s_waitcnt vmcnt(0) lgkmcnt(0)
	v_fma_f64 v[81:82], v[89:90], v[91:92], v[81:82]
	s_andn2_b64 exec, exec, s[8:9]
	s_cbranch_execnz .LBB39_51
; %bb.52:
	s_or_b64 exec, exec, s[8:9]
	v_mov_b32_e32 v86, 0
	ds_read_b64 v[86:87], v86 offset:88
	s_waitcnt lgkmcnt(0)
	v_mul_f64 v[81:82], v[81:82], v[86:87]
	buffer_store_dword v82, off, s[0:3], 0 offset:92
	buffer_store_dword v81, off, s[0:3], 0 offset:88
.LBB39_53:
	s_or_b64 exec, exec, s[4:5]
	; wave barrier
	buffer_load_dword v81, off, s[0:3], 0 offset:96
	buffer_load_dword v82, off, s[0:3], 0 offset:100
	v_cmp_gt_u32_e32 vcc, 12, v0
	s_waitcnt vmcnt(0)
	ds_write_b64 v83, v[81:82]
	s_waitcnt lgkmcnt(0)
	; wave barrier
	s_and_saveexec_b64 s[4:5], vcc
	s_cbranch_execz .LBB39_57
; %bb.54:
	v_mov_b32_e32 v81, 0
	v_add_u32_e32 v86, -1, v0
	v_add_u32_e32 v87, 0x140, v85
	v_mov_b32_e32 v88, v85
	v_mov_b32_e32 v82, 0
	s_mov_b64 s[8:9], 0
.LBB39_55:                              ; =>This Inner Loop Header: Depth=1
	buffer_load_dword v89, v88, s[0:3], 0 offen
	buffer_load_dword v90, v88, s[0:3], 0 offen offset:4
	ds_read_b64 v[91:92], v87
	v_add_u32_e32 v86, 1, v86
	v_cmp_lt_u32_e32 vcc, 10, v86
	v_add_u32_e32 v87, 8, v87
	s_or_b64 s[8:9], vcc, s[8:9]
	v_add_u32_e32 v88, 8, v88
	s_waitcnt vmcnt(0) lgkmcnt(0)
	v_fma_f64 v[81:82], v[89:90], v[91:92], v[81:82]
	s_andn2_b64 exec, exec, s[8:9]
	s_cbranch_execnz .LBB39_55
; %bb.56:
	s_or_b64 exec, exec, s[8:9]
	v_mov_b32_e32 v86, 0
	ds_read_b64 v[86:87], v86 offset:96
	s_waitcnt lgkmcnt(0)
	v_mul_f64 v[81:82], v[81:82], v[86:87]
	buffer_store_dword v82, off, s[0:3], 0 offset:100
	buffer_store_dword v81, off, s[0:3], 0 offset:96
.LBB39_57:
	s_or_b64 exec, exec, s[4:5]
	; wave barrier
	buffer_load_dword v81, off, s[0:3], 0 offset:104
	buffer_load_dword v82, off, s[0:3], 0 offset:108
	v_cmp_gt_u32_e32 vcc, 13, v0
	s_waitcnt vmcnt(0)
	ds_write_b64 v83, v[81:82]
	s_waitcnt lgkmcnt(0)
	; wave barrier
	s_and_saveexec_b64 s[4:5], vcc
	s_cbranch_execz .LBB39_61
; %bb.58:
	v_mov_b32_e32 v81, 0
	v_add_u32_e32 v86, -1, v0
	v_add_u32_e32 v87, 0x140, v85
	v_mov_b32_e32 v88, v85
	v_mov_b32_e32 v82, 0
	s_mov_b64 s[8:9], 0
.LBB39_59:                              ; =>This Inner Loop Header: Depth=1
	buffer_load_dword v89, v88, s[0:3], 0 offen
	buffer_load_dword v90, v88, s[0:3], 0 offen offset:4
	ds_read_b64 v[91:92], v87
	v_add_u32_e32 v86, 1, v86
	v_cmp_lt_u32_e32 vcc, 11, v86
	v_add_u32_e32 v87, 8, v87
	s_or_b64 s[8:9], vcc, s[8:9]
	v_add_u32_e32 v88, 8, v88
	s_waitcnt vmcnt(0) lgkmcnt(0)
	v_fma_f64 v[81:82], v[89:90], v[91:92], v[81:82]
	s_andn2_b64 exec, exec, s[8:9]
	s_cbranch_execnz .LBB39_59
; %bb.60:
	s_or_b64 exec, exec, s[8:9]
	v_mov_b32_e32 v86, 0
	ds_read_b64 v[86:87], v86 offset:104
	s_waitcnt lgkmcnt(0)
	v_mul_f64 v[81:82], v[81:82], v[86:87]
	buffer_store_dword v82, off, s[0:3], 0 offset:108
	buffer_store_dword v81, off, s[0:3], 0 offset:104
.LBB39_61:
	s_or_b64 exec, exec, s[4:5]
	; wave barrier
	buffer_load_dword v81, off, s[0:3], 0 offset:112
	buffer_load_dword v82, off, s[0:3], 0 offset:116
	v_cmp_gt_u32_e32 vcc, 14, v0
	s_waitcnt vmcnt(0)
	ds_write_b64 v83, v[81:82]
	s_waitcnt lgkmcnt(0)
	; wave barrier
	s_and_saveexec_b64 s[4:5], vcc
	s_cbranch_execz .LBB39_65
; %bb.62:
	v_mov_b32_e32 v81, 0
	v_add_u32_e32 v86, -1, v0
	v_add_u32_e32 v87, 0x140, v85
	v_mov_b32_e32 v88, v85
	v_mov_b32_e32 v82, 0
	s_mov_b64 s[8:9], 0
.LBB39_63:                              ; =>This Inner Loop Header: Depth=1
	buffer_load_dword v89, v88, s[0:3], 0 offen
	buffer_load_dword v90, v88, s[0:3], 0 offen offset:4
	ds_read_b64 v[91:92], v87
	v_add_u32_e32 v86, 1, v86
	v_cmp_lt_u32_e32 vcc, 12, v86
	v_add_u32_e32 v87, 8, v87
	s_or_b64 s[8:9], vcc, s[8:9]
	v_add_u32_e32 v88, 8, v88
	s_waitcnt vmcnt(0) lgkmcnt(0)
	v_fma_f64 v[81:82], v[89:90], v[91:92], v[81:82]
	s_andn2_b64 exec, exec, s[8:9]
	s_cbranch_execnz .LBB39_63
; %bb.64:
	s_or_b64 exec, exec, s[8:9]
	v_mov_b32_e32 v86, 0
	ds_read_b64 v[86:87], v86 offset:112
	s_waitcnt lgkmcnt(0)
	v_mul_f64 v[81:82], v[81:82], v[86:87]
	buffer_store_dword v82, off, s[0:3], 0 offset:116
	buffer_store_dword v81, off, s[0:3], 0 offset:112
.LBB39_65:
	s_or_b64 exec, exec, s[4:5]
	; wave barrier
	buffer_load_dword v81, off, s[0:3], 0 offset:120
	buffer_load_dword v82, off, s[0:3], 0 offset:124
	v_cmp_gt_u32_e32 vcc, 15, v0
	s_waitcnt vmcnt(0)
	ds_write_b64 v83, v[81:82]
	s_waitcnt lgkmcnt(0)
	; wave barrier
	s_and_saveexec_b64 s[4:5], vcc
	s_cbranch_execz .LBB39_69
; %bb.66:
	v_mov_b32_e32 v81, 0
	v_add_u32_e32 v86, -1, v0
	v_add_u32_e32 v87, 0x140, v85
	v_mov_b32_e32 v88, v85
	v_mov_b32_e32 v82, 0
	s_mov_b64 s[8:9], 0
.LBB39_67:                              ; =>This Inner Loop Header: Depth=1
	buffer_load_dword v89, v88, s[0:3], 0 offen
	buffer_load_dword v90, v88, s[0:3], 0 offen offset:4
	ds_read_b64 v[91:92], v87
	v_add_u32_e32 v86, 1, v86
	v_cmp_lt_u32_e32 vcc, 13, v86
	v_add_u32_e32 v87, 8, v87
	s_or_b64 s[8:9], vcc, s[8:9]
	v_add_u32_e32 v88, 8, v88
	s_waitcnt vmcnt(0) lgkmcnt(0)
	v_fma_f64 v[81:82], v[89:90], v[91:92], v[81:82]
	s_andn2_b64 exec, exec, s[8:9]
	s_cbranch_execnz .LBB39_67
; %bb.68:
	s_or_b64 exec, exec, s[8:9]
	v_mov_b32_e32 v86, 0
	ds_read_b64 v[86:87], v86 offset:120
	s_waitcnt lgkmcnt(0)
	v_mul_f64 v[81:82], v[81:82], v[86:87]
	buffer_store_dword v82, off, s[0:3], 0 offset:124
	buffer_store_dword v81, off, s[0:3], 0 offset:120
.LBB39_69:
	s_or_b64 exec, exec, s[4:5]
	; wave barrier
	buffer_load_dword v81, off, s[0:3], 0 offset:128
	buffer_load_dword v82, off, s[0:3], 0 offset:132
	v_cmp_gt_u32_e32 vcc, 16, v0
	s_waitcnt vmcnt(0)
	ds_write_b64 v83, v[81:82]
	s_waitcnt lgkmcnt(0)
	; wave barrier
	s_and_saveexec_b64 s[4:5], vcc
	s_cbranch_execz .LBB39_73
; %bb.70:
	v_mov_b32_e32 v81, 0
	v_add_u32_e32 v86, -1, v0
	v_add_u32_e32 v87, 0x140, v85
	v_mov_b32_e32 v88, v85
	v_mov_b32_e32 v82, 0
	s_mov_b64 s[8:9], 0
.LBB39_71:                              ; =>This Inner Loop Header: Depth=1
	buffer_load_dword v89, v88, s[0:3], 0 offen
	buffer_load_dword v90, v88, s[0:3], 0 offen offset:4
	ds_read_b64 v[91:92], v87
	v_add_u32_e32 v86, 1, v86
	v_cmp_lt_u32_e32 vcc, 14, v86
	v_add_u32_e32 v87, 8, v87
	s_or_b64 s[8:9], vcc, s[8:9]
	v_add_u32_e32 v88, 8, v88
	s_waitcnt vmcnt(0) lgkmcnt(0)
	v_fma_f64 v[81:82], v[89:90], v[91:92], v[81:82]
	s_andn2_b64 exec, exec, s[8:9]
	s_cbranch_execnz .LBB39_71
; %bb.72:
	s_or_b64 exec, exec, s[8:9]
	v_mov_b32_e32 v86, 0
	ds_read_b64 v[86:87], v86 offset:128
	s_waitcnt lgkmcnt(0)
	v_mul_f64 v[81:82], v[81:82], v[86:87]
	buffer_store_dword v82, off, s[0:3], 0 offset:132
	buffer_store_dword v81, off, s[0:3], 0 offset:128
.LBB39_73:
	s_or_b64 exec, exec, s[4:5]
	; wave barrier
	buffer_load_dword v81, off, s[0:3], 0 offset:136
	buffer_load_dword v82, off, s[0:3], 0 offset:140
	v_cmp_gt_u32_e32 vcc, 17, v0
	s_waitcnt vmcnt(0)
	ds_write_b64 v83, v[81:82]
	s_waitcnt lgkmcnt(0)
	; wave barrier
	s_and_saveexec_b64 s[4:5], vcc
	s_cbranch_execz .LBB39_77
; %bb.74:
	v_mov_b32_e32 v81, 0
	v_add_u32_e32 v86, -1, v0
	v_add_u32_e32 v87, 0x140, v85
	v_mov_b32_e32 v88, v85
	v_mov_b32_e32 v82, 0
	s_mov_b64 s[8:9], 0
.LBB39_75:                              ; =>This Inner Loop Header: Depth=1
	buffer_load_dword v89, v88, s[0:3], 0 offen
	buffer_load_dword v90, v88, s[0:3], 0 offen offset:4
	ds_read_b64 v[91:92], v87
	v_add_u32_e32 v86, 1, v86
	v_cmp_lt_u32_e32 vcc, 15, v86
	v_add_u32_e32 v87, 8, v87
	s_or_b64 s[8:9], vcc, s[8:9]
	v_add_u32_e32 v88, 8, v88
	s_waitcnt vmcnt(0) lgkmcnt(0)
	v_fma_f64 v[81:82], v[89:90], v[91:92], v[81:82]
	s_andn2_b64 exec, exec, s[8:9]
	s_cbranch_execnz .LBB39_75
; %bb.76:
	s_or_b64 exec, exec, s[8:9]
	v_mov_b32_e32 v86, 0
	ds_read_b64 v[86:87], v86 offset:136
	s_waitcnt lgkmcnt(0)
	v_mul_f64 v[81:82], v[81:82], v[86:87]
	buffer_store_dword v82, off, s[0:3], 0 offset:140
	buffer_store_dword v81, off, s[0:3], 0 offset:136
.LBB39_77:
	s_or_b64 exec, exec, s[4:5]
	; wave barrier
	buffer_load_dword v81, off, s[0:3], 0 offset:144
	buffer_load_dword v82, off, s[0:3], 0 offset:148
	v_cmp_gt_u32_e32 vcc, 18, v0
	s_waitcnt vmcnt(0)
	ds_write_b64 v83, v[81:82]
	s_waitcnt lgkmcnt(0)
	; wave barrier
	s_and_saveexec_b64 s[4:5], vcc
	s_cbranch_execz .LBB39_81
; %bb.78:
	v_mov_b32_e32 v81, 0
	v_add_u32_e32 v86, -1, v0
	v_add_u32_e32 v87, 0x140, v85
	v_mov_b32_e32 v88, v85
	v_mov_b32_e32 v82, 0
	s_mov_b64 s[8:9], 0
.LBB39_79:                              ; =>This Inner Loop Header: Depth=1
	buffer_load_dword v89, v88, s[0:3], 0 offen
	buffer_load_dword v90, v88, s[0:3], 0 offen offset:4
	ds_read_b64 v[91:92], v87
	v_add_u32_e32 v86, 1, v86
	v_cmp_lt_u32_e32 vcc, 16, v86
	v_add_u32_e32 v87, 8, v87
	s_or_b64 s[8:9], vcc, s[8:9]
	v_add_u32_e32 v88, 8, v88
	s_waitcnt vmcnt(0) lgkmcnt(0)
	v_fma_f64 v[81:82], v[89:90], v[91:92], v[81:82]
	s_andn2_b64 exec, exec, s[8:9]
	s_cbranch_execnz .LBB39_79
; %bb.80:
	s_or_b64 exec, exec, s[8:9]
	v_mov_b32_e32 v86, 0
	ds_read_b64 v[86:87], v86 offset:144
	s_waitcnt lgkmcnt(0)
	v_mul_f64 v[81:82], v[81:82], v[86:87]
	buffer_store_dword v82, off, s[0:3], 0 offset:148
	buffer_store_dword v81, off, s[0:3], 0 offset:144
.LBB39_81:
	s_or_b64 exec, exec, s[4:5]
	; wave barrier
	buffer_load_dword v81, off, s[0:3], 0 offset:152
	buffer_load_dword v82, off, s[0:3], 0 offset:156
	v_cmp_gt_u32_e32 vcc, 19, v0
	s_waitcnt vmcnt(0)
	ds_write_b64 v83, v[81:82]
	s_waitcnt lgkmcnt(0)
	; wave barrier
	s_and_saveexec_b64 s[4:5], vcc
	s_cbranch_execz .LBB39_85
; %bb.82:
	v_mov_b32_e32 v81, 0
	v_add_u32_e32 v86, -1, v0
	v_add_u32_e32 v87, 0x140, v85
	v_mov_b32_e32 v88, v85
	v_mov_b32_e32 v82, 0
	s_mov_b64 s[8:9], 0
.LBB39_83:                              ; =>This Inner Loop Header: Depth=1
	buffer_load_dword v89, v88, s[0:3], 0 offen
	buffer_load_dword v90, v88, s[0:3], 0 offen offset:4
	ds_read_b64 v[91:92], v87
	v_add_u32_e32 v86, 1, v86
	v_cmp_lt_u32_e32 vcc, 17, v86
	v_add_u32_e32 v87, 8, v87
	s_or_b64 s[8:9], vcc, s[8:9]
	v_add_u32_e32 v88, 8, v88
	s_waitcnt vmcnt(0) lgkmcnt(0)
	v_fma_f64 v[81:82], v[89:90], v[91:92], v[81:82]
	s_andn2_b64 exec, exec, s[8:9]
	s_cbranch_execnz .LBB39_83
; %bb.84:
	s_or_b64 exec, exec, s[8:9]
	v_mov_b32_e32 v86, 0
	ds_read_b64 v[86:87], v86 offset:152
	s_waitcnt lgkmcnt(0)
	v_mul_f64 v[81:82], v[81:82], v[86:87]
	buffer_store_dword v82, off, s[0:3], 0 offset:156
	buffer_store_dword v81, off, s[0:3], 0 offset:152
.LBB39_85:
	s_or_b64 exec, exec, s[4:5]
	; wave barrier
	buffer_load_dword v81, off, s[0:3], 0 offset:160
	buffer_load_dword v82, off, s[0:3], 0 offset:164
	v_cmp_gt_u32_e32 vcc, 20, v0
	s_waitcnt vmcnt(0)
	ds_write_b64 v83, v[81:82]
	s_waitcnt lgkmcnt(0)
	; wave barrier
	s_and_saveexec_b64 s[4:5], vcc
	s_cbranch_execz .LBB39_89
; %bb.86:
	v_mov_b32_e32 v81, 0
	v_add_u32_e32 v86, -1, v0
	v_add_u32_e32 v87, 0x140, v85
	v_mov_b32_e32 v88, v85
	v_mov_b32_e32 v82, 0
	s_mov_b64 s[8:9], 0
.LBB39_87:                              ; =>This Inner Loop Header: Depth=1
	buffer_load_dword v89, v88, s[0:3], 0 offen
	buffer_load_dword v90, v88, s[0:3], 0 offen offset:4
	ds_read_b64 v[91:92], v87
	v_add_u32_e32 v86, 1, v86
	v_cmp_lt_u32_e32 vcc, 18, v86
	v_add_u32_e32 v87, 8, v87
	s_or_b64 s[8:9], vcc, s[8:9]
	v_add_u32_e32 v88, 8, v88
	s_waitcnt vmcnt(0) lgkmcnt(0)
	v_fma_f64 v[81:82], v[89:90], v[91:92], v[81:82]
	s_andn2_b64 exec, exec, s[8:9]
	s_cbranch_execnz .LBB39_87
; %bb.88:
	s_or_b64 exec, exec, s[8:9]
	v_mov_b32_e32 v86, 0
	ds_read_b64 v[86:87], v86 offset:160
	s_waitcnt lgkmcnt(0)
	v_mul_f64 v[81:82], v[81:82], v[86:87]
	buffer_store_dword v82, off, s[0:3], 0 offset:164
	buffer_store_dword v81, off, s[0:3], 0 offset:160
.LBB39_89:
	s_or_b64 exec, exec, s[4:5]
	; wave barrier
	buffer_load_dword v81, off, s[0:3], 0 offset:168
	buffer_load_dword v82, off, s[0:3], 0 offset:172
	v_cmp_gt_u32_e32 vcc, 21, v0
	s_waitcnt vmcnt(0)
	ds_write_b64 v83, v[81:82]
	s_waitcnt lgkmcnt(0)
	; wave barrier
	s_and_saveexec_b64 s[4:5], vcc
	s_cbranch_execz .LBB39_93
; %bb.90:
	v_mov_b32_e32 v81, 0
	v_add_u32_e32 v86, -1, v0
	v_add_u32_e32 v87, 0x140, v85
	v_mov_b32_e32 v88, v85
	v_mov_b32_e32 v82, 0
	s_mov_b64 s[8:9], 0
.LBB39_91:                              ; =>This Inner Loop Header: Depth=1
	buffer_load_dword v89, v88, s[0:3], 0 offen
	buffer_load_dword v90, v88, s[0:3], 0 offen offset:4
	ds_read_b64 v[91:92], v87
	v_add_u32_e32 v86, 1, v86
	v_cmp_lt_u32_e32 vcc, 19, v86
	v_add_u32_e32 v87, 8, v87
	s_or_b64 s[8:9], vcc, s[8:9]
	v_add_u32_e32 v88, 8, v88
	s_waitcnt vmcnt(0) lgkmcnt(0)
	v_fma_f64 v[81:82], v[89:90], v[91:92], v[81:82]
	s_andn2_b64 exec, exec, s[8:9]
	s_cbranch_execnz .LBB39_91
; %bb.92:
	s_or_b64 exec, exec, s[8:9]
	v_mov_b32_e32 v86, 0
	ds_read_b64 v[86:87], v86 offset:168
	s_waitcnt lgkmcnt(0)
	v_mul_f64 v[81:82], v[81:82], v[86:87]
	buffer_store_dword v82, off, s[0:3], 0 offset:172
	buffer_store_dword v81, off, s[0:3], 0 offset:168
.LBB39_93:
	s_or_b64 exec, exec, s[4:5]
	; wave barrier
	buffer_load_dword v81, off, s[0:3], 0 offset:176
	buffer_load_dword v82, off, s[0:3], 0 offset:180
	v_cmp_gt_u32_e32 vcc, 22, v0
	s_waitcnt vmcnt(0)
	ds_write_b64 v83, v[81:82]
	s_waitcnt lgkmcnt(0)
	; wave barrier
	s_and_saveexec_b64 s[4:5], vcc
	s_cbranch_execz .LBB39_97
; %bb.94:
	v_mov_b32_e32 v81, 0
	v_add_u32_e32 v86, -1, v0
	v_add_u32_e32 v87, 0x140, v85
	v_mov_b32_e32 v88, v85
	v_mov_b32_e32 v82, 0
	s_mov_b64 s[8:9], 0
.LBB39_95:                              ; =>This Inner Loop Header: Depth=1
	buffer_load_dword v89, v88, s[0:3], 0 offen
	buffer_load_dword v90, v88, s[0:3], 0 offen offset:4
	ds_read_b64 v[91:92], v87
	v_add_u32_e32 v86, 1, v86
	v_cmp_lt_u32_e32 vcc, 20, v86
	v_add_u32_e32 v87, 8, v87
	s_or_b64 s[8:9], vcc, s[8:9]
	v_add_u32_e32 v88, 8, v88
	s_waitcnt vmcnt(0) lgkmcnt(0)
	v_fma_f64 v[81:82], v[89:90], v[91:92], v[81:82]
	s_andn2_b64 exec, exec, s[8:9]
	s_cbranch_execnz .LBB39_95
; %bb.96:
	s_or_b64 exec, exec, s[8:9]
	v_mov_b32_e32 v86, 0
	ds_read_b64 v[86:87], v86 offset:176
	s_waitcnt lgkmcnt(0)
	v_mul_f64 v[81:82], v[81:82], v[86:87]
	buffer_store_dword v82, off, s[0:3], 0 offset:180
	buffer_store_dword v81, off, s[0:3], 0 offset:176
.LBB39_97:
	s_or_b64 exec, exec, s[4:5]
	; wave barrier
	buffer_load_dword v81, off, s[0:3], 0 offset:184
	buffer_load_dword v82, off, s[0:3], 0 offset:188
	v_cmp_gt_u32_e32 vcc, 23, v0
	s_waitcnt vmcnt(0)
	ds_write_b64 v83, v[81:82]
	s_waitcnt lgkmcnt(0)
	; wave barrier
	s_and_saveexec_b64 s[4:5], vcc
	s_cbranch_execz .LBB39_101
; %bb.98:
	v_mov_b32_e32 v81, 0
	v_add_u32_e32 v86, -1, v0
	v_add_u32_e32 v87, 0x140, v85
	v_mov_b32_e32 v88, v85
	v_mov_b32_e32 v82, 0
	s_mov_b64 s[8:9], 0
.LBB39_99:                              ; =>This Inner Loop Header: Depth=1
	buffer_load_dword v89, v88, s[0:3], 0 offen
	buffer_load_dword v90, v88, s[0:3], 0 offen offset:4
	ds_read_b64 v[91:92], v87
	v_add_u32_e32 v86, 1, v86
	v_cmp_lt_u32_e32 vcc, 21, v86
	v_add_u32_e32 v87, 8, v87
	s_or_b64 s[8:9], vcc, s[8:9]
	v_add_u32_e32 v88, 8, v88
	s_waitcnt vmcnt(0) lgkmcnt(0)
	v_fma_f64 v[81:82], v[89:90], v[91:92], v[81:82]
	s_andn2_b64 exec, exec, s[8:9]
	s_cbranch_execnz .LBB39_99
; %bb.100:
	s_or_b64 exec, exec, s[8:9]
	v_mov_b32_e32 v86, 0
	ds_read_b64 v[86:87], v86 offset:184
	s_waitcnt lgkmcnt(0)
	v_mul_f64 v[81:82], v[81:82], v[86:87]
	buffer_store_dword v82, off, s[0:3], 0 offset:188
	buffer_store_dword v81, off, s[0:3], 0 offset:184
.LBB39_101:
	s_or_b64 exec, exec, s[4:5]
	; wave barrier
	buffer_load_dword v81, off, s[0:3], 0 offset:192
	buffer_load_dword v82, off, s[0:3], 0 offset:196
	v_cmp_gt_u32_e32 vcc, 24, v0
	s_waitcnt vmcnt(0)
	ds_write_b64 v83, v[81:82]
	s_waitcnt lgkmcnt(0)
	; wave barrier
	s_and_saveexec_b64 s[4:5], vcc
	s_cbranch_execz .LBB39_105
; %bb.102:
	v_mov_b32_e32 v81, 0
	v_add_u32_e32 v86, -1, v0
	v_add_u32_e32 v87, 0x140, v85
	v_mov_b32_e32 v88, v85
	v_mov_b32_e32 v82, 0
	s_mov_b64 s[8:9], 0
.LBB39_103:                             ; =>This Inner Loop Header: Depth=1
	buffer_load_dword v89, v88, s[0:3], 0 offen
	buffer_load_dword v90, v88, s[0:3], 0 offen offset:4
	ds_read_b64 v[91:92], v87
	v_add_u32_e32 v86, 1, v86
	v_cmp_lt_u32_e32 vcc, 22, v86
	v_add_u32_e32 v87, 8, v87
	s_or_b64 s[8:9], vcc, s[8:9]
	v_add_u32_e32 v88, 8, v88
	s_waitcnt vmcnt(0) lgkmcnt(0)
	v_fma_f64 v[81:82], v[89:90], v[91:92], v[81:82]
	s_andn2_b64 exec, exec, s[8:9]
	s_cbranch_execnz .LBB39_103
; %bb.104:
	s_or_b64 exec, exec, s[8:9]
	v_mov_b32_e32 v86, 0
	ds_read_b64 v[86:87], v86 offset:192
	s_waitcnt lgkmcnt(0)
	v_mul_f64 v[81:82], v[81:82], v[86:87]
	buffer_store_dword v82, off, s[0:3], 0 offset:196
	buffer_store_dword v81, off, s[0:3], 0 offset:192
.LBB39_105:
	s_or_b64 exec, exec, s[4:5]
	; wave barrier
	buffer_load_dword v81, off, s[0:3], 0 offset:200
	buffer_load_dword v82, off, s[0:3], 0 offset:204
	v_cmp_gt_u32_e32 vcc, 25, v0
	s_waitcnt vmcnt(0)
	ds_write_b64 v83, v[81:82]
	s_waitcnt lgkmcnt(0)
	; wave barrier
	s_and_saveexec_b64 s[4:5], vcc
	s_cbranch_execz .LBB39_109
; %bb.106:
	v_mov_b32_e32 v81, 0
	v_add_u32_e32 v86, -1, v0
	v_add_u32_e32 v87, 0x140, v85
	v_mov_b32_e32 v88, v85
	v_mov_b32_e32 v82, 0
	s_mov_b64 s[8:9], 0
.LBB39_107:                             ; =>This Inner Loop Header: Depth=1
	buffer_load_dword v89, v88, s[0:3], 0 offen
	buffer_load_dword v90, v88, s[0:3], 0 offen offset:4
	ds_read_b64 v[91:92], v87
	v_add_u32_e32 v86, 1, v86
	v_cmp_lt_u32_e32 vcc, 23, v86
	v_add_u32_e32 v87, 8, v87
	s_or_b64 s[8:9], vcc, s[8:9]
	v_add_u32_e32 v88, 8, v88
	s_waitcnt vmcnt(0) lgkmcnt(0)
	v_fma_f64 v[81:82], v[89:90], v[91:92], v[81:82]
	s_andn2_b64 exec, exec, s[8:9]
	s_cbranch_execnz .LBB39_107
; %bb.108:
	s_or_b64 exec, exec, s[8:9]
	v_mov_b32_e32 v86, 0
	ds_read_b64 v[86:87], v86 offset:200
	s_waitcnt lgkmcnt(0)
	v_mul_f64 v[81:82], v[81:82], v[86:87]
	buffer_store_dword v82, off, s[0:3], 0 offset:204
	buffer_store_dword v81, off, s[0:3], 0 offset:200
.LBB39_109:
	s_or_b64 exec, exec, s[4:5]
	; wave barrier
	buffer_load_dword v81, off, s[0:3], 0 offset:208
	buffer_load_dword v82, off, s[0:3], 0 offset:212
	v_cmp_gt_u32_e32 vcc, 26, v0
	;; [unrolled: 40-line block ×14, first 2 shown]
	s_waitcnt vmcnt(0)
	ds_write_b64 v83, v[81:82]
	s_waitcnt lgkmcnt(0)
	; wave barrier
	s_and_saveexec_b64 s[4:5], vcc
	s_cbranch_execz .LBB39_161
; %bb.158:
	v_mov_b32_e32 v81, 0
	v_add_u32_e32 v86, -1, v0
	v_add_u32_e32 v87, 0x140, v85
	v_mov_b32_e32 v88, v85
	v_mov_b32_e32 v82, 0
	s_mov_b64 s[8:9], 0
.LBB39_159:                             ; =>This Inner Loop Header: Depth=1
	buffer_load_dword v89, v88, s[0:3], 0 offen
	buffer_load_dword v90, v88, s[0:3], 0 offen offset:4
	ds_read_b64 v[91:92], v87
	v_add_u32_e32 v86, 1, v86
	v_cmp_lt_u32_e32 vcc, 36, v86
	v_add_u32_e32 v87, 8, v87
	s_or_b64 s[8:9], vcc, s[8:9]
	v_add_u32_e32 v88, 8, v88
	s_waitcnt vmcnt(0) lgkmcnt(0)
	v_fma_f64 v[81:82], v[89:90], v[91:92], v[81:82]
	s_andn2_b64 exec, exec, s[8:9]
	s_cbranch_execnz .LBB39_159
; %bb.160:
	s_or_b64 exec, exec, s[8:9]
	v_mov_b32_e32 v86, 0
	ds_read_b64 v[86:87], v86 offset:304
	s_waitcnt lgkmcnt(0)
	v_mul_f64 v[81:82], v[81:82], v[86:87]
	buffer_store_dword v82, off, s[0:3], 0 offset:308
	buffer_store_dword v81, off, s[0:3], 0 offset:304
.LBB39_161:
	s_or_b64 exec, exec, s[4:5]
	; wave barrier
	buffer_load_dword v81, off, s[0:3], 0 offset:312
	buffer_load_dword v82, off, s[0:3], 0 offset:316
	v_cmp_ne_u32_e32 vcc, 39, v0
	s_waitcnt vmcnt(0)
	ds_write_b64 v83, v[81:82]
	s_waitcnt lgkmcnt(0)
	; wave barrier
	s_and_saveexec_b64 s[4:5], vcc
	s_cbranch_execz .LBB39_165
; %bb.162:
	v_mov_b32_e32 v81, 0
	v_add_u32_e32 v83, 0x140, v85
	v_mov_b32_e32 v82, 0
	s_mov_b64 s[8:9], 0
.LBB39_163:                             ; =>This Inner Loop Header: Depth=1
	buffer_load_dword v86, v85, s[0:3], 0 offen
	buffer_load_dword v87, v85, s[0:3], 0 offen offset:4
	ds_read_b64 v[88:89], v83
	v_add_u32_e32 v84, 1, v84
	v_cmp_lt_u32_e32 vcc, 37, v84
	v_add_u32_e32 v83, 8, v83
	s_or_b64 s[8:9], vcc, s[8:9]
	v_add_u32_e32 v85, 8, v85
	s_waitcnt vmcnt(0) lgkmcnt(0)
	v_fma_f64 v[81:82], v[86:87], v[88:89], v[81:82]
	s_andn2_b64 exec, exec, s[8:9]
	s_cbranch_execnz .LBB39_163
; %bb.164:
	s_or_b64 exec, exec, s[8:9]
	v_mov_b32_e32 v83, 0
	ds_read_b64 v[83:84], v83 offset:312
	s_waitcnt lgkmcnt(0)
	v_mul_f64 v[81:82], v[81:82], v[83:84]
	buffer_store_dword v82, off, s[0:3], 0 offset:316
	buffer_store_dword v81, off, s[0:3], 0 offset:312
.LBB39_165:
	s_or_b64 exec, exec, s[4:5]
	s_mov_b64 s[8:9], -1
	; wave barrier
.LBB39_166:
	s_and_b64 vcc, exec, s[8:9]
	s_cbranch_vccz .LBB39_168
; %bb.167:
	s_lshl_b64 s[4:5], s[6:7], 2
	s_add_u32 s4, s10, s4
	s_addc_u32 s5, s11, s5
	v_mov_b32_e32 v81, 0
	global_load_dword v81, v81, s[4:5]
	s_waitcnt vmcnt(0)
	v_cmp_ne_u32_e32 vcc, 0, v81
	s_cbranch_vccz .LBB39_169
.LBB39_168:
	s_endpgm
.LBB39_169:
	v_mov_b32_e32 v81, 0x140
	v_lshl_add_u32 v81, v0, 3, v81
	v_cmp_eq_u32_e32 vcc, 39, v0
	s_and_saveexec_b64 s[4:5], vcc
	s_cbranch_execz .LBB39_171
; %bb.170:
	buffer_load_dword v82, off, s[0:3], 0 offset:304
	buffer_load_dword v83, off, s[0:3], 0 offset:308
	v_mov_b32_e32 v84, 0
	buffer_store_dword v84, off, s[0:3], 0 offset:304
	buffer_store_dword v84, off, s[0:3], 0 offset:308
	s_waitcnt vmcnt(2)
	ds_write_b64 v81, v[82:83]
.LBB39_171:
	s_or_b64 exec, exec, s[4:5]
	s_waitcnt lgkmcnt(0)
	; wave barrier
	buffer_load_dword v83, off, s[0:3], 0 offset:312
	buffer_load_dword v84, off, s[0:3], 0 offset:316
	;; [unrolled: 1-line block ×4, first 2 shown]
	v_mov_b32_e32 v82, 0
	ds_read_b64 v[87:88], v82 offset:632
	v_cmp_lt_u32_e32 vcc, 37, v0
	s_waitcnt vmcnt(2) lgkmcnt(0)
	v_fma_f64 v[83:84], v[83:84], v[87:88], 0
	s_waitcnt vmcnt(0)
	v_add_f64 v[83:84], v[85:86], -v[83:84]
	buffer_store_dword v83, off, s[0:3], 0 offset:304
	buffer_store_dword v84, off, s[0:3], 0 offset:308
	s_and_saveexec_b64 s[4:5], vcc
	s_cbranch_execz .LBB39_173
; %bb.172:
	buffer_load_dword v83, off, s[0:3], 0 offset:296
	buffer_load_dword v84, off, s[0:3], 0 offset:300
	s_waitcnt vmcnt(0)
	ds_write_b64 v81, v[83:84]
	buffer_store_dword v82, off, s[0:3], 0 offset:296
	buffer_store_dword v82, off, s[0:3], 0 offset:300
.LBB39_173:
	s_or_b64 exec, exec, s[4:5]
	s_waitcnt lgkmcnt(0)
	; wave barrier
	buffer_load_dword v86, off, s[0:3], 0 offset:304
	buffer_load_dword v87, off, s[0:3], 0 offset:308
	;; [unrolled: 1-line block ×6, first 2 shown]
	ds_read_b128 v[82:85], v82 offset:624
	v_cmp_lt_u32_e32 vcc, 36, v0
	s_waitcnt vmcnt(4) lgkmcnt(0)
	v_fma_f64 v[82:83], v[86:87], v[82:83], 0
	s_waitcnt vmcnt(2)
	v_fma_f64 v[82:83], v[88:89], v[84:85], v[82:83]
	s_waitcnt vmcnt(0)
	v_add_f64 v[82:83], v[90:91], -v[82:83]
	buffer_store_dword v82, off, s[0:3], 0 offset:296
	buffer_store_dword v83, off, s[0:3], 0 offset:300
	s_and_saveexec_b64 s[4:5], vcc
	s_cbranch_execz .LBB39_175
; %bb.174:
	buffer_load_dword v82, off, s[0:3], 0 offset:288
	buffer_load_dword v83, off, s[0:3], 0 offset:292
	v_mov_b32_e32 v84, 0
	buffer_store_dword v84, off, s[0:3], 0 offset:288
	buffer_store_dword v84, off, s[0:3], 0 offset:292
	s_waitcnt vmcnt(2)
	ds_write_b64 v81, v[82:83]
.LBB39_175:
	s_or_b64 exec, exec, s[4:5]
	s_waitcnt lgkmcnt(0)
	; wave barrier
	buffer_load_dword v87, off, s[0:3], 0 offset:296
	buffer_load_dword v88, off, s[0:3], 0 offset:300
	;; [unrolled: 1-line block ×8, first 2 shown]
	v_mov_b32_e32 v82, 0
	ds_read2_b64 v[83:86], v82 offset0:77 offset1:78
	ds_read_b64 v[95:96], v82 offset:632
	v_cmp_lt_u32_e32 vcc, 35, v0
	s_waitcnt vmcnt(6) lgkmcnt(1)
	v_fma_f64 v[83:84], v[87:88], v[83:84], 0
	s_waitcnt vmcnt(4)
	v_fma_f64 v[83:84], v[89:90], v[85:86], v[83:84]
	s_waitcnt vmcnt(2) lgkmcnt(0)
	v_fma_f64 v[83:84], v[91:92], v[95:96], v[83:84]
	s_waitcnt vmcnt(0)
	v_add_f64 v[83:84], v[93:94], -v[83:84]
	buffer_store_dword v83, off, s[0:3], 0 offset:288
	buffer_store_dword v84, off, s[0:3], 0 offset:292
	s_and_saveexec_b64 s[4:5], vcc
	s_cbranch_execz .LBB39_177
; %bb.176:
	buffer_load_dword v83, off, s[0:3], 0 offset:280
	buffer_load_dword v84, off, s[0:3], 0 offset:284
	s_waitcnt vmcnt(0)
	ds_write_b64 v81, v[83:84]
	buffer_store_dword v82, off, s[0:3], 0 offset:280
	buffer_store_dword v82, off, s[0:3], 0 offset:284
.LBB39_177:
	s_or_b64 exec, exec, s[4:5]
	s_waitcnt lgkmcnt(0)
	; wave barrier
	buffer_load_dword v91, off, s[0:3], 0 offset:288
	buffer_load_dword v92, off, s[0:3], 0 offset:292
	;; [unrolled: 1-line block ×10, first 2 shown]
	ds_read_b128 v[83:86], v82 offset:608
	ds_read_b128 v[87:90], v82 offset:624
	v_cmp_lt_u32_e32 vcc, 34, v0
	s_waitcnt vmcnt(8) lgkmcnt(1)
	v_fma_f64 v[82:83], v[91:92], v[83:84], 0
	s_waitcnt vmcnt(6)
	v_fma_f64 v[82:83], v[93:94], v[85:86], v[82:83]
	s_waitcnt vmcnt(4) lgkmcnt(0)
	v_fma_f64 v[82:83], v[95:96], v[87:88], v[82:83]
	s_waitcnt vmcnt(2)
	v_fma_f64 v[82:83], v[97:98], v[89:90], v[82:83]
	s_waitcnt vmcnt(0)
	v_add_f64 v[82:83], v[99:100], -v[82:83]
	buffer_store_dword v82, off, s[0:3], 0 offset:280
	buffer_store_dword v83, off, s[0:3], 0 offset:284
	s_and_saveexec_b64 s[4:5], vcc
	s_cbranch_execz .LBB39_179
; %bb.178:
	buffer_load_dword v82, off, s[0:3], 0 offset:272
	buffer_load_dword v83, off, s[0:3], 0 offset:276
	v_mov_b32_e32 v84, 0
	buffer_store_dword v84, off, s[0:3], 0 offset:272
	buffer_store_dword v84, off, s[0:3], 0 offset:276
	s_waitcnt vmcnt(2)
	ds_write_b64 v81, v[82:83]
.LBB39_179:
	s_or_b64 exec, exec, s[4:5]
	s_waitcnt lgkmcnt(0)
	; wave barrier
	buffer_load_dword v91, off, s[0:3], 0 offset:280
	buffer_load_dword v92, off, s[0:3], 0 offset:284
	;; [unrolled: 1-line block ×12, first 2 shown]
	v_mov_b32_e32 v82, 0
	ds_read2_b64 v[83:86], v82 offset0:75 offset1:76
	ds_read2_b64 v[87:90], v82 offset0:77 offset1:78
	v_cmp_lt_u32_e32 vcc, 33, v0
	s_waitcnt vmcnt(10) lgkmcnt(1)
	v_fma_f64 v[83:84], v[91:92], v[83:84], 0
	s_waitcnt vmcnt(8)
	v_fma_f64 v[83:84], v[93:94], v[85:86], v[83:84]
	ds_read_b64 v[85:86], v82 offset:632
	s_waitcnt vmcnt(6) lgkmcnt(1)
	v_fma_f64 v[83:84], v[95:96], v[87:88], v[83:84]
	s_waitcnt vmcnt(4)
	v_fma_f64 v[83:84], v[97:98], v[89:90], v[83:84]
	s_waitcnt vmcnt(2) lgkmcnt(0)
	v_fma_f64 v[83:84], v[99:100], v[85:86], v[83:84]
	s_waitcnt vmcnt(0)
	v_add_f64 v[83:84], v[101:102], -v[83:84]
	buffer_store_dword v83, off, s[0:3], 0 offset:272
	buffer_store_dword v84, off, s[0:3], 0 offset:276
	s_and_saveexec_b64 s[4:5], vcc
	s_cbranch_execz .LBB39_181
; %bb.180:
	buffer_load_dword v83, off, s[0:3], 0 offset:264
	buffer_load_dword v84, off, s[0:3], 0 offset:268
	s_waitcnt vmcnt(0)
	ds_write_b64 v81, v[83:84]
	buffer_store_dword v82, off, s[0:3], 0 offset:264
	buffer_store_dword v82, off, s[0:3], 0 offset:268
.LBB39_181:
	s_or_b64 exec, exec, s[4:5]
	s_waitcnt lgkmcnt(0)
	; wave barrier
	buffer_load_dword v91, off, s[0:3], 0 offset:272
	buffer_load_dword v92, off, s[0:3], 0 offset:276
	buffer_load_dword v93, off, s[0:3], 0 offset:280
	buffer_load_dword v94, off, s[0:3], 0 offset:284
	buffer_load_dword v95, off, s[0:3], 0 offset:288
	buffer_load_dword v96, off, s[0:3], 0 offset:292
	buffer_load_dword v97, off, s[0:3], 0 offset:296
	buffer_load_dword v98, off, s[0:3], 0 offset:300
	buffer_load_dword v99, off, s[0:3], 0 offset:304
	buffer_load_dword v100, off, s[0:3], 0 offset:308
	buffer_load_dword v101, off, s[0:3], 0 offset:312
	buffer_load_dword v102, off, s[0:3], 0 offset:316
	buffer_load_dword v103, off, s[0:3], 0 offset:264
	buffer_load_dword v104, off, s[0:3], 0 offset:268
	ds_read_b128 v[83:86], v82 offset:592
	ds_read_b128 v[87:90], v82 offset:608
	v_cmp_lt_u32_e32 vcc, 32, v0
	s_waitcnt vmcnt(12) lgkmcnt(1)
	v_fma_f64 v[83:84], v[91:92], v[83:84], 0
	s_waitcnt vmcnt(10)
	v_fma_f64 v[83:84], v[93:94], v[85:86], v[83:84]
	s_waitcnt vmcnt(8) lgkmcnt(0)
	v_fma_f64 v[83:84], v[95:96], v[87:88], v[83:84]
	s_waitcnt vmcnt(6)
	v_fma_f64 v[86:87], v[97:98], v[89:90], v[83:84]
	ds_read_b128 v[82:85], v82 offset:624
	s_waitcnt vmcnt(4) lgkmcnt(0)
	v_fma_f64 v[82:83], v[99:100], v[82:83], v[86:87]
	s_waitcnt vmcnt(2)
	v_fma_f64 v[82:83], v[101:102], v[84:85], v[82:83]
	s_waitcnt vmcnt(0)
	v_add_f64 v[82:83], v[103:104], -v[82:83]
	buffer_store_dword v82, off, s[0:3], 0 offset:264
	buffer_store_dword v83, off, s[0:3], 0 offset:268
	s_and_saveexec_b64 s[4:5], vcc
	s_cbranch_execz .LBB39_183
; %bb.182:
	buffer_load_dword v82, off, s[0:3], 0 offset:256
	buffer_load_dword v83, off, s[0:3], 0 offset:260
	v_mov_b32_e32 v84, 0
	buffer_store_dword v84, off, s[0:3], 0 offset:256
	buffer_store_dword v84, off, s[0:3], 0 offset:260
	s_waitcnt vmcnt(2)
	ds_write_b64 v81, v[82:83]
.LBB39_183:
	s_or_b64 exec, exec, s[4:5]
	s_waitcnt lgkmcnt(0)
	; wave barrier
	buffer_load_dword v91, off, s[0:3], 0 offset:264
	buffer_load_dword v92, off, s[0:3], 0 offset:268
	;; [unrolled: 1-line block ×16, first 2 shown]
	v_mov_b32_e32 v82, 0
	ds_read2_b64 v[83:86], v82 offset0:73 offset1:74
	ds_read2_b64 v[87:90], v82 offset0:75 offset1:76
	v_cmp_lt_u32_e32 vcc, 31, v0
	s_waitcnt vmcnt(14) lgkmcnt(1)
	v_fma_f64 v[83:84], v[91:92], v[83:84], 0
	s_waitcnt vmcnt(12)
	v_fma_f64 v[83:84], v[93:94], v[85:86], v[83:84]
	s_waitcnt vmcnt(10) lgkmcnt(0)
	v_fma_f64 v[83:84], v[95:96], v[87:88], v[83:84]
	s_waitcnt vmcnt(8)
	v_fma_f64 v[87:88], v[97:98], v[89:90], v[83:84]
	ds_read2_b64 v[83:86], v82 offset0:77 offset1:78
	ds_read_b64 v[89:90], v82 offset:632
	s_waitcnt vmcnt(6) lgkmcnt(1)
	v_fma_f64 v[83:84], v[99:100], v[83:84], v[87:88]
	s_waitcnt vmcnt(4)
	v_fma_f64 v[83:84], v[101:102], v[85:86], v[83:84]
	s_waitcnt vmcnt(2) lgkmcnt(0)
	v_fma_f64 v[83:84], v[103:104], v[89:90], v[83:84]
	s_waitcnt vmcnt(0)
	v_add_f64 v[83:84], v[105:106], -v[83:84]
	buffer_store_dword v83, off, s[0:3], 0 offset:256
	buffer_store_dword v84, off, s[0:3], 0 offset:260
	s_and_saveexec_b64 s[4:5], vcc
	s_cbranch_execz .LBB39_185
; %bb.184:
	buffer_load_dword v83, off, s[0:3], 0 offset:248
	buffer_load_dword v84, off, s[0:3], 0 offset:252
	s_waitcnt vmcnt(0)
	ds_write_b64 v81, v[83:84]
	buffer_store_dword v82, off, s[0:3], 0 offset:248
	buffer_store_dword v82, off, s[0:3], 0 offset:252
.LBB39_185:
	s_or_b64 exec, exec, s[4:5]
	s_waitcnt lgkmcnt(0)
	; wave barrier
	buffer_load_dword v91, off, s[0:3], 0 offset:256
	buffer_load_dword v92, off, s[0:3], 0 offset:260
	;; [unrolled: 1-line block ×18, first 2 shown]
	ds_read_b128 v[83:86], v82 offset:576
	ds_read_b128 v[87:90], v82 offset:592
	v_cmp_lt_u32_e32 vcc, 30, v0
	s_waitcnt vmcnt(16) lgkmcnt(1)
	v_fma_f64 v[83:84], v[91:92], v[83:84], 0
	s_waitcnt vmcnt(14)
	v_fma_f64 v[83:84], v[93:94], v[85:86], v[83:84]
	s_waitcnt vmcnt(12) lgkmcnt(0)
	v_fma_f64 v[83:84], v[95:96], v[87:88], v[83:84]
	s_waitcnt vmcnt(10)
	v_fma_f64 v[91:92], v[97:98], v[89:90], v[83:84]
	ds_read_b128 v[83:86], v82 offset:608
	ds_read_b128 v[87:90], v82 offset:624
	s_waitcnt vmcnt(8) lgkmcnt(1)
	v_fma_f64 v[82:83], v[99:100], v[83:84], v[91:92]
	s_waitcnt vmcnt(6)
	v_fma_f64 v[82:83], v[101:102], v[85:86], v[82:83]
	s_waitcnt vmcnt(4) lgkmcnt(0)
	v_fma_f64 v[82:83], v[103:104], v[87:88], v[82:83]
	s_waitcnt vmcnt(2)
	v_fma_f64 v[82:83], v[105:106], v[89:90], v[82:83]
	s_waitcnt vmcnt(0)
	v_add_f64 v[82:83], v[107:108], -v[82:83]
	buffer_store_dword v82, off, s[0:3], 0 offset:248
	buffer_store_dword v83, off, s[0:3], 0 offset:252
	s_and_saveexec_b64 s[4:5], vcc
	s_cbranch_execz .LBB39_187
; %bb.186:
	buffer_load_dword v82, off, s[0:3], 0 offset:240
	buffer_load_dword v83, off, s[0:3], 0 offset:244
	v_mov_b32_e32 v84, 0
	buffer_store_dword v84, off, s[0:3], 0 offset:240
	buffer_store_dword v84, off, s[0:3], 0 offset:244
	s_waitcnt vmcnt(2)
	ds_write_b64 v81, v[82:83]
.LBB39_187:
	s_or_b64 exec, exec, s[4:5]
	s_waitcnt lgkmcnt(0)
	; wave barrier
	buffer_load_dword v91, off, s[0:3], 0 offset:248
	buffer_load_dword v92, off, s[0:3], 0 offset:252
	;; [unrolled: 1-line block ×20, first 2 shown]
	v_mov_b32_e32 v82, 0
	ds_read2_b64 v[83:86], v82 offset0:71 offset1:72
	ds_read2_b64 v[87:90], v82 offset0:73 offset1:74
	v_cmp_lt_u32_e32 vcc, 29, v0
	s_waitcnt vmcnt(18) lgkmcnt(1)
	v_fma_f64 v[83:84], v[91:92], v[83:84], 0
	s_waitcnt vmcnt(16)
	v_fma_f64 v[83:84], v[93:94], v[85:86], v[83:84]
	s_waitcnt vmcnt(14) lgkmcnt(0)
	v_fma_f64 v[83:84], v[95:96], v[87:88], v[83:84]
	s_waitcnt vmcnt(12)
	v_fma_f64 v[91:92], v[97:98], v[89:90], v[83:84]
	ds_read2_b64 v[83:86], v82 offset0:75 offset1:76
	ds_read2_b64 v[87:90], v82 offset0:77 offset1:78
	s_waitcnt vmcnt(10) lgkmcnt(1)
	v_fma_f64 v[83:84], v[99:100], v[83:84], v[91:92]
	s_waitcnt vmcnt(8)
	v_fma_f64 v[83:84], v[101:102], v[85:86], v[83:84]
	ds_read_b64 v[85:86], v82 offset:632
	s_waitcnt vmcnt(6) lgkmcnt(1)
	v_fma_f64 v[83:84], v[103:104], v[87:88], v[83:84]
	s_waitcnt vmcnt(3)
	v_fma_f64 v[83:84], v[105:106], v[89:90], v[83:84]
	s_waitcnt vmcnt(2) lgkmcnt(0)
	v_fma_f64 v[83:84], v[107:108], v[85:86], v[83:84]
	s_waitcnt vmcnt(0)
	v_add_f64 v[83:84], v[109:110], -v[83:84]
	buffer_store_dword v83, off, s[0:3], 0 offset:240
	buffer_store_dword v84, off, s[0:3], 0 offset:244
	s_and_saveexec_b64 s[4:5], vcc
	s_cbranch_execz .LBB39_189
; %bb.188:
	buffer_load_dword v83, off, s[0:3], 0 offset:232
	buffer_load_dword v84, off, s[0:3], 0 offset:236
	s_waitcnt vmcnt(0)
	ds_write_b64 v81, v[83:84]
	buffer_store_dword v82, off, s[0:3], 0 offset:232
	buffer_store_dword v82, off, s[0:3], 0 offset:236
.LBB39_189:
	s_or_b64 exec, exec, s[4:5]
	s_waitcnt lgkmcnt(0)
	; wave barrier
	buffer_load_dword v91, off, s[0:3], 0 offset:240
	buffer_load_dword v92, off, s[0:3], 0 offset:244
	;; [unrolled: 1-line block ×20, first 2 shown]
	ds_read_b128 v[83:86], v82 offset:560
	buffer_load_dword v111, off, s[0:3], 0 offset:232
	buffer_load_dword v112, off, s[0:3], 0 offset:236
	ds_read_b128 v[87:90], v82 offset:576
	v_cmp_lt_u32_e32 vcc, 28, v0
	s_waitcnt vmcnt(20) lgkmcnt(1)
	v_fma_f64 v[83:84], v[91:92], v[83:84], 0
	s_waitcnt vmcnt(18)
	v_fma_f64 v[83:84], v[93:94], v[85:86], v[83:84]
	s_waitcnt vmcnt(16) lgkmcnt(0)
	v_fma_f64 v[83:84], v[95:96], v[87:88], v[83:84]
	s_waitcnt vmcnt(14)
	v_fma_f64 v[91:92], v[97:98], v[89:90], v[83:84]
	ds_read_b128 v[83:86], v82 offset:592
	ds_read_b128 v[87:90], v82 offset:608
	s_waitcnt vmcnt(12) lgkmcnt(1)
	v_fma_f64 v[83:84], v[99:100], v[83:84], v[91:92]
	s_waitcnt vmcnt(10)
	v_fma_f64 v[83:84], v[101:102], v[85:86], v[83:84]
	s_waitcnt vmcnt(8) lgkmcnt(0)
	v_fma_f64 v[83:84], v[103:104], v[87:88], v[83:84]
	s_waitcnt vmcnt(4)
	v_fma_f64 v[86:87], v[105:106], v[89:90], v[83:84]
	ds_read_b128 v[82:85], v82 offset:624
	s_waitcnt vmcnt(3) lgkmcnt(0)
	v_fma_f64 v[82:83], v[109:110], v[82:83], v[86:87]
	s_waitcnt vmcnt(2)
	v_fma_f64 v[82:83], v[107:108], v[84:85], v[82:83]
	s_waitcnt vmcnt(0)
	v_add_f64 v[82:83], v[111:112], -v[82:83]
	buffer_store_dword v82, off, s[0:3], 0 offset:232
	buffer_store_dword v83, off, s[0:3], 0 offset:236
	s_and_saveexec_b64 s[4:5], vcc
	s_cbranch_execz .LBB39_191
; %bb.190:
	buffer_load_dword v82, off, s[0:3], 0 offset:224
	buffer_load_dword v83, off, s[0:3], 0 offset:228
	v_mov_b32_e32 v84, 0
	buffer_store_dword v84, off, s[0:3], 0 offset:224
	buffer_store_dword v84, off, s[0:3], 0 offset:228
	s_waitcnt vmcnt(2)
	ds_write_b64 v81, v[82:83]
.LBB39_191:
	s_or_b64 exec, exec, s[4:5]
	s_waitcnt lgkmcnt(0)
	; wave barrier
	buffer_load_dword v91, off, s[0:3], 0 offset:232
	buffer_load_dword v92, off, s[0:3], 0 offset:236
	;; [unrolled: 1-line block ×21, first 2 shown]
	v_mov_b32_e32 v82, 0
	ds_read2_b64 v[83:86], v82 offset0:69 offset1:70
	ds_read2_b64 v[87:90], v82 offset0:71 offset1:72
	buffer_load_dword v108, off, s[0:3], 0 offset:316
	v_cmp_lt_u32_e32 vcc, 27, v0
	s_waitcnt vmcnt(20) lgkmcnt(1)
	v_fma_f64 v[83:84], v[91:92], v[83:84], 0
	buffer_load_dword v91, off, s[0:3], 0 offset:224
	buffer_load_dword v92, off, s[0:3], 0 offset:228
	s_waitcnt vmcnt(20)
	v_fma_f64 v[83:84], v[93:94], v[85:86], v[83:84]
	s_waitcnt vmcnt(18) lgkmcnt(0)
	v_fma_f64 v[83:84], v[95:96], v[87:88], v[83:84]
	s_waitcnt vmcnt(16)
	v_fma_f64 v[93:94], v[97:98], v[89:90], v[83:84]
	ds_read2_b64 v[83:86], v82 offset0:73 offset1:74
	ds_read2_b64 v[87:90], v82 offset0:75 offset1:76
	s_waitcnt vmcnt(14) lgkmcnt(1)
	v_fma_f64 v[83:84], v[99:100], v[83:84], v[93:94]
	s_waitcnt vmcnt(12)
	v_fma_f64 v[83:84], v[101:102], v[85:86], v[83:84]
	s_waitcnt vmcnt(10) lgkmcnt(0)
	v_fma_f64 v[83:84], v[103:104], v[87:88], v[83:84]
	s_waitcnt vmcnt(5)
	v_fma_f64 v[87:88], v[105:106], v[89:90], v[83:84]
	ds_read2_b64 v[83:86], v82 offset0:77 offset1:78
	ds_read_b64 v[89:90], v82 offset:632
	s_waitcnt vmcnt(4) lgkmcnt(1)
	v_fma_f64 v[83:84], v[111:112], v[83:84], v[87:88]
	s_waitcnt vmcnt(3)
	v_fma_f64 v[83:84], v[109:110], v[85:86], v[83:84]
	s_waitcnt vmcnt(2) lgkmcnt(0)
	v_fma_f64 v[83:84], v[107:108], v[89:90], v[83:84]
	s_waitcnt vmcnt(0)
	v_add_f64 v[83:84], v[91:92], -v[83:84]
	buffer_store_dword v84, off, s[0:3], 0 offset:228
	buffer_store_dword v83, off, s[0:3], 0 offset:224
	s_and_saveexec_b64 s[4:5], vcc
	s_cbranch_execz .LBB39_193
; %bb.192:
	buffer_load_dword v83, off, s[0:3], 0 offset:216
	buffer_load_dword v84, off, s[0:3], 0 offset:220
	s_waitcnt vmcnt(0)
	ds_write_b64 v81, v[83:84]
	buffer_store_dword v82, off, s[0:3], 0 offset:216
	buffer_store_dword v82, off, s[0:3], 0 offset:220
.LBB39_193:
	s_or_b64 exec, exec, s[4:5]
	s_waitcnt lgkmcnt(0)
	; wave barrier
	buffer_load_dword v91, off, s[0:3], 0 offset:224
	buffer_load_dword v92, off, s[0:3], 0 offset:228
	buffer_load_dword v93, off, s[0:3], 0 offset:232
	buffer_load_dword v94, off, s[0:3], 0 offset:236
	buffer_load_dword v95, off, s[0:3], 0 offset:240
	buffer_load_dword v96, off, s[0:3], 0 offset:244
	buffer_load_dword v97, off, s[0:3], 0 offset:248
	buffer_load_dword v98, off, s[0:3], 0 offset:252
	buffer_load_dword v99, off, s[0:3], 0 offset:256
	buffer_load_dword v100, off, s[0:3], 0 offset:260
	buffer_load_dword v101, off, s[0:3], 0 offset:264
	buffer_load_dword v102, off, s[0:3], 0 offset:268
	buffer_load_dword v103, off, s[0:3], 0 offset:272
	buffer_load_dword v104, off, s[0:3], 0 offset:276
	buffer_load_dword v106, off, s[0:3], 0 offset:284
	buffer_load_dword v107, off, s[0:3], 0 offset:304
	buffer_load_dword v109, off, s[0:3], 0 offset:296
	buffer_load_dword v111, off, s[0:3], 0 offset:288
	buffer_load_dword v105, off, s[0:3], 0 offset:280
	buffer_load_dword v112, off, s[0:3], 0 offset:292
	buffer_load_dword v110, off, s[0:3], 0 offset:300
	ds_read_b128 v[83:86], v82 offset:544
	ds_read_b128 v[87:90], v82 offset:560
	buffer_load_dword v108, off, s[0:3], 0 offset:308
	v_cmp_lt_u32_e32 vcc, 26, v0
	s_waitcnt vmcnt(20) lgkmcnt(1)
	v_fma_f64 v[83:84], v[91:92], v[83:84], 0
	buffer_load_dword v92, off, s[0:3], 0 offset:316
	buffer_load_dword v91, off, s[0:3], 0 offset:312
	s_waitcnt vmcnt(20)
	v_fma_f64 v[83:84], v[93:94], v[85:86], v[83:84]
	buffer_load_dword v93, off, s[0:3], 0 offset:216
	buffer_load_dword v94, off, s[0:3], 0 offset:220
	s_waitcnt vmcnt(20) lgkmcnt(0)
	v_fma_f64 v[83:84], v[95:96], v[87:88], v[83:84]
	s_waitcnt vmcnt(18)
	v_fma_f64 v[95:96], v[97:98], v[89:90], v[83:84]
	ds_read_b128 v[83:86], v82 offset:576
	ds_read_b128 v[87:90], v82 offset:592
	s_waitcnt vmcnt(16) lgkmcnt(1)
	v_fma_f64 v[83:84], v[99:100], v[83:84], v[95:96]
	s_waitcnt vmcnt(14)
	v_fma_f64 v[83:84], v[101:102], v[85:86], v[83:84]
	s_waitcnt vmcnt(12) lgkmcnt(0)
	v_fma_f64 v[83:84], v[103:104], v[87:88], v[83:84]
	s_waitcnt vmcnt(7)
	v_fma_f64 v[95:96], v[105:106], v[89:90], v[83:84]
	ds_read_b128 v[83:86], v82 offset:608
	ds_read_b128 v[87:90], v82 offset:624
	s_waitcnt vmcnt(6) lgkmcnt(1)
	v_fma_f64 v[82:83], v[111:112], v[83:84], v[95:96]
	s_waitcnt vmcnt(5)
	v_fma_f64 v[82:83], v[109:110], v[85:86], v[82:83]
	s_waitcnt vmcnt(4) lgkmcnt(0)
	v_fma_f64 v[82:83], v[107:108], v[87:88], v[82:83]
	s_waitcnt vmcnt(2)
	v_fma_f64 v[82:83], v[91:92], v[89:90], v[82:83]
	s_waitcnt vmcnt(0)
	v_add_f64 v[82:83], v[93:94], -v[82:83]
	buffer_store_dword v83, off, s[0:3], 0 offset:220
	buffer_store_dword v82, off, s[0:3], 0 offset:216
	s_and_saveexec_b64 s[4:5], vcc
	s_cbranch_execz .LBB39_195
; %bb.194:
	buffer_load_dword v82, off, s[0:3], 0 offset:208
	buffer_load_dword v83, off, s[0:3], 0 offset:212
	v_mov_b32_e32 v84, 0
	buffer_store_dword v84, off, s[0:3], 0 offset:208
	buffer_store_dword v84, off, s[0:3], 0 offset:212
	s_waitcnt vmcnt(2)
	ds_write_b64 v81, v[82:83]
.LBB39_195:
	s_or_b64 exec, exec, s[4:5]
	s_waitcnt lgkmcnt(0)
	; wave barrier
	buffer_load_dword v91, off, s[0:3], 0 offset:216
	buffer_load_dword v92, off, s[0:3], 0 offset:220
	;; [unrolled: 1-line block ×21, first 2 shown]
	v_mov_b32_e32 v82, 0
	ds_read2_b64 v[83:86], v82 offset0:67 offset1:68
	ds_read2_b64 v[87:90], v82 offset0:69 offset1:70
	buffer_load_dword v108, off, s[0:3], 0 offset:300
	v_cmp_lt_u32_e32 vcc, 25, v0
	s_waitcnt vmcnt(20) lgkmcnt(1)
	v_fma_f64 v[83:84], v[91:92], v[83:84], 0
	s_waitcnt vmcnt(18)
	v_fma_f64 v[83:84], v[93:94], v[85:86], v[83:84]
	buffer_load_dword v92, off, s[0:3], 0 offset:308
	buffer_load_dword v93, off, s[0:3], 0 offset:312
	;; [unrolled: 1-line block ×4, first 2 shown]
	s_waitcnt vmcnt(20) lgkmcnt(0)
	v_fma_f64 v[83:84], v[95:96], v[87:88], v[83:84]
	buffer_load_dword v95, off, s[0:3], 0 offset:208
	buffer_load_dword v96, off, s[0:3], 0 offset:212
	s_waitcnt vmcnt(20)
	v_fma_f64 v[97:98], v[97:98], v[89:90], v[83:84]
	ds_read2_b64 v[83:86], v82 offset0:71 offset1:72
	ds_read2_b64 v[87:90], v82 offset0:73 offset1:74
	s_waitcnt vmcnt(18) lgkmcnt(1)
	v_fma_f64 v[83:84], v[99:100], v[83:84], v[97:98]
	s_waitcnt vmcnt(16)
	v_fma_f64 v[83:84], v[101:102], v[85:86], v[83:84]
	s_waitcnt vmcnt(14) lgkmcnt(0)
	v_fma_f64 v[83:84], v[103:104], v[87:88], v[83:84]
	s_waitcnt vmcnt(9)
	v_fma_f64 v[97:98], v[105:106], v[89:90], v[83:84]
	ds_read2_b64 v[83:86], v82 offset0:75 offset1:76
	ds_read2_b64 v[87:90], v82 offset0:77 offset1:78
	s_waitcnt vmcnt(8) lgkmcnt(1)
	v_fma_f64 v[83:84], v[111:112], v[83:84], v[97:98]
	s_waitcnt vmcnt(7)
	v_fma_f64 v[83:84], v[109:110], v[85:86], v[83:84]
	ds_read_b64 v[85:86], v82 offset:632
	s_waitcnt vmcnt(6) lgkmcnt(1)
	v_fma_f64 v[83:84], v[107:108], v[87:88], v[83:84]
	s_waitcnt vmcnt(3)
	v_fma_f64 v[83:84], v[91:92], v[89:90], v[83:84]
	s_waitcnt vmcnt(2) lgkmcnt(0)
	v_fma_f64 v[83:84], v[93:94], v[85:86], v[83:84]
	s_waitcnt vmcnt(0)
	v_add_f64 v[83:84], v[95:96], -v[83:84]
	buffer_store_dword v84, off, s[0:3], 0 offset:212
	buffer_store_dword v83, off, s[0:3], 0 offset:208
	s_and_saveexec_b64 s[4:5], vcc
	s_cbranch_execz .LBB39_197
; %bb.196:
	buffer_load_dword v83, off, s[0:3], 0 offset:200
	buffer_load_dword v84, off, s[0:3], 0 offset:204
	s_waitcnt vmcnt(0)
	ds_write_b64 v81, v[83:84]
	buffer_store_dword v82, off, s[0:3], 0 offset:200
	buffer_store_dword v82, off, s[0:3], 0 offset:204
.LBB39_197:
	s_or_b64 exec, exec, s[4:5]
	s_waitcnt lgkmcnt(0)
	; wave barrier
	buffer_load_dword v91, off, s[0:3], 0 offset:208
	buffer_load_dword v92, off, s[0:3], 0 offset:212
	;; [unrolled: 1-line block ×22, first 2 shown]
	ds_read_b128 v[83:86], v82 offset:528
	ds_read_b128 v[87:90], v82 offset:544
	v_cmp_lt_u32_e32 vcc, 24, v0
	s_waitcnt vmcnt(20) lgkmcnt(1)
	v_fma_f64 v[83:84], v[91:92], v[83:84], 0
	s_waitcnt vmcnt(18)
	v_fma_f64 v[83:84], v[93:94], v[85:86], v[83:84]
	buffer_load_dword v92, off, s[0:3], 0 offset:300
	buffer_load_dword v93, off, s[0:3], 0 offset:312
	;; [unrolled: 1-line block ×6, first 2 shown]
	s_waitcnt vmcnt(22) lgkmcnt(0)
	v_fma_f64 v[83:84], v[95:96], v[87:88], v[83:84]
	s_waitcnt vmcnt(20)
	v_fma_f64 v[95:96], v[97:98], v[89:90], v[83:84]
	ds_read_b128 v[83:86], v82 offset:560
	buffer_load_dword v97, off, s[0:3], 0 offset:200
	buffer_load_dword v98, off, s[0:3], 0 offset:204
	ds_read_b128 v[87:90], v82 offset:576
	s_waitcnt vmcnt(20) lgkmcnt(1)
	v_fma_f64 v[83:84], v[99:100], v[83:84], v[95:96]
	s_waitcnt vmcnt(18)
	v_fma_f64 v[83:84], v[101:102], v[85:86], v[83:84]
	s_waitcnt vmcnt(16) lgkmcnt(0)
	v_fma_f64 v[83:84], v[103:104], v[87:88], v[83:84]
	s_waitcnt vmcnt(11)
	v_fma_f64 v[95:96], v[105:106], v[89:90], v[83:84]
	ds_read_b128 v[83:86], v82 offset:592
	ds_read_b128 v[87:90], v82 offset:608
	s_waitcnt vmcnt(10) lgkmcnt(1)
	v_fma_f64 v[83:84], v[111:112], v[83:84], v[95:96]
	s_waitcnt vmcnt(9)
	v_fma_f64 v[83:84], v[109:110], v[85:86], v[83:84]
	s_waitcnt vmcnt(8) lgkmcnt(0)
	v_fma_f64 v[83:84], v[107:108], v[87:88], v[83:84]
	s_waitcnt vmcnt(4)
	v_fma_f64 v[86:87], v[91:92], v[89:90], v[83:84]
	ds_read_b128 v[82:85], v82 offset:624
	s_waitcnt vmcnt(3) lgkmcnt(0)
	v_fma_f64 v[82:83], v[113:114], v[82:83], v[86:87]
	s_waitcnt vmcnt(2)
	v_fma_f64 v[82:83], v[93:94], v[84:85], v[82:83]
	s_waitcnt vmcnt(0)
	v_add_f64 v[82:83], v[97:98], -v[82:83]
	buffer_store_dword v83, off, s[0:3], 0 offset:204
	buffer_store_dword v82, off, s[0:3], 0 offset:200
	s_and_saveexec_b64 s[4:5], vcc
	s_cbranch_execz .LBB39_199
; %bb.198:
	buffer_load_dword v82, off, s[0:3], 0 offset:192
	buffer_load_dword v83, off, s[0:3], 0 offset:196
	v_mov_b32_e32 v84, 0
	buffer_store_dword v84, off, s[0:3], 0 offset:192
	buffer_store_dword v84, off, s[0:3], 0 offset:196
	s_waitcnt vmcnt(2)
	ds_write_b64 v81, v[82:83]
.LBB39_199:
	s_or_b64 exec, exec, s[4:5]
	s_waitcnt lgkmcnt(0)
	; wave barrier
	buffer_load_dword v91, off, s[0:3], 0 offset:200
	buffer_load_dword v92, off, s[0:3], 0 offset:204
	;; [unrolled: 1-line block ×22, first 2 shown]
	v_mov_b32_e32 v82, 0
	ds_read2_b64 v[83:86], v82 offset0:65 offset1:66
	ds_read2_b64 v[87:90], v82 offset0:67 offset1:68
	v_cmp_lt_u32_e32 vcc, 23, v0
	s_waitcnt vmcnt(20) lgkmcnt(1)
	v_fma_f64 v[83:84], v[91:92], v[83:84], 0
	s_waitcnt vmcnt(18)
	v_fma_f64 v[83:84], v[93:94], v[85:86], v[83:84]
	buffer_load_dword v92, off, s[0:3], 0 offset:292
	buffer_load_dword v93, off, s[0:3], 0 offset:312
	;; [unrolled: 1-line block ×8, first 2 shown]
	s_waitcnt vmcnt(24) lgkmcnt(0)
	v_fma_f64 v[83:84], v[95:96], v[87:88], v[83:84]
	s_waitcnt vmcnt(22)
	v_fma_f64 v[95:96], v[97:98], v[89:90], v[83:84]
	ds_read2_b64 v[83:86], v82 offset0:69 offset1:70
	ds_read2_b64 v[87:90], v82 offset0:71 offset1:72
	s_waitcnt vmcnt(20) lgkmcnt(1)
	v_fma_f64 v[83:84], v[99:100], v[83:84], v[95:96]
	buffer_load_dword v95, off, s[0:3], 0 offset:192
	buffer_load_dword v96, off, s[0:3], 0 offset:196
	s_waitcnt vmcnt(20)
	v_fma_f64 v[83:84], v[101:102], v[85:86], v[83:84]
	s_waitcnt vmcnt(18) lgkmcnt(0)
	v_fma_f64 v[83:84], v[103:104], v[87:88], v[83:84]
	s_waitcnt vmcnt(13)
	v_fma_f64 v[97:98], v[105:106], v[89:90], v[83:84]
	ds_read2_b64 v[83:86], v82 offset0:73 offset1:74
	ds_read2_b64 v[87:90], v82 offset0:75 offset1:76
	s_waitcnt vmcnt(12) lgkmcnt(1)
	v_fma_f64 v[83:84], v[111:112], v[83:84], v[97:98]
	s_waitcnt vmcnt(11)
	v_fma_f64 v[83:84], v[109:110], v[85:86], v[83:84]
	s_waitcnt vmcnt(10) lgkmcnt(0)
	v_fma_f64 v[83:84], v[107:108], v[87:88], v[83:84]
	s_waitcnt vmcnt(5)
	v_fma_f64 v[87:88], v[91:92], v[89:90], v[83:84]
	ds_read2_b64 v[83:86], v82 offset0:77 offset1:78
	ds_read_b64 v[89:90], v82 offset:632
	s_waitcnt vmcnt(4) lgkmcnt(1)
	v_fma_f64 v[83:84], v[115:116], v[83:84], v[87:88]
	s_waitcnt vmcnt(3)
	v_fma_f64 v[83:84], v[113:114], v[85:86], v[83:84]
	s_waitcnt vmcnt(2) lgkmcnt(0)
	v_fma_f64 v[83:84], v[93:94], v[89:90], v[83:84]
	s_waitcnt vmcnt(0)
	v_add_f64 v[83:84], v[95:96], -v[83:84]
	buffer_store_dword v84, off, s[0:3], 0 offset:196
	buffer_store_dword v83, off, s[0:3], 0 offset:192
	s_and_saveexec_b64 s[4:5], vcc
	s_cbranch_execz .LBB39_201
; %bb.200:
	buffer_load_dword v83, off, s[0:3], 0 offset:184
	buffer_load_dword v84, off, s[0:3], 0 offset:188
	s_waitcnt vmcnt(0)
	ds_write_b64 v81, v[83:84]
	buffer_store_dword v82, off, s[0:3], 0 offset:184
	buffer_store_dword v82, off, s[0:3], 0 offset:188
.LBB39_201:
	s_or_b64 exec, exec, s[4:5]
	s_waitcnt lgkmcnt(0)
	; wave barrier
	buffer_load_dword v91, off, s[0:3], 0 offset:192
	buffer_load_dword v92, off, s[0:3], 0 offset:196
	;; [unrolled: 1-line block ×22, first 2 shown]
	ds_read_b128 v[83:86], v82 offset:512
	ds_read_b128 v[87:90], v82 offset:528
	v_cmp_lt_u32_e32 vcc, 22, v0
	s_waitcnt vmcnt(20) lgkmcnt(1)
	v_fma_f64 v[83:84], v[91:92], v[83:84], 0
	s_waitcnt vmcnt(18)
	v_fma_f64 v[83:84], v[93:94], v[85:86], v[83:84]
	buffer_load_dword v92, off, s[0:3], 0 offset:284
	buffer_load_dword v93, off, s[0:3], 0 offset:304
	;; [unrolled: 1-line block ×8, first 2 shown]
	s_waitcnt vmcnt(24) lgkmcnt(0)
	v_fma_f64 v[83:84], v[95:96], v[87:88], v[83:84]
	s_waitcnt vmcnt(22)
	v_fma_f64 v[95:96], v[97:98], v[89:90], v[83:84]
	ds_read_b128 v[83:86], v82 offset:544
	ds_read_b128 v[87:90], v82 offset:560
	s_waitcnt vmcnt(20) lgkmcnt(1)
	v_fma_f64 v[83:84], v[99:100], v[83:84], v[95:96]
	buffer_load_dword v96, off, s[0:3], 0 offset:316
	buffer_load_dword v95, off, s[0:3], 0 offset:312
	;; [unrolled: 1-line block ×4, first 2 shown]
	s_waitcnt vmcnt(22)
	v_fma_f64 v[83:84], v[101:102], v[85:86], v[83:84]
	s_waitcnt vmcnt(20) lgkmcnt(0)
	v_fma_f64 v[83:84], v[103:104], v[87:88], v[83:84]
	s_waitcnt vmcnt(15)
	v_fma_f64 v[99:100], v[105:106], v[89:90], v[83:84]
	ds_read_b128 v[83:86], v82 offset:576
	ds_read_b128 v[87:90], v82 offset:592
	s_waitcnt vmcnt(14) lgkmcnt(1)
	v_fma_f64 v[83:84], v[111:112], v[83:84], v[99:100]
	s_waitcnt vmcnt(13)
	v_fma_f64 v[83:84], v[109:110], v[85:86], v[83:84]
	s_waitcnt vmcnt(12) lgkmcnt(0)
	v_fma_f64 v[83:84], v[107:108], v[87:88], v[83:84]
	s_waitcnt vmcnt(7)
	v_fma_f64 v[91:92], v[91:92], v[89:90], v[83:84]
	ds_read_b128 v[83:86], v82 offset:608
	ds_read_b128 v[87:90], v82 offset:624
	s_waitcnt vmcnt(6) lgkmcnt(1)
	v_fma_f64 v[82:83], v[115:116], v[83:84], v[91:92]
	s_waitcnt vmcnt(5)
	v_fma_f64 v[82:83], v[113:114], v[85:86], v[82:83]
	s_waitcnt vmcnt(4) lgkmcnt(0)
	v_fma_f64 v[82:83], v[93:94], v[87:88], v[82:83]
	s_waitcnt vmcnt(2)
	v_fma_f64 v[82:83], v[95:96], v[89:90], v[82:83]
	s_waitcnt vmcnt(0)
	v_add_f64 v[82:83], v[97:98], -v[82:83]
	buffer_store_dword v83, off, s[0:3], 0 offset:188
	buffer_store_dword v82, off, s[0:3], 0 offset:184
	s_and_saveexec_b64 s[4:5], vcc
	s_cbranch_execz .LBB39_203
; %bb.202:
	buffer_load_dword v82, off, s[0:3], 0 offset:176
	buffer_load_dword v83, off, s[0:3], 0 offset:180
	v_mov_b32_e32 v84, 0
	buffer_store_dword v84, off, s[0:3], 0 offset:176
	buffer_store_dword v84, off, s[0:3], 0 offset:180
	s_waitcnt vmcnt(2)
	ds_write_b64 v81, v[82:83]
.LBB39_203:
	s_or_b64 exec, exec, s[4:5]
	s_waitcnt lgkmcnt(0)
	; wave barrier
	buffer_load_dword v91, off, s[0:3], 0 offset:184
	buffer_load_dword v92, off, s[0:3], 0 offset:188
	;; [unrolled: 1-line block ×22, first 2 shown]
	v_mov_b32_e32 v82, 0
	ds_read2_b64 v[83:86], v82 offset0:63 offset1:64
	ds_read2_b64 v[87:90], v82 offset0:65 offset1:66
	v_cmp_lt_u32_e32 vcc, 21, v0
	s_waitcnt vmcnt(20) lgkmcnt(1)
	v_fma_f64 v[83:84], v[91:92], v[83:84], 0
	s_waitcnt vmcnt(18)
	v_fma_f64 v[83:84], v[93:94], v[85:86], v[83:84]
	buffer_load_dword v92, off, s[0:3], 0 offset:276
	buffer_load_dword v93, off, s[0:3], 0 offset:296
	;; [unrolled: 1-line block ×7, first 2 shown]
	s_waitcnt vmcnt(23) lgkmcnt(0)
	v_fma_f64 v[83:84], v[95:96], v[87:88], v[83:84]
	s_waitcnt vmcnt(21)
	v_fma_f64 v[94:95], v[97:98], v[89:90], v[83:84]
	ds_read2_b64 v[83:86], v82 offset0:67 offset1:68
	ds_read2_b64 v[87:90], v82 offset0:69 offset1:70
	s_waitcnt vmcnt(19) lgkmcnt(1)
	v_fma_f64 v[83:84], v[99:100], v[83:84], v[94:95]
	buffer_load_dword v94, off, s[0:3], 0 offset:300
	buffer_load_dword v96, off, s[0:3], 0 offset:308
	;; [unrolled: 1-line block ×7, first 2 shown]
	s_waitcnt vmcnt(24)
	v_fma_f64 v[83:84], v[101:102], v[85:86], v[83:84]
	s_waitcnt vmcnt(22) lgkmcnt(0)
	v_fma_f64 v[83:84], v[103:104], v[87:88], v[83:84]
	s_waitcnt vmcnt(17)
	v_fma_f64 v[101:102], v[105:106], v[89:90], v[83:84]
	ds_read2_b64 v[83:86], v82 offset0:71 offset1:72
	ds_read2_b64 v[87:90], v82 offset0:73 offset1:74
	s_waitcnt vmcnt(16) lgkmcnt(1)
	v_fma_f64 v[83:84], v[111:112], v[83:84], v[101:102]
	s_waitcnt vmcnt(15)
	v_fma_f64 v[83:84], v[109:110], v[85:86], v[83:84]
	s_waitcnt vmcnt(14) lgkmcnt(0)
	v_fma_f64 v[83:84], v[107:108], v[87:88], v[83:84]
	s_waitcnt vmcnt(9)
	v_fma_f64 v[91:92], v[91:92], v[89:90], v[83:84]
	ds_read2_b64 v[83:86], v82 offset0:75 offset1:76
	ds_read2_b64 v[87:90], v82 offset0:77 offset1:78
	s_waitcnt vmcnt(8) lgkmcnt(1)
	v_fma_f64 v[83:84], v[115:116], v[83:84], v[91:92]
	s_waitcnt vmcnt(7)
	v_fma_f64 v[83:84], v[113:114], v[85:86], v[83:84]
	ds_read_b64 v[85:86], v82 offset:632
	s_waitcnt vmcnt(6) lgkmcnt(1)
	v_fma_f64 v[83:84], v[93:94], v[87:88], v[83:84]
	s_waitcnt vmcnt(3)
	v_fma_f64 v[83:84], v[95:96], v[89:90], v[83:84]
	s_waitcnt vmcnt(2) lgkmcnt(0)
	v_fma_f64 v[83:84], v[97:98], v[85:86], v[83:84]
	s_waitcnt vmcnt(0)
	v_add_f64 v[83:84], v[99:100], -v[83:84]
	buffer_store_dword v84, off, s[0:3], 0 offset:180
	buffer_store_dword v83, off, s[0:3], 0 offset:176
	s_and_saveexec_b64 s[4:5], vcc
	s_cbranch_execz .LBB39_205
; %bb.204:
	buffer_load_dword v83, off, s[0:3], 0 offset:168
	buffer_load_dword v84, off, s[0:3], 0 offset:172
	s_waitcnt vmcnt(0)
	ds_write_b64 v81, v[83:84]
	buffer_store_dword v82, off, s[0:3], 0 offset:168
	buffer_store_dword v82, off, s[0:3], 0 offset:172
.LBB39_205:
	s_or_b64 exec, exec, s[4:5]
	s_waitcnt lgkmcnt(0)
	; wave barrier
	buffer_load_dword v91, off, s[0:3], 0 offset:176
	buffer_load_dword v92, off, s[0:3], 0 offset:180
	;; [unrolled: 1-line block ×22, first 2 shown]
	ds_read_b128 v[83:86], v82 offset:496
	ds_read_b128 v[87:90], v82 offset:512
	v_cmp_lt_u32_e32 vcc, 20, v0
	s_waitcnt vmcnt(20) lgkmcnt(1)
	v_fma_f64 v[83:84], v[91:92], v[83:84], 0
	s_waitcnt vmcnt(18)
	v_fma_f64 v[83:84], v[93:94], v[85:86], v[83:84]
	buffer_load_dword v92, off, s[0:3], 0 offset:268
	buffer_load_dword v93, off, s[0:3], 0 offset:288
	;; [unrolled: 1-line block ×7, first 2 shown]
	s_waitcnt vmcnt(23) lgkmcnt(0)
	v_fma_f64 v[83:84], v[95:96], v[87:88], v[83:84]
	s_waitcnt vmcnt(21)
	v_fma_f64 v[94:95], v[97:98], v[89:90], v[83:84]
	ds_read_b128 v[83:86], v82 offset:528
	ds_read_b128 v[87:90], v82 offset:544
	s_waitcnt vmcnt(19) lgkmcnt(1)
	v_fma_f64 v[83:84], v[99:100], v[83:84], v[94:95]
	buffer_load_dword v94, off, s[0:3], 0 offset:292
	buffer_load_dword v96, off, s[0:3], 0 offset:300
	;; [unrolled: 1-line block ×7, first 2 shown]
	s_waitcnt vmcnt(24)
	v_fma_f64 v[83:84], v[101:102], v[85:86], v[83:84]
	s_waitcnt vmcnt(22) lgkmcnt(0)
	v_fma_f64 v[83:84], v[103:104], v[87:88], v[83:84]
	s_waitcnt vmcnt(17)
	v_fma_f64 v[101:102], v[105:106], v[89:90], v[83:84]
	ds_read_b128 v[83:86], v82 offset:560
	buffer_load_dword v103, off, s[0:3], 0 offset:168
	buffer_load_dword v104, off, s[0:3], 0 offset:172
	ds_read_b128 v[87:90], v82 offset:576
	s_waitcnt vmcnt(18) lgkmcnt(1)
	v_fma_f64 v[83:84], v[111:112], v[83:84], v[101:102]
	s_waitcnt vmcnt(17)
	v_fma_f64 v[83:84], v[109:110], v[85:86], v[83:84]
	s_waitcnt vmcnt(16) lgkmcnt(0)
	v_fma_f64 v[83:84], v[107:108], v[87:88], v[83:84]
	s_waitcnt vmcnt(11)
	v_fma_f64 v[91:92], v[91:92], v[89:90], v[83:84]
	ds_read_b128 v[83:86], v82 offset:592
	ds_read_b128 v[87:90], v82 offset:608
	s_waitcnt vmcnt(10) lgkmcnt(1)
	v_fma_f64 v[83:84], v[115:116], v[83:84], v[91:92]
	s_waitcnt vmcnt(9)
	v_fma_f64 v[83:84], v[113:114], v[85:86], v[83:84]
	s_waitcnt vmcnt(8) lgkmcnt(0)
	v_fma_f64 v[83:84], v[93:94], v[87:88], v[83:84]
	s_waitcnt vmcnt(4)
	v_fma_f64 v[86:87], v[95:96], v[89:90], v[83:84]
	ds_read_b128 v[82:85], v82 offset:624
	s_waitcnt vmcnt(3) lgkmcnt(0)
	v_fma_f64 v[82:83], v[99:100], v[82:83], v[86:87]
	s_waitcnt vmcnt(2)
	v_fma_f64 v[82:83], v[97:98], v[84:85], v[82:83]
	s_waitcnt vmcnt(0)
	v_add_f64 v[82:83], v[103:104], -v[82:83]
	buffer_store_dword v83, off, s[0:3], 0 offset:172
	buffer_store_dword v82, off, s[0:3], 0 offset:168
	s_and_saveexec_b64 s[4:5], vcc
	s_cbranch_execz .LBB39_207
; %bb.206:
	buffer_load_dword v82, off, s[0:3], 0 offset:160
	buffer_load_dword v83, off, s[0:3], 0 offset:164
	v_mov_b32_e32 v84, 0
	buffer_store_dword v84, off, s[0:3], 0 offset:160
	buffer_store_dword v84, off, s[0:3], 0 offset:164
	s_waitcnt vmcnt(2)
	ds_write_b64 v81, v[82:83]
.LBB39_207:
	s_or_b64 exec, exec, s[4:5]
	s_waitcnt lgkmcnt(0)
	; wave barrier
	buffer_load_dword v91, off, s[0:3], 0 offset:168
	buffer_load_dword v92, off, s[0:3], 0 offset:172
	;; [unrolled: 1-line block ×22, first 2 shown]
	v_mov_b32_e32 v82, 0
	ds_read2_b64 v[83:86], v82 offset0:61 offset1:62
	ds_read2_b64 v[87:90], v82 offset0:63 offset1:64
	v_cmp_lt_u32_e32 vcc, 19, v0
	s_waitcnt vmcnt(20) lgkmcnt(1)
	v_fma_f64 v[83:84], v[91:92], v[83:84], 0
	s_waitcnt vmcnt(18)
	v_fma_f64 v[83:84], v[93:94], v[85:86], v[83:84]
	buffer_load_dword v92, off, s[0:3], 0 offset:260
	buffer_load_dword v93, off, s[0:3], 0 offset:280
	;; [unrolled: 1-line block ×7, first 2 shown]
	s_waitcnt vmcnt(23) lgkmcnt(0)
	v_fma_f64 v[83:84], v[95:96], v[87:88], v[83:84]
	s_waitcnt vmcnt(21)
	v_fma_f64 v[94:95], v[97:98], v[89:90], v[83:84]
	ds_read2_b64 v[83:86], v82 offset0:65 offset1:66
	ds_read2_b64 v[87:90], v82 offset0:67 offset1:68
	s_waitcnt vmcnt(19) lgkmcnt(1)
	v_fma_f64 v[83:84], v[99:100], v[83:84], v[94:95]
	buffer_load_dword v94, off, s[0:3], 0 offset:284
	s_waitcnt vmcnt(18)
	v_fma_f64 v[83:84], v[101:102], v[85:86], v[83:84]
	buffer_load_dword v96, off, s[0:3], 0 offset:292
	buffer_load_dword v97, off, s[0:3], 0 offset:312
	;; [unrolled: 1-line block ×8, first 2 shown]
	s_waitcnt vmcnt(24) lgkmcnt(0)
	v_fma_f64 v[83:84], v[103:104], v[87:88], v[83:84]
	s_waitcnt vmcnt(19)
	v_fma_f64 v[103:104], v[105:106], v[89:90], v[83:84]
	ds_read2_b64 v[83:86], v82 offset0:69 offset1:70
	ds_read2_b64 v[87:90], v82 offset0:71 offset1:72
	s_waitcnt vmcnt(18) lgkmcnt(1)
	v_fma_f64 v[83:84], v[111:112], v[83:84], v[103:104]
	buffer_load_dword v103, off, s[0:3], 0 offset:160
	buffer_load_dword v104, off, s[0:3], 0 offset:164
	s_waitcnt vmcnt(19)
	v_fma_f64 v[83:84], v[109:110], v[85:86], v[83:84]
	s_waitcnt vmcnt(18) lgkmcnt(0)
	v_fma_f64 v[83:84], v[107:108], v[87:88], v[83:84]
	s_waitcnt vmcnt(13)
	v_fma_f64 v[91:92], v[91:92], v[89:90], v[83:84]
	ds_read2_b64 v[83:86], v82 offset0:73 offset1:74
	ds_read2_b64 v[87:90], v82 offset0:75 offset1:76
	s_waitcnt vmcnt(12) lgkmcnt(1)
	v_fma_f64 v[83:84], v[115:116], v[83:84], v[91:92]
	s_waitcnt vmcnt(11)
	v_fma_f64 v[83:84], v[113:114], v[85:86], v[83:84]
	s_waitcnt vmcnt(10) lgkmcnt(0)
	v_fma_f64 v[83:84], v[93:94], v[87:88], v[83:84]
	s_waitcnt vmcnt(5)
	v_fma_f64 v[87:88], v[95:96], v[89:90], v[83:84]
	ds_read2_b64 v[83:86], v82 offset0:77 offset1:78
	ds_read_b64 v[89:90], v82 offset:632
	s_waitcnt vmcnt(4) lgkmcnt(1)
	v_fma_f64 v[83:84], v[101:102], v[83:84], v[87:88]
	s_waitcnt vmcnt(3)
	v_fma_f64 v[83:84], v[99:100], v[85:86], v[83:84]
	s_waitcnt vmcnt(2) lgkmcnt(0)
	v_fma_f64 v[83:84], v[97:98], v[89:90], v[83:84]
	s_waitcnt vmcnt(0)
	v_add_f64 v[83:84], v[103:104], -v[83:84]
	buffer_store_dword v84, off, s[0:3], 0 offset:164
	buffer_store_dword v83, off, s[0:3], 0 offset:160
	s_and_saveexec_b64 s[4:5], vcc
	s_cbranch_execz .LBB39_209
; %bb.208:
	buffer_load_dword v83, off, s[0:3], 0 offset:152
	buffer_load_dword v84, off, s[0:3], 0 offset:156
	s_waitcnt vmcnt(0)
	ds_write_b64 v81, v[83:84]
	buffer_store_dword v82, off, s[0:3], 0 offset:152
	buffer_store_dword v82, off, s[0:3], 0 offset:156
.LBB39_209:
	s_or_b64 exec, exec, s[4:5]
	s_waitcnt lgkmcnt(0)
	; wave barrier
	buffer_load_dword v91, off, s[0:3], 0 offset:160
	buffer_load_dword v92, off, s[0:3], 0 offset:164
	;; [unrolled: 1-line block ×22, first 2 shown]
	ds_read_b128 v[83:86], v82 offset:480
	ds_read_b128 v[87:90], v82 offset:496
	v_cmp_lt_u32_e32 vcc, 18, v0
	s_waitcnt vmcnt(20) lgkmcnt(1)
	v_fma_f64 v[83:84], v[91:92], v[83:84], 0
	s_waitcnt vmcnt(18)
	v_fma_f64 v[83:84], v[93:94], v[85:86], v[83:84]
	buffer_load_dword v92, off, s[0:3], 0 offset:252
	buffer_load_dword v93, off, s[0:3], 0 offset:272
	;; [unrolled: 1-line block ×7, first 2 shown]
	s_waitcnt vmcnt(23) lgkmcnt(0)
	v_fma_f64 v[83:84], v[95:96], v[87:88], v[83:84]
	s_waitcnt vmcnt(21)
	v_fma_f64 v[94:95], v[97:98], v[89:90], v[83:84]
	ds_read_b128 v[83:86], v82 offset:512
	ds_read_b128 v[87:90], v82 offset:528
	s_waitcnt vmcnt(19) lgkmcnt(1)
	v_fma_f64 v[83:84], v[99:100], v[83:84], v[94:95]
	buffer_load_dword v94, off, s[0:3], 0 offset:276
	s_waitcnt vmcnt(18)
	v_fma_f64 v[83:84], v[101:102], v[85:86], v[83:84]
	buffer_load_dword v96, off, s[0:3], 0 offset:284
	buffer_load_dword v97, off, s[0:3], 0 offset:304
	buffer_load_dword v99, off, s[0:3], 0 offset:296
	buffer_load_dword v101, off, s[0:3], 0 offset:288
	buffer_load_dword v95, off, s[0:3], 0 offset:280
	buffer_load_dword v102, off, s[0:3], 0 offset:292
	buffer_load_dword v100, off, s[0:3], 0 offset:300
	buffer_load_dword v98, off, s[0:3], 0 offset:308
	s_waitcnt vmcnt(24) lgkmcnt(0)
	v_fma_f64 v[83:84], v[103:104], v[87:88], v[83:84]
	s_waitcnt vmcnt(19)
	v_fma_f64 v[103:104], v[105:106], v[89:90], v[83:84]
	ds_read_b128 v[83:86], v82 offset:544
	ds_read_b128 v[87:90], v82 offset:560
	s_waitcnt vmcnt(18) lgkmcnt(1)
	v_fma_f64 v[83:84], v[111:112], v[83:84], v[103:104]
	buffer_load_dword v104, off, s[0:3], 0 offset:316
	buffer_load_dword v103, off, s[0:3], 0 offset:312
	buffer_load_dword v105, off, s[0:3], 0 offset:152
	buffer_load_dword v106, off, s[0:3], 0 offset:156
	s_waitcnt vmcnt(21)
	v_fma_f64 v[83:84], v[109:110], v[85:86], v[83:84]
	s_waitcnt vmcnt(20) lgkmcnt(0)
	v_fma_f64 v[83:84], v[107:108], v[87:88], v[83:84]
	s_waitcnt vmcnt(15)
	v_fma_f64 v[91:92], v[91:92], v[89:90], v[83:84]
	ds_read_b128 v[83:86], v82 offset:576
	ds_read_b128 v[87:90], v82 offset:592
	s_waitcnt vmcnt(14) lgkmcnt(1)
	v_fma_f64 v[83:84], v[115:116], v[83:84], v[91:92]
	s_waitcnt vmcnt(13)
	v_fma_f64 v[83:84], v[113:114], v[85:86], v[83:84]
	s_waitcnt vmcnt(12) lgkmcnt(0)
	v_fma_f64 v[83:84], v[93:94], v[87:88], v[83:84]
	s_waitcnt vmcnt(7)
	v_fma_f64 v[91:92], v[95:96], v[89:90], v[83:84]
	ds_read_b128 v[83:86], v82 offset:608
	ds_read_b128 v[87:90], v82 offset:624
	s_waitcnt vmcnt(6) lgkmcnt(1)
	v_fma_f64 v[82:83], v[101:102], v[83:84], v[91:92]
	s_waitcnt vmcnt(5)
	v_fma_f64 v[82:83], v[99:100], v[85:86], v[82:83]
	s_waitcnt vmcnt(4) lgkmcnt(0)
	v_fma_f64 v[82:83], v[97:98], v[87:88], v[82:83]
	s_waitcnt vmcnt(2)
	v_fma_f64 v[82:83], v[103:104], v[89:90], v[82:83]
	s_waitcnt vmcnt(0)
	v_add_f64 v[82:83], v[105:106], -v[82:83]
	buffer_store_dword v83, off, s[0:3], 0 offset:156
	buffer_store_dword v82, off, s[0:3], 0 offset:152
	s_and_saveexec_b64 s[4:5], vcc
	s_cbranch_execz .LBB39_211
; %bb.210:
	buffer_load_dword v82, off, s[0:3], 0 offset:144
	buffer_load_dword v83, off, s[0:3], 0 offset:148
	v_mov_b32_e32 v84, 0
	buffer_store_dword v84, off, s[0:3], 0 offset:144
	buffer_store_dword v84, off, s[0:3], 0 offset:148
	s_waitcnt vmcnt(2)
	ds_write_b64 v81, v[82:83]
.LBB39_211:
	s_or_b64 exec, exec, s[4:5]
	s_waitcnt lgkmcnt(0)
	; wave barrier
	buffer_load_dword v91, off, s[0:3], 0 offset:152
	buffer_load_dword v92, off, s[0:3], 0 offset:156
	;; [unrolled: 1-line block ×21, first 2 shown]
	v_mov_b32_e32 v82, 0
	ds_read2_b64 v[83:86], v82 offset0:59 offset1:60
	ds_read2_b64 v[87:90], v82 offset0:61 offset1:62
	buffer_load_dword v108, off, s[0:3], 0 offset:236
	v_cmp_lt_u32_e32 vcc, 17, v0
	s_waitcnt vmcnt(20) lgkmcnt(1)
	v_fma_f64 v[83:84], v[91:92], v[83:84], 0
	s_waitcnt vmcnt(18)
	v_fma_f64 v[83:84], v[93:94], v[85:86], v[83:84]
	buffer_load_dword v92, off, s[0:3], 0 offset:244
	buffer_load_dword v93, off, s[0:3], 0 offset:264
	;; [unrolled: 1-line block ×7, first 2 shown]
	s_waitcnt vmcnt(23) lgkmcnt(0)
	v_fma_f64 v[83:84], v[95:96], v[87:88], v[83:84]
	s_waitcnt vmcnt(21)
	v_fma_f64 v[94:95], v[97:98], v[89:90], v[83:84]
	ds_read2_b64 v[83:86], v82 offset0:63 offset1:64
	ds_read2_b64 v[87:90], v82 offset0:65 offset1:66
	s_waitcnt vmcnt(19) lgkmcnt(1)
	v_fma_f64 v[83:84], v[99:100], v[83:84], v[94:95]
	buffer_load_dword v94, off, s[0:3], 0 offset:268
	s_waitcnt vmcnt(18)
	v_fma_f64 v[83:84], v[101:102], v[85:86], v[83:84]
	buffer_load_dword v96, off, s[0:3], 0 offset:276
	buffer_load_dword v97, off, s[0:3], 0 offset:296
	buffer_load_dword v99, off, s[0:3], 0 offset:288
	buffer_load_dword v101, off, s[0:3], 0 offset:280
	buffer_load_dword v95, off, s[0:3], 0 offset:272
	buffer_load_dword v102, off, s[0:3], 0 offset:284
	buffer_load_dword v100, off, s[0:3], 0 offset:292
	s_waitcnt vmcnt(23) lgkmcnt(0)
	v_fma_f64 v[83:84], v[103:104], v[87:88], v[83:84]
	s_waitcnt vmcnt(18)
	v_fma_f64 v[103:104], v[105:106], v[89:90], v[83:84]
	ds_read2_b64 v[83:86], v82 offset0:67 offset1:68
	ds_read2_b64 v[87:90], v82 offset0:69 offset1:70
	buffer_load_dword v98, off, s[0:3], 0 offset:300
	s_waitcnt vmcnt(18) lgkmcnt(1)
	v_fma_f64 v[83:84], v[111:112], v[83:84], v[103:104]
	buffer_load_dword v104, off, s[0:3], 0 offset:308
	buffer_load_dword v105, off, s[0:3], 0 offset:312
	;; [unrolled: 1-line block ×4, first 2 shown]
	s_waitcnt vmcnt(21)
	v_fma_f64 v[83:84], v[109:110], v[85:86], v[83:84]
	s_waitcnt vmcnt(20) lgkmcnt(0)
	v_fma_f64 v[83:84], v[107:108], v[87:88], v[83:84]
	buffer_load_dword v107, off, s[0:3], 0 offset:144
	buffer_load_dword v108, off, s[0:3], 0 offset:148
	s_waitcnt vmcnt(17)
	v_fma_f64 v[91:92], v[91:92], v[89:90], v[83:84]
	ds_read2_b64 v[83:86], v82 offset0:71 offset1:72
	ds_read2_b64 v[87:90], v82 offset0:73 offset1:74
	s_waitcnt vmcnt(16) lgkmcnt(1)
	v_fma_f64 v[83:84], v[115:116], v[83:84], v[91:92]
	s_waitcnt vmcnt(15)
	v_fma_f64 v[83:84], v[113:114], v[85:86], v[83:84]
	s_waitcnt vmcnt(14) lgkmcnt(0)
	v_fma_f64 v[83:84], v[93:94], v[87:88], v[83:84]
	s_waitcnt vmcnt(9)
	v_fma_f64 v[91:92], v[95:96], v[89:90], v[83:84]
	ds_read2_b64 v[83:86], v82 offset0:75 offset1:76
	ds_read2_b64 v[87:90], v82 offset0:77 offset1:78
	s_waitcnt vmcnt(8) lgkmcnt(1)
	v_fma_f64 v[83:84], v[101:102], v[83:84], v[91:92]
	s_waitcnt vmcnt(7)
	v_fma_f64 v[83:84], v[99:100], v[85:86], v[83:84]
	ds_read_b64 v[85:86], v82 offset:632
	s_waitcnt vmcnt(6) lgkmcnt(1)
	v_fma_f64 v[83:84], v[97:98], v[87:88], v[83:84]
	s_waitcnt vmcnt(3)
	v_fma_f64 v[83:84], v[103:104], v[89:90], v[83:84]
	s_waitcnt vmcnt(2) lgkmcnt(0)
	v_fma_f64 v[83:84], v[105:106], v[85:86], v[83:84]
	s_waitcnt vmcnt(0)
	v_add_f64 v[83:84], v[107:108], -v[83:84]
	buffer_store_dword v84, off, s[0:3], 0 offset:148
	buffer_store_dword v83, off, s[0:3], 0 offset:144
	s_and_saveexec_b64 s[4:5], vcc
	s_cbranch_execz .LBB39_213
; %bb.212:
	buffer_load_dword v83, off, s[0:3], 0 offset:136
	buffer_load_dword v84, off, s[0:3], 0 offset:140
	s_waitcnt vmcnt(0)
	ds_write_b64 v81, v[83:84]
	buffer_store_dword v82, off, s[0:3], 0 offset:136
	buffer_store_dword v82, off, s[0:3], 0 offset:140
.LBB39_213:
	s_or_b64 exec, exec, s[4:5]
	s_waitcnt lgkmcnt(0)
	; wave barrier
	buffer_load_dword v91, off, s[0:3], 0 offset:144
	buffer_load_dword v92, off, s[0:3], 0 offset:148
	;; [unrolled: 1-line block ×21, first 2 shown]
	ds_read_b128 v[83:86], v82 offset:464
	ds_read_b128 v[87:90], v82 offset:480
	buffer_load_dword v108, off, s[0:3], 0 offset:228
	v_cmp_lt_u32_e32 vcc, 16, v0
	s_waitcnt vmcnt(20) lgkmcnt(1)
	v_fma_f64 v[83:84], v[91:92], v[83:84], 0
	s_waitcnt vmcnt(18)
	v_fma_f64 v[83:84], v[93:94], v[85:86], v[83:84]
	buffer_load_dword v92, off, s[0:3], 0 offset:236
	buffer_load_dword v93, off, s[0:3], 0 offset:256
	;; [unrolled: 1-line block ×7, first 2 shown]
	s_waitcnt vmcnt(23) lgkmcnt(0)
	v_fma_f64 v[83:84], v[95:96], v[87:88], v[83:84]
	s_waitcnt vmcnt(21)
	v_fma_f64 v[94:95], v[97:98], v[89:90], v[83:84]
	ds_read_b128 v[83:86], v82 offset:496
	ds_read_b128 v[87:90], v82 offset:512
	s_waitcnt vmcnt(19) lgkmcnt(1)
	v_fma_f64 v[83:84], v[99:100], v[83:84], v[94:95]
	buffer_load_dword v94, off, s[0:3], 0 offset:260
	s_waitcnt vmcnt(18)
	v_fma_f64 v[83:84], v[101:102], v[85:86], v[83:84]
	buffer_load_dword v96, off, s[0:3], 0 offset:268
	buffer_load_dword v97, off, s[0:3], 0 offset:288
	;; [unrolled: 1-line block ×8, first 2 shown]
	s_waitcnt vmcnt(24) lgkmcnt(0)
	v_fma_f64 v[83:84], v[103:104], v[87:88], v[83:84]
	s_waitcnt vmcnt(19)
	v_fma_f64 v[103:104], v[105:106], v[89:90], v[83:84]
	ds_read_b128 v[83:86], v82 offset:528
	ds_read_b128 v[87:90], v82 offset:544
	s_waitcnt vmcnt(18) lgkmcnt(1)
	v_fma_f64 v[83:84], v[111:112], v[83:84], v[103:104]
	s_waitcnt vmcnt(17)
	v_fma_f64 v[83:84], v[109:110], v[85:86], v[83:84]
	buffer_load_dword v104, off, s[0:3], 0 offset:300
	buffer_load_dword v105, off, s[0:3], 0 offset:312
	;; [unrolled: 1-line block ×6, first 2 shown]
	s_waitcnt vmcnt(22) lgkmcnt(0)
	v_fma_f64 v[83:84], v[107:108], v[87:88], v[83:84]
	s_waitcnt vmcnt(17)
	v_fma_f64 v[91:92], v[91:92], v[89:90], v[83:84]
	ds_read_b128 v[83:86], v82 offset:560
	buffer_load_dword v107, off, s[0:3], 0 offset:136
	buffer_load_dword v108, off, s[0:3], 0 offset:140
	ds_read_b128 v[87:90], v82 offset:576
	s_waitcnt vmcnt(18) lgkmcnt(1)
	v_fma_f64 v[83:84], v[115:116], v[83:84], v[91:92]
	s_waitcnt vmcnt(17)
	v_fma_f64 v[83:84], v[113:114], v[85:86], v[83:84]
	s_waitcnt vmcnt(16) lgkmcnt(0)
	v_fma_f64 v[83:84], v[93:94], v[87:88], v[83:84]
	s_waitcnt vmcnt(11)
	v_fma_f64 v[91:92], v[95:96], v[89:90], v[83:84]
	ds_read_b128 v[83:86], v82 offset:592
	ds_read_b128 v[87:90], v82 offset:608
	s_waitcnt vmcnt(10) lgkmcnt(1)
	v_fma_f64 v[83:84], v[101:102], v[83:84], v[91:92]
	s_waitcnt vmcnt(9)
	v_fma_f64 v[83:84], v[99:100], v[85:86], v[83:84]
	s_waitcnt vmcnt(8) lgkmcnt(0)
	v_fma_f64 v[83:84], v[97:98], v[87:88], v[83:84]
	s_waitcnt vmcnt(4)
	v_fma_f64 v[86:87], v[103:104], v[89:90], v[83:84]
	ds_read_b128 v[82:85], v82 offset:624
	s_waitcnt vmcnt(3) lgkmcnt(0)
	v_fma_f64 v[82:83], v[109:110], v[82:83], v[86:87]
	s_waitcnt vmcnt(2)
	v_fma_f64 v[82:83], v[105:106], v[84:85], v[82:83]
	s_waitcnt vmcnt(0)
	v_add_f64 v[82:83], v[107:108], -v[82:83]
	buffer_store_dword v83, off, s[0:3], 0 offset:140
	buffer_store_dword v82, off, s[0:3], 0 offset:136
	s_and_saveexec_b64 s[4:5], vcc
	s_cbranch_execz .LBB39_215
; %bb.214:
	buffer_load_dword v82, off, s[0:3], 0 offset:128
	buffer_load_dword v83, off, s[0:3], 0 offset:132
	v_mov_b32_e32 v84, 0
	buffer_store_dword v84, off, s[0:3], 0 offset:128
	buffer_store_dword v84, off, s[0:3], 0 offset:132
	s_waitcnt vmcnt(2)
	ds_write_b64 v81, v[82:83]
.LBB39_215:
	s_or_b64 exec, exec, s[4:5]
	s_waitcnt lgkmcnt(0)
	; wave barrier
	buffer_load_dword v91, off, s[0:3], 0 offset:136
	buffer_load_dword v92, off, s[0:3], 0 offset:140
	;; [unrolled: 1-line block ×21, first 2 shown]
	v_mov_b32_e32 v82, 0
	ds_read2_b64 v[83:86], v82 offset0:57 offset1:58
	ds_read2_b64 v[87:90], v82 offset0:59 offset1:60
	buffer_load_dword v108, off, s[0:3], 0 offset:220
	v_cmp_lt_u32_e32 vcc, 15, v0
	s_waitcnt vmcnt(20) lgkmcnt(1)
	v_fma_f64 v[83:84], v[91:92], v[83:84], 0
	s_waitcnt vmcnt(18)
	v_fma_f64 v[83:84], v[93:94], v[85:86], v[83:84]
	buffer_load_dword v92, off, s[0:3], 0 offset:228
	buffer_load_dword v93, off, s[0:3], 0 offset:248
	buffer_load_dword v113, off, s[0:3], 0 offset:240
	buffer_load_dword v115, off, s[0:3], 0 offset:232
	buffer_load_dword v91, off, s[0:3], 0 offset:224
	buffer_load_dword v116, off, s[0:3], 0 offset:236
	buffer_load_dword v114, off, s[0:3], 0 offset:244
	s_waitcnt vmcnt(23) lgkmcnt(0)
	v_fma_f64 v[83:84], v[95:96], v[87:88], v[83:84]
	s_waitcnt vmcnt(21)
	v_fma_f64 v[94:95], v[97:98], v[89:90], v[83:84]
	ds_read2_b64 v[83:86], v82 offset0:61 offset1:62
	ds_read2_b64 v[87:90], v82 offset0:63 offset1:64
	s_waitcnt vmcnt(19) lgkmcnt(1)
	v_fma_f64 v[83:84], v[99:100], v[83:84], v[94:95]
	buffer_load_dword v94, off, s[0:3], 0 offset:252
	s_waitcnt vmcnt(18)
	v_fma_f64 v[83:84], v[101:102], v[85:86], v[83:84]
	buffer_load_dword v96, off, s[0:3], 0 offset:260
	buffer_load_dword v97, off, s[0:3], 0 offset:280
	;; [unrolled: 1-line block ×8, first 2 shown]
	s_waitcnt vmcnt(24) lgkmcnt(0)
	v_fma_f64 v[83:84], v[103:104], v[87:88], v[83:84]
	s_waitcnt vmcnt(19)
	v_fma_f64 v[103:104], v[105:106], v[89:90], v[83:84]
	ds_read2_b64 v[83:86], v82 offset0:65 offset1:66
	ds_read2_b64 v[87:90], v82 offset0:67 offset1:68
	s_waitcnt vmcnt(18) lgkmcnt(1)
	v_fma_f64 v[83:84], v[111:112], v[83:84], v[103:104]
	s_waitcnt vmcnt(17)
	v_fma_f64 v[83:84], v[109:110], v[85:86], v[83:84]
	buffer_load_dword v104, off, s[0:3], 0 offset:292
	buffer_load_dword v105, off, s[0:3], 0 offset:312
	buffer_load_dword v109, off, s[0:3], 0 offset:304
	buffer_load_dword v111, off, s[0:3], 0 offset:296
	buffer_load_dword v103, off, s[0:3], 0 offset:288
	buffer_load_dword v112, off, s[0:3], 0 offset:300
	buffer_load_dword v110, off, s[0:3], 0 offset:308
	buffer_load_dword v106, off, s[0:3], 0 offset:316
	s_waitcnt vmcnt(24) lgkmcnt(0)
	v_fma_f64 v[83:84], v[107:108], v[87:88], v[83:84]
	s_waitcnt vmcnt(19)
	v_fma_f64 v[91:92], v[91:92], v[89:90], v[83:84]
	ds_read2_b64 v[83:86], v82 offset0:69 offset1:70
	ds_read2_b64 v[87:90], v82 offset0:71 offset1:72
	s_waitcnt vmcnt(18) lgkmcnt(1)
	v_fma_f64 v[83:84], v[115:116], v[83:84], v[91:92]
	buffer_load_dword v91, off, s[0:3], 0 offset:128
	buffer_load_dword v92, off, s[0:3], 0 offset:132
	s_waitcnt vmcnt(19)
	v_fma_f64 v[83:84], v[113:114], v[85:86], v[83:84]
	s_waitcnt vmcnt(18) lgkmcnt(0)
	v_fma_f64 v[83:84], v[93:94], v[87:88], v[83:84]
	s_waitcnt vmcnt(13)
	v_fma_f64 v[93:94], v[95:96], v[89:90], v[83:84]
	ds_read2_b64 v[83:86], v82 offset0:73 offset1:74
	ds_read2_b64 v[87:90], v82 offset0:75 offset1:76
	s_waitcnt vmcnt(12) lgkmcnt(1)
	v_fma_f64 v[83:84], v[101:102], v[83:84], v[93:94]
	s_waitcnt vmcnt(11)
	v_fma_f64 v[83:84], v[99:100], v[85:86], v[83:84]
	s_waitcnt vmcnt(10) lgkmcnt(0)
	v_fma_f64 v[83:84], v[97:98], v[87:88], v[83:84]
	s_waitcnt vmcnt(5)
	v_fma_f64 v[87:88], v[103:104], v[89:90], v[83:84]
	ds_read2_b64 v[83:86], v82 offset0:77 offset1:78
	ds_read_b64 v[89:90], v82 offset:632
	s_waitcnt vmcnt(4) lgkmcnt(1)
	v_fma_f64 v[83:84], v[111:112], v[83:84], v[87:88]
	s_waitcnt vmcnt(3)
	v_fma_f64 v[83:84], v[109:110], v[85:86], v[83:84]
	s_waitcnt vmcnt(2) lgkmcnt(0)
	v_fma_f64 v[83:84], v[105:106], v[89:90], v[83:84]
	s_waitcnt vmcnt(0)
	v_add_f64 v[83:84], v[91:92], -v[83:84]
	buffer_store_dword v84, off, s[0:3], 0 offset:132
	buffer_store_dword v83, off, s[0:3], 0 offset:128
	s_and_saveexec_b64 s[4:5], vcc
	s_cbranch_execz .LBB39_217
; %bb.216:
	buffer_load_dword v83, off, s[0:3], 0 offset:120
	buffer_load_dword v84, off, s[0:3], 0 offset:124
	s_waitcnt vmcnt(0)
	ds_write_b64 v81, v[83:84]
	buffer_store_dword v82, off, s[0:3], 0 offset:120
	buffer_store_dword v82, off, s[0:3], 0 offset:124
.LBB39_217:
	s_or_b64 exec, exec, s[4:5]
	s_waitcnt lgkmcnt(0)
	; wave barrier
	buffer_load_dword v91, off, s[0:3], 0 offset:128
	buffer_load_dword v92, off, s[0:3], 0 offset:132
	buffer_load_dword v93, off, s[0:3], 0 offset:136
	buffer_load_dword v94, off, s[0:3], 0 offset:140
	buffer_load_dword v95, off, s[0:3], 0 offset:144
	buffer_load_dword v96, off, s[0:3], 0 offset:148
	buffer_load_dword v97, off, s[0:3], 0 offset:152
	buffer_load_dword v98, off, s[0:3], 0 offset:156
	buffer_load_dword v99, off, s[0:3], 0 offset:160
	buffer_load_dword v100, off, s[0:3], 0 offset:164
	buffer_load_dword v101, off, s[0:3], 0 offset:168
	buffer_load_dword v102, off, s[0:3], 0 offset:172
	buffer_load_dword v103, off, s[0:3], 0 offset:176
	buffer_load_dword v104, off, s[0:3], 0 offset:180
	buffer_load_dword v106, off, s[0:3], 0 offset:188
	buffer_load_dword v107, off, s[0:3], 0 offset:208
	buffer_load_dword v109, off, s[0:3], 0 offset:200
	buffer_load_dword v111, off, s[0:3], 0 offset:192
	buffer_load_dword v105, off, s[0:3], 0 offset:184
	buffer_load_dword v112, off, s[0:3], 0 offset:196
	buffer_load_dword v110, off, s[0:3], 0 offset:204
	ds_read_b128 v[83:86], v82 offset:448
	ds_read_b128 v[87:90], v82 offset:464
	buffer_load_dword v108, off, s[0:3], 0 offset:212
	v_cmp_lt_u32_e32 vcc, 14, v0
	s_waitcnt vmcnt(20) lgkmcnt(1)
	v_fma_f64 v[83:84], v[91:92], v[83:84], 0
	s_waitcnt vmcnt(18)
	v_fma_f64 v[83:84], v[93:94], v[85:86], v[83:84]
	buffer_load_dword v92, off, s[0:3], 0 offset:220
	buffer_load_dword v93, off, s[0:3], 0 offset:240
	;; [unrolled: 1-line block ×7, first 2 shown]
	s_waitcnt vmcnt(23) lgkmcnt(0)
	v_fma_f64 v[83:84], v[95:96], v[87:88], v[83:84]
	s_waitcnt vmcnt(21)
	v_fma_f64 v[94:95], v[97:98], v[89:90], v[83:84]
	ds_read_b128 v[83:86], v82 offset:480
	ds_read_b128 v[87:90], v82 offset:496
	s_waitcnt vmcnt(19) lgkmcnt(1)
	v_fma_f64 v[83:84], v[99:100], v[83:84], v[94:95]
	buffer_load_dword v94, off, s[0:3], 0 offset:244
	s_waitcnt vmcnt(18)
	v_fma_f64 v[83:84], v[101:102], v[85:86], v[83:84]
	buffer_load_dword v96, off, s[0:3], 0 offset:252
	buffer_load_dword v97, off, s[0:3], 0 offset:272
	;; [unrolled: 1-line block ×8, first 2 shown]
	s_waitcnt vmcnt(24) lgkmcnt(0)
	v_fma_f64 v[83:84], v[103:104], v[87:88], v[83:84]
	s_waitcnt vmcnt(19)
	v_fma_f64 v[103:104], v[105:106], v[89:90], v[83:84]
	ds_read_b128 v[83:86], v82 offset:512
	ds_read_b128 v[87:90], v82 offset:528
	s_waitcnt vmcnt(18) lgkmcnt(1)
	v_fma_f64 v[83:84], v[111:112], v[83:84], v[103:104]
	s_waitcnt vmcnt(17)
	v_fma_f64 v[83:84], v[109:110], v[85:86], v[83:84]
	buffer_load_dword v104, off, s[0:3], 0 offset:284
	buffer_load_dword v105, off, s[0:3], 0 offset:304
	;; [unrolled: 1-line block ×8, first 2 shown]
	s_waitcnt vmcnt(24) lgkmcnt(0)
	v_fma_f64 v[83:84], v[107:108], v[87:88], v[83:84]
	s_waitcnt vmcnt(19)
	v_fma_f64 v[91:92], v[91:92], v[89:90], v[83:84]
	ds_read_b128 v[83:86], v82 offset:544
	ds_read_b128 v[87:90], v82 offset:560
	s_waitcnt vmcnt(18) lgkmcnt(1)
	v_fma_f64 v[83:84], v[115:116], v[83:84], v[91:92]
	buffer_load_dword v92, off, s[0:3], 0 offset:316
	buffer_load_dword v91, off, s[0:3], 0 offset:312
	;; [unrolled: 1-line block ×4, first 2 shown]
	s_waitcnt vmcnt(21)
	v_fma_f64 v[83:84], v[113:114], v[85:86], v[83:84]
	s_waitcnt vmcnt(20) lgkmcnt(0)
	v_fma_f64 v[83:84], v[93:94], v[87:88], v[83:84]
	s_waitcnt vmcnt(15)
	v_fma_f64 v[93:94], v[95:96], v[89:90], v[83:84]
	ds_read_b128 v[83:86], v82 offset:576
	ds_read_b128 v[87:90], v82 offset:592
	s_waitcnt vmcnt(14) lgkmcnt(1)
	v_fma_f64 v[83:84], v[101:102], v[83:84], v[93:94]
	s_waitcnt vmcnt(13)
	v_fma_f64 v[83:84], v[99:100], v[85:86], v[83:84]
	s_waitcnt vmcnt(12) lgkmcnt(0)
	v_fma_f64 v[83:84], v[97:98], v[87:88], v[83:84]
	s_waitcnt vmcnt(7)
	v_fma_f64 v[93:94], v[103:104], v[89:90], v[83:84]
	ds_read_b128 v[83:86], v82 offset:608
	ds_read_b128 v[87:90], v82 offset:624
	s_waitcnt vmcnt(6) lgkmcnt(1)
	v_fma_f64 v[82:83], v[111:112], v[83:84], v[93:94]
	s_waitcnt vmcnt(5)
	v_fma_f64 v[82:83], v[109:110], v[85:86], v[82:83]
	s_waitcnt vmcnt(4) lgkmcnt(0)
	v_fma_f64 v[82:83], v[105:106], v[87:88], v[82:83]
	s_waitcnt vmcnt(2)
	v_fma_f64 v[82:83], v[91:92], v[89:90], v[82:83]
	s_waitcnt vmcnt(0)
	v_add_f64 v[82:83], v[107:108], -v[82:83]
	buffer_store_dword v83, off, s[0:3], 0 offset:124
	buffer_store_dword v82, off, s[0:3], 0 offset:120
	s_and_saveexec_b64 s[4:5], vcc
	s_cbranch_execz .LBB39_219
; %bb.218:
	buffer_load_dword v82, off, s[0:3], 0 offset:112
	buffer_load_dword v83, off, s[0:3], 0 offset:116
	v_mov_b32_e32 v84, 0
	buffer_store_dword v84, off, s[0:3], 0 offset:112
	buffer_store_dword v84, off, s[0:3], 0 offset:116
	s_waitcnt vmcnt(2)
	ds_write_b64 v81, v[82:83]
.LBB39_219:
	s_or_b64 exec, exec, s[4:5]
	s_waitcnt lgkmcnt(0)
	; wave barrier
	buffer_load_dword v91, off, s[0:3], 0 offset:120
	buffer_load_dword v92, off, s[0:3], 0 offset:124
	;; [unrolled: 1-line block ×21, first 2 shown]
	v_mov_b32_e32 v82, 0
	ds_read2_b64 v[83:86], v82 offset0:55 offset1:56
	ds_read2_b64 v[87:90], v82 offset0:57 offset1:58
	buffer_load_dword v108, off, s[0:3], 0 offset:204
	v_cmp_lt_u32_e32 vcc, 13, v0
	s_waitcnt vmcnt(20) lgkmcnt(1)
	v_fma_f64 v[83:84], v[91:92], v[83:84], 0
	s_waitcnt vmcnt(18)
	v_fma_f64 v[83:84], v[93:94], v[85:86], v[83:84]
	buffer_load_dword v92, off, s[0:3], 0 offset:212
	buffer_load_dword v93, off, s[0:3], 0 offset:232
	;; [unrolled: 1-line block ×7, first 2 shown]
	s_waitcnt vmcnt(23) lgkmcnt(0)
	v_fma_f64 v[83:84], v[95:96], v[87:88], v[83:84]
	s_waitcnt vmcnt(21)
	v_fma_f64 v[94:95], v[97:98], v[89:90], v[83:84]
	ds_read2_b64 v[83:86], v82 offset0:59 offset1:60
	ds_read2_b64 v[87:90], v82 offset0:61 offset1:62
	s_waitcnt vmcnt(19) lgkmcnt(1)
	v_fma_f64 v[83:84], v[99:100], v[83:84], v[94:95]
	buffer_load_dword v94, off, s[0:3], 0 offset:236
	s_waitcnt vmcnt(18)
	v_fma_f64 v[83:84], v[101:102], v[85:86], v[83:84]
	buffer_load_dword v96, off, s[0:3], 0 offset:244
	buffer_load_dword v97, off, s[0:3], 0 offset:264
	;; [unrolled: 1-line block ×8, first 2 shown]
	s_waitcnt vmcnt(24) lgkmcnt(0)
	v_fma_f64 v[83:84], v[103:104], v[87:88], v[83:84]
	s_waitcnt vmcnt(19)
	v_fma_f64 v[103:104], v[105:106], v[89:90], v[83:84]
	ds_read2_b64 v[83:86], v82 offset0:63 offset1:64
	ds_read2_b64 v[87:90], v82 offset0:65 offset1:66
	s_waitcnt vmcnt(18) lgkmcnt(1)
	v_fma_f64 v[83:84], v[111:112], v[83:84], v[103:104]
	s_waitcnt vmcnt(17)
	v_fma_f64 v[83:84], v[109:110], v[85:86], v[83:84]
	buffer_load_dword v104, off, s[0:3], 0 offset:276
	buffer_load_dword v105, off, s[0:3], 0 offset:296
	;; [unrolled: 1-line block ×7, first 2 shown]
	s_waitcnt vmcnt(23) lgkmcnt(0)
	v_fma_f64 v[83:84], v[107:108], v[87:88], v[83:84]
	s_waitcnt vmcnt(18)
	v_fma_f64 v[91:92], v[91:92], v[89:90], v[83:84]
	ds_read2_b64 v[83:86], v82 offset0:67 offset1:68
	ds_read2_b64 v[87:90], v82 offset0:69 offset1:70
	buffer_load_dword v106, off, s[0:3], 0 offset:300
	s_waitcnt vmcnt(18) lgkmcnt(1)
	v_fma_f64 v[83:84], v[115:116], v[83:84], v[91:92]
	buffer_load_dword v92, off, s[0:3], 0 offset:308
	buffer_load_dword v107, off, s[0:3], 0 offset:312
	;; [unrolled: 1-line block ×4, first 2 shown]
	s_waitcnt vmcnt(21)
	v_fma_f64 v[83:84], v[113:114], v[85:86], v[83:84]
	s_waitcnt vmcnt(20) lgkmcnt(0)
	v_fma_f64 v[83:84], v[93:94], v[87:88], v[83:84]
	buffer_load_dword v93, off, s[0:3], 0 offset:112
	buffer_load_dword v94, off, s[0:3], 0 offset:116
	s_waitcnt vmcnt(17)
	v_fma_f64 v[95:96], v[95:96], v[89:90], v[83:84]
	ds_read2_b64 v[83:86], v82 offset0:71 offset1:72
	ds_read2_b64 v[87:90], v82 offset0:73 offset1:74
	s_waitcnt vmcnt(16) lgkmcnt(1)
	v_fma_f64 v[83:84], v[101:102], v[83:84], v[95:96]
	s_waitcnt vmcnt(15)
	v_fma_f64 v[83:84], v[99:100], v[85:86], v[83:84]
	s_waitcnt vmcnt(14) lgkmcnt(0)
	v_fma_f64 v[83:84], v[97:98], v[87:88], v[83:84]
	s_waitcnt vmcnt(9)
	v_fma_f64 v[95:96], v[103:104], v[89:90], v[83:84]
	ds_read2_b64 v[83:86], v82 offset0:75 offset1:76
	ds_read2_b64 v[87:90], v82 offset0:77 offset1:78
	s_waitcnt vmcnt(8) lgkmcnt(1)
	v_fma_f64 v[83:84], v[111:112], v[83:84], v[95:96]
	s_waitcnt vmcnt(7)
	v_fma_f64 v[83:84], v[109:110], v[85:86], v[83:84]
	ds_read_b64 v[85:86], v82 offset:632
	s_waitcnt vmcnt(6) lgkmcnt(1)
	v_fma_f64 v[83:84], v[105:106], v[87:88], v[83:84]
	s_waitcnt vmcnt(3)
	v_fma_f64 v[83:84], v[91:92], v[89:90], v[83:84]
	s_waitcnt vmcnt(2) lgkmcnt(0)
	v_fma_f64 v[83:84], v[107:108], v[85:86], v[83:84]
	s_waitcnt vmcnt(0)
	v_add_f64 v[83:84], v[93:94], -v[83:84]
	buffer_store_dword v84, off, s[0:3], 0 offset:116
	buffer_store_dword v83, off, s[0:3], 0 offset:112
	s_and_saveexec_b64 s[4:5], vcc
	s_cbranch_execz .LBB39_221
; %bb.220:
	buffer_load_dword v83, off, s[0:3], 0 offset:104
	buffer_load_dword v84, off, s[0:3], 0 offset:108
	s_waitcnt vmcnt(0)
	ds_write_b64 v81, v[83:84]
	buffer_store_dword v82, off, s[0:3], 0 offset:104
	buffer_store_dword v82, off, s[0:3], 0 offset:108
.LBB39_221:
	s_or_b64 exec, exec, s[4:5]
	s_waitcnt lgkmcnt(0)
	; wave barrier
	buffer_load_dword v91, off, s[0:3], 0 offset:112
	buffer_load_dword v92, off, s[0:3], 0 offset:116
	;; [unrolled: 1-line block ×22, first 2 shown]
	ds_read_b128 v[83:86], v82 offset:432
	ds_read_b128 v[87:90], v82 offset:448
	v_cmp_lt_u32_e32 vcc, 12, v0
	s_waitcnt vmcnt(20) lgkmcnt(1)
	v_fma_f64 v[83:84], v[91:92], v[83:84], 0
	s_waitcnt vmcnt(18)
	v_fma_f64 v[83:84], v[93:94], v[85:86], v[83:84]
	buffer_load_dword v92, off, s[0:3], 0 offset:204
	buffer_load_dword v93, off, s[0:3], 0 offset:224
	;; [unrolled: 1-line block ×7, first 2 shown]
	s_waitcnt vmcnt(23) lgkmcnt(0)
	v_fma_f64 v[83:84], v[95:96], v[87:88], v[83:84]
	s_waitcnt vmcnt(21)
	v_fma_f64 v[94:95], v[97:98], v[89:90], v[83:84]
	ds_read_b128 v[83:86], v82 offset:464
	ds_read_b128 v[87:90], v82 offset:480
	s_waitcnt vmcnt(19) lgkmcnt(1)
	v_fma_f64 v[83:84], v[99:100], v[83:84], v[94:95]
	buffer_load_dword v94, off, s[0:3], 0 offset:228
	s_waitcnt vmcnt(18)
	v_fma_f64 v[83:84], v[101:102], v[85:86], v[83:84]
	buffer_load_dword v96, off, s[0:3], 0 offset:236
	buffer_load_dword v97, off, s[0:3], 0 offset:256
	;; [unrolled: 1-line block ×8, first 2 shown]
	s_waitcnt vmcnt(24) lgkmcnt(0)
	v_fma_f64 v[83:84], v[103:104], v[87:88], v[83:84]
	s_waitcnt vmcnt(19)
	v_fma_f64 v[103:104], v[105:106], v[89:90], v[83:84]
	ds_read_b128 v[83:86], v82 offset:496
	ds_read_b128 v[87:90], v82 offset:512
	s_waitcnt vmcnt(18) lgkmcnt(1)
	v_fma_f64 v[83:84], v[111:112], v[83:84], v[103:104]
	s_waitcnt vmcnt(17)
	v_fma_f64 v[83:84], v[109:110], v[85:86], v[83:84]
	buffer_load_dword v104, off, s[0:3], 0 offset:268
	buffer_load_dword v105, off, s[0:3], 0 offset:288
	;; [unrolled: 1-line block ×8, first 2 shown]
	s_waitcnt vmcnt(24) lgkmcnt(0)
	v_fma_f64 v[83:84], v[107:108], v[87:88], v[83:84]
	s_waitcnt vmcnt(19)
	v_fma_f64 v[91:92], v[91:92], v[89:90], v[83:84]
	ds_read_b128 v[83:86], v82 offset:528
	ds_read_b128 v[87:90], v82 offset:544
	s_waitcnt vmcnt(18) lgkmcnt(1)
	v_fma_f64 v[83:84], v[115:116], v[83:84], v[91:92]
	s_waitcnt vmcnt(17)
	v_fma_f64 v[83:84], v[113:114], v[85:86], v[83:84]
	buffer_load_dword v92, off, s[0:3], 0 offset:300
	buffer_load_dword v107, off, s[0:3], 0 offset:312
	;; [unrolled: 1-line block ×6, first 2 shown]
	s_waitcnt vmcnt(22) lgkmcnt(0)
	v_fma_f64 v[83:84], v[93:94], v[87:88], v[83:84]
	s_waitcnt vmcnt(17)
	v_fma_f64 v[93:94], v[95:96], v[89:90], v[83:84]
	ds_read_b128 v[83:86], v82 offset:560
	buffer_load_dword v95, off, s[0:3], 0 offset:104
	buffer_load_dword v96, off, s[0:3], 0 offset:108
	ds_read_b128 v[87:90], v82 offset:576
	s_waitcnt vmcnt(18) lgkmcnt(1)
	v_fma_f64 v[83:84], v[101:102], v[83:84], v[93:94]
	s_waitcnt vmcnt(17)
	v_fma_f64 v[83:84], v[99:100], v[85:86], v[83:84]
	s_waitcnt vmcnt(16) lgkmcnt(0)
	v_fma_f64 v[83:84], v[97:98], v[87:88], v[83:84]
	s_waitcnt vmcnt(11)
	v_fma_f64 v[93:94], v[103:104], v[89:90], v[83:84]
	ds_read_b128 v[83:86], v82 offset:592
	ds_read_b128 v[87:90], v82 offset:608
	s_waitcnt vmcnt(10) lgkmcnt(1)
	v_fma_f64 v[83:84], v[111:112], v[83:84], v[93:94]
	s_waitcnt vmcnt(9)
	v_fma_f64 v[83:84], v[109:110], v[85:86], v[83:84]
	s_waitcnt vmcnt(8) lgkmcnt(0)
	v_fma_f64 v[83:84], v[105:106], v[87:88], v[83:84]
	s_waitcnt vmcnt(4)
	v_fma_f64 v[86:87], v[91:92], v[89:90], v[83:84]
	ds_read_b128 v[82:85], v82 offset:624
	s_waitcnt vmcnt(3) lgkmcnt(0)
	v_fma_f64 v[82:83], v[113:114], v[82:83], v[86:87]
	s_waitcnt vmcnt(2)
	v_fma_f64 v[82:83], v[107:108], v[84:85], v[82:83]
	s_waitcnt vmcnt(0)
	v_add_f64 v[82:83], v[95:96], -v[82:83]
	buffer_store_dword v83, off, s[0:3], 0 offset:108
	buffer_store_dword v82, off, s[0:3], 0 offset:104
	s_and_saveexec_b64 s[4:5], vcc
	s_cbranch_execz .LBB39_223
; %bb.222:
	buffer_load_dword v82, off, s[0:3], 0 offset:96
	buffer_load_dword v83, off, s[0:3], 0 offset:100
	v_mov_b32_e32 v84, 0
	buffer_store_dword v84, off, s[0:3], 0 offset:96
	buffer_store_dword v84, off, s[0:3], 0 offset:100
	s_waitcnt vmcnt(2)
	ds_write_b64 v81, v[82:83]
.LBB39_223:
	s_or_b64 exec, exec, s[4:5]
	s_waitcnt lgkmcnt(0)
	; wave barrier
	buffer_load_dword v91, off, s[0:3], 0 offset:104
	buffer_load_dword v92, off, s[0:3], 0 offset:108
	;; [unrolled: 1-line block ×22, first 2 shown]
	v_mov_b32_e32 v82, 0
	ds_read2_b64 v[83:86], v82 offset0:53 offset1:54
	ds_read2_b64 v[87:90], v82 offset0:55 offset1:56
	v_cmp_lt_u32_e32 vcc, 11, v0
	s_waitcnt vmcnt(20) lgkmcnt(1)
	v_fma_f64 v[83:84], v[91:92], v[83:84], 0
	s_waitcnt vmcnt(18)
	v_fma_f64 v[83:84], v[93:94], v[85:86], v[83:84]
	buffer_load_dword v92, off, s[0:3], 0 offset:196
	buffer_load_dword v93, off, s[0:3], 0 offset:216
	;; [unrolled: 1-line block ×7, first 2 shown]
	s_waitcnt vmcnt(23) lgkmcnt(0)
	v_fma_f64 v[83:84], v[95:96], v[87:88], v[83:84]
	s_waitcnt vmcnt(21)
	v_fma_f64 v[94:95], v[97:98], v[89:90], v[83:84]
	ds_read2_b64 v[83:86], v82 offset0:57 offset1:58
	ds_read2_b64 v[87:90], v82 offset0:59 offset1:60
	s_waitcnt vmcnt(19) lgkmcnt(1)
	v_fma_f64 v[83:84], v[99:100], v[83:84], v[94:95]
	buffer_load_dword v94, off, s[0:3], 0 offset:220
	s_waitcnt vmcnt(18)
	v_fma_f64 v[83:84], v[101:102], v[85:86], v[83:84]
	buffer_load_dword v96, off, s[0:3], 0 offset:228
	buffer_load_dword v97, off, s[0:3], 0 offset:248
	buffer_load_dword v99, off, s[0:3], 0 offset:240
	buffer_load_dword v101, off, s[0:3], 0 offset:232
	buffer_load_dword v95, off, s[0:3], 0 offset:224
	buffer_load_dword v102, off, s[0:3], 0 offset:236
	buffer_load_dword v100, off, s[0:3], 0 offset:244
	buffer_load_dword v98, off, s[0:3], 0 offset:252
	s_waitcnt vmcnt(24) lgkmcnt(0)
	v_fma_f64 v[83:84], v[103:104], v[87:88], v[83:84]
	s_waitcnt vmcnt(19)
	v_fma_f64 v[103:104], v[105:106], v[89:90], v[83:84]
	ds_read2_b64 v[83:86], v82 offset0:61 offset1:62
	ds_read2_b64 v[87:90], v82 offset0:63 offset1:64
	s_waitcnt vmcnt(18) lgkmcnt(1)
	v_fma_f64 v[83:84], v[111:112], v[83:84], v[103:104]
	s_waitcnt vmcnt(17)
	v_fma_f64 v[83:84], v[109:110], v[85:86], v[83:84]
	buffer_load_dword v104, off, s[0:3], 0 offset:260
	buffer_load_dword v105, off, s[0:3], 0 offset:280
	buffer_load_dword v109, off, s[0:3], 0 offset:272
	buffer_load_dword v111, off, s[0:3], 0 offset:264
	buffer_load_dword v103, off, s[0:3], 0 offset:256
	buffer_load_dword v112, off, s[0:3], 0 offset:268
	buffer_load_dword v110, off, s[0:3], 0 offset:276
	buffer_load_dword v106, off, s[0:3], 0 offset:284
	s_waitcnt vmcnt(24) lgkmcnt(0)
	v_fma_f64 v[83:84], v[107:108], v[87:88], v[83:84]
	s_waitcnt vmcnt(19)
	v_fma_f64 v[91:92], v[91:92], v[89:90], v[83:84]
	ds_read2_b64 v[83:86], v82 offset0:65 offset1:66
	ds_read2_b64 v[87:90], v82 offset0:67 offset1:68
	s_waitcnt vmcnt(18) lgkmcnt(1)
	v_fma_f64 v[83:84], v[115:116], v[83:84], v[91:92]
	;; [unrolled: 18-line block ×3, first 2 shown]
	buffer_load_dword v93, off, s[0:3], 0 offset:96
	buffer_load_dword v94, off, s[0:3], 0 offset:100
	s_waitcnt vmcnt(19)
	v_fma_f64 v[83:84], v[99:100], v[85:86], v[83:84]
	s_waitcnt vmcnt(18) lgkmcnt(0)
	v_fma_f64 v[83:84], v[97:98], v[87:88], v[83:84]
	s_waitcnt vmcnt(13)
	v_fma_f64 v[95:96], v[103:104], v[89:90], v[83:84]
	ds_read2_b64 v[83:86], v82 offset0:73 offset1:74
	ds_read2_b64 v[87:90], v82 offset0:75 offset1:76
	s_waitcnt vmcnt(12) lgkmcnt(1)
	v_fma_f64 v[83:84], v[111:112], v[83:84], v[95:96]
	s_waitcnt vmcnt(11)
	v_fma_f64 v[83:84], v[109:110], v[85:86], v[83:84]
	s_waitcnt vmcnt(10) lgkmcnt(0)
	v_fma_f64 v[83:84], v[105:106], v[87:88], v[83:84]
	s_waitcnt vmcnt(5)
	v_fma_f64 v[87:88], v[91:92], v[89:90], v[83:84]
	ds_read2_b64 v[83:86], v82 offset0:77 offset1:78
	ds_read_b64 v[89:90], v82 offset:632
	s_waitcnt vmcnt(4) lgkmcnt(1)
	v_fma_f64 v[83:84], v[115:116], v[83:84], v[87:88]
	s_waitcnt vmcnt(3)
	v_fma_f64 v[83:84], v[113:114], v[85:86], v[83:84]
	s_waitcnt vmcnt(2) lgkmcnt(0)
	v_fma_f64 v[83:84], v[107:108], v[89:90], v[83:84]
	s_waitcnt vmcnt(0)
	v_add_f64 v[83:84], v[93:94], -v[83:84]
	buffer_store_dword v84, off, s[0:3], 0 offset:100
	buffer_store_dword v83, off, s[0:3], 0 offset:96
	s_and_saveexec_b64 s[4:5], vcc
	s_cbranch_execz .LBB39_225
; %bb.224:
	buffer_load_dword v83, off, s[0:3], 0 offset:88
	buffer_load_dword v84, off, s[0:3], 0 offset:92
	s_waitcnt vmcnt(0)
	ds_write_b64 v81, v[83:84]
	buffer_store_dword v82, off, s[0:3], 0 offset:88
	buffer_store_dword v82, off, s[0:3], 0 offset:92
.LBB39_225:
	s_or_b64 exec, exec, s[4:5]
	s_waitcnt lgkmcnt(0)
	; wave barrier
	buffer_load_dword v91, off, s[0:3], 0 offset:96
	buffer_load_dword v92, off, s[0:3], 0 offset:100
	;; [unrolled: 1-line block ×22, first 2 shown]
	ds_read_b128 v[83:86], v82 offset:416
	ds_read_b128 v[87:90], v82 offset:432
	v_cmp_lt_u32_e32 vcc, 10, v0
	s_waitcnt vmcnt(20) lgkmcnt(1)
	v_fma_f64 v[83:84], v[91:92], v[83:84], 0
	s_waitcnt vmcnt(18)
	v_fma_f64 v[83:84], v[93:94], v[85:86], v[83:84]
	buffer_load_dword v92, off, s[0:3], 0 offset:188
	buffer_load_dword v93, off, s[0:3], 0 offset:208
	;; [unrolled: 1-line block ×7, first 2 shown]
	s_waitcnt vmcnt(23) lgkmcnt(0)
	v_fma_f64 v[83:84], v[95:96], v[87:88], v[83:84]
	s_waitcnt vmcnt(21)
	v_fma_f64 v[94:95], v[97:98], v[89:90], v[83:84]
	ds_read_b128 v[83:86], v82 offset:448
	ds_read_b128 v[87:90], v82 offset:464
	s_waitcnt vmcnt(19) lgkmcnt(1)
	v_fma_f64 v[83:84], v[99:100], v[83:84], v[94:95]
	buffer_load_dword v94, off, s[0:3], 0 offset:212
	s_waitcnt vmcnt(18)
	v_fma_f64 v[83:84], v[101:102], v[85:86], v[83:84]
	buffer_load_dword v96, off, s[0:3], 0 offset:220
	buffer_load_dword v97, off, s[0:3], 0 offset:240
	buffer_load_dword v99, off, s[0:3], 0 offset:232
	buffer_load_dword v101, off, s[0:3], 0 offset:224
	buffer_load_dword v95, off, s[0:3], 0 offset:216
	buffer_load_dword v102, off, s[0:3], 0 offset:228
	buffer_load_dword v100, off, s[0:3], 0 offset:236
	buffer_load_dword v98, off, s[0:3], 0 offset:244
	s_waitcnt vmcnt(24) lgkmcnt(0)
	v_fma_f64 v[83:84], v[103:104], v[87:88], v[83:84]
	s_waitcnt vmcnt(19)
	v_fma_f64 v[103:104], v[105:106], v[89:90], v[83:84]
	ds_read_b128 v[83:86], v82 offset:480
	ds_read_b128 v[87:90], v82 offset:496
	s_waitcnt vmcnt(18) lgkmcnt(1)
	v_fma_f64 v[83:84], v[111:112], v[83:84], v[103:104]
	s_waitcnt vmcnt(17)
	v_fma_f64 v[83:84], v[109:110], v[85:86], v[83:84]
	buffer_load_dword v104, off, s[0:3], 0 offset:252
	buffer_load_dword v105, off, s[0:3], 0 offset:272
	buffer_load_dword v109, off, s[0:3], 0 offset:264
	buffer_load_dword v111, off, s[0:3], 0 offset:256
	buffer_load_dword v103, off, s[0:3], 0 offset:248
	buffer_load_dword v112, off, s[0:3], 0 offset:260
	buffer_load_dword v110, off, s[0:3], 0 offset:268
	buffer_load_dword v106, off, s[0:3], 0 offset:276
	s_waitcnt vmcnt(24) lgkmcnt(0)
	v_fma_f64 v[83:84], v[107:108], v[87:88], v[83:84]
	s_waitcnt vmcnt(19)
	v_fma_f64 v[91:92], v[91:92], v[89:90], v[83:84]
	ds_read_b128 v[83:86], v82 offset:512
	ds_read_b128 v[87:90], v82 offset:528
	s_waitcnt vmcnt(18) lgkmcnt(1)
	v_fma_f64 v[83:84], v[115:116], v[83:84], v[91:92]
	;; [unrolled: 18-line block ×3, first 2 shown]
	buffer_load_dword v94, off, s[0:3], 0 offset:316
	buffer_load_dword v93, off, s[0:3], 0 offset:312
	;; [unrolled: 1-line block ×4, first 2 shown]
	s_waitcnt vmcnt(21)
	v_fma_f64 v[83:84], v[99:100], v[85:86], v[83:84]
	s_waitcnt vmcnt(20) lgkmcnt(0)
	v_fma_f64 v[83:84], v[97:98], v[87:88], v[83:84]
	s_waitcnt vmcnt(15)
	v_fma_f64 v[97:98], v[103:104], v[89:90], v[83:84]
	ds_read_b128 v[83:86], v82 offset:576
	ds_read_b128 v[87:90], v82 offset:592
	s_waitcnt vmcnt(14) lgkmcnt(1)
	v_fma_f64 v[83:84], v[111:112], v[83:84], v[97:98]
	s_waitcnt vmcnt(13)
	v_fma_f64 v[83:84], v[109:110], v[85:86], v[83:84]
	s_waitcnt vmcnt(12) lgkmcnt(0)
	v_fma_f64 v[83:84], v[105:106], v[87:88], v[83:84]
	s_waitcnt vmcnt(7)
	v_fma_f64 v[91:92], v[91:92], v[89:90], v[83:84]
	ds_read_b128 v[83:86], v82 offset:608
	ds_read_b128 v[87:90], v82 offset:624
	s_waitcnt vmcnt(6) lgkmcnt(1)
	v_fma_f64 v[82:83], v[115:116], v[83:84], v[91:92]
	s_waitcnt vmcnt(5)
	v_fma_f64 v[82:83], v[113:114], v[85:86], v[82:83]
	s_waitcnt vmcnt(4) lgkmcnt(0)
	v_fma_f64 v[82:83], v[107:108], v[87:88], v[82:83]
	s_waitcnt vmcnt(2)
	v_fma_f64 v[82:83], v[93:94], v[89:90], v[82:83]
	s_waitcnt vmcnt(0)
	v_add_f64 v[82:83], v[95:96], -v[82:83]
	buffer_store_dword v83, off, s[0:3], 0 offset:92
	buffer_store_dword v82, off, s[0:3], 0 offset:88
	s_and_saveexec_b64 s[4:5], vcc
	s_cbranch_execz .LBB39_227
; %bb.226:
	buffer_load_dword v82, off, s[0:3], 0 offset:80
	buffer_load_dword v83, off, s[0:3], 0 offset:84
	v_mov_b32_e32 v84, 0
	buffer_store_dword v84, off, s[0:3], 0 offset:80
	buffer_store_dword v84, off, s[0:3], 0 offset:84
	s_waitcnt vmcnt(2)
	ds_write_b64 v81, v[82:83]
.LBB39_227:
	s_or_b64 exec, exec, s[4:5]
	s_waitcnt lgkmcnt(0)
	; wave barrier
	buffer_load_dword v91, off, s[0:3], 0 offset:88
	buffer_load_dword v92, off, s[0:3], 0 offset:92
	;; [unrolled: 1-line block ×22, first 2 shown]
	v_mov_b32_e32 v82, 0
	ds_read2_b64 v[83:86], v82 offset0:51 offset1:52
	ds_read2_b64 v[87:90], v82 offset0:53 offset1:54
	v_cmp_lt_u32_e32 vcc, 9, v0
	s_waitcnt vmcnt(20) lgkmcnt(1)
	v_fma_f64 v[83:84], v[91:92], v[83:84], 0
	s_waitcnt vmcnt(18)
	v_fma_f64 v[83:84], v[93:94], v[85:86], v[83:84]
	buffer_load_dword v92, off, s[0:3], 0 offset:180
	buffer_load_dword v93, off, s[0:3], 0 offset:200
	;; [unrolled: 1-line block ×7, first 2 shown]
	s_waitcnt vmcnt(23) lgkmcnt(0)
	v_fma_f64 v[83:84], v[95:96], v[87:88], v[83:84]
	s_waitcnt vmcnt(21)
	v_fma_f64 v[94:95], v[97:98], v[89:90], v[83:84]
	ds_read2_b64 v[83:86], v82 offset0:55 offset1:56
	ds_read2_b64 v[87:90], v82 offset0:57 offset1:58
	s_waitcnt vmcnt(19) lgkmcnt(1)
	v_fma_f64 v[83:84], v[99:100], v[83:84], v[94:95]
	buffer_load_dword v94, off, s[0:3], 0 offset:204
	s_waitcnt vmcnt(18)
	v_fma_f64 v[83:84], v[101:102], v[85:86], v[83:84]
	buffer_load_dword v96, off, s[0:3], 0 offset:212
	buffer_load_dword v97, off, s[0:3], 0 offset:232
	;; [unrolled: 1-line block ×7, first 2 shown]
	s_waitcnt vmcnt(23) lgkmcnt(0)
	v_fma_f64 v[83:84], v[103:104], v[87:88], v[83:84]
	s_waitcnt vmcnt(18)
	v_fma_f64 v[103:104], v[105:106], v[89:90], v[83:84]
	ds_read2_b64 v[83:86], v82 offset0:59 offset1:60
	ds_read2_b64 v[87:90], v82 offset0:61 offset1:62
	buffer_load_dword v98, off, s[0:3], 0 offset:236
	s_waitcnt vmcnt(18) lgkmcnt(1)
	v_fma_f64 v[83:84], v[111:112], v[83:84], v[103:104]
	s_waitcnt vmcnt(17)
	v_fma_f64 v[83:84], v[109:110], v[85:86], v[83:84]
	buffer_load_dword v104, off, s[0:3], 0 offset:244
	buffer_load_dword v105, off, s[0:3], 0 offset:264
	;; [unrolled: 1-line block ×8, first 2 shown]
	s_waitcnt vmcnt(24) lgkmcnt(0)
	v_fma_f64 v[83:84], v[107:108], v[87:88], v[83:84]
	s_waitcnt vmcnt(19)
	v_fma_f64 v[91:92], v[91:92], v[89:90], v[83:84]
	ds_read2_b64 v[83:86], v82 offset0:63 offset1:64
	ds_read2_b64 v[87:90], v82 offset0:65 offset1:66
	s_waitcnt vmcnt(18) lgkmcnt(1)
	v_fma_f64 v[83:84], v[115:116], v[83:84], v[91:92]
	s_waitcnt vmcnt(17)
	v_fma_f64 v[83:84], v[113:114], v[85:86], v[83:84]
	buffer_load_dword v92, off, s[0:3], 0 offset:276
	buffer_load_dword v107, off, s[0:3], 0 offset:296
	;; [unrolled: 1-line block ×7, first 2 shown]
	s_waitcnt vmcnt(23) lgkmcnt(0)
	v_fma_f64 v[83:84], v[93:94], v[87:88], v[83:84]
	s_waitcnt vmcnt(18)
	v_fma_f64 v[93:94], v[95:96], v[89:90], v[83:84]
	ds_read2_b64 v[83:86], v82 offset0:67 offset1:68
	ds_read2_b64 v[87:90], v82 offset0:69 offset1:70
	buffer_load_dword v108, off, s[0:3], 0 offset:300
	s_waitcnt vmcnt(18) lgkmcnt(1)
	v_fma_f64 v[83:84], v[101:102], v[83:84], v[93:94]
	buffer_load_dword v94, off, s[0:3], 0 offset:308
	buffer_load_dword v95, off, s[0:3], 0 offset:312
	;; [unrolled: 1-line block ×4, first 2 shown]
	s_waitcnt vmcnt(21)
	v_fma_f64 v[83:84], v[99:100], v[85:86], v[83:84]
	s_waitcnt vmcnt(20) lgkmcnt(0)
	v_fma_f64 v[83:84], v[97:98], v[87:88], v[83:84]
	buffer_load_dword v97, off, s[0:3], 0 offset:80
	buffer_load_dword v98, off, s[0:3], 0 offset:84
	s_waitcnt vmcnt(17)
	v_fma_f64 v[99:100], v[103:104], v[89:90], v[83:84]
	ds_read2_b64 v[83:86], v82 offset0:71 offset1:72
	ds_read2_b64 v[87:90], v82 offset0:73 offset1:74
	s_waitcnt vmcnt(16) lgkmcnt(1)
	v_fma_f64 v[83:84], v[111:112], v[83:84], v[99:100]
	s_waitcnt vmcnt(15)
	v_fma_f64 v[83:84], v[109:110], v[85:86], v[83:84]
	s_waitcnt vmcnt(14) lgkmcnt(0)
	v_fma_f64 v[83:84], v[105:106], v[87:88], v[83:84]
	s_waitcnt vmcnt(9)
	v_fma_f64 v[91:92], v[91:92], v[89:90], v[83:84]
	ds_read2_b64 v[83:86], v82 offset0:75 offset1:76
	ds_read2_b64 v[87:90], v82 offset0:77 offset1:78
	s_waitcnt vmcnt(8) lgkmcnt(1)
	v_fma_f64 v[83:84], v[115:116], v[83:84], v[91:92]
	s_waitcnt vmcnt(7)
	v_fma_f64 v[83:84], v[113:114], v[85:86], v[83:84]
	ds_read_b64 v[85:86], v82 offset:632
	s_waitcnt vmcnt(6) lgkmcnt(1)
	v_fma_f64 v[83:84], v[107:108], v[87:88], v[83:84]
	s_waitcnt vmcnt(3)
	v_fma_f64 v[83:84], v[93:94], v[89:90], v[83:84]
	s_waitcnt vmcnt(2) lgkmcnt(0)
	v_fma_f64 v[83:84], v[95:96], v[85:86], v[83:84]
	s_waitcnt vmcnt(0)
	v_add_f64 v[83:84], v[97:98], -v[83:84]
	buffer_store_dword v84, off, s[0:3], 0 offset:84
	buffer_store_dword v83, off, s[0:3], 0 offset:80
	s_and_saveexec_b64 s[4:5], vcc
	s_cbranch_execz .LBB39_229
; %bb.228:
	buffer_load_dword v83, off, s[0:3], 0 offset:72
	buffer_load_dword v84, off, s[0:3], 0 offset:76
	s_waitcnt vmcnt(0)
	ds_write_b64 v81, v[83:84]
	buffer_store_dword v82, off, s[0:3], 0 offset:72
	buffer_store_dword v82, off, s[0:3], 0 offset:76
.LBB39_229:
	s_or_b64 exec, exec, s[4:5]
	s_waitcnt lgkmcnt(0)
	; wave barrier
	buffer_load_dword v91, off, s[0:3], 0 offset:80
	buffer_load_dword v92, off, s[0:3], 0 offset:84
	;; [unrolled: 1-line block ×22, first 2 shown]
	ds_read_b128 v[83:86], v82 offset:400
	ds_read_b128 v[87:90], v82 offset:416
	v_cmp_lt_u32_e32 vcc, 8, v0
	s_waitcnt vmcnt(20) lgkmcnt(1)
	v_fma_f64 v[83:84], v[91:92], v[83:84], 0
	s_waitcnt vmcnt(18)
	v_fma_f64 v[83:84], v[93:94], v[85:86], v[83:84]
	buffer_load_dword v92, off, s[0:3], 0 offset:172
	buffer_load_dword v93, off, s[0:3], 0 offset:192
	;; [unrolled: 1-line block ×7, first 2 shown]
	s_waitcnt vmcnt(23) lgkmcnt(0)
	v_fma_f64 v[83:84], v[95:96], v[87:88], v[83:84]
	s_waitcnt vmcnt(21)
	v_fma_f64 v[94:95], v[97:98], v[89:90], v[83:84]
	ds_read_b128 v[83:86], v82 offset:432
	ds_read_b128 v[87:90], v82 offset:448
	s_waitcnt vmcnt(19) lgkmcnt(1)
	v_fma_f64 v[83:84], v[99:100], v[83:84], v[94:95]
	buffer_load_dword v94, off, s[0:3], 0 offset:196
	s_waitcnt vmcnt(18)
	v_fma_f64 v[83:84], v[101:102], v[85:86], v[83:84]
	buffer_load_dword v96, off, s[0:3], 0 offset:204
	buffer_load_dword v97, off, s[0:3], 0 offset:224
	;; [unrolled: 1-line block ×7, first 2 shown]
	s_waitcnt vmcnt(23) lgkmcnt(0)
	v_fma_f64 v[83:84], v[103:104], v[87:88], v[83:84]
	s_waitcnt vmcnt(18)
	v_fma_f64 v[103:104], v[105:106], v[89:90], v[83:84]
	ds_read_b128 v[83:86], v82 offset:464
	ds_read_b128 v[87:90], v82 offset:480
	buffer_load_dword v98, off, s[0:3], 0 offset:228
	s_waitcnt vmcnt(18) lgkmcnt(1)
	v_fma_f64 v[83:84], v[111:112], v[83:84], v[103:104]
	s_waitcnt vmcnt(17)
	v_fma_f64 v[83:84], v[109:110], v[85:86], v[83:84]
	buffer_load_dword v104, off, s[0:3], 0 offset:236
	buffer_load_dword v105, off, s[0:3], 0 offset:256
	;; [unrolled: 1-line block ×8, first 2 shown]
	s_waitcnt vmcnt(24) lgkmcnt(0)
	v_fma_f64 v[83:84], v[107:108], v[87:88], v[83:84]
	s_waitcnt vmcnt(19)
	v_fma_f64 v[91:92], v[91:92], v[89:90], v[83:84]
	ds_read_b128 v[83:86], v82 offset:496
	ds_read_b128 v[87:90], v82 offset:512
	s_waitcnt vmcnt(18) lgkmcnt(1)
	v_fma_f64 v[83:84], v[115:116], v[83:84], v[91:92]
	s_waitcnt vmcnt(17)
	v_fma_f64 v[83:84], v[113:114], v[85:86], v[83:84]
	buffer_load_dword v92, off, s[0:3], 0 offset:268
	buffer_load_dword v107, off, s[0:3], 0 offset:288
	;; [unrolled: 1-line block ×8, first 2 shown]
	s_waitcnt vmcnt(24) lgkmcnt(0)
	v_fma_f64 v[83:84], v[93:94], v[87:88], v[83:84]
	s_waitcnt vmcnt(19)
	v_fma_f64 v[93:94], v[95:96], v[89:90], v[83:84]
	ds_read_b128 v[83:86], v82 offset:528
	ds_read_b128 v[87:90], v82 offset:544
	s_waitcnt vmcnt(18) lgkmcnt(1)
	v_fma_f64 v[83:84], v[101:102], v[83:84], v[93:94]
	s_waitcnt vmcnt(17)
	v_fma_f64 v[83:84], v[99:100], v[85:86], v[83:84]
	buffer_load_dword v94, off, s[0:3], 0 offset:300
	buffer_load_dword v95, off, s[0:3], 0 offset:312
	;; [unrolled: 1-line block ×6, first 2 shown]
	s_waitcnt vmcnt(22) lgkmcnt(0)
	v_fma_f64 v[83:84], v[97:98], v[87:88], v[83:84]
	s_waitcnt vmcnt(17)
	v_fma_f64 v[97:98], v[103:104], v[89:90], v[83:84]
	ds_read_b128 v[83:86], v82 offset:560
	buffer_load_dword v101, off, s[0:3], 0 offset:72
	buffer_load_dword v102, off, s[0:3], 0 offset:76
	ds_read_b128 v[87:90], v82 offset:576
	s_waitcnt vmcnt(18) lgkmcnt(1)
	v_fma_f64 v[83:84], v[111:112], v[83:84], v[97:98]
	s_waitcnt vmcnt(17)
	v_fma_f64 v[83:84], v[109:110], v[85:86], v[83:84]
	s_waitcnt vmcnt(16) lgkmcnt(0)
	v_fma_f64 v[83:84], v[105:106], v[87:88], v[83:84]
	s_waitcnt vmcnt(11)
	v_fma_f64 v[91:92], v[91:92], v[89:90], v[83:84]
	ds_read_b128 v[83:86], v82 offset:592
	ds_read_b128 v[87:90], v82 offset:608
	s_waitcnt vmcnt(10) lgkmcnt(1)
	v_fma_f64 v[83:84], v[115:116], v[83:84], v[91:92]
	s_waitcnt vmcnt(9)
	v_fma_f64 v[83:84], v[113:114], v[85:86], v[83:84]
	s_waitcnt vmcnt(8) lgkmcnt(0)
	v_fma_f64 v[83:84], v[107:108], v[87:88], v[83:84]
	s_waitcnt vmcnt(4)
	v_fma_f64 v[86:87], v[93:94], v[89:90], v[83:84]
	ds_read_b128 v[82:85], v82 offset:624
	s_waitcnt vmcnt(3) lgkmcnt(0)
	v_fma_f64 v[82:83], v[99:100], v[82:83], v[86:87]
	s_waitcnt vmcnt(2)
	v_fma_f64 v[82:83], v[95:96], v[84:85], v[82:83]
	s_waitcnt vmcnt(0)
	v_add_f64 v[82:83], v[101:102], -v[82:83]
	buffer_store_dword v83, off, s[0:3], 0 offset:76
	buffer_store_dword v82, off, s[0:3], 0 offset:72
	s_and_saveexec_b64 s[4:5], vcc
	s_cbranch_execz .LBB39_231
; %bb.230:
	buffer_load_dword v82, off, s[0:3], 0 offset:64
	buffer_load_dword v83, off, s[0:3], 0 offset:68
	v_mov_b32_e32 v84, 0
	buffer_store_dword v84, off, s[0:3], 0 offset:64
	buffer_store_dword v84, off, s[0:3], 0 offset:68
	s_waitcnt vmcnt(2)
	ds_write_b64 v81, v[82:83]
.LBB39_231:
	s_or_b64 exec, exec, s[4:5]
	s_waitcnt lgkmcnt(0)
	; wave barrier
	buffer_load_dword v91, off, s[0:3], 0 offset:72
	buffer_load_dword v92, off, s[0:3], 0 offset:76
	;; [unrolled: 1-line block ×22, first 2 shown]
	v_mov_b32_e32 v82, 0
	ds_read2_b64 v[83:86], v82 offset0:49 offset1:50
	ds_read2_b64 v[87:90], v82 offset0:51 offset1:52
	v_cmp_lt_u32_e32 vcc, 7, v0
	s_waitcnt vmcnt(20) lgkmcnt(1)
	v_fma_f64 v[83:84], v[91:92], v[83:84], 0
	s_waitcnt vmcnt(18)
	v_fma_f64 v[83:84], v[93:94], v[85:86], v[83:84]
	buffer_load_dword v92, off, s[0:3], 0 offset:164
	buffer_load_dword v93, off, s[0:3], 0 offset:184
	buffer_load_dword v113, off, s[0:3], 0 offset:176
	buffer_load_dword v115, off, s[0:3], 0 offset:168
	buffer_load_dword v91, off, s[0:3], 0 offset:160
	buffer_load_dword v116, off, s[0:3], 0 offset:172
	buffer_load_dword v114, off, s[0:3], 0 offset:180
	s_waitcnt vmcnt(23) lgkmcnt(0)
	v_fma_f64 v[83:84], v[95:96], v[87:88], v[83:84]
	s_waitcnt vmcnt(21)
	v_fma_f64 v[94:95], v[97:98], v[89:90], v[83:84]
	ds_read2_b64 v[83:86], v82 offset0:53 offset1:54
	ds_read2_b64 v[87:90], v82 offset0:55 offset1:56
	s_waitcnt vmcnt(19) lgkmcnt(1)
	v_fma_f64 v[83:84], v[99:100], v[83:84], v[94:95]
	buffer_load_dword v94, off, s[0:3], 0 offset:188
	s_waitcnt vmcnt(18)
	v_fma_f64 v[83:84], v[101:102], v[85:86], v[83:84]
	buffer_load_dword v96, off, s[0:3], 0 offset:196
	buffer_load_dword v97, off, s[0:3], 0 offset:216
	;; [unrolled: 1-line block ×7, first 2 shown]
	s_waitcnt vmcnt(23) lgkmcnt(0)
	v_fma_f64 v[83:84], v[103:104], v[87:88], v[83:84]
	s_waitcnt vmcnt(18)
	v_fma_f64 v[103:104], v[105:106], v[89:90], v[83:84]
	ds_read2_b64 v[83:86], v82 offset0:57 offset1:58
	ds_read2_b64 v[87:90], v82 offset0:59 offset1:60
	buffer_load_dword v98, off, s[0:3], 0 offset:220
	s_waitcnt vmcnt(18) lgkmcnt(1)
	v_fma_f64 v[83:84], v[111:112], v[83:84], v[103:104]
	s_waitcnt vmcnt(17)
	v_fma_f64 v[83:84], v[109:110], v[85:86], v[83:84]
	buffer_load_dword v104, off, s[0:3], 0 offset:228
	buffer_load_dword v105, off, s[0:3], 0 offset:248
	buffer_load_dword v109, off, s[0:3], 0 offset:240
	buffer_load_dword v111, off, s[0:3], 0 offset:232
	buffer_load_dword v103, off, s[0:3], 0 offset:224
	buffer_load_dword v112, off, s[0:3], 0 offset:236
	buffer_load_dword v110, off, s[0:3], 0 offset:244
	buffer_load_dword v106, off, s[0:3], 0 offset:252
	s_waitcnt vmcnt(24) lgkmcnt(0)
	v_fma_f64 v[83:84], v[107:108], v[87:88], v[83:84]
	s_waitcnt vmcnt(19)
	v_fma_f64 v[91:92], v[91:92], v[89:90], v[83:84]
	ds_read2_b64 v[83:86], v82 offset0:61 offset1:62
	ds_read2_b64 v[87:90], v82 offset0:63 offset1:64
	s_waitcnt vmcnt(18) lgkmcnt(1)
	v_fma_f64 v[83:84], v[115:116], v[83:84], v[91:92]
	s_waitcnt vmcnt(17)
	v_fma_f64 v[83:84], v[113:114], v[85:86], v[83:84]
	buffer_load_dword v92, off, s[0:3], 0 offset:260
	buffer_load_dword v107, off, s[0:3], 0 offset:280
	buffer_load_dword v113, off, s[0:3], 0 offset:272
	buffer_load_dword v115, off, s[0:3], 0 offset:264
	buffer_load_dword v91, off, s[0:3], 0 offset:256
	buffer_load_dword v116, off, s[0:3], 0 offset:268
	buffer_load_dword v114, off, s[0:3], 0 offset:276
	buffer_load_dword v108, off, s[0:3], 0 offset:284
	s_waitcnt vmcnt(24) lgkmcnt(0)
	v_fma_f64 v[83:84], v[93:94], v[87:88], v[83:84]
	s_waitcnt vmcnt(19)
	v_fma_f64 v[93:94], v[95:96], v[89:90], v[83:84]
	ds_read2_b64 v[83:86], v82 offset0:65 offset1:66
	ds_read2_b64 v[87:90], v82 offset0:67 offset1:68
	;; [unrolled: 18-line block ×3, first 2 shown]
	s_waitcnt vmcnt(18) lgkmcnt(1)
	v_fma_f64 v[83:84], v[111:112], v[83:84], v[97:98]
	buffer_load_dword v97, off, s[0:3], 0 offset:64
	buffer_load_dword v98, off, s[0:3], 0 offset:68
	s_waitcnt vmcnt(19)
	v_fma_f64 v[83:84], v[109:110], v[85:86], v[83:84]
	s_waitcnt vmcnt(18) lgkmcnt(0)
	v_fma_f64 v[83:84], v[105:106], v[87:88], v[83:84]
	s_waitcnt vmcnt(13)
	v_fma_f64 v[91:92], v[91:92], v[89:90], v[83:84]
	ds_read2_b64 v[83:86], v82 offset0:73 offset1:74
	ds_read2_b64 v[87:90], v82 offset0:75 offset1:76
	s_waitcnt vmcnt(12) lgkmcnt(1)
	v_fma_f64 v[83:84], v[115:116], v[83:84], v[91:92]
	s_waitcnt vmcnt(11)
	v_fma_f64 v[83:84], v[113:114], v[85:86], v[83:84]
	s_waitcnt vmcnt(10) lgkmcnt(0)
	v_fma_f64 v[83:84], v[107:108], v[87:88], v[83:84]
	s_waitcnt vmcnt(5)
	v_fma_f64 v[87:88], v[93:94], v[89:90], v[83:84]
	ds_read2_b64 v[83:86], v82 offset0:77 offset1:78
	ds_read_b64 v[89:90], v82 offset:632
	s_waitcnt vmcnt(4) lgkmcnt(1)
	v_fma_f64 v[83:84], v[101:102], v[83:84], v[87:88]
	s_waitcnt vmcnt(3)
	v_fma_f64 v[83:84], v[99:100], v[85:86], v[83:84]
	s_waitcnt vmcnt(2) lgkmcnt(0)
	v_fma_f64 v[83:84], v[95:96], v[89:90], v[83:84]
	s_waitcnt vmcnt(0)
	v_add_f64 v[83:84], v[97:98], -v[83:84]
	buffer_store_dword v84, off, s[0:3], 0 offset:68
	buffer_store_dword v83, off, s[0:3], 0 offset:64
	s_and_saveexec_b64 s[4:5], vcc
	s_cbranch_execz .LBB39_233
; %bb.232:
	buffer_load_dword v83, off, s[0:3], 0 offset:56
	buffer_load_dword v84, off, s[0:3], 0 offset:60
	s_waitcnt vmcnt(0)
	ds_write_b64 v81, v[83:84]
	buffer_store_dword v82, off, s[0:3], 0 offset:56
	buffer_store_dword v82, off, s[0:3], 0 offset:60
.LBB39_233:
	s_or_b64 exec, exec, s[4:5]
	s_waitcnt lgkmcnt(0)
	; wave barrier
	buffer_load_dword v91, off, s[0:3], 0 offset:64
	buffer_load_dword v92, off, s[0:3], 0 offset:68
	;; [unrolled: 1-line block ×22, first 2 shown]
	ds_read_b128 v[83:86], v82 offset:384
	ds_read_b128 v[87:90], v82 offset:400
	v_cmp_lt_u32_e32 vcc, 6, v0
	s_waitcnt vmcnt(20) lgkmcnt(1)
	v_fma_f64 v[83:84], v[91:92], v[83:84], 0
	s_waitcnt vmcnt(18)
	v_fma_f64 v[83:84], v[93:94], v[85:86], v[83:84]
	buffer_load_dword v92, off, s[0:3], 0 offset:156
	buffer_load_dword v93, off, s[0:3], 0 offset:176
	;; [unrolled: 1-line block ×7, first 2 shown]
	s_waitcnt vmcnt(23) lgkmcnt(0)
	v_fma_f64 v[83:84], v[95:96], v[87:88], v[83:84]
	s_waitcnt vmcnt(21)
	v_fma_f64 v[94:95], v[97:98], v[89:90], v[83:84]
	ds_read_b128 v[83:86], v82 offset:416
	ds_read_b128 v[87:90], v82 offset:432
	s_waitcnt vmcnt(19) lgkmcnt(1)
	v_fma_f64 v[83:84], v[99:100], v[83:84], v[94:95]
	buffer_load_dword v94, off, s[0:3], 0 offset:180
	s_waitcnt vmcnt(18)
	v_fma_f64 v[83:84], v[101:102], v[85:86], v[83:84]
	buffer_load_dword v96, off, s[0:3], 0 offset:188
	buffer_load_dword v97, off, s[0:3], 0 offset:208
	;; [unrolled: 1-line block ×7, first 2 shown]
	s_waitcnt vmcnt(23) lgkmcnt(0)
	v_fma_f64 v[83:84], v[103:104], v[87:88], v[83:84]
	s_waitcnt vmcnt(18)
	v_fma_f64 v[103:104], v[105:106], v[89:90], v[83:84]
	ds_read_b128 v[83:86], v82 offset:448
	ds_read_b128 v[87:90], v82 offset:464
	buffer_load_dword v98, off, s[0:3], 0 offset:212
	s_waitcnt vmcnt(18) lgkmcnt(1)
	v_fma_f64 v[83:84], v[111:112], v[83:84], v[103:104]
	s_waitcnt vmcnt(17)
	v_fma_f64 v[83:84], v[109:110], v[85:86], v[83:84]
	buffer_load_dword v104, off, s[0:3], 0 offset:220
	buffer_load_dword v105, off, s[0:3], 0 offset:240
	buffer_load_dword v109, off, s[0:3], 0 offset:232
	buffer_load_dword v111, off, s[0:3], 0 offset:224
	buffer_load_dword v103, off, s[0:3], 0 offset:216
	buffer_load_dword v112, off, s[0:3], 0 offset:228
	buffer_load_dword v110, off, s[0:3], 0 offset:236
	buffer_load_dword v106, off, s[0:3], 0 offset:244
	s_waitcnt vmcnt(24) lgkmcnt(0)
	v_fma_f64 v[83:84], v[107:108], v[87:88], v[83:84]
	s_waitcnt vmcnt(19)
	v_fma_f64 v[91:92], v[91:92], v[89:90], v[83:84]
	ds_read_b128 v[83:86], v82 offset:480
	ds_read_b128 v[87:90], v82 offset:496
	s_waitcnt vmcnt(18) lgkmcnt(1)
	v_fma_f64 v[83:84], v[115:116], v[83:84], v[91:92]
	s_waitcnt vmcnt(17)
	v_fma_f64 v[83:84], v[113:114], v[85:86], v[83:84]
	buffer_load_dword v92, off, s[0:3], 0 offset:252
	buffer_load_dword v107, off, s[0:3], 0 offset:272
	buffer_load_dword v113, off, s[0:3], 0 offset:264
	buffer_load_dword v115, off, s[0:3], 0 offset:256
	buffer_load_dword v91, off, s[0:3], 0 offset:248
	buffer_load_dword v116, off, s[0:3], 0 offset:260
	buffer_load_dword v114, off, s[0:3], 0 offset:268
	buffer_load_dword v108, off, s[0:3], 0 offset:276
	s_waitcnt vmcnt(24) lgkmcnt(0)
	v_fma_f64 v[83:84], v[93:94], v[87:88], v[83:84]
	s_waitcnt vmcnt(19)
	v_fma_f64 v[93:94], v[95:96], v[89:90], v[83:84]
	ds_read_b128 v[83:86], v82 offset:512
	ds_read_b128 v[87:90], v82 offset:528
	s_waitcnt vmcnt(18) lgkmcnt(1)
	v_fma_f64 v[83:84], v[101:102], v[83:84], v[93:94]
	s_waitcnt vmcnt(17)
	v_fma_f64 v[83:84], v[99:100], v[85:86], v[83:84]
	buffer_load_dword v94, off, s[0:3], 0 offset:284
	buffer_load_dword v95, off, s[0:3], 0 offset:304
	buffer_load_dword v99, off, s[0:3], 0 offset:296
	buffer_load_dword v101, off, s[0:3], 0 offset:288
	buffer_load_dword v93, off, s[0:3], 0 offset:280
	buffer_load_dword v102, off, s[0:3], 0 offset:292
	buffer_load_dword v100, off, s[0:3], 0 offset:300
	buffer_load_dword v96, off, s[0:3], 0 offset:308
	s_waitcnt vmcnt(24) lgkmcnt(0)
	v_fma_f64 v[83:84], v[97:98], v[87:88], v[83:84]
	s_waitcnt vmcnt(19)
	v_fma_f64 v[97:98], v[103:104], v[89:90], v[83:84]
	ds_read_b128 v[83:86], v82 offset:544
	ds_read_b128 v[87:90], v82 offset:560
	s_waitcnt vmcnt(18) lgkmcnt(1)
	v_fma_f64 v[83:84], v[111:112], v[83:84], v[97:98]
	buffer_load_dword v98, off, s[0:3], 0 offset:316
	buffer_load_dword v97, off, s[0:3], 0 offset:312
	;; [unrolled: 1-line block ×4, first 2 shown]
	s_waitcnt vmcnt(21)
	v_fma_f64 v[83:84], v[109:110], v[85:86], v[83:84]
	s_waitcnt vmcnt(20) lgkmcnt(0)
	v_fma_f64 v[83:84], v[105:106], v[87:88], v[83:84]
	s_waitcnt vmcnt(15)
	v_fma_f64 v[91:92], v[91:92], v[89:90], v[83:84]
	ds_read_b128 v[83:86], v82 offset:576
	ds_read_b128 v[87:90], v82 offset:592
	s_waitcnt vmcnt(14) lgkmcnt(1)
	v_fma_f64 v[83:84], v[115:116], v[83:84], v[91:92]
	s_waitcnt vmcnt(13)
	v_fma_f64 v[83:84], v[113:114], v[85:86], v[83:84]
	s_waitcnt vmcnt(12) lgkmcnt(0)
	v_fma_f64 v[83:84], v[107:108], v[87:88], v[83:84]
	s_waitcnt vmcnt(7)
	v_fma_f64 v[91:92], v[93:94], v[89:90], v[83:84]
	ds_read_b128 v[83:86], v82 offset:608
	ds_read_b128 v[87:90], v82 offset:624
	s_waitcnt vmcnt(6) lgkmcnt(1)
	v_fma_f64 v[82:83], v[101:102], v[83:84], v[91:92]
	s_waitcnt vmcnt(5)
	v_fma_f64 v[82:83], v[99:100], v[85:86], v[82:83]
	s_waitcnt vmcnt(4) lgkmcnt(0)
	v_fma_f64 v[82:83], v[95:96], v[87:88], v[82:83]
	s_waitcnt vmcnt(2)
	v_fma_f64 v[82:83], v[97:98], v[89:90], v[82:83]
	s_waitcnt vmcnt(0)
	v_add_f64 v[82:83], v[103:104], -v[82:83]
	buffer_store_dword v83, off, s[0:3], 0 offset:60
	buffer_store_dword v82, off, s[0:3], 0 offset:56
	s_and_saveexec_b64 s[4:5], vcc
	s_cbranch_execz .LBB39_235
; %bb.234:
	buffer_load_dword v82, off, s[0:3], 0 offset:48
	buffer_load_dword v83, off, s[0:3], 0 offset:52
	v_mov_b32_e32 v84, 0
	buffer_store_dword v84, off, s[0:3], 0 offset:48
	buffer_store_dword v84, off, s[0:3], 0 offset:52
	s_waitcnt vmcnt(2)
	ds_write_b64 v81, v[82:83]
.LBB39_235:
	s_or_b64 exec, exec, s[4:5]
	s_waitcnt lgkmcnt(0)
	; wave barrier
	buffer_load_dword v91, off, s[0:3], 0 offset:56
	buffer_load_dword v92, off, s[0:3], 0 offset:60
	;; [unrolled: 1-line block ×21, first 2 shown]
	v_mov_b32_e32 v82, 0
	ds_read2_b64 v[83:86], v82 offset0:47 offset1:48
	ds_read2_b64 v[87:90], v82 offset0:49 offset1:50
	buffer_load_dword v108, off, s[0:3], 0 offset:140
	v_cmp_lt_u32_e32 vcc, 5, v0
	s_waitcnt vmcnt(20) lgkmcnt(1)
	v_fma_f64 v[83:84], v[91:92], v[83:84], 0
	s_waitcnt vmcnt(18)
	v_fma_f64 v[83:84], v[93:94], v[85:86], v[83:84]
	buffer_load_dword v92, off, s[0:3], 0 offset:148
	buffer_load_dword v93, off, s[0:3], 0 offset:168
	;; [unrolled: 1-line block ×7, first 2 shown]
	s_waitcnt vmcnt(23) lgkmcnt(0)
	v_fma_f64 v[83:84], v[95:96], v[87:88], v[83:84]
	s_waitcnt vmcnt(21)
	v_fma_f64 v[94:95], v[97:98], v[89:90], v[83:84]
	ds_read2_b64 v[83:86], v82 offset0:51 offset1:52
	ds_read2_b64 v[87:90], v82 offset0:53 offset1:54
	s_waitcnt vmcnt(19) lgkmcnt(1)
	v_fma_f64 v[83:84], v[99:100], v[83:84], v[94:95]
	buffer_load_dword v94, off, s[0:3], 0 offset:172
	s_waitcnt vmcnt(18)
	v_fma_f64 v[83:84], v[101:102], v[85:86], v[83:84]
	buffer_load_dword v96, off, s[0:3], 0 offset:180
	buffer_load_dword v97, off, s[0:3], 0 offset:200
	buffer_load_dword v99, off, s[0:3], 0 offset:192
	buffer_load_dword v101, off, s[0:3], 0 offset:184
	buffer_load_dword v95, off, s[0:3], 0 offset:176
	buffer_load_dword v102, off, s[0:3], 0 offset:188
	buffer_load_dword v100, off, s[0:3], 0 offset:196
	s_waitcnt vmcnt(23) lgkmcnt(0)
	v_fma_f64 v[83:84], v[103:104], v[87:88], v[83:84]
	s_waitcnt vmcnt(18)
	v_fma_f64 v[103:104], v[105:106], v[89:90], v[83:84]
	ds_read2_b64 v[83:86], v82 offset0:55 offset1:56
	ds_read2_b64 v[87:90], v82 offset0:57 offset1:58
	buffer_load_dword v98, off, s[0:3], 0 offset:204
	s_waitcnt vmcnt(18) lgkmcnt(1)
	v_fma_f64 v[83:84], v[111:112], v[83:84], v[103:104]
	s_waitcnt vmcnt(17)
	v_fma_f64 v[83:84], v[109:110], v[85:86], v[83:84]
	buffer_load_dword v104, off, s[0:3], 0 offset:212
	buffer_load_dword v105, off, s[0:3], 0 offset:232
	;; [unrolled: 1-line block ×7, first 2 shown]
	s_waitcnt vmcnt(23) lgkmcnt(0)
	v_fma_f64 v[83:84], v[107:108], v[87:88], v[83:84]
	s_waitcnt vmcnt(18)
	v_fma_f64 v[91:92], v[91:92], v[89:90], v[83:84]
	ds_read2_b64 v[83:86], v82 offset0:59 offset1:60
	ds_read2_b64 v[87:90], v82 offset0:61 offset1:62
	buffer_load_dword v106, off, s[0:3], 0 offset:236
	s_waitcnt vmcnt(18) lgkmcnt(1)
	v_fma_f64 v[83:84], v[115:116], v[83:84], v[91:92]
	s_waitcnt vmcnt(17)
	v_fma_f64 v[83:84], v[113:114], v[85:86], v[83:84]
	buffer_load_dword v92, off, s[0:3], 0 offset:244
	buffer_load_dword v107, off, s[0:3], 0 offset:264
	;; [unrolled: 1-line block ×8, first 2 shown]
	s_waitcnt vmcnt(24) lgkmcnt(0)
	v_fma_f64 v[83:84], v[93:94], v[87:88], v[83:84]
	s_waitcnt vmcnt(19)
	v_fma_f64 v[93:94], v[95:96], v[89:90], v[83:84]
	ds_read2_b64 v[83:86], v82 offset0:63 offset1:64
	ds_read2_b64 v[87:90], v82 offset0:65 offset1:66
	s_waitcnt vmcnt(18) lgkmcnt(1)
	v_fma_f64 v[83:84], v[101:102], v[83:84], v[93:94]
	s_waitcnt vmcnt(17)
	v_fma_f64 v[83:84], v[99:100], v[85:86], v[83:84]
	buffer_load_dword v94, off, s[0:3], 0 offset:276
	buffer_load_dword v95, off, s[0:3], 0 offset:296
	buffer_load_dword v99, off, s[0:3], 0 offset:288
	buffer_load_dword v101, off, s[0:3], 0 offset:280
	buffer_load_dword v93, off, s[0:3], 0 offset:272
	buffer_load_dword v102, off, s[0:3], 0 offset:284
	buffer_load_dword v100, off, s[0:3], 0 offset:292
	s_waitcnt vmcnt(23) lgkmcnt(0)
	v_fma_f64 v[83:84], v[97:98], v[87:88], v[83:84]
	s_waitcnt vmcnt(18)
	v_fma_f64 v[96:97], v[103:104], v[89:90], v[83:84]
	ds_read2_b64 v[83:86], v82 offset0:67 offset1:68
	ds_read2_b64 v[87:90], v82 offset0:69 offset1:70
	s_waitcnt vmcnt(17) lgkmcnt(1)
	v_fma_f64 v[83:84], v[111:112], v[83:84], v[96:97]
	buffer_load_dword v96, off, s[0:3], 0 offset:300
	buffer_load_dword v98, off, s[0:3], 0 offset:308
	;; [unrolled: 1-line block ×5, first 2 shown]
	s_waitcnt vmcnt(21)
	v_fma_f64 v[83:84], v[109:110], v[85:86], v[83:84]
	s_waitcnt vmcnt(20) lgkmcnt(0)
	v_fma_f64 v[83:84], v[105:106], v[87:88], v[83:84]
	buffer_load_dword v105, off, s[0:3], 0 offset:48
	buffer_load_dword v106, off, s[0:3], 0 offset:52
	s_waitcnt vmcnt(17)
	v_fma_f64 v[91:92], v[91:92], v[89:90], v[83:84]
	ds_read2_b64 v[83:86], v82 offset0:71 offset1:72
	ds_read2_b64 v[87:90], v82 offset0:73 offset1:74
	s_waitcnt vmcnt(16) lgkmcnt(1)
	v_fma_f64 v[83:84], v[115:116], v[83:84], v[91:92]
	s_waitcnt vmcnt(15)
	v_fma_f64 v[83:84], v[113:114], v[85:86], v[83:84]
	s_waitcnt vmcnt(14) lgkmcnt(0)
	v_fma_f64 v[83:84], v[107:108], v[87:88], v[83:84]
	s_waitcnt vmcnt(9)
	v_fma_f64 v[91:92], v[93:94], v[89:90], v[83:84]
	ds_read2_b64 v[83:86], v82 offset0:75 offset1:76
	ds_read2_b64 v[87:90], v82 offset0:77 offset1:78
	s_waitcnt vmcnt(8) lgkmcnt(1)
	v_fma_f64 v[83:84], v[101:102], v[83:84], v[91:92]
	s_waitcnt vmcnt(7)
	v_fma_f64 v[83:84], v[99:100], v[85:86], v[83:84]
	ds_read_b64 v[85:86], v82 offset:632
	s_waitcnt vmcnt(6) lgkmcnt(1)
	v_fma_f64 v[83:84], v[95:96], v[87:88], v[83:84]
	s_waitcnt vmcnt(3)
	v_fma_f64 v[83:84], v[97:98], v[89:90], v[83:84]
	s_waitcnt vmcnt(2) lgkmcnt(0)
	v_fma_f64 v[83:84], v[103:104], v[85:86], v[83:84]
	s_waitcnt vmcnt(0)
	v_add_f64 v[83:84], v[105:106], -v[83:84]
	buffer_store_dword v84, off, s[0:3], 0 offset:52
	buffer_store_dword v83, off, s[0:3], 0 offset:48
	s_and_saveexec_b64 s[4:5], vcc
	s_cbranch_execz .LBB39_237
; %bb.236:
	buffer_load_dword v83, off, s[0:3], 0 offset:40
	buffer_load_dword v84, off, s[0:3], 0 offset:44
	s_waitcnt vmcnt(0)
	ds_write_b64 v81, v[83:84]
	buffer_store_dword v82, off, s[0:3], 0 offset:40
	buffer_store_dword v82, off, s[0:3], 0 offset:44
.LBB39_237:
	s_or_b64 exec, exec, s[4:5]
	s_waitcnt lgkmcnt(0)
	; wave barrier
	buffer_load_dword v91, off, s[0:3], 0 offset:48
	buffer_load_dword v92, off, s[0:3], 0 offset:52
	;; [unrolled: 1-line block ×21, first 2 shown]
	ds_read_b128 v[83:86], v82 offset:368
	ds_read_b128 v[87:90], v82 offset:384
	buffer_load_dword v108, off, s[0:3], 0 offset:132
	v_cmp_lt_u32_e32 vcc, 4, v0
	s_waitcnt vmcnt(20) lgkmcnt(1)
	v_fma_f64 v[83:84], v[91:92], v[83:84], 0
	s_waitcnt vmcnt(18)
	v_fma_f64 v[83:84], v[93:94], v[85:86], v[83:84]
	buffer_load_dword v92, off, s[0:3], 0 offset:140
	buffer_load_dword v93, off, s[0:3], 0 offset:160
	;; [unrolled: 1-line block ×7, first 2 shown]
	s_waitcnt vmcnt(23) lgkmcnt(0)
	v_fma_f64 v[83:84], v[95:96], v[87:88], v[83:84]
	s_waitcnt vmcnt(21)
	v_fma_f64 v[94:95], v[97:98], v[89:90], v[83:84]
	ds_read_b128 v[83:86], v82 offset:400
	ds_read_b128 v[87:90], v82 offset:416
	s_waitcnt vmcnt(19) lgkmcnt(1)
	v_fma_f64 v[83:84], v[99:100], v[83:84], v[94:95]
	buffer_load_dword v94, off, s[0:3], 0 offset:164
	s_waitcnt vmcnt(18)
	v_fma_f64 v[83:84], v[101:102], v[85:86], v[83:84]
	buffer_load_dword v96, off, s[0:3], 0 offset:172
	buffer_load_dword v97, off, s[0:3], 0 offset:192
	;; [unrolled: 1-line block ×8, first 2 shown]
	s_waitcnt vmcnt(24) lgkmcnt(0)
	v_fma_f64 v[83:84], v[103:104], v[87:88], v[83:84]
	s_waitcnt vmcnt(19)
	v_fma_f64 v[103:104], v[105:106], v[89:90], v[83:84]
	ds_read_b128 v[83:86], v82 offset:432
	ds_read_b128 v[87:90], v82 offset:448
	s_waitcnt vmcnt(18) lgkmcnt(1)
	v_fma_f64 v[83:84], v[111:112], v[83:84], v[103:104]
	s_waitcnt vmcnt(17)
	v_fma_f64 v[83:84], v[109:110], v[85:86], v[83:84]
	buffer_load_dword v104, off, s[0:3], 0 offset:204
	buffer_load_dword v105, off, s[0:3], 0 offset:224
	;; [unrolled: 1-line block ×7, first 2 shown]
	s_waitcnt vmcnt(23) lgkmcnt(0)
	v_fma_f64 v[83:84], v[107:108], v[87:88], v[83:84]
	s_waitcnt vmcnt(18)
	v_fma_f64 v[91:92], v[91:92], v[89:90], v[83:84]
	ds_read_b128 v[83:86], v82 offset:464
	ds_read_b128 v[87:90], v82 offset:480
	buffer_load_dword v106, off, s[0:3], 0 offset:228
	s_waitcnt vmcnt(18) lgkmcnt(1)
	v_fma_f64 v[83:84], v[115:116], v[83:84], v[91:92]
	s_waitcnt vmcnt(17)
	v_fma_f64 v[83:84], v[113:114], v[85:86], v[83:84]
	buffer_load_dword v92, off, s[0:3], 0 offset:236
	buffer_load_dword v107, off, s[0:3], 0 offset:256
	;; [unrolled: 1-line block ×8, first 2 shown]
	s_waitcnt vmcnt(24) lgkmcnt(0)
	v_fma_f64 v[83:84], v[93:94], v[87:88], v[83:84]
	s_waitcnt vmcnt(19)
	v_fma_f64 v[93:94], v[95:96], v[89:90], v[83:84]
	ds_read_b128 v[83:86], v82 offset:496
	ds_read_b128 v[87:90], v82 offset:512
	s_waitcnt vmcnt(18) lgkmcnt(1)
	v_fma_f64 v[83:84], v[101:102], v[83:84], v[93:94]
	s_waitcnt vmcnt(17)
	v_fma_f64 v[83:84], v[99:100], v[85:86], v[83:84]
	buffer_load_dword v94, off, s[0:3], 0 offset:268
	buffer_load_dword v95, off, s[0:3], 0 offset:288
	;; [unrolled: 1-line block ×7, first 2 shown]
	s_waitcnt vmcnt(23) lgkmcnt(0)
	v_fma_f64 v[83:84], v[97:98], v[87:88], v[83:84]
	s_waitcnt vmcnt(18)
	v_fma_f64 v[96:97], v[103:104], v[89:90], v[83:84]
	ds_read_b128 v[83:86], v82 offset:528
	ds_read_b128 v[87:90], v82 offset:544
	s_waitcnt vmcnt(17) lgkmcnt(1)
	v_fma_f64 v[83:84], v[111:112], v[83:84], v[96:97]
	buffer_load_dword v96, off, s[0:3], 0 offset:292
	s_waitcnt vmcnt(17)
	v_fma_f64 v[83:84], v[109:110], v[85:86], v[83:84]
	buffer_load_dword v98, off, s[0:3], 0 offset:300
	buffer_load_dword v103, off, s[0:3], 0 offset:312
	;; [unrolled: 1-line block ×6, first 2 shown]
	s_waitcnt vmcnt(22) lgkmcnt(0)
	v_fma_f64 v[83:84], v[105:106], v[87:88], v[83:84]
	s_waitcnt vmcnt(17)
	v_fma_f64 v[91:92], v[91:92], v[89:90], v[83:84]
	ds_read_b128 v[83:86], v82 offset:560
	buffer_load_dword v105, off, s[0:3], 0 offset:40
	buffer_load_dword v106, off, s[0:3], 0 offset:44
	ds_read_b128 v[87:90], v82 offset:576
	s_waitcnt vmcnt(18) lgkmcnt(1)
	v_fma_f64 v[83:84], v[115:116], v[83:84], v[91:92]
	s_waitcnt vmcnt(17)
	v_fma_f64 v[83:84], v[113:114], v[85:86], v[83:84]
	s_waitcnt vmcnt(16) lgkmcnt(0)
	v_fma_f64 v[83:84], v[107:108], v[87:88], v[83:84]
	s_waitcnt vmcnt(11)
	v_fma_f64 v[91:92], v[93:94], v[89:90], v[83:84]
	ds_read_b128 v[83:86], v82 offset:592
	ds_read_b128 v[87:90], v82 offset:608
	s_waitcnt vmcnt(10) lgkmcnt(1)
	v_fma_f64 v[83:84], v[101:102], v[83:84], v[91:92]
	s_waitcnt vmcnt(9)
	v_fma_f64 v[83:84], v[99:100], v[85:86], v[83:84]
	s_waitcnt vmcnt(8) lgkmcnt(0)
	v_fma_f64 v[83:84], v[95:96], v[87:88], v[83:84]
	s_waitcnt vmcnt(4)
	v_fma_f64 v[86:87], v[97:98], v[89:90], v[83:84]
	ds_read_b128 v[82:85], v82 offset:624
	s_waitcnt vmcnt(3) lgkmcnt(0)
	v_fma_f64 v[82:83], v[109:110], v[82:83], v[86:87]
	s_waitcnt vmcnt(2)
	v_fma_f64 v[82:83], v[103:104], v[84:85], v[82:83]
	s_waitcnt vmcnt(0)
	v_add_f64 v[82:83], v[105:106], -v[82:83]
	buffer_store_dword v83, off, s[0:3], 0 offset:44
	buffer_store_dword v82, off, s[0:3], 0 offset:40
	s_and_saveexec_b64 s[4:5], vcc
	s_cbranch_execz .LBB39_239
; %bb.238:
	buffer_load_dword v82, off, s[0:3], 0 offset:32
	buffer_load_dword v83, off, s[0:3], 0 offset:36
	v_mov_b32_e32 v84, 0
	buffer_store_dword v84, off, s[0:3], 0 offset:32
	buffer_store_dword v84, off, s[0:3], 0 offset:36
	s_waitcnt vmcnt(2)
	ds_write_b64 v81, v[82:83]
.LBB39_239:
	s_or_b64 exec, exec, s[4:5]
	s_waitcnt lgkmcnt(0)
	; wave barrier
	buffer_load_dword v91, off, s[0:3], 0 offset:40
	buffer_load_dword v92, off, s[0:3], 0 offset:44
	;; [unrolled: 1-line block ×21, first 2 shown]
	v_mov_b32_e32 v82, 0
	ds_read2_b64 v[83:86], v82 offset0:45 offset1:46
	ds_read2_b64 v[87:90], v82 offset0:47 offset1:48
	buffer_load_dword v108, off, s[0:3], 0 offset:124
	v_cmp_lt_u32_e32 vcc, 3, v0
	s_waitcnt vmcnt(20) lgkmcnt(1)
	v_fma_f64 v[83:84], v[91:92], v[83:84], 0
	s_waitcnt vmcnt(18)
	v_fma_f64 v[83:84], v[93:94], v[85:86], v[83:84]
	buffer_load_dword v92, off, s[0:3], 0 offset:132
	buffer_load_dword v93, off, s[0:3], 0 offset:152
	;; [unrolled: 1-line block ×7, first 2 shown]
	s_waitcnt vmcnt(23) lgkmcnt(0)
	v_fma_f64 v[83:84], v[95:96], v[87:88], v[83:84]
	s_waitcnt vmcnt(21)
	v_fma_f64 v[94:95], v[97:98], v[89:90], v[83:84]
	ds_read2_b64 v[83:86], v82 offset0:49 offset1:50
	ds_read2_b64 v[87:90], v82 offset0:51 offset1:52
	s_waitcnt vmcnt(19) lgkmcnt(1)
	v_fma_f64 v[83:84], v[99:100], v[83:84], v[94:95]
	buffer_load_dword v94, off, s[0:3], 0 offset:156
	s_waitcnt vmcnt(18)
	v_fma_f64 v[83:84], v[101:102], v[85:86], v[83:84]
	buffer_load_dword v96, off, s[0:3], 0 offset:164
	buffer_load_dword v97, off, s[0:3], 0 offset:184
	;; [unrolled: 1-line block ×8, first 2 shown]
	s_waitcnt vmcnt(24) lgkmcnt(0)
	v_fma_f64 v[83:84], v[103:104], v[87:88], v[83:84]
	s_waitcnt vmcnt(19)
	v_fma_f64 v[103:104], v[105:106], v[89:90], v[83:84]
	ds_read2_b64 v[83:86], v82 offset0:53 offset1:54
	ds_read2_b64 v[87:90], v82 offset0:55 offset1:56
	s_waitcnt vmcnt(18) lgkmcnt(1)
	v_fma_f64 v[83:84], v[111:112], v[83:84], v[103:104]
	s_waitcnt vmcnt(17)
	v_fma_f64 v[83:84], v[109:110], v[85:86], v[83:84]
	buffer_load_dword v104, off, s[0:3], 0 offset:196
	buffer_load_dword v105, off, s[0:3], 0 offset:216
	;; [unrolled: 1-line block ×7, first 2 shown]
	s_waitcnt vmcnt(23) lgkmcnt(0)
	v_fma_f64 v[83:84], v[107:108], v[87:88], v[83:84]
	s_waitcnt vmcnt(18)
	v_fma_f64 v[91:92], v[91:92], v[89:90], v[83:84]
	ds_read2_b64 v[83:86], v82 offset0:57 offset1:58
	ds_read2_b64 v[87:90], v82 offset0:59 offset1:60
	buffer_load_dword v106, off, s[0:3], 0 offset:220
	s_waitcnt vmcnt(18) lgkmcnt(1)
	v_fma_f64 v[83:84], v[115:116], v[83:84], v[91:92]
	s_waitcnt vmcnt(17)
	v_fma_f64 v[83:84], v[113:114], v[85:86], v[83:84]
	buffer_load_dword v92, off, s[0:3], 0 offset:228
	buffer_load_dword v107, off, s[0:3], 0 offset:248
	;; [unrolled: 1-line block ×8, first 2 shown]
	s_waitcnt vmcnt(24) lgkmcnt(0)
	v_fma_f64 v[83:84], v[93:94], v[87:88], v[83:84]
	s_waitcnt vmcnt(19)
	v_fma_f64 v[93:94], v[95:96], v[89:90], v[83:84]
	ds_read2_b64 v[83:86], v82 offset0:61 offset1:62
	ds_read2_b64 v[87:90], v82 offset0:63 offset1:64
	s_waitcnt vmcnt(18) lgkmcnt(1)
	v_fma_f64 v[83:84], v[101:102], v[83:84], v[93:94]
	s_waitcnt vmcnt(17)
	v_fma_f64 v[83:84], v[99:100], v[85:86], v[83:84]
	buffer_load_dword v94, off, s[0:3], 0 offset:260
	buffer_load_dword v95, off, s[0:3], 0 offset:280
	;; [unrolled: 1-line block ×7, first 2 shown]
	s_waitcnt vmcnt(23) lgkmcnt(0)
	v_fma_f64 v[83:84], v[97:98], v[87:88], v[83:84]
	s_waitcnt vmcnt(18)
	v_fma_f64 v[96:97], v[103:104], v[89:90], v[83:84]
	ds_read2_b64 v[83:86], v82 offset0:65 offset1:66
	ds_read2_b64 v[87:90], v82 offset0:67 offset1:68
	s_waitcnt vmcnt(17) lgkmcnt(1)
	v_fma_f64 v[83:84], v[111:112], v[83:84], v[96:97]
	buffer_load_dword v96, off, s[0:3], 0 offset:284
	s_waitcnt vmcnt(17)
	v_fma_f64 v[83:84], v[109:110], v[85:86], v[83:84]
	buffer_load_dword v98, off, s[0:3], 0 offset:292
	buffer_load_dword v103, off, s[0:3], 0 offset:312
	;; [unrolled: 1-line block ×8, first 2 shown]
	s_waitcnt vmcnt(24) lgkmcnt(0)
	v_fma_f64 v[83:84], v[105:106], v[87:88], v[83:84]
	s_waitcnt vmcnt(19)
	v_fma_f64 v[91:92], v[91:92], v[89:90], v[83:84]
	ds_read2_b64 v[83:86], v82 offset0:69 offset1:70
	ds_read2_b64 v[87:90], v82 offset0:71 offset1:72
	s_waitcnt vmcnt(18) lgkmcnt(1)
	v_fma_f64 v[83:84], v[115:116], v[83:84], v[91:92]
	buffer_load_dword v91, off, s[0:3], 0 offset:32
	buffer_load_dword v92, off, s[0:3], 0 offset:36
	s_waitcnt vmcnt(19)
	v_fma_f64 v[83:84], v[113:114], v[85:86], v[83:84]
	s_waitcnt vmcnt(18) lgkmcnt(0)
	v_fma_f64 v[83:84], v[107:108], v[87:88], v[83:84]
	s_waitcnt vmcnt(13)
	v_fma_f64 v[93:94], v[93:94], v[89:90], v[83:84]
	ds_read2_b64 v[83:86], v82 offset0:73 offset1:74
	ds_read2_b64 v[87:90], v82 offset0:75 offset1:76
	s_waitcnt vmcnt(12) lgkmcnt(1)
	v_fma_f64 v[83:84], v[101:102], v[83:84], v[93:94]
	s_waitcnt vmcnt(11)
	v_fma_f64 v[83:84], v[99:100], v[85:86], v[83:84]
	s_waitcnt vmcnt(10) lgkmcnt(0)
	v_fma_f64 v[83:84], v[95:96], v[87:88], v[83:84]
	s_waitcnt vmcnt(5)
	v_fma_f64 v[87:88], v[97:98], v[89:90], v[83:84]
	ds_read2_b64 v[83:86], v82 offset0:77 offset1:78
	ds_read_b64 v[89:90], v82 offset:632
	s_waitcnt vmcnt(4) lgkmcnt(1)
	v_fma_f64 v[83:84], v[111:112], v[83:84], v[87:88]
	s_waitcnt vmcnt(3)
	v_fma_f64 v[83:84], v[109:110], v[85:86], v[83:84]
	s_waitcnt vmcnt(2) lgkmcnt(0)
	v_fma_f64 v[83:84], v[103:104], v[89:90], v[83:84]
	s_waitcnt vmcnt(0)
	v_add_f64 v[83:84], v[91:92], -v[83:84]
	buffer_store_dword v84, off, s[0:3], 0 offset:36
	buffer_store_dword v83, off, s[0:3], 0 offset:32
	s_and_saveexec_b64 s[4:5], vcc
	s_cbranch_execz .LBB39_241
; %bb.240:
	buffer_load_dword v83, off, s[0:3], 0 offset:24
	buffer_load_dword v84, off, s[0:3], 0 offset:28
	s_waitcnt vmcnt(0)
	ds_write_b64 v81, v[83:84]
	buffer_store_dword v82, off, s[0:3], 0 offset:24
	buffer_store_dword v82, off, s[0:3], 0 offset:28
.LBB39_241:
	s_or_b64 exec, exec, s[4:5]
	s_waitcnt lgkmcnt(0)
	; wave barrier
	buffer_load_dword v91, off, s[0:3], 0 offset:32
	buffer_load_dword v92, off, s[0:3], 0 offset:36
	buffer_load_dword v93, off, s[0:3], 0 offset:40
	buffer_load_dword v94, off, s[0:3], 0 offset:44
	buffer_load_dword v95, off, s[0:3], 0 offset:48
	buffer_load_dword v96, off, s[0:3], 0 offset:52
	buffer_load_dword v97, off, s[0:3], 0 offset:56
	buffer_load_dword v98, off, s[0:3], 0 offset:60
	buffer_load_dword v99, off, s[0:3], 0 offset:64
	buffer_load_dword v100, off, s[0:3], 0 offset:68
	buffer_load_dword v101, off, s[0:3], 0 offset:72
	buffer_load_dword v102, off, s[0:3], 0 offset:76
	buffer_load_dword v103, off, s[0:3], 0 offset:80
	buffer_load_dword v104, off, s[0:3], 0 offset:84
	buffer_load_dword v106, off, s[0:3], 0 offset:92
	buffer_load_dword v107, off, s[0:3], 0 offset:112
	buffer_load_dword v109, off, s[0:3], 0 offset:104
	buffer_load_dword v111, off, s[0:3], 0 offset:96
	buffer_load_dword v105, off, s[0:3], 0 offset:88
	buffer_load_dword v112, off, s[0:3], 0 offset:100
	buffer_load_dword v110, off, s[0:3], 0 offset:108
	ds_read_b128 v[83:86], v82 offset:352
	ds_read_b128 v[87:90], v82 offset:368
	buffer_load_dword v108, off, s[0:3], 0 offset:116
	v_cmp_lt_u32_e32 vcc, 2, v0
	s_waitcnt vmcnt(20) lgkmcnt(1)
	v_fma_f64 v[83:84], v[91:92], v[83:84], 0
	s_waitcnt vmcnt(18)
	v_fma_f64 v[83:84], v[93:94], v[85:86], v[83:84]
	buffer_load_dword v92, off, s[0:3], 0 offset:124
	buffer_load_dword v93, off, s[0:3], 0 offset:144
	;; [unrolled: 1-line block ×7, first 2 shown]
	s_waitcnt vmcnt(23) lgkmcnt(0)
	v_fma_f64 v[83:84], v[95:96], v[87:88], v[83:84]
	s_waitcnt vmcnt(21)
	v_fma_f64 v[94:95], v[97:98], v[89:90], v[83:84]
	ds_read_b128 v[83:86], v82 offset:384
	ds_read_b128 v[87:90], v82 offset:400
	s_waitcnt vmcnt(19) lgkmcnt(1)
	v_fma_f64 v[83:84], v[99:100], v[83:84], v[94:95]
	buffer_load_dword v94, off, s[0:3], 0 offset:148
	s_waitcnt vmcnt(18)
	v_fma_f64 v[83:84], v[101:102], v[85:86], v[83:84]
	buffer_load_dword v96, off, s[0:3], 0 offset:156
	buffer_load_dword v97, off, s[0:3], 0 offset:176
	;; [unrolled: 1-line block ×8, first 2 shown]
	s_waitcnt vmcnt(24) lgkmcnt(0)
	v_fma_f64 v[83:84], v[103:104], v[87:88], v[83:84]
	s_waitcnt vmcnt(19)
	v_fma_f64 v[103:104], v[105:106], v[89:90], v[83:84]
	ds_read_b128 v[83:86], v82 offset:416
	ds_read_b128 v[87:90], v82 offset:432
	s_waitcnt vmcnt(18) lgkmcnt(1)
	v_fma_f64 v[83:84], v[111:112], v[83:84], v[103:104]
	s_waitcnt vmcnt(17)
	v_fma_f64 v[83:84], v[109:110], v[85:86], v[83:84]
	buffer_load_dword v104, off, s[0:3], 0 offset:188
	buffer_load_dword v105, off, s[0:3], 0 offset:208
	;; [unrolled: 1-line block ×7, first 2 shown]
	s_waitcnt vmcnt(23) lgkmcnt(0)
	v_fma_f64 v[83:84], v[107:108], v[87:88], v[83:84]
	s_waitcnt vmcnt(18)
	v_fma_f64 v[91:92], v[91:92], v[89:90], v[83:84]
	ds_read_b128 v[83:86], v82 offset:448
	ds_read_b128 v[87:90], v82 offset:464
	buffer_load_dword v106, off, s[0:3], 0 offset:212
	s_waitcnt vmcnt(18) lgkmcnt(1)
	v_fma_f64 v[83:84], v[115:116], v[83:84], v[91:92]
	s_waitcnt vmcnt(17)
	v_fma_f64 v[83:84], v[113:114], v[85:86], v[83:84]
	buffer_load_dword v92, off, s[0:3], 0 offset:220
	buffer_load_dword v107, off, s[0:3], 0 offset:240
	;; [unrolled: 1-line block ×8, first 2 shown]
	s_waitcnt vmcnt(24) lgkmcnt(0)
	v_fma_f64 v[83:84], v[93:94], v[87:88], v[83:84]
	s_waitcnt vmcnt(19)
	v_fma_f64 v[93:94], v[95:96], v[89:90], v[83:84]
	ds_read_b128 v[83:86], v82 offset:480
	ds_read_b128 v[87:90], v82 offset:496
	s_waitcnt vmcnt(18) lgkmcnt(1)
	v_fma_f64 v[83:84], v[101:102], v[83:84], v[93:94]
	s_waitcnt vmcnt(17)
	v_fma_f64 v[83:84], v[99:100], v[85:86], v[83:84]
	buffer_load_dword v94, off, s[0:3], 0 offset:252
	buffer_load_dword v95, off, s[0:3], 0 offset:272
	;; [unrolled: 1-line block ×7, first 2 shown]
	s_waitcnt vmcnt(23) lgkmcnt(0)
	v_fma_f64 v[83:84], v[97:98], v[87:88], v[83:84]
	s_waitcnt vmcnt(18)
	v_fma_f64 v[96:97], v[103:104], v[89:90], v[83:84]
	ds_read_b128 v[83:86], v82 offset:512
	ds_read_b128 v[87:90], v82 offset:528
	s_waitcnt vmcnt(17) lgkmcnt(1)
	v_fma_f64 v[83:84], v[111:112], v[83:84], v[96:97]
	buffer_load_dword v96, off, s[0:3], 0 offset:276
	s_waitcnt vmcnt(17)
	v_fma_f64 v[83:84], v[109:110], v[85:86], v[83:84]
	buffer_load_dword v98, off, s[0:3], 0 offset:284
	buffer_load_dword v103, off, s[0:3], 0 offset:304
	;; [unrolled: 1-line block ×8, first 2 shown]
	s_waitcnt vmcnt(24) lgkmcnt(0)
	v_fma_f64 v[83:84], v[105:106], v[87:88], v[83:84]
	s_waitcnt vmcnt(19)
	v_fma_f64 v[91:92], v[91:92], v[89:90], v[83:84]
	ds_read_b128 v[83:86], v82 offset:544
	ds_read_b128 v[87:90], v82 offset:560
	s_waitcnt vmcnt(18) lgkmcnt(1)
	v_fma_f64 v[83:84], v[115:116], v[83:84], v[91:92]
	buffer_load_dword v92, off, s[0:3], 0 offset:316
	buffer_load_dword v91, off, s[0:3], 0 offset:312
	;; [unrolled: 1-line block ×4, first 2 shown]
	s_waitcnt vmcnt(21)
	v_fma_f64 v[83:84], v[113:114], v[85:86], v[83:84]
	s_waitcnt vmcnt(20) lgkmcnt(0)
	v_fma_f64 v[83:84], v[107:108], v[87:88], v[83:84]
	s_waitcnt vmcnt(15)
	v_fma_f64 v[93:94], v[93:94], v[89:90], v[83:84]
	ds_read_b128 v[83:86], v82 offset:576
	ds_read_b128 v[87:90], v82 offset:592
	s_waitcnt vmcnt(14) lgkmcnt(1)
	v_fma_f64 v[83:84], v[101:102], v[83:84], v[93:94]
	s_waitcnt vmcnt(13)
	v_fma_f64 v[83:84], v[99:100], v[85:86], v[83:84]
	s_waitcnt vmcnt(12) lgkmcnt(0)
	v_fma_f64 v[83:84], v[95:96], v[87:88], v[83:84]
	s_waitcnt vmcnt(7)
	v_fma_f64 v[93:94], v[97:98], v[89:90], v[83:84]
	ds_read_b128 v[83:86], v82 offset:608
	ds_read_b128 v[87:90], v82 offset:624
	s_waitcnt vmcnt(6) lgkmcnt(1)
	v_fma_f64 v[82:83], v[111:112], v[83:84], v[93:94]
	s_waitcnt vmcnt(5)
	v_fma_f64 v[82:83], v[109:110], v[85:86], v[82:83]
	s_waitcnt vmcnt(4) lgkmcnt(0)
	v_fma_f64 v[82:83], v[103:104], v[87:88], v[82:83]
	s_waitcnt vmcnt(2)
	v_fma_f64 v[82:83], v[91:92], v[89:90], v[82:83]
	s_waitcnt vmcnt(0)
	v_add_f64 v[82:83], v[105:106], -v[82:83]
	buffer_store_dword v83, off, s[0:3], 0 offset:28
	buffer_store_dword v82, off, s[0:3], 0 offset:24
	s_and_saveexec_b64 s[4:5], vcc
	s_cbranch_execz .LBB39_243
; %bb.242:
	buffer_load_dword v82, off, s[0:3], 0 offset:16
	buffer_load_dword v83, off, s[0:3], 0 offset:20
	v_mov_b32_e32 v84, 0
	buffer_store_dword v84, off, s[0:3], 0 offset:16
	buffer_store_dword v84, off, s[0:3], 0 offset:20
	s_waitcnt vmcnt(2)
	ds_write_b64 v81, v[82:83]
.LBB39_243:
	s_or_b64 exec, exec, s[4:5]
	s_waitcnt lgkmcnt(0)
	; wave barrier
	buffer_load_dword v91, off, s[0:3], 0 offset:24
	buffer_load_dword v92, off, s[0:3], 0 offset:28
	;; [unrolled: 1-line block ×21, first 2 shown]
	v_mov_b32_e32 v82, 0
	ds_read2_b64 v[83:86], v82 offset0:43 offset1:44
	ds_read2_b64 v[87:90], v82 offset0:45 offset1:46
	buffer_load_dword v108, off, s[0:3], 0 offset:108
	v_cmp_lt_u32_e32 vcc, 1, v0
	s_waitcnt vmcnt(20) lgkmcnt(1)
	v_fma_f64 v[83:84], v[91:92], v[83:84], 0
	s_waitcnt vmcnt(18)
	v_fma_f64 v[83:84], v[93:94], v[85:86], v[83:84]
	buffer_load_dword v92, off, s[0:3], 0 offset:116
	buffer_load_dword v93, off, s[0:3], 0 offset:136
	;; [unrolled: 1-line block ×7, first 2 shown]
	s_waitcnt vmcnt(23) lgkmcnt(0)
	v_fma_f64 v[83:84], v[95:96], v[87:88], v[83:84]
	s_waitcnt vmcnt(21)
	v_fma_f64 v[94:95], v[97:98], v[89:90], v[83:84]
	ds_read2_b64 v[83:86], v82 offset0:47 offset1:48
	ds_read2_b64 v[87:90], v82 offset0:49 offset1:50
	s_waitcnt vmcnt(19) lgkmcnt(1)
	v_fma_f64 v[83:84], v[99:100], v[83:84], v[94:95]
	buffer_load_dword v94, off, s[0:3], 0 offset:140
	s_waitcnt vmcnt(18)
	v_fma_f64 v[83:84], v[101:102], v[85:86], v[83:84]
	buffer_load_dword v96, off, s[0:3], 0 offset:148
	buffer_load_dword v97, off, s[0:3], 0 offset:168
	;; [unrolled: 1-line block ×8, first 2 shown]
	s_waitcnt vmcnt(24) lgkmcnt(0)
	v_fma_f64 v[83:84], v[103:104], v[87:88], v[83:84]
	s_waitcnt vmcnt(19)
	v_fma_f64 v[103:104], v[105:106], v[89:90], v[83:84]
	ds_read2_b64 v[83:86], v82 offset0:51 offset1:52
	ds_read2_b64 v[87:90], v82 offset0:53 offset1:54
	s_waitcnt vmcnt(18) lgkmcnt(1)
	v_fma_f64 v[83:84], v[111:112], v[83:84], v[103:104]
	s_waitcnt vmcnt(17)
	v_fma_f64 v[83:84], v[109:110], v[85:86], v[83:84]
	buffer_load_dword v104, off, s[0:3], 0 offset:180
	buffer_load_dword v105, off, s[0:3], 0 offset:200
	;; [unrolled: 1-line block ×7, first 2 shown]
	s_waitcnt vmcnt(23) lgkmcnt(0)
	v_fma_f64 v[83:84], v[107:108], v[87:88], v[83:84]
	s_waitcnt vmcnt(18)
	v_fma_f64 v[91:92], v[91:92], v[89:90], v[83:84]
	ds_read2_b64 v[83:86], v82 offset0:55 offset1:56
	ds_read2_b64 v[87:90], v82 offset0:57 offset1:58
	buffer_load_dword v106, off, s[0:3], 0 offset:204
	s_waitcnt vmcnt(18) lgkmcnt(1)
	v_fma_f64 v[83:84], v[115:116], v[83:84], v[91:92]
	s_waitcnt vmcnt(17)
	v_fma_f64 v[83:84], v[113:114], v[85:86], v[83:84]
	buffer_load_dword v92, off, s[0:3], 0 offset:212
	buffer_load_dword v107, off, s[0:3], 0 offset:232
	;; [unrolled: 1-line block ×7, first 2 shown]
	s_waitcnt vmcnt(23) lgkmcnt(0)
	v_fma_f64 v[83:84], v[93:94], v[87:88], v[83:84]
	s_waitcnt vmcnt(18)
	v_fma_f64 v[93:94], v[95:96], v[89:90], v[83:84]
	ds_read2_b64 v[83:86], v82 offset0:59 offset1:60
	ds_read2_b64 v[87:90], v82 offset0:61 offset1:62
	buffer_load_dword v108, off, s[0:3], 0 offset:236
	s_waitcnt vmcnt(18) lgkmcnt(1)
	v_fma_f64 v[83:84], v[101:102], v[83:84], v[93:94]
	s_waitcnt vmcnt(17)
	v_fma_f64 v[83:84], v[99:100], v[85:86], v[83:84]
	buffer_load_dword v94, off, s[0:3], 0 offset:244
	buffer_load_dword v95, off, s[0:3], 0 offset:264
	;; [unrolled: 1-line block ×7, first 2 shown]
	s_waitcnt vmcnt(23) lgkmcnt(0)
	v_fma_f64 v[83:84], v[97:98], v[87:88], v[83:84]
	s_waitcnt vmcnt(18)
	v_fma_f64 v[96:97], v[103:104], v[89:90], v[83:84]
	ds_read2_b64 v[83:86], v82 offset0:63 offset1:64
	ds_read2_b64 v[87:90], v82 offset0:65 offset1:66
	s_waitcnt vmcnt(17) lgkmcnt(1)
	v_fma_f64 v[83:84], v[111:112], v[83:84], v[96:97]
	buffer_load_dword v96, off, s[0:3], 0 offset:268
	s_waitcnt vmcnt(17)
	v_fma_f64 v[83:84], v[109:110], v[85:86], v[83:84]
	buffer_load_dword v98, off, s[0:3], 0 offset:276
	buffer_load_dword v103, off, s[0:3], 0 offset:296
	;; [unrolled: 1-line block ×7, first 2 shown]
	s_waitcnt vmcnt(23) lgkmcnt(0)
	v_fma_f64 v[83:84], v[105:106], v[87:88], v[83:84]
	s_waitcnt vmcnt(18)
	v_fma_f64 v[91:92], v[91:92], v[89:90], v[83:84]
	ds_read2_b64 v[83:86], v82 offset0:67 offset1:68
	ds_read2_b64 v[87:90], v82 offset0:69 offset1:70
	buffer_load_dword v104, off, s[0:3], 0 offset:300
	s_waitcnt vmcnt(18) lgkmcnt(1)
	v_fma_f64 v[83:84], v[115:116], v[83:84], v[91:92]
	buffer_load_dword v92, off, s[0:3], 0 offset:308
	buffer_load_dword v105, off, s[0:3], 0 offset:312
	;; [unrolled: 1-line block ×4, first 2 shown]
	s_waitcnt vmcnt(21)
	v_fma_f64 v[83:84], v[113:114], v[85:86], v[83:84]
	s_waitcnt vmcnt(20) lgkmcnt(0)
	v_fma_f64 v[83:84], v[107:108], v[87:88], v[83:84]
	buffer_load_dword v107, off, s[0:3], 0 offset:16
	buffer_load_dword v108, off, s[0:3], 0 offset:20
	s_waitcnt vmcnt(17)
	v_fma_f64 v[93:94], v[93:94], v[89:90], v[83:84]
	ds_read2_b64 v[83:86], v82 offset0:71 offset1:72
	ds_read2_b64 v[87:90], v82 offset0:73 offset1:74
	s_waitcnt vmcnt(16) lgkmcnt(1)
	v_fma_f64 v[83:84], v[101:102], v[83:84], v[93:94]
	s_waitcnt vmcnt(15)
	v_fma_f64 v[83:84], v[99:100], v[85:86], v[83:84]
	s_waitcnt vmcnt(14) lgkmcnt(0)
	v_fma_f64 v[83:84], v[95:96], v[87:88], v[83:84]
	s_waitcnt vmcnt(9)
	v_fma_f64 v[93:94], v[97:98], v[89:90], v[83:84]
	ds_read2_b64 v[83:86], v82 offset0:75 offset1:76
	ds_read2_b64 v[87:90], v82 offset0:77 offset1:78
	s_waitcnt vmcnt(8) lgkmcnt(1)
	v_fma_f64 v[83:84], v[111:112], v[83:84], v[93:94]
	s_waitcnt vmcnt(7)
	v_fma_f64 v[83:84], v[109:110], v[85:86], v[83:84]
	ds_read_b64 v[85:86], v82 offset:632
	s_waitcnt vmcnt(6) lgkmcnt(1)
	v_fma_f64 v[83:84], v[103:104], v[87:88], v[83:84]
	s_waitcnt vmcnt(3)
	v_fma_f64 v[83:84], v[91:92], v[89:90], v[83:84]
	s_waitcnt vmcnt(2) lgkmcnt(0)
	v_fma_f64 v[83:84], v[105:106], v[85:86], v[83:84]
	s_waitcnt vmcnt(0)
	v_add_f64 v[83:84], v[107:108], -v[83:84]
	buffer_store_dword v84, off, s[0:3], 0 offset:20
	buffer_store_dword v83, off, s[0:3], 0 offset:16
	s_and_saveexec_b64 s[4:5], vcc
	s_cbranch_execz .LBB39_245
; %bb.244:
	buffer_load_dword v83, off, s[0:3], 0 offset:8
	buffer_load_dword v84, off, s[0:3], 0 offset:12
	s_waitcnt vmcnt(0)
	ds_write_b64 v81, v[83:84]
	buffer_store_dword v82, off, s[0:3], 0 offset:8
	buffer_store_dword v82, off, s[0:3], 0 offset:12
.LBB39_245:
	s_or_b64 exec, exec, s[4:5]
	s_waitcnt lgkmcnt(0)
	; wave barrier
	buffer_load_dword v91, off, s[0:3], 0 offset:16
	buffer_load_dword v92, off, s[0:3], 0 offset:20
	;; [unrolled: 1-line block ×22, first 2 shown]
	ds_read_b128 v[83:86], v82 offset:336
	ds_read_b128 v[87:90], v82 offset:352
	v_cmp_ne_u32_e32 vcc, 0, v0
	s_waitcnt vmcnt(20) lgkmcnt(1)
	v_fma_f64 v[83:84], v[91:92], v[83:84], 0
	s_waitcnt vmcnt(18)
	v_fma_f64 v[83:84], v[93:94], v[85:86], v[83:84]
	buffer_load_dword v92, off, s[0:3], 0 offset:108
	buffer_load_dword v93, off, s[0:3], 0 offset:128
	;; [unrolled: 1-line block ×7, first 2 shown]
	s_waitcnt vmcnt(23) lgkmcnt(0)
	v_fma_f64 v[83:84], v[95:96], v[87:88], v[83:84]
	s_waitcnt vmcnt(21)
	v_fma_f64 v[94:95], v[97:98], v[89:90], v[83:84]
	ds_read_b128 v[83:86], v82 offset:368
	ds_read_b128 v[87:90], v82 offset:384
	s_waitcnt vmcnt(19) lgkmcnt(1)
	v_fma_f64 v[83:84], v[99:100], v[83:84], v[94:95]
	buffer_load_dword v94, off, s[0:3], 0 offset:132
	s_waitcnt vmcnt(18)
	v_fma_f64 v[83:84], v[101:102], v[85:86], v[83:84]
	buffer_load_dword v96, off, s[0:3], 0 offset:140
	buffer_load_dword v97, off, s[0:3], 0 offset:160
	;; [unrolled: 1-line block ×8, first 2 shown]
	s_waitcnt vmcnt(24) lgkmcnt(0)
	v_fma_f64 v[83:84], v[103:104], v[87:88], v[83:84]
	s_waitcnt vmcnt(19)
	v_fma_f64 v[103:104], v[105:106], v[89:90], v[83:84]
	ds_read_b128 v[83:86], v82 offset:400
	ds_read_b128 v[87:90], v82 offset:416
	s_waitcnt vmcnt(18) lgkmcnt(1)
	v_fma_f64 v[83:84], v[111:112], v[83:84], v[103:104]
	s_waitcnt vmcnt(17)
	v_fma_f64 v[83:84], v[109:110], v[85:86], v[83:84]
	buffer_load_dword v104, off, s[0:3], 0 offset:172
	buffer_load_dword v105, off, s[0:3], 0 offset:192
	;; [unrolled: 1-line block ×8, first 2 shown]
	s_waitcnt vmcnt(24) lgkmcnt(0)
	v_fma_f64 v[83:84], v[107:108], v[87:88], v[83:84]
	s_waitcnt vmcnt(19)
	v_fma_f64 v[91:92], v[91:92], v[89:90], v[83:84]
	ds_read_b128 v[83:86], v82 offset:432
	ds_read_b128 v[87:90], v82 offset:448
	s_waitcnt vmcnt(18) lgkmcnt(1)
	v_fma_f64 v[83:84], v[115:116], v[83:84], v[91:92]
	s_waitcnt vmcnt(17)
	v_fma_f64 v[83:84], v[113:114], v[85:86], v[83:84]
	buffer_load_dword v92, off, s[0:3], 0 offset:204
	buffer_load_dword v107, off, s[0:3], 0 offset:224
	;; [unrolled: 1-line block ×7, first 2 shown]
	s_waitcnt vmcnt(23) lgkmcnt(0)
	v_fma_f64 v[83:84], v[93:94], v[87:88], v[83:84]
	s_waitcnt vmcnt(18)
	v_fma_f64 v[93:94], v[95:96], v[89:90], v[83:84]
	ds_read_b128 v[83:86], v82 offset:464
	ds_read_b128 v[87:90], v82 offset:480
	buffer_load_dword v108, off, s[0:3], 0 offset:228
	s_waitcnt vmcnt(18) lgkmcnt(1)
	v_fma_f64 v[83:84], v[101:102], v[83:84], v[93:94]
	s_waitcnt vmcnt(17)
	v_fma_f64 v[83:84], v[99:100], v[85:86], v[83:84]
	buffer_load_dword v94, off, s[0:3], 0 offset:236
	buffer_load_dword v95, off, s[0:3], 0 offset:256
	;; [unrolled: 1-line block ×7, first 2 shown]
	s_waitcnt vmcnt(23) lgkmcnt(0)
	v_fma_f64 v[83:84], v[97:98], v[87:88], v[83:84]
	s_waitcnt vmcnt(18)
	v_fma_f64 v[96:97], v[103:104], v[89:90], v[83:84]
	ds_read_b128 v[83:86], v82 offset:496
	ds_read_b128 v[87:90], v82 offset:512
	s_waitcnt vmcnt(17) lgkmcnt(1)
	v_fma_f64 v[83:84], v[111:112], v[83:84], v[96:97]
	buffer_load_dword v96, off, s[0:3], 0 offset:260
	s_waitcnt vmcnt(17)
	v_fma_f64 v[83:84], v[109:110], v[85:86], v[83:84]
	buffer_load_dword v98, off, s[0:3], 0 offset:268
	buffer_load_dword v103, off, s[0:3], 0 offset:288
	;; [unrolled: 1-line block ×8, first 2 shown]
	s_waitcnt vmcnt(24) lgkmcnt(0)
	v_fma_f64 v[83:84], v[105:106], v[87:88], v[83:84]
	s_waitcnt vmcnt(19)
	v_fma_f64 v[91:92], v[91:92], v[89:90], v[83:84]
	ds_read_b128 v[83:86], v82 offset:528
	ds_read_b128 v[87:90], v82 offset:544
	s_waitcnt vmcnt(18) lgkmcnt(1)
	v_fma_f64 v[83:84], v[115:116], v[83:84], v[91:92]
	s_waitcnt vmcnt(17)
	v_fma_f64 v[83:84], v[113:114], v[85:86], v[83:84]
	buffer_load_dword v92, off, s[0:3], 0 offset:300
	buffer_load_dword v105, off, s[0:3], 0 offset:312
	;; [unrolled: 1-line block ×6, first 2 shown]
	s_waitcnt vmcnt(22) lgkmcnt(0)
	v_fma_f64 v[83:84], v[107:108], v[87:88], v[83:84]
	s_waitcnt vmcnt(17)
	v_fma_f64 v[93:94], v[93:94], v[89:90], v[83:84]
	ds_read_b128 v[83:86], v82 offset:560
	buffer_load_dword v107, off, s[0:3], 0 offset:8
	buffer_load_dword v108, off, s[0:3], 0 offset:12
	ds_read_b128 v[87:90], v82 offset:576
	s_waitcnt vmcnt(18) lgkmcnt(1)
	v_fma_f64 v[83:84], v[101:102], v[83:84], v[93:94]
	s_waitcnt vmcnt(17)
	v_fma_f64 v[83:84], v[99:100], v[85:86], v[83:84]
	s_waitcnt vmcnt(16) lgkmcnt(0)
	v_fma_f64 v[83:84], v[95:96], v[87:88], v[83:84]
	s_waitcnt vmcnt(11)
	v_fma_f64 v[93:94], v[97:98], v[89:90], v[83:84]
	ds_read_b128 v[83:86], v82 offset:592
	ds_read_b128 v[87:90], v82 offset:608
	s_waitcnt vmcnt(10) lgkmcnt(1)
	v_fma_f64 v[83:84], v[111:112], v[83:84], v[93:94]
	s_waitcnt vmcnt(9)
	v_fma_f64 v[83:84], v[109:110], v[85:86], v[83:84]
	s_waitcnt vmcnt(8) lgkmcnt(0)
	v_fma_f64 v[83:84], v[103:104], v[87:88], v[83:84]
	s_waitcnt vmcnt(4)
	v_fma_f64 v[86:87], v[91:92], v[89:90], v[83:84]
	ds_read_b128 v[82:85], v82 offset:624
	s_waitcnt vmcnt(3) lgkmcnt(0)
	v_fma_f64 v[82:83], v[113:114], v[82:83], v[86:87]
	s_waitcnt vmcnt(2)
	v_fma_f64 v[82:83], v[105:106], v[84:85], v[82:83]
	s_waitcnt vmcnt(0)
	v_add_f64 v[82:83], v[107:108], -v[82:83]
	buffer_store_dword v83, off, s[0:3], 0 offset:12
	buffer_store_dword v82, off, s[0:3], 0 offset:8
	s_and_saveexec_b64 s[4:5], vcc
	s_cbranch_execz .LBB39_247
; %bb.246:
	buffer_load_dword v82, off, s[0:3], 0
	buffer_load_dword v83, off, s[0:3], 0 offset:4
	v_mov_b32_e32 v0, 0
	buffer_store_dword v0, off, s[0:3], 0
	buffer_store_dword v0, off, s[0:3], 0 offset:4
	s_waitcnt vmcnt(2)
	ds_write_b64 v81, v[82:83]
.LBB39_247:
	s_or_b64 exec, exec, s[4:5]
	s_waitcnt lgkmcnt(0)
	; wave barrier
	buffer_load_dword v89, off, s[0:3], 0 offset:8
	buffer_load_dword v90, off, s[0:3], 0 offset:12
	;; [unrolled: 1-line block ×22, first 2 shown]
	v_mov_b32_e32 v0, 0
	ds_read2_b64 v[81:84], v0 offset0:41 offset1:42
	ds_read2_b64 v[85:88], v0 offset0:43 offset1:44
	s_and_b64 vcc, exec, s[22:23]
	s_waitcnt vmcnt(20) lgkmcnt(1)
	v_fma_f64 v[81:82], v[89:90], v[81:82], 0
	s_waitcnt vmcnt(18)
	v_fma_f64 v[81:82], v[91:92], v[83:84], v[81:82]
	buffer_load_dword v90, off, s[0:3], 0 offset:100
	buffer_load_dword v91, off, s[0:3], 0 offset:120
	;; [unrolled: 1-line block ×7, first 2 shown]
	s_waitcnt vmcnt(23) lgkmcnt(0)
	v_fma_f64 v[81:82], v[93:94], v[85:86], v[81:82]
	s_waitcnt vmcnt(21)
	v_fma_f64 v[92:93], v[95:96], v[87:88], v[81:82]
	ds_read2_b64 v[81:84], v0 offset0:45 offset1:46
	ds_read2_b64 v[85:88], v0 offset0:47 offset1:48
	s_waitcnt vmcnt(19) lgkmcnt(1)
	v_fma_f64 v[81:82], v[97:98], v[81:82], v[92:93]
	buffer_load_dword v92, off, s[0:3], 0 offset:124
	s_waitcnt vmcnt(18)
	v_fma_f64 v[81:82], v[99:100], v[83:84], v[81:82]
	buffer_load_dword v94, off, s[0:3], 0 offset:132
	buffer_load_dword v95, off, s[0:3], 0 offset:152
	;; [unrolled: 1-line block ×8, first 2 shown]
	s_waitcnt vmcnt(24) lgkmcnt(0)
	v_fma_f64 v[81:82], v[101:102], v[85:86], v[81:82]
	s_waitcnt vmcnt(19)
	v_fma_f64 v[101:102], v[103:104], v[87:88], v[81:82]
	ds_read2_b64 v[81:84], v0 offset0:49 offset1:50
	ds_read2_b64 v[85:88], v0 offset0:51 offset1:52
	s_waitcnt vmcnt(18) lgkmcnt(1)
	v_fma_f64 v[81:82], v[109:110], v[81:82], v[101:102]
	s_waitcnt vmcnt(17)
	v_fma_f64 v[81:82], v[107:108], v[83:84], v[81:82]
	buffer_load_dword v102, off, s[0:3], 0 offset:164
	buffer_load_dword v103, off, s[0:3], 0 offset:184
	;; [unrolled: 1-line block ×8, first 2 shown]
	s_waitcnt vmcnt(24) lgkmcnt(0)
	v_fma_f64 v[81:82], v[105:106], v[85:86], v[81:82]
	s_waitcnt vmcnt(19)
	v_fma_f64 v[89:90], v[89:90], v[87:88], v[81:82]
	ds_read2_b64 v[81:84], v0 offset0:53 offset1:54
	ds_read2_b64 v[85:88], v0 offset0:55 offset1:56
	s_waitcnt vmcnt(18) lgkmcnt(1)
	v_fma_f64 v[81:82], v[113:114], v[81:82], v[89:90]
	s_waitcnt vmcnt(17)
	v_fma_f64 v[81:82], v[111:112], v[83:84], v[81:82]
	buffer_load_dword v90, off, s[0:3], 0 offset:196
	buffer_load_dword v105, off, s[0:3], 0 offset:216
	buffer_load_dword v111, off, s[0:3], 0 offset:208
	buffer_load_dword v113, off, s[0:3], 0 offset:200
	buffer_load_dword v89, off, s[0:3], 0 offset:192
	buffer_load_dword v114, off, s[0:3], 0 offset:204
	buffer_load_dword v112, off, s[0:3], 0 offset:212
	s_waitcnt vmcnt(23) lgkmcnt(0)
	v_fma_f64 v[81:82], v[91:92], v[85:86], v[81:82]
	s_waitcnt vmcnt(18)
	v_fma_f64 v[91:92], v[93:94], v[87:88], v[81:82]
	ds_read2_b64 v[81:84], v0 offset0:57 offset1:58
	ds_read2_b64 v[85:88], v0 offset0:59 offset1:60
	buffer_load_dword v106, off, s[0:3], 0 offset:220
	s_waitcnt vmcnt(18) lgkmcnt(1)
	v_fma_f64 v[81:82], v[99:100], v[81:82], v[91:92]
	s_waitcnt vmcnt(17)
	v_fma_f64 v[81:82], v[97:98], v[83:84], v[81:82]
	buffer_load_dword v92, off, s[0:3], 0 offset:228
	buffer_load_dword v93, off, s[0:3], 0 offset:248
	;; [unrolled: 1-line block ×7, first 2 shown]
	s_waitcnt vmcnt(23) lgkmcnt(0)
	v_fma_f64 v[81:82], v[95:96], v[85:86], v[81:82]
	s_waitcnt vmcnt(18)
	v_fma_f64 v[94:95], v[101:102], v[87:88], v[81:82]
	ds_read2_b64 v[81:84], v0 offset0:61 offset1:62
	ds_read2_b64 v[85:88], v0 offset0:63 offset1:64
	s_waitcnt vmcnt(17) lgkmcnt(1)
	v_fma_f64 v[81:82], v[109:110], v[81:82], v[94:95]
	buffer_load_dword v94, off, s[0:3], 0 offset:252
	s_waitcnt vmcnt(17)
	v_fma_f64 v[81:82], v[107:108], v[83:84], v[81:82]
	buffer_load_dword v96, off, s[0:3], 0 offset:260
	buffer_load_dword v101, off, s[0:3], 0 offset:280
	buffer_load_dword v107, off, s[0:3], 0 offset:272
	buffer_load_dword v109, off, s[0:3], 0 offset:264
	buffer_load_dword v95, off, s[0:3], 0 offset:256
	buffer_load_dword v110, off, s[0:3], 0 offset:268
	buffer_load_dword v108, off, s[0:3], 0 offset:276
	buffer_load_dword v102, off, s[0:3], 0 offset:284
	s_waitcnt vmcnt(24) lgkmcnt(0)
	v_fma_f64 v[81:82], v[103:104], v[85:86], v[81:82]
	s_waitcnt vmcnt(19)
	v_fma_f64 v[89:90], v[89:90], v[87:88], v[81:82]
	ds_read2_b64 v[81:84], v0 offset0:65 offset1:66
	ds_read2_b64 v[85:88], v0 offset0:67 offset1:68
	s_waitcnt vmcnt(18) lgkmcnt(1)
	v_fma_f64 v[81:82], v[113:114], v[81:82], v[89:90]
	s_waitcnt vmcnt(17)
	v_fma_f64 v[81:82], v[111:112], v[83:84], v[81:82]
	buffer_load_dword v104, off, s[0:3], 0 offset:292
	buffer_load_dword v111, off, s[0:3], 0 offset:312
	;; [unrolled: 1-line block ×8, first 2 shown]
	s_waitcnt vmcnt(24) lgkmcnt(0)
	v_fma_f64 v[81:82], v[105:106], v[85:86], v[81:82]
	s_waitcnt vmcnt(19)
	v_fma_f64 v[81:82], v[91:92], v[87:88], v[81:82]
	ds_read2_b64 v[85:88], v0 offset0:69 offset1:70
	ds_read2_b64 v[89:92], v0 offset0:71 offset1:72
	s_waitcnt vmcnt(18) lgkmcnt(1)
	v_fma_f64 v[81:82], v[99:100], v[85:86], v[81:82]
	buffer_load_dword v99, off, s[0:3], 0
	buffer_load_dword v100, off, s[0:3], 0 offset:4
	s_waitcnt vmcnt(19)
	v_fma_f64 v[81:82], v[97:98], v[87:88], v[81:82]
	s_waitcnt vmcnt(18) lgkmcnt(0)
	v_fma_f64 v[81:82], v[93:94], v[89:90], v[81:82]
	s_waitcnt vmcnt(13)
	v_fma_f64 v[81:82], v[95:96], v[91:92], v[81:82]
	ds_read2_b64 v[85:88], v0 offset0:73 offset1:74
	ds_read2_b64 v[89:92], v0 offset0:75 offset1:76
	s_waitcnt vmcnt(12) lgkmcnt(1)
	v_fma_f64 v[81:82], v[109:110], v[85:86], v[81:82]
	s_waitcnt vmcnt(11)
	v_fma_f64 v[81:82], v[107:108], v[87:88], v[81:82]
	s_waitcnt vmcnt(10) lgkmcnt(0)
	v_fma_f64 v[81:82], v[101:102], v[89:90], v[81:82]
	ds_read2_b64 v[85:88], v0 offset0:77 offset1:78
	ds_read_b64 v[89:90], v0 offset:632
	s_waitcnt vmcnt(5)
	v_fma_f64 v[81:82], v[103:104], v[91:92], v[81:82]
	s_waitcnt vmcnt(4) lgkmcnt(1)
	v_fma_f64 v[81:82], v[113:114], v[85:86], v[81:82]
	s_waitcnt vmcnt(3)
	v_fma_f64 v[81:82], v[83:84], v[87:88], v[81:82]
	s_waitcnt vmcnt(2) lgkmcnt(0)
	v_fma_f64 v[81:82], v[111:112], v[89:90], v[81:82]
	s_waitcnt vmcnt(0)
	v_add_f64 v[81:82], v[99:100], -v[81:82]
	buffer_store_dword v82, off, s[0:3], 0 offset:4
	buffer_store_dword v81, off, s[0:3], 0
	s_cbranch_vccz .LBB39_326
; %bb.248:
	global_load_dword v0, v0, s[20:21] offset:152
	s_waitcnt vmcnt(0)
	v_add_u32_e32 v0, -1, v0
	v_cmp_ne_u32_e32 vcc, 38, v0
	s_cbranch_vccz .LBB39_250
; %bb.249:
	v_lshlrev_b32_e32 v0, 3, v0
	buffer_load_dword v81, v0, s[0:3], 0 offen offset:4
	buffer_load_dword v82, v0, s[0:3], 0 offen
	s_waitcnt vmcnt(1)
	buffer_store_dword v81, off, s[0:3], 0 offset:308
	s_waitcnt vmcnt(1)
	buffer_store_dword v82, off, s[0:3], 0 offset:304
	buffer_store_dword v84, v0, s[0:3], 0 offen offset:4
	buffer_store_dword v83, v0, s[0:3], 0 offen
.LBB39_250:
	v_mov_b32_e32 v0, 0
	global_load_dword v81, v0, s[20:21] offset:148
	s_waitcnt vmcnt(0)
	v_add_u32_e32 v81, -1, v81
	v_cmp_eq_u32_e32 vcc, 37, v81
	s_cbranch_vccnz .LBB39_252
; %bb.251:
	v_lshlrev_b32_e32 v81, 3, v81
	buffer_load_dword v82, v81, s[0:3], 0 offen
	buffer_load_dword v83, v81, s[0:3], 0 offen offset:4
	buffer_load_dword v84, off, s[0:3], 0 offset:296
	buffer_load_dword v85, off, s[0:3], 0 offset:300
	s_waitcnt vmcnt(3)
	buffer_store_dword v82, off, s[0:3], 0 offset:296
	s_waitcnt vmcnt(3)
	buffer_store_dword v83, off, s[0:3], 0 offset:300
	s_waitcnt vmcnt(3)
	buffer_store_dword v84, v81, s[0:3], 0 offen
	s_waitcnt vmcnt(3)
	buffer_store_dword v85, v81, s[0:3], 0 offen offset:4
.LBB39_252:
	global_load_dword v0, v0, s[20:21] offset:144
	s_waitcnt vmcnt(0)
	v_add_u32_e32 v0, -1, v0
	v_cmp_eq_u32_e32 vcc, 36, v0
	s_cbranch_vccnz .LBB39_254
; %bb.253:
	v_lshlrev_b32_e32 v0, 3, v0
	buffer_load_dword v81, v0, s[0:3], 0 offen
	buffer_load_dword v82, v0, s[0:3], 0 offen offset:4
	buffer_load_dword v83, off, s[0:3], 0 offset:292
	buffer_load_dword v84, off, s[0:3], 0 offset:288
	s_waitcnt vmcnt(3)
	buffer_store_dword v81, off, s[0:3], 0 offset:288
	s_waitcnt vmcnt(3)
	buffer_store_dword v82, off, s[0:3], 0 offset:292
	s_waitcnt vmcnt(3)
	buffer_store_dword v83, v0, s[0:3], 0 offen offset:4
	s_waitcnt vmcnt(3)
	buffer_store_dword v84, v0, s[0:3], 0 offen
.LBB39_254:
	v_mov_b32_e32 v0, 0
	global_load_dword v81, v0, s[20:21] offset:140
	s_waitcnt vmcnt(0)
	v_add_u32_e32 v81, -1, v81
	v_cmp_eq_u32_e32 vcc, 35, v81
	s_cbranch_vccnz .LBB39_256
; %bb.255:
	v_lshlrev_b32_e32 v81, 3, v81
	buffer_load_dword v82, v81, s[0:3], 0 offen
	buffer_load_dword v83, v81, s[0:3], 0 offen offset:4
	buffer_load_dword v84, off, s[0:3], 0 offset:280
	buffer_load_dword v85, off, s[0:3], 0 offset:284
	s_waitcnt vmcnt(3)
	buffer_store_dword v82, off, s[0:3], 0 offset:280
	s_waitcnt vmcnt(3)
	buffer_store_dword v83, off, s[0:3], 0 offset:284
	s_waitcnt vmcnt(3)
	buffer_store_dword v84, v81, s[0:3], 0 offen
	s_waitcnt vmcnt(3)
	buffer_store_dword v85, v81, s[0:3], 0 offen offset:4
.LBB39_256:
	global_load_dword v0, v0, s[20:21] offset:136
	s_waitcnt vmcnt(0)
	v_add_u32_e32 v0, -1, v0
	v_cmp_eq_u32_e32 vcc, 34, v0
	s_cbranch_vccnz .LBB39_258
; %bb.257:
	v_lshlrev_b32_e32 v0, 3, v0
	buffer_load_dword v81, v0, s[0:3], 0 offen
	buffer_load_dword v82, v0, s[0:3], 0 offen offset:4
	buffer_load_dword v83, off, s[0:3], 0 offset:276
	buffer_load_dword v84, off, s[0:3], 0 offset:272
	s_waitcnt vmcnt(3)
	buffer_store_dword v81, off, s[0:3], 0 offset:272
	s_waitcnt vmcnt(3)
	buffer_store_dword v82, off, s[0:3], 0 offset:276
	s_waitcnt vmcnt(3)
	buffer_store_dword v83, v0, s[0:3], 0 offen offset:4
	s_waitcnt vmcnt(3)
	buffer_store_dword v84, v0, s[0:3], 0 offen
.LBB39_258:
	;; [unrolled: 41-line block ×18, first 2 shown]
	v_mov_b32_e32 v0, 0
	global_load_dword v81, v0, s[20:21] offset:4
	s_waitcnt vmcnt(0)
	v_add_u32_e32 v81, -1, v81
	v_cmp_eq_u32_e32 vcc, 1, v81
	s_cbranch_vccnz .LBB39_324
; %bb.323:
	v_lshlrev_b32_e32 v81, 3, v81
	buffer_load_dword v82, v81, s[0:3], 0 offen
	buffer_load_dword v83, v81, s[0:3], 0 offen offset:4
	buffer_load_dword v84, off, s[0:3], 0 offset:8
	buffer_load_dword v85, off, s[0:3], 0 offset:12
	s_waitcnt vmcnt(3)
	buffer_store_dword v82, off, s[0:3], 0 offset:8
	s_waitcnt vmcnt(3)
	buffer_store_dword v83, off, s[0:3], 0 offset:12
	s_waitcnt vmcnt(3)
	buffer_store_dword v84, v81, s[0:3], 0 offen
	s_waitcnt vmcnt(3)
	buffer_store_dword v85, v81, s[0:3], 0 offen offset:4
.LBB39_324:
	global_load_dword v0, v0, s[20:21]
	s_nop 0
	buffer_load_dword v81, off, s[0:3], 0
	buffer_load_dword v82, off, s[0:3], 0 offset:4
	s_waitcnt vmcnt(2)
	v_add_u32_e32 v0, -1, v0
	v_cmp_eq_u32_e32 vcc, 0, v0
	s_cbranch_vccnz .LBB39_326
; %bb.325:
	v_lshlrev_b32_e32 v0, 3, v0
	buffer_load_dword v83, v0, s[0:3], 0 offen offset:4
	buffer_load_dword v84, v0, s[0:3], 0 offen
	s_waitcnt vmcnt(1)
	buffer_store_dword v83, off, s[0:3], 0 offset:4
	s_waitcnt vmcnt(1)
	buffer_store_dword v84, off, s[0:3], 0
	buffer_store_dword v82, v0, s[0:3], 0 offen offset:4
	buffer_store_dword v81, v0, s[0:3], 0 offen
	buffer_load_dword v81, off, s[0:3], 0
	s_nop 0
	buffer_load_dword v82, off, s[0:3], 0 offset:4
.LBB39_326:
	buffer_load_dword v83, off, s[0:3], 0 offset:8
	buffer_load_dword v84, off, s[0:3], 0 offset:12
	;; [unrolled: 1-line block ×16, first 2 shown]
	s_waitcnt vmcnt(16)
	global_store_dwordx2 v[17:18], v[81:82], off
	buffer_load_dword v17, off, s[0:3], 0 offset:72
	s_nop 0
	buffer_load_dword v18, off, s[0:3], 0 offset:76
	buffer_load_dword v81, off, s[0:3], 0 offset:80
	;; [unrolled: 1-line block ×23, first 2 shown]
	s_waitcnt vmcnt(39)
	global_store_dwordx2 v[1:2], v[83:84], off
	buffer_load_dword v0, off, s[0:3], 0 offset:168
	s_nop 0
	buffer_load_dword v1, off, s[0:3], 0 offset:172
	buffer_load_dword v83, off, s[0:3], 0 offset:176
	;; [unrolled: 1-line block ×7, first 2 shown]
	s_waitcnt vmcnt(46)
	global_store_dwordx2 v[3:4], v[85:86], off
	s_waitcnt vmcnt(45)
	global_store_dwordx2 v[7:8], v[87:88], off
	buffer_load_dword v2, off, s[0:3], 0 offset:200
	buffer_load_dword v3, off, s[0:3], 0 offset:204
	s_nop 0
	buffer_load_dword v7, off, s[0:3], 0 offset:208
	buffer_load_dword v8, off, s[0:3], 0 offset:212
	buffer_load_dword v85, off, s[0:3], 0 offset:216
	buffer_load_dword v86, off, s[0:3], 0 offset:220
	buffer_load_dword v87, off, s[0:3], 0 offset:224
	buffer_load_dword v88, off, s[0:3], 0 offset:228
	s_waitcnt vmcnt(52)
	global_store_dwordx2 v[5:6], v[89:90], off
	s_waitcnt vmcnt(51)
	global_store_dwordx2 v[11:12], v[91:92], off
	buffer_load_dword v4, off, s[0:3], 0 offset:232
	buffer_load_dword v5, off, s[0:3], 0 offset:236
	s_nop 0
	buffer_load_dword v11, off, s[0:3], 0 offset:240
	buffer_load_dword v12, off, s[0:3], 0 offset:244
	buffer_load_dword v89, off, s[0:3], 0 offset:248
	buffer_load_dword v90, off, s[0:3], 0 offset:252
	buffer_load_dword v91, off, s[0:3], 0 offset:256
	buffer_load_dword v92, off, s[0:3], 0 offset:260
	;; [unrolled: 13-line block ×3, first 2 shown]
	s_waitcnt vmcnt(62)
	global_store_dwordx2 v[13:14], v[97:98], off
	buffer_load_dword v13, off, s[0:3], 0 offset:296
	s_nop 0
	buffer_load_dword v14, off, s[0:3], 0 offset:300
	buffer_load_dword v97, off, s[0:3], 0 offset:304
	;; [unrolled: 1-line block ×5, first 2 shown]
	s_waitcnt vmcnt(62)
	global_store_dwordx2 v[19:20], v[17:18], off
	global_store_dwordx2 v[21:22], v[81:82], off
	;; [unrolled: 1-line block ×4, first 2 shown]
	s_waitcnt vmcnt(62)
	global_store_dwordx2 v[27:28], v[103:104], off
	global_store_dwordx2 v[29:30], v[105:106], off
	s_waitcnt vmcnt(62)
	global_store_dwordx2 v[31:32], v[107:108], off
	s_waitcnt vmcnt(61)
	;; [unrolled: 2-line block ×25, first 2 shown]
	global_store_dwordx2 v[79:80], v[123:124], off
	s_endpgm
	.section	.rodata,"a",@progbits
	.p2align	6, 0x0
	.amdhsa_kernel _ZN9rocsolver6v33100L18getri_kernel_smallILi40EdPdEEvT1_iilPiilS4_bb
		.amdhsa_group_segment_fixed_size 648
		.amdhsa_private_segment_fixed_size 336
		.amdhsa_kernarg_size 60
		.amdhsa_user_sgpr_count 6
		.amdhsa_user_sgpr_private_segment_buffer 1
		.amdhsa_user_sgpr_dispatch_ptr 0
		.amdhsa_user_sgpr_queue_ptr 0
		.amdhsa_user_sgpr_kernarg_segment_ptr 1
		.amdhsa_user_sgpr_dispatch_id 0
		.amdhsa_user_sgpr_flat_scratch_init 0
		.amdhsa_user_sgpr_private_segment_size 0
		.amdhsa_uses_dynamic_stack 0
		.amdhsa_system_sgpr_private_segment_wavefront_offset 1
		.amdhsa_system_sgpr_workgroup_id_x 1
		.amdhsa_system_sgpr_workgroup_id_y 0
		.amdhsa_system_sgpr_workgroup_id_z 0
		.amdhsa_system_sgpr_workgroup_info 0
		.amdhsa_system_vgpr_workitem_id 0
		.amdhsa_next_free_vgpr 125
		.amdhsa_next_free_sgpr 24
		.amdhsa_reserve_vcc 1
		.amdhsa_reserve_flat_scratch 0
		.amdhsa_float_round_mode_32 0
		.amdhsa_float_round_mode_16_64 0
		.amdhsa_float_denorm_mode_32 3
		.amdhsa_float_denorm_mode_16_64 3
		.amdhsa_dx10_clamp 1
		.amdhsa_ieee_mode 1
		.amdhsa_fp16_overflow 0
		.amdhsa_exception_fp_ieee_invalid_op 0
		.amdhsa_exception_fp_denorm_src 0
		.amdhsa_exception_fp_ieee_div_zero 0
		.amdhsa_exception_fp_ieee_overflow 0
		.amdhsa_exception_fp_ieee_underflow 0
		.amdhsa_exception_fp_ieee_inexact 0
		.amdhsa_exception_int_div_zero 0
	.end_amdhsa_kernel
	.section	.text._ZN9rocsolver6v33100L18getri_kernel_smallILi40EdPdEEvT1_iilPiilS4_bb,"axG",@progbits,_ZN9rocsolver6v33100L18getri_kernel_smallILi40EdPdEEvT1_iilPiilS4_bb,comdat
.Lfunc_end39:
	.size	_ZN9rocsolver6v33100L18getri_kernel_smallILi40EdPdEEvT1_iilPiilS4_bb, .Lfunc_end39-_ZN9rocsolver6v33100L18getri_kernel_smallILi40EdPdEEvT1_iilPiilS4_bb
                                        ; -- End function
	.set _ZN9rocsolver6v33100L18getri_kernel_smallILi40EdPdEEvT1_iilPiilS4_bb.num_vgpr, 125
	.set _ZN9rocsolver6v33100L18getri_kernel_smallILi40EdPdEEvT1_iilPiilS4_bb.num_agpr, 0
	.set _ZN9rocsolver6v33100L18getri_kernel_smallILi40EdPdEEvT1_iilPiilS4_bb.numbered_sgpr, 24
	.set _ZN9rocsolver6v33100L18getri_kernel_smallILi40EdPdEEvT1_iilPiilS4_bb.num_named_barrier, 0
	.set _ZN9rocsolver6v33100L18getri_kernel_smallILi40EdPdEEvT1_iilPiilS4_bb.private_seg_size, 336
	.set _ZN9rocsolver6v33100L18getri_kernel_smallILi40EdPdEEvT1_iilPiilS4_bb.uses_vcc, 1
	.set _ZN9rocsolver6v33100L18getri_kernel_smallILi40EdPdEEvT1_iilPiilS4_bb.uses_flat_scratch, 0
	.set _ZN9rocsolver6v33100L18getri_kernel_smallILi40EdPdEEvT1_iilPiilS4_bb.has_dyn_sized_stack, 0
	.set _ZN9rocsolver6v33100L18getri_kernel_smallILi40EdPdEEvT1_iilPiilS4_bb.has_recursion, 0
	.set _ZN9rocsolver6v33100L18getri_kernel_smallILi40EdPdEEvT1_iilPiilS4_bb.has_indirect_call, 0
	.section	.AMDGPU.csdata,"",@progbits
; Kernel info:
; codeLenInByte = 44812
; TotalNumSgprs: 28
; NumVgprs: 125
; ScratchSize: 336
; MemoryBound: 1
; FloatMode: 240
; IeeeMode: 1
; LDSByteSize: 648 bytes/workgroup (compile time only)
; SGPRBlocks: 3
; VGPRBlocks: 31
; NumSGPRsForWavesPerEU: 28
; NumVGPRsForWavesPerEU: 125
; Occupancy: 2
; WaveLimiterHint : 1
; COMPUTE_PGM_RSRC2:SCRATCH_EN: 1
; COMPUTE_PGM_RSRC2:USER_SGPR: 6
; COMPUTE_PGM_RSRC2:TRAP_HANDLER: 0
; COMPUTE_PGM_RSRC2:TGID_X_EN: 1
; COMPUTE_PGM_RSRC2:TGID_Y_EN: 0
; COMPUTE_PGM_RSRC2:TGID_Z_EN: 0
; COMPUTE_PGM_RSRC2:TIDIG_COMP_CNT: 0
	.section	.text._ZN9rocsolver6v33100L18getri_kernel_smallILi41EdPdEEvT1_iilPiilS4_bb,"axG",@progbits,_ZN9rocsolver6v33100L18getri_kernel_smallILi41EdPdEEvT1_iilPiilS4_bb,comdat
	.globl	_ZN9rocsolver6v33100L18getri_kernel_smallILi41EdPdEEvT1_iilPiilS4_bb ; -- Begin function _ZN9rocsolver6v33100L18getri_kernel_smallILi41EdPdEEvT1_iilPiilS4_bb
	.p2align	8
	.type	_ZN9rocsolver6v33100L18getri_kernel_smallILi41EdPdEEvT1_iilPiilS4_bb,@function
_ZN9rocsolver6v33100L18getri_kernel_smallILi41EdPdEEvT1_iilPiilS4_bb: ; @_ZN9rocsolver6v33100L18getri_kernel_smallILi41EdPdEEvT1_iilPiilS4_bb
; %bb.0:
	s_add_u32 s0, s0, s7
	s_addc_u32 s1, s1, 0
	v_cmp_gt_u32_e32 vcc, 41, v0
	s_and_saveexec_b64 s[8:9], vcc
	s_cbranch_execz .LBB40_172
; %bb.1:
	s_load_dword s12, s[4:5], 0x38
	s_load_dwordx4 s[16:19], s[4:5], 0x10
	s_load_dwordx4 s[8:11], s[4:5], 0x28
                                        ; implicit-def: $sgpr20_sgpr21
	s_waitcnt lgkmcnt(0)
	s_bitcmp1_b32 s12, 8
	s_cselect_b64 s[22:23], -1, 0
	s_ashr_i32 s7, s6, 31
	s_bfe_u32 s12, s12, 0x10008
	s_cmp_eq_u32 s12, 0
	s_cbranch_scc1 .LBB40_3
; %bb.2:
	s_load_dword s12, s[4:5], 0x20
	s_mul_i32 s13, s8, s7
	s_mul_hi_u32 s14, s8, s6
	s_mul_i32 s9, s9, s6
	s_add_i32 s14, s14, s13
	s_add_i32 s9, s14, s9
	s_mul_i32 s8, s8, s6
	s_waitcnt lgkmcnt(0)
	s_ashr_i32 s13, s12, 31
	s_lshl_b64 s[8:9], s[8:9], 2
	s_add_u32 s14, s18, s8
	s_addc_u32 s15, s19, s9
	s_lshl_b64 s[8:9], s[12:13], 2
	s_add_u32 s20, s14, s8
	s_addc_u32 s21, s15, s9
.LBB40_3:
	s_load_dwordx4 s[12:15], s[4:5], 0x0
	s_load_dword s8, s[4:5], 0x38
	s_mul_i32 s9, s16, s7
	s_mul_hi_u32 s18, s16, s6
	s_add_i32 s9, s18, s9
	s_waitcnt lgkmcnt(0)
	s_ashr_i32 s5, s14, 31
	s_mov_b32 s4, s14
	s_mul_i32 s14, s17, s6
	s_add_i32 s17, s9, s14
	s_mul_i32 s16, s16, s6
	s_lshl_b64 s[16:17], s[16:17], 3
	s_add_u32 s9, s12, s16
	s_addc_u32 s12, s13, s17
	s_lshl_b64 s[4:5], s[4:5], 3
	s_add_u32 s4, s9, s4
	s_addc_u32 s5, s12, s5
	s_add_i32 s9, s15, s15
	v_add_u32_e32 v3, s9, v0
	v_ashrrev_i32_e32 v4, 31, v3
	v_lshlrev_b64 v[1:2], 3, v[3:4]
	v_mov_b32_e32 v4, s5
	v_add_co_u32_e32 v1, vcc, s4, v1
	v_add_u32_e32 v3, s15, v3
	v_addc_co_u32_e32 v2, vcc, v4, v2, vcc
	v_ashrrev_i32_e32 v4, 31, v3
	v_lshlrev_b64 v[4:5], 3, v[3:4]
	v_mov_b32_e32 v6, s5
	v_add_co_u32_e32 v7, vcc, s4, v4
	v_addc_co_u32_e32 v8, vcc, v6, v5, vcc
	v_add_u32_e32 v5, s15, v3
	v_ashrrev_i32_e32 v6, 31, v5
	v_lshlrev_b64 v[3:4], 3, v[5:6]
	v_mov_b32_e32 v6, s5
	v_add_co_u32_e32 v3, vcc, s4, v3
	v_add_u32_e32 v5, s15, v5
	v_addc_co_u32_e32 v4, vcc, v6, v4, vcc
	v_ashrrev_i32_e32 v6, 31, v5
	v_lshlrev_b64 v[9:10], 3, v[5:6]
	v_add_u32_e32 v11, s15, v5
	v_mov_b32_e32 v6, s5
	v_add_co_u32_e32 v9, vcc, s4, v9
	v_ashrrev_i32_e32 v12, 31, v11
	v_addc_co_u32_e32 v10, vcc, v6, v10, vcc
	v_lshlrev_b64 v[5:6], 3, v[11:12]
	v_add_u32_e32 v13, s15, v11
	v_mov_b32_e32 v12, s5
	v_add_co_u32_e32 v5, vcc, s4, v5
	v_ashrrev_i32_e32 v14, 31, v13
	v_addc_co_u32_e32 v6, vcc, v12, v6, vcc
	v_lshlrev_b64 v[11:12], 3, v[13:14]
	v_mov_b32_e32 v14, s5
	v_add_co_u32_e32 v11, vcc, s4, v11
	v_add_u32_e32 v13, s15, v13
	v_addc_co_u32_e32 v12, vcc, v14, v12, vcc
	v_ashrrev_i32_e32 v14, 31, v13
	v_lshlrev_b64 v[15:16], 3, v[13:14]
	v_mov_b32_e32 v14, s5
	v_add_co_u32_e32 v15, vcc, s4, v15
	v_add_u32_e32 v13, s15, v13
	v_addc_co_u32_e32 v16, vcc, v14, v16, vcc
	v_ashrrev_i32_e32 v14, 31, v13
	;; [unrolled: 6-line block ×3, first 2 shown]
	v_lshlrev_b64 v[13:14], 3, v[17:18]
	v_mov_b32_e32 v21, s5
	v_add_co_u32_e32 v13, vcc, s4, v13
	v_addc_co_u32_e32 v14, vcc, v21, v14, vcc
	v_add_u32_e32 v21, s15, v17
	v_ashrrev_i32_e32 v22, 31, v21
	v_lshlrev_b64 v[17:18], 3, v[21:22]
	v_mov_b32_e32 v23, s5
	v_add_co_u32_e32 v17, vcc, s4, v17
	v_addc_co_u32_e32 v18, vcc, v23, v18, vcc
	v_add_u32_e32 v23, s15, v21
	v_ashrrev_i32_e32 v24, 31, v23
	;; [unrolled: 6-line block ×19, first 2 shown]
	v_lshlrev_b64 v[55:56], 3, v[57:58]
	v_lshlrev_b32_e32 v85, 3, v0
	global_load_dwordx2 v[83:84], v85, s[4:5]
	global_load_dwordx2 v[88:89], v[1:2], off
	global_load_dwordx2 v[90:91], v[7:8], off
	v_mov_b32_e32 v59, s5
	v_add_co_u32_e32 v55, vcc, s4, v55
	v_addc_co_u32_e32 v56, vcc, v59, v56, vcc
	v_add_u32_e32 v59, s15, v57
	v_ashrrev_i32_e32 v60, 31, v59
	v_lshlrev_b64 v[57:58], 3, v[59:60]
	v_mov_b32_e32 v61, s5
	v_add_co_u32_e32 v57, vcc, s4, v57
	v_addc_co_u32_e32 v58, vcc, v61, v58, vcc
	v_add_u32_e32 v61, s15, v59
	v_ashrrev_i32_e32 v62, 31, v61
	v_lshlrev_b64 v[59:60], 3, v[61:62]
	;; [unrolled: 6-line block ×7, first 2 shown]
	v_mov_b32_e32 v73, s5
	v_add_co_u32_e32 v69, vcc, s4, v69
	v_addc_co_u32_e32 v70, vcc, v73, v70, vcc
	v_add_u32_e32 v73, s15, v71
	v_mov_b32_e32 v71, s5
	v_add_co_u32_e32 v81, vcc, s4, v85
	s_ashr_i32 s13, s15, 31
	s_mov_b32 s12, s15
	v_addc_co_u32_e32 v82, vcc, 0, v71, vcc
	s_lshl_b64 s[12:13], s[12:13], 3
	v_mov_b32_e32 v71, s13
	v_add_co_u32_e32 v79, vcc, s12, v81
	v_addc_co_u32_e32 v80, vcc, v82, v71, vcc
	global_load_dwordx2 v[86:87], v[79:80], off
	global_load_dwordx2 v[92:93], v[3:4], off
	;; [unrolled: 1-line block ×9, first 2 shown]
	v_ashrrev_i32_e32 v74, 31, v73
	v_lshlrev_b64 v[71:72], 3, v[73:74]
	v_mov_b32_e32 v75, s5
	v_add_co_u32_e32 v71, vcc, s4, v71
	v_addc_co_u32_e32 v72, vcc, v75, v72, vcc
	v_add_u32_e32 v75, s15, v73
	v_ashrrev_i32_e32 v76, 31, v75
	v_lshlrev_b64 v[73:74], 3, v[75:76]
	global_load_dwordx2 v[108:109], v[21:22], off
	global_load_dwordx2 v[110:111], v[23:24], off
	v_mov_b32_e32 v77, s5
	v_add_co_u32_e32 v73, vcc, s4, v73
	v_addc_co_u32_e32 v74, vcc, v77, v74, vcc
	v_add_u32_e32 v77, s15, v75
	v_ashrrev_i32_e32 v78, 31, v77
	v_lshlrev_b64 v[75:76], 3, v[77:78]
	global_load_dwordx2 v[112:113], v[25:26], off
	global_load_dwordx2 v[114:115], v[27:28], off
	v_mov_b32_e32 v116, s5
	v_add_co_u32_e32 v75, vcc, s4, v75
	v_addc_co_u32_e32 v76, vcc, v116, v76, vcc
	v_add_u32_e32 v77, s15, v77
	global_load_dwordx2 v[116:117], v[29:30], off
	global_load_dwordx2 v[118:119], v[31:32], off
	v_ashrrev_i32_e32 v78, 31, v77
	v_lshlrev_b64 v[77:78], 3, v[77:78]
	v_mov_b32_e32 v120, s5
	v_add_co_u32_e32 v77, vcc, s4, v77
	v_addc_co_u32_e32 v78, vcc, v120, v78, vcc
	global_load_dwordx2 v[120:121], v[33:34], off
	global_load_dwordx2 v[122:123], v[35:36], off
	s_waitcnt vmcnt(19)
	buffer_store_dword v84, off, s[0:3], 0 offset:4
	buffer_store_dword v83, off, s[0:3], 0
	global_load_dwordx2 v[83:84], v[37:38], off
	s_waitcnt vmcnt(19)
	buffer_store_dword v87, off, s[0:3], 0 offset:12
	buffer_store_dword v86, off, s[0:3], 0 offset:8
	;; [unrolled: 1-line block ×6, first 2 shown]
	s_waitcnt vmcnt(24)
	buffer_store_dword v93, off, s[0:3], 0 offset:36
	buffer_store_dword v92, off, s[0:3], 0 offset:32
	s_waitcnt vmcnt(25)
	buffer_store_dword v95, off, s[0:3], 0 offset:44
	buffer_store_dword v94, off, s[0:3], 0 offset:40
	;; [unrolled: 3-line block ×7, first 2 shown]
	buffer_store_dword v106, off, s[0:3], 0 offset:88
	global_load_dwordx2 v[86:87], v[39:40], off
	global_load_dwordx2 v[88:89], v[41:42], off
	;; [unrolled: 1-line block ×10, first 2 shown]
	s_bitcmp0_b32 s8, 0
	buffer_store_dword v107, off, s[0:3], 0 offset:92
	global_load_dwordx2 v[106:107], v[59:60], off
	s_mov_b64 s[8:9], -1
	s_waitcnt vmcnt(43)
	buffer_store_dword v108, off, s[0:3], 0 offset:96
	buffer_store_dword v109, off, s[0:3], 0 offset:100
	global_load_dwordx2 v[108:109], v[61:62], off
	s_waitcnt vmcnt(45)
	buffer_store_dword v110, off, s[0:3], 0 offset:104
	buffer_store_dword v111, off, s[0:3], 0 offset:108
	global_load_dwordx2 v[110:111], v[63:64], off
	;; [unrolled: 4-line block ×9, first 2 shown]
	s_waitcnt vmcnt(38)
	buffer_store_dword v86, off, s[0:3], 0 offset:168
	buffer_store_dword v87, off, s[0:3], 0 offset:172
	s_waitcnt vmcnt(39)
	buffer_store_dword v88, off, s[0:3], 0 offset:176
	buffer_store_dword v89, off, s[0:3], 0 offset:180
	;; [unrolled: 3-line block ×20, first 2 shown]
	s_cbranch_scc1 .LBB40_170
; %bb.4:
	v_cmp_eq_u32_e64 s[4:5], 0, v0
	s_and_saveexec_b64 s[8:9], s[4:5]
; %bb.5:
	v_mov_b32_e32 v83, 0
	ds_write_b32 v83, v83 offset:328
; %bb.6:
	s_or_b64 exec, exec, s[8:9]
	v_mov_b32_e32 v83, 0
	v_lshl_add_u32 v83, v0, 3, v83
	s_waitcnt lgkmcnt(0)
	; wave barrier
	buffer_load_dword v86, v83, s[0:3], 0 offen
	buffer_load_dword v87, v83, s[0:3], 0 offen offset:4
	s_waitcnt vmcnt(0)
	v_cmp_eq_f64_e32 vcc, 0, v[86:87]
	s_and_saveexec_b64 s[12:13], vcc
	s_cbranch_execz .LBB40_10
; %bb.7:
	v_mov_b32_e32 v84, 0
	ds_read_b32 v87, v84 offset:328
	v_add_u32_e32 v86, 1, v0
	s_waitcnt lgkmcnt(0)
	v_readfirstlane_b32 s8, v87
	s_cmp_eq_u32 s8, 0
	s_cselect_b64 s[14:15], -1, 0
	v_cmp_gt_i32_e32 vcc, s8, v86
	s_or_b64 s[14:15], s[14:15], vcc
	s_and_b64 exec, exec, s[14:15]
	s_cbranch_execz .LBB40_10
; %bb.8:
	s_mov_b64 s[14:15], 0
	v_mov_b32_e32 v87, s8
.LBB40_9:                               ; =>This Inner Loop Header: Depth=1
	ds_cmpst_rtn_b32 v87, v84, v87, v86 offset:328
	s_waitcnt lgkmcnt(0)
	v_cmp_ne_u32_e32 vcc, 0, v87
	v_cmp_le_i32_e64 s[8:9], v87, v86
	s_and_b64 s[8:9], vcc, s[8:9]
	s_and_b64 s[8:9], exec, s[8:9]
	s_or_b64 s[14:15], s[8:9], s[14:15]
	s_andn2_b64 exec, exec, s[14:15]
	s_cbranch_execnz .LBB40_9
.LBB40_10:
	s_or_b64 exec, exec, s[12:13]
	v_mov_b32_e32 v86, 0
	; wave barrier
	ds_read_b32 v84, v86 offset:328
	s_and_saveexec_b64 s[8:9], s[4:5]
	s_cbranch_execz .LBB40_12
; %bb.11:
	s_lshl_b64 s[12:13], s[6:7], 2
	s_add_u32 s12, s10, s12
	s_addc_u32 s13, s11, s13
	s_waitcnt lgkmcnt(0)
	global_store_dword v86, v84, s[12:13]
.LBB40_12:
	s_or_b64 exec, exec, s[8:9]
	s_waitcnt lgkmcnt(0)
	v_cmp_ne_u32_e32 vcc, 0, v84
	s_mov_b64 s[8:9], 0
	s_cbranch_vccnz .LBB40_170
; %bb.13:
	buffer_load_dword v86, v83, s[0:3], 0 offen
	buffer_load_dword v87, v83, s[0:3], 0 offen offset:4
	s_waitcnt vmcnt(0)
	v_div_scale_f64 v[88:89], s[8:9], v[86:87], v[86:87], 1.0
	v_rcp_f64_e32 v[90:91], v[88:89]
	v_fma_f64 v[92:93], -v[88:89], v[90:91], 1.0
	v_fma_f64 v[90:91], v[90:91], v[92:93], v[90:91]
	v_div_scale_f64 v[92:93], vcc, 1.0, v[86:87], 1.0
	v_fma_f64 v[94:95], -v[88:89], v[90:91], 1.0
	v_fma_f64 v[90:91], v[90:91], v[94:95], v[90:91]
	v_mul_f64 v[94:95], v[92:93], v[90:91]
	v_fma_f64 v[88:89], -v[88:89], v[94:95], v[92:93]
	v_div_fmas_f64 v[88:89], v[88:89], v[90:91], v[94:95]
	v_div_fixup_f64 v[87:88], v[88:89], v[86:87], 1.0
	v_add_u32_e32 v86, 0x150, v85
	buffer_store_dword v88, v83, s[0:3], 0 offen offset:4
	buffer_store_dword v87, v83, s[0:3], 0 offen
	buffer_load_dword v90, off, s[0:3], 0 offset:12
	buffer_load_dword v89, off, s[0:3], 0 offset:8
	v_xor_b32_e32 v88, 0x80000000, v88
	s_waitcnt vmcnt(0)
	ds_write2_b64 v85, v[87:88], v[89:90] offset1:42
	s_waitcnt lgkmcnt(0)
	; wave barrier
	s_and_saveexec_b64 s[8:9], s[4:5]
	s_cbranch_execz .LBB40_15
; %bb.14:
	buffer_load_dword v87, v83, s[0:3], 0 offen
	buffer_load_dword v88, v83, s[0:3], 0 offen offset:4
	ds_read_b64 v[89:90], v86
	v_mov_b32_e32 v84, 0
	ds_read_b64 v[91:92], v84 offset:8
	s_waitcnt vmcnt(0) lgkmcnt(1)
	v_fma_f64 v[87:88], v[87:88], v[89:90], 0
	s_waitcnt lgkmcnt(0)
	v_mul_f64 v[87:88], v[87:88], v[91:92]
	buffer_store_dword v87, off, s[0:3], 0 offset:8
	buffer_store_dword v88, off, s[0:3], 0 offset:12
.LBB40_15:
	s_or_b64 exec, exec, s[8:9]
	; wave barrier
	buffer_load_dword v87, off, s[0:3], 0 offset:16
	buffer_load_dword v88, off, s[0:3], 0 offset:20
	v_cmp_gt_u32_e32 vcc, 2, v0
	s_waitcnt vmcnt(0)
	ds_write_b64 v86, v[87:88]
	s_waitcnt lgkmcnt(0)
	; wave barrier
	s_and_saveexec_b64 s[8:9], vcc
	s_cbranch_execz .LBB40_17
; %bb.16:
	buffer_load_dword v87, v83, s[0:3], 0 offen
	buffer_load_dword v88, v83, s[0:3], 0 offen offset:4
                                        ; kill: killed $vgpr83
	s_nop 0
	buffer_load_dword v83, off, s[0:3], 0 offset:8
	buffer_load_dword v84, off, s[0:3], 0 offset:12
	ds_read_b64 v[89:90], v86
	s_waitcnt vmcnt(2) lgkmcnt(0)
	v_fma_f64 v[91:92], v[87:88], v[89:90], 0
	v_mov_b32_e32 v87, 0
	ds_read2_b64 v[87:90], v87 offset0:2 offset1:43
	s_waitcnt vmcnt(0) lgkmcnt(0)
	v_fma_f64 v[83:84], v[83:84], v[89:90], v[91:92]
	v_cndmask_b32_e64 v84, v92, v84, s[4:5]
	v_cndmask_b32_e64 v83, v91, v83, s[4:5]
	v_mul_f64 v[83:84], v[83:84], v[87:88]
	buffer_store_dword v84, off, s[0:3], 0 offset:20
	buffer_store_dword v83, off, s[0:3], 0 offset:16
.LBB40_17:
	s_or_b64 exec, exec, s[8:9]
	; wave barrier
	buffer_load_dword v83, off, s[0:3], 0 offset:24
	buffer_load_dword v84, off, s[0:3], 0 offset:28
	v_cmp_gt_u32_e32 vcc, 3, v0
	v_add_u32_e32 v87, -1, v0
	s_waitcnt vmcnt(0)
	ds_write_b64 v86, v[83:84]
	s_waitcnt lgkmcnt(0)
	; wave barrier
	s_and_saveexec_b64 s[4:5], vcc
	s_cbranch_execz .LBB40_21
; %bb.18:
	v_mov_b32_e32 v83, 0
	v_add_u32_e32 v88, -1, v0
	v_add_u32_e32 v89, 0x150, v85
	v_mov_b32_e32 v90, v85
	v_mov_b32_e32 v84, 0
	s_mov_b64 s[8:9], 0
.LBB40_19:                              ; =>This Inner Loop Header: Depth=1
	buffer_load_dword v91, v90, s[0:3], 0 offen
	buffer_load_dword v92, v90, s[0:3], 0 offen offset:4
	ds_read_b64 v[93:94], v89
	v_add_u32_e32 v88, 1, v88
	v_cmp_lt_u32_e32 vcc, 1, v88
	v_add_u32_e32 v89, 8, v89
	s_or_b64 s[8:9], vcc, s[8:9]
	v_add_u32_e32 v90, 8, v90
	s_waitcnt vmcnt(0) lgkmcnt(0)
	v_fma_f64 v[83:84], v[91:92], v[93:94], v[83:84]
	s_andn2_b64 exec, exec, s[8:9]
	s_cbranch_execnz .LBB40_19
; %bb.20:
	s_or_b64 exec, exec, s[8:9]
	v_mov_b32_e32 v88, 0
	ds_read_b64 v[88:89], v88 offset:24
	s_waitcnt lgkmcnt(0)
	v_mul_f64 v[83:84], v[83:84], v[88:89]
	buffer_store_dword v84, off, s[0:3], 0 offset:28
	buffer_store_dword v83, off, s[0:3], 0 offset:24
.LBB40_21:
	s_or_b64 exec, exec, s[4:5]
	; wave barrier
	buffer_load_dword v83, off, s[0:3], 0 offset:32
	buffer_load_dword v84, off, s[0:3], 0 offset:36
	v_cmp_gt_u32_e32 vcc, 4, v0
	s_waitcnt vmcnt(0)
	ds_write_b64 v86, v[83:84]
	s_waitcnt lgkmcnt(0)
	; wave barrier
	s_and_saveexec_b64 s[4:5], vcc
	s_cbranch_execz .LBB40_25
; %bb.22:
	v_mov_b32_e32 v83, 0
	v_add_u32_e32 v88, -1, v0
	v_add_u32_e32 v89, 0x150, v85
	v_mov_b32_e32 v90, v85
	v_mov_b32_e32 v84, 0
	s_mov_b64 s[8:9], 0
.LBB40_23:                              ; =>This Inner Loop Header: Depth=1
	buffer_load_dword v91, v90, s[0:3], 0 offen
	buffer_load_dword v92, v90, s[0:3], 0 offen offset:4
	ds_read_b64 v[93:94], v89
	v_add_u32_e32 v88, 1, v88
	v_cmp_lt_u32_e32 vcc, 2, v88
	v_add_u32_e32 v89, 8, v89
	s_or_b64 s[8:9], vcc, s[8:9]
	v_add_u32_e32 v90, 8, v90
	s_waitcnt vmcnt(0) lgkmcnt(0)
	v_fma_f64 v[83:84], v[91:92], v[93:94], v[83:84]
	s_andn2_b64 exec, exec, s[8:9]
	s_cbranch_execnz .LBB40_23
; %bb.24:
	s_or_b64 exec, exec, s[8:9]
	v_mov_b32_e32 v88, 0
	ds_read_b64 v[88:89], v88 offset:32
	s_waitcnt lgkmcnt(0)
	v_mul_f64 v[83:84], v[83:84], v[88:89]
	buffer_store_dword v84, off, s[0:3], 0 offset:36
	buffer_store_dword v83, off, s[0:3], 0 offset:32
.LBB40_25:
	s_or_b64 exec, exec, s[4:5]
	; wave barrier
	buffer_load_dword v83, off, s[0:3], 0 offset:40
	buffer_load_dword v84, off, s[0:3], 0 offset:44
	v_cmp_gt_u32_e32 vcc, 5, v0
	s_waitcnt vmcnt(0)
	ds_write_b64 v86, v[83:84]
	s_waitcnt lgkmcnt(0)
	; wave barrier
	s_and_saveexec_b64 s[4:5], vcc
	s_cbranch_execz .LBB40_29
; %bb.26:
	v_mov_b32_e32 v83, 0
	v_add_u32_e32 v88, -1, v0
	v_add_u32_e32 v89, 0x150, v85
	v_mov_b32_e32 v90, v85
	v_mov_b32_e32 v84, 0
	s_mov_b64 s[8:9], 0
.LBB40_27:                              ; =>This Inner Loop Header: Depth=1
	buffer_load_dword v91, v90, s[0:3], 0 offen
	buffer_load_dword v92, v90, s[0:3], 0 offen offset:4
	ds_read_b64 v[93:94], v89
	v_add_u32_e32 v88, 1, v88
	v_cmp_lt_u32_e32 vcc, 3, v88
	v_add_u32_e32 v89, 8, v89
	s_or_b64 s[8:9], vcc, s[8:9]
	v_add_u32_e32 v90, 8, v90
	s_waitcnt vmcnt(0) lgkmcnt(0)
	v_fma_f64 v[83:84], v[91:92], v[93:94], v[83:84]
	s_andn2_b64 exec, exec, s[8:9]
	s_cbranch_execnz .LBB40_27
; %bb.28:
	s_or_b64 exec, exec, s[8:9]
	v_mov_b32_e32 v88, 0
	ds_read_b64 v[88:89], v88 offset:40
	s_waitcnt lgkmcnt(0)
	v_mul_f64 v[83:84], v[83:84], v[88:89]
	buffer_store_dword v84, off, s[0:3], 0 offset:44
	buffer_store_dword v83, off, s[0:3], 0 offset:40
.LBB40_29:
	s_or_b64 exec, exec, s[4:5]
	; wave barrier
	buffer_load_dword v83, off, s[0:3], 0 offset:48
	buffer_load_dword v84, off, s[0:3], 0 offset:52
	v_cmp_gt_u32_e32 vcc, 6, v0
	s_waitcnt vmcnt(0)
	ds_write_b64 v86, v[83:84]
	s_waitcnt lgkmcnt(0)
	; wave barrier
	s_and_saveexec_b64 s[4:5], vcc
	s_cbranch_execz .LBB40_33
; %bb.30:
	v_mov_b32_e32 v83, 0
	v_add_u32_e32 v88, -1, v0
	v_add_u32_e32 v89, 0x150, v85
	v_mov_b32_e32 v90, v85
	v_mov_b32_e32 v84, 0
	s_mov_b64 s[8:9], 0
.LBB40_31:                              ; =>This Inner Loop Header: Depth=1
	buffer_load_dword v91, v90, s[0:3], 0 offen
	buffer_load_dword v92, v90, s[0:3], 0 offen offset:4
	ds_read_b64 v[93:94], v89
	v_add_u32_e32 v88, 1, v88
	v_cmp_lt_u32_e32 vcc, 4, v88
	v_add_u32_e32 v89, 8, v89
	s_or_b64 s[8:9], vcc, s[8:9]
	v_add_u32_e32 v90, 8, v90
	s_waitcnt vmcnt(0) lgkmcnt(0)
	v_fma_f64 v[83:84], v[91:92], v[93:94], v[83:84]
	s_andn2_b64 exec, exec, s[8:9]
	s_cbranch_execnz .LBB40_31
; %bb.32:
	s_or_b64 exec, exec, s[8:9]
	v_mov_b32_e32 v88, 0
	ds_read_b64 v[88:89], v88 offset:48
	s_waitcnt lgkmcnt(0)
	v_mul_f64 v[83:84], v[83:84], v[88:89]
	buffer_store_dword v84, off, s[0:3], 0 offset:52
	buffer_store_dword v83, off, s[0:3], 0 offset:48
.LBB40_33:
	s_or_b64 exec, exec, s[4:5]
	; wave barrier
	buffer_load_dword v83, off, s[0:3], 0 offset:56
	buffer_load_dword v84, off, s[0:3], 0 offset:60
	v_cmp_gt_u32_e32 vcc, 7, v0
	s_waitcnt vmcnt(0)
	ds_write_b64 v86, v[83:84]
	s_waitcnt lgkmcnt(0)
	; wave barrier
	s_and_saveexec_b64 s[4:5], vcc
	s_cbranch_execz .LBB40_37
; %bb.34:
	v_mov_b32_e32 v83, 0
	v_add_u32_e32 v88, -1, v0
	v_add_u32_e32 v89, 0x150, v85
	v_mov_b32_e32 v90, v85
	v_mov_b32_e32 v84, 0
	s_mov_b64 s[8:9], 0
.LBB40_35:                              ; =>This Inner Loop Header: Depth=1
	buffer_load_dword v91, v90, s[0:3], 0 offen
	buffer_load_dword v92, v90, s[0:3], 0 offen offset:4
	ds_read_b64 v[93:94], v89
	v_add_u32_e32 v88, 1, v88
	v_cmp_lt_u32_e32 vcc, 5, v88
	v_add_u32_e32 v89, 8, v89
	s_or_b64 s[8:9], vcc, s[8:9]
	v_add_u32_e32 v90, 8, v90
	s_waitcnt vmcnt(0) lgkmcnt(0)
	v_fma_f64 v[83:84], v[91:92], v[93:94], v[83:84]
	s_andn2_b64 exec, exec, s[8:9]
	s_cbranch_execnz .LBB40_35
; %bb.36:
	s_or_b64 exec, exec, s[8:9]
	v_mov_b32_e32 v88, 0
	ds_read_b64 v[88:89], v88 offset:56
	s_waitcnt lgkmcnt(0)
	v_mul_f64 v[83:84], v[83:84], v[88:89]
	buffer_store_dword v84, off, s[0:3], 0 offset:60
	buffer_store_dword v83, off, s[0:3], 0 offset:56
.LBB40_37:
	s_or_b64 exec, exec, s[4:5]
	; wave barrier
	buffer_load_dword v83, off, s[0:3], 0 offset:64
	buffer_load_dword v84, off, s[0:3], 0 offset:68
	v_cmp_gt_u32_e32 vcc, 8, v0
	s_waitcnt vmcnt(0)
	ds_write_b64 v86, v[83:84]
	s_waitcnt lgkmcnt(0)
	; wave barrier
	s_and_saveexec_b64 s[4:5], vcc
	s_cbranch_execz .LBB40_41
; %bb.38:
	v_mov_b32_e32 v83, 0
	v_add_u32_e32 v88, -1, v0
	v_add_u32_e32 v89, 0x150, v85
	v_mov_b32_e32 v90, v85
	v_mov_b32_e32 v84, 0
	s_mov_b64 s[8:9], 0
.LBB40_39:                              ; =>This Inner Loop Header: Depth=1
	buffer_load_dword v91, v90, s[0:3], 0 offen
	buffer_load_dword v92, v90, s[0:3], 0 offen offset:4
	ds_read_b64 v[93:94], v89
	v_add_u32_e32 v88, 1, v88
	v_cmp_lt_u32_e32 vcc, 6, v88
	v_add_u32_e32 v89, 8, v89
	s_or_b64 s[8:9], vcc, s[8:9]
	v_add_u32_e32 v90, 8, v90
	s_waitcnt vmcnt(0) lgkmcnt(0)
	v_fma_f64 v[83:84], v[91:92], v[93:94], v[83:84]
	s_andn2_b64 exec, exec, s[8:9]
	s_cbranch_execnz .LBB40_39
; %bb.40:
	s_or_b64 exec, exec, s[8:9]
	v_mov_b32_e32 v88, 0
	ds_read_b64 v[88:89], v88 offset:64
	s_waitcnt lgkmcnt(0)
	v_mul_f64 v[83:84], v[83:84], v[88:89]
	buffer_store_dword v84, off, s[0:3], 0 offset:68
	buffer_store_dword v83, off, s[0:3], 0 offset:64
.LBB40_41:
	s_or_b64 exec, exec, s[4:5]
	; wave barrier
	buffer_load_dword v83, off, s[0:3], 0 offset:72
	buffer_load_dword v84, off, s[0:3], 0 offset:76
	v_cmp_gt_u32_e32 vcc, 9, v0
	s_waitcnt vmcnt(0)
	ds_write_b64 v86, v[83:84]
	s_waitcnt lgkmcnt(0)
	; wave barrier
	s_and_saveexec_b64 s[4:5], vcc
	s_cbranch_execz .LBB40_45
; %bb.42:
	v_mov_b32_e32 v83, 0
	v_add_u32_e32 v88, -1, v0
	v_add_u32_e32 v89, 0x150, v85
	v_mov_b32_e32 v90, v85
	v_mov_b32_e32 v84, 0
	s_mov_b64 s[8:9], 0
.LBB40_43:                              ; =>This Inner Loop Header: Depth=1
	buffer_load_dword v91, v90, s[0:3], 0 offen
	buffer_load_dword v92, v90, s[0:3], 0 offen offset:4
	ds_read_b64 v[93:94], v89
	v_add_u32_e32 v88, 1, v88
	v_cmp_lt_u32_e32 vcc, 7, v88
	v_add_u32_e32 v89, 8, v89
	s_or_b64 s[8:9], vcc, s[8:9]
	v_add_u32_e32 v90, 8, v90
	s_waitcnt vmcnt(0) lgkmcnt(0)
	v_fma_f64 v[83:84], v[91:92], v[93:94], v[83:84]
	s_andn2_b64 exec, exec, s[8:9]
	s_cbranch_execnz .LBB40_43
; %bb.44:
	s_or_b64 exec, exec, s[8:9]
	v_mov_b32_e32 v88, 0
	ds_read_b64 v[88:89], v88 offset:72
	s_waitcnt lgkmcnt(0)
	v_mul_f64 v[83:84], v[83:84], v[88:89]
	buffer_store_dword v84, off, s[0:3], 0 offset:76
	buffer_store_dword v83, off, s[0:3], 0 offset:72
.LBB40_45:
	s_or_b64 exec, exec, s[4:5]
	; wave barrier
	buffer_load_dword v83, off, s[0:3], 0 offset:80
	buffer_load_dword v84, off, s[0:3], 0 offset:84
	v_cmp_gt_u32_e32 vcc, 10, v0
	s_waitcnt vmcnt(0)
	ds_write_b64 v86, v[83:84]
	s_waitcnt lgkmcnt(0)
	; wave barrier
	s_and_saveexec_b64 s[4:5], vcc
	s_cbranch_execz .LBB40_49
; %bb.46:
	v_mov_b32_e32 v83, 0
	v_add_u32_e32 v88, -1, v0
	v_add_u32_e32 v89, 0x150, v85
	v_mov_b32_e32 v90, v85
	v_mov_b32_e32 v84, 0
	s_mov_b64 s[8:9], 0
.LBB40_47:                              ; =>This Inner Loop Header: Depth=1
	buffer_load_dword v91, v90, s[0:3], 0 offen
	buffer_load_dword v92, v90, s[0:3], 0 offen offset:4
	ds_read_b64 v[93:94], v89
	v_add_u32_e32 v88, 1, v88
	v_cmp_lt_u32_e32 vcc, 8, v88
	v_add_u32_e32 v89, 8, v89
	s_or_b64 s[8:9], vcc, s[8:9]
	v_add_u32_e32 v90, 8, v90
	s_waitcnt vmcnt(0) lgkmcnt(0)
	v_fma_f64 v[83:84], v[91:92], v[93:94], v[83:84]
	s_andn2_b64 exec, exec, s[8:9]
	s_cbranch_execnz .LBB40_47
; %bb.48:
	s_or_b64 exec, exec, s[8:9]
	v_mov_b32_e32 v88, 0
	ds_read_b64 v[88:89], v88 offset:80
	s_waitcnt lgkmcnt(0)
	v_mul_f64 v[83:84], v[83:84], v[88:89]
	buffer_store_dword v84, off, s[0:3], 0 offset:84
	buffer_store_dword v83, off, s[0:3], 0 offset:80
.LBB40_49:
	s_or_b64 exec, exec, s[4:5]
	; wave barrier
	buffer_load_dword v83, off, s[0:3], 0 offset:88
	buffer_load_dword v84, off, s[0:3], 0 offset:92
	v_cmp_gt_u32_e32 vcc, 11, v0
	s_waitcnt vmcnt(0)
	ds_write_b64 v86, v[83:84]
	s_waitcnt lgkmcnt(0)
	; wave barrier
	s_and_saveexec_b64 s[4:5], vcc
	s_cbranch_execz .LBB40_53
; %bb.50:
	v_mov_b32_e32 v83, 0
	v_add_u32_e32 v88, -1, v0
	v_add_u32_e32 v89, 0x150, v85
	v_mov_b32_e32 v90, v85
	v_mov_b32_e32 v84, 0
	s_mov_b64 s[8:9], 0
.LBB40_51:                              ; =>This Inner Loop Header: Depth=1
	buffer_load_dword v91, v90, s[0:3], 0 offen
	buffer_load_dword v92, v90, s[0:3], 0 offen offset:4
	ds_read_b64 v[93:94], v89
	v_add_u32_e32 v88, 1, v88
	v_cmp_lt_u32_e32 vcc, 9, v88
	v_add_u32_e32 v89, 8, v89
	s_or_b64 s[8:9], vcc, s[8:9]
	v_add_u32_e32 v90, 8, v90
	s_waitcnt vmcnt(0) lgkmcnt(0)
	v_fma_f64 v[83:84], v[91:92], v[93:94], v[83:84]
	s_andn2_b64 exec, exec, s[8:9]
	s_cbranch_execnz .LBB40_51
; %bb.52:
	s_or_b64 exec, exec, s[8:9]
	v_mov_b32_e32 v88, 0
	ds_read_b64 v[88:89], v88 offset:88
	s_waitcnt lgkmcnt(0)
	v_mul_f64 v[83:84], v[83:84], v[88:89]
	buffer_store_dword v84, off, s[0:3], 0 offset:92
	buffer_store_dword v83, off, s[0:3], 0 offset:88
.LBB40_53:
	s_or_b64 exec, exec, s[4:5]
	; wave barrier
	buffer_load_dword v83, off, s[0:3], 0 offset:96
	buffer_load_dword v84, off, s[0:3], 0 offset:100
	v_cmp_gt_u32_e32 vcc, 12, v0
	s_waitcnt vmcnt(0)
	ds_write_b64 v86, v[83:84]
	s_waitcnt lgkmcnt(0)
	; wave barrier
	s_and_saveexec_b64 s[4:5], vcc
	s_cbranch_execz .LBB40_57
; %bb.54:
	v_mov_b32_e32 v83, 0
	v_add_u32_e32 v88, -1, v0
	v_add_u32_e32 v89, 0x150, v85
	v_mov_b32_e32 v90, v85
	v_mov_b32_e32 v84, 0
	s_mov_b64 s[8:9], 0
.LBB40_55:                              ; =>This Inner Loop Header: Depth=1
	buffer_load_dword v91, v90, s[0:3], 0 offen
	buffer_load_dword v92, v90, s[0:3], 0 offen offset:4
	ds_read_b64 v[93:94], v89
	v_add_u32_e32 v88, 1, v88
	v_cmp_lt_u32_e32 vcc, 10, v88
	v_add_u32_e32 v89, 8, v89
	s_or_b64 s[8:9], vcc, s[8:9]
	v_add_u32_e32 v90, 8, v90
	s_waitcnt vmcnt(0) lgkmcnt(0)
	v_fma_f64 v[83:84], v[91:92], v[93:94], v[83:84]
	s_andn2_b64 exec, exec, s[8:9]
	s_cbranch_execnz .LBB40_55
; %bb.56:
	s_or_b64 exec, exec, s[8:9]
	v_mov_b32_e32 v88, 0
	ds_read_b64 v[88:89], v88 offset:96
	s_waitcnt lgkmcnt(0)
	v_mul_f64 v[83:84], v[83:84], v[88:89]
	buffer_store_dword v84, off, s[0:3], 0 offset:100
	buffer_store_dword v83, off, s[0:3], 0 offset:96
.LBB40_57:
	s_or_b64 exec, exec, s[4:5]
	; wave barrier
	buffer_load_dword v83, off, s[0:3], 0 offset:104
	buffer_load_dword v84, off, s[0:3], 0 offset:108
	v_cmp_gt_u32_e32 vcc, 13, v0
	s_waitcnt vmcnt(0)
	ds_write_b64 v86, v[83:84]
	s_waitcnt lgkmcnt(0)
	; wave barrier
	s_and_saveexec_b64 s[4:5], vcc
	s_cbranch_execz .LBB40_61
; %bb.58:
	v_mov_b32_e32 v83, 0
	v_add_u32_e32 v88, -1, v0
	v_add_u32_e32 v89, 0x150, v85
	v_mov_b32_e32 v90, v85
	v_mov_b32_e32 v84, 0
	s_mov_b64 s[8:9], 0
.LBB40_59:                              ; =>This Inner Loop Header: Depth=1
	buffer_load_dword v91, v90, s[0:3], 0 offen
	buffer_load_dword v92, v90, s[0:3], 0 offen offset:4
	ds_read_b64 v[93:94], v89
	v_add_u32_e32 v88, 1, v88
	v_cmp_lt_u32_e32 vcc, 11, v88
	v_add_u32_e32 v89, 8, v89
	s_or_b64 s[8:9], vcc, s[8:9]
	v_add_u32_e32 v90, 8, v90
	s_waitcnt vmcnt(0) lgkmcnt(0)
	v_fma_f64 v[83:84], v[91:92], v[93:94], v[83:84]
	s_andn2_b64 exec, exec, s[8:9]
	s_cbranch_execnz .LBB40_59
; %bb.60:
	s_or_b64 exec, exec, s[8:9]
	v_mov_b32_e32 v88, 0
	ds_read_b64 v[88:89], v88 offset:104
	s_waitcnt lgkmcnt(0)
	v_mul_f64 v[83:84], v[83:84], v[88:89]
	buffer_store_dword v84, off, s[0:3], 0 offset:108
	buffer_store_dword v83, off, s[0:3], 0 offset:104
.LBB40_61:
	s_or_b64 exec, exec, s[4:5]
	; wave barrier
	buffer_load_dword v83, off, s[0:3], 0 offset:112
	buffer_load_dword v84, off, s[0:3], 0 offset:116
	v_cmp_gt_u32_e32 vcc, 14, v0
	s_waitcnt vmcnt(0)
	ds_write_b64 v86, v[83:84]
	s_waitcnt lgkmcnt(0)
	; wave barrier
	s_and_saveexec_b64 s[4:5], vcc
	s_cbranch_execz .LBB40_65
; %bb.62:
	v_mov_b32_e32 v83, 0
	v_add_u32_e32 v88, -1, v0
	v_add_u32_e32 v89, 0x150, v85
	v_mov_b32_e32 v90, v85
	v_mov_b32_e32 v84, 0
	s_mov_b64 s[8:9], 0
.LBB40_63:                              ; =>This Inner Loop Header: Depth=1
	buffer_load_dword v91, v90, s[0:3], 0 offen
	buffer_load_dword v92, v90, s[0:3], 0 offen offset:4
	ds_read_b64 v[93:94], v89
	v_add_u32_e32 v88, 1, v88
	v_cmp_lt_u32_e32 vcc, 12, v88
	v_add_u32_e32 v89, 8, v89
	s_or_b64 s[8:9], vcc, s[8:9]
	v_add_u32_e32 v90, 8, v90
	s_waitcnt vmcnt(0) lgkmcnt(0)
	v_fma_f64 v[83:84], v[91:92], v[93:94], v[83:84]
	s_andn2_b64 exec, exec, s[8:9]
	s_cbranch_execnz .LBB40_63
; %bb.64:
	s_or_b64 exec, exec, s[8:9]
	v_mov_b32_e32 v88, 0
	ds_read_b64 v[88:89], v88 offset:112
	s_waitcnt lgkmcnt(0)
	v_mul_f64 v[83:84], v[83:84], v[88:89]
	buffer_store_dword v84, off, s[0:3], 0 offset:116
	buffer_store_dword v83, off, s[0:3], 0 offset:112
.LBB40_65:
	s_or_b64 exec, exec, s[4:5]
	; wave barrier
	buffer_load_dword v83, off, s[0:3], 0 offset:120
	buffer_load_dword v84, off, s[0:3], 0 offset:124
	v_cmp_gt_u32_e32 vcc, 15, v0
	s_waitcnt vmcnt(0)
	ds_write_b64 v86, v[83:84]
	s_waitcnt lgkmcnt(0)
	; wave barrier
	s_and_saveexec_b64 s[4:5], vcc
	s_cbranch_execz .LBB40_69
; %bb.66:
	v_mov_b32_e32 v83, 0
	v_add_u32_e32 v88, -1, v0
	v_add_u32_e32 v89, 0x150, v85
	v_mov_b32_e32 v90, v85
	v_mov_b32_e32 v84, 0
	s_mov_b64 s[8:9], 0
.LBB40_67:                              ; =>This Inner Loop Header: Depth=1
	buffer_load_dword v91, v90, s[0:3], 0 offen
	buffer_load_dword v92, v90, s[0:3], 0 offen offset:4
	ds_read_b64 v[93:94], v89
	v_add_u32_e32 v88, 1, v88
	v_cmp_lt_u32_e32 vcc, 13, v88
	v_add_u32_e32 v89, 8, v89
	s_or_b64 s[8:9], vcc, s[8:9]
	v_add_u32_e32 v90, 8, v90
	s_waitcnt vmcnt(0) lgkmcnt(0)
	v_fma_f64 v[83:84], v[91:92], v[93:94], v[83:84]
	s_andn2_b64 exec, exec, s[8:9]
	s_cbranch_execnz .LBB40_67
; %bb.68:
	s_or_b64 exec, exec, s[8:9]
	v_mov_b32_e32 v88, 0
	ds_read_b64 v[88:89], v88 offset:120
	s_waitcnt lgkmcnt(0)
	v_mul_f64 v[83:84], v[83:84], v[88:89]
	buffer_store_dword v84, off, s[0:3], 0 offset:124
	buffer_store_dword v83, off, s[0:3], 0 offset:120
.LBB40_69:
	s_or_b64 exec, exec, s[4:5]
	; wave barrier
	buffer_load_dword v83, off, s[0:3], 0 offset:128
	buffer_load_dword v84, off, s[0:3], 0 offset:132
	v_cmp_gt_u32_e32 vcc, 16, v0
	s_waitcnt vmcnt(0)
	ds_write_b64 v86, v[83:84]
	s_waitcnt lgkmcnt(0)
	; wave barrier
	s_and_saveexec_b64 s[4:5], vcc
	s_cbranch_execz .LBB40_73
; %bb.70:
	v_mov_b32_e32 v83, 0
	v_add_u32_e32 v88, -1, v0
	v_add_u32_e32 v89, 0x150, v85
	v_mov_b32_e32 v90, v85
	v_mov_b32_e32 v84, 0
	s_mov_b64 s[8:9], 0
.LBB40_71:                              ; =>This Inner Loop Header: Depth=1
	buffer_load_dword v91, v90, s[0:3], 0 offen
	buffer_load_dword v92, v90, s[0:3], 0 offen offset:4
	ds_read_b64 v[93:94], v89
	v_add_u32_e32 v88, 1, v88
	v_cmp_lt_u32_e32 vcc, 14, v88
	v_add_u32_e32 v89, 8, v89
	s_or_b64 s[8:9], vcc, s[8:9]
	v_add_u32_e32 v90, 8, v90
	s_waitcnt vmcnt(0) lgkmcnt(0)
	v_fma_f64 v[83:84], v[91:92], v[93:94], v[83:84]
	s_andn2_b64 exec, exec, s[8:9]
	s_cbranch_execnz .LBB40_71
; %bb.72:
	s_or_b64 exec, exec, s[8:9]
	v_mov_b32_e32 v88, 0
	ds_read_b64 v[88:89], v88 offset:128
	s_waitcnt lgkmcnt(0)
	v_mul_f64 v[83:84], v[83:84], v[88:89]
	buffer_store_dword v84, off, s[0:3], 0 offset:132
	buffer_store_dword v83, off, s[0:3], 0 offset:128
.LBB40_73:
	s_or_b64 exec, exec, s[4:5]
	; wave barrier
	buffer_load_dword v83, off, s[0:3], 0 offset:136
	buffer_load_dword v84, off, s[0:3], 0 offset:140
	v_cmp_gt_u32_e32 vcc, 17, v0
	s_waitcnt vmcnt(0)
	ds_write_b64 v86, v[83:84]
	s_waitcnt lgkmcnt(0)
	; wave barrier
	s_and_saveexec_b64 s[4:5], vcc
	s_cbranch_execz .LBB40_77
; %bb.74:
	v_mov_b32_e32 v83, 0
	v_add_u32_e32 v88, -1, v0
	v_add_u32_e32 v89, 0x150, v85
	v_mov_b32_e32 v90, v85
	v_mov_b32_e32 v84, 0
	s_mov_b64 s[8:9], 0
.LBB40_75:                              ; =>This Inner Loop Header: Depth=1
	buffer_load_dword v91, v90, s[0:3], 0 offen
	buffer_load_dword v92, v90, s[0:3], 0 offen offset:4
	ds_read_b64 v[93:94], v89
	v_add_u32_e32 v88, 1, v88
	v_cmp_lt_u32_e32 vcc, 15, v88
	v_add_u32_e32 v89, 8, v89
	s_or_b64 s[8:9], vcc, s[8:9]
	v_add_u32_e32 v90, 8, v90
	s_waitcnt vmcnt(0) lgkmcnt(0)
	v_fma_f64 v[83:84], v[91:92], v[93:94], v[83:84]
	s_andn2_b64 exec, exec, s[8:9]
	s_cbranch_execnz .LBB40_75
; %bb.76:
	s_or_b64 exec, exec, s[8:9]
	v_mov_b32_e32 v88, 0
	ds_read_b64 v[88:89], v88 offset:136
	s_waitcnt lgkmcnt(0)
	v_mul_f64 v[83:84], v[83:84], v[88:89]
	buffer_store_dword v84, off, s[0:3], 0 offset:140
	buffer_store_dword v83, off, s[0:3], 0 offset:136
.LBB40_77:
	s_or_b64 exec, exec, s[4:5]
	; wave barrier
	buffer_load_dword v83, off, s[0:3], 0 offset:144
	buffer_load_dword v84, off, s[0:3], 0 offset:148
	v_cmp_gt_u32_e32 vcc, 18, v0
	s_waitcnt vmcnt(0)
	ds_write_b64 v86, v[83:84]
	s_waitcnt lgkmcnt(0)
	; wave barrier
	s_and_saveexec_b64 s[4:5], vcc
	s_cbranch_execz .LBB40_81
; %bb.78:
	v_mov_b32_e32 v83, 0
	v_add_u32_e32 v88, -1, v0
	v_add_u32_e32 v89, 0x150, v85
	v_mov_b32_e32 v90, v85
	v_mov_b32_e32 v84, 0
	s_mov_b64 s[8:9], 0
.LBB40_79:                              ; =>This Inner Loop Header: Depth=1
	buffer_load_dword v91, v90, s[0:3], 0 offen
	buffer_load_dword v92, v90, s[0:3], 0 offen offset:4
	ds_read_b64 v[93:94], v89
	v_add_u32_e32 v88, 1, v88
	v_cmp_lt_u32_e32 vcc, 16, v88
	v_add_u32_e32 v89, 8, v89
	s_or_b64 s[8:9], vcc, s[8:9]
	v_add_u32_e32 v90, 8, v90
	s_waitcnt vmcnt(0) lgkmcnt(0)
	v_fma_f64 v[83:84], v[91:92], v[93:94], v[83:84]
	s_andn2_b64 exec, exec, s[8:9]
	s_cbranch_execnz .LBB40_79
; %bb.80:
	s_or_b64 exec, exec, s[8:9]
	v_mov_b32_e32 v88, 0
	ds_read_b64 v[88:89], v88 offset:144
	s_waitcnt lgkmcnt(0)
	v_mul_f64 v[83:84], v[83:84], v[88:89]
	buffer_store_dword v84, off, s[0:3], 0 offset:148
	buffer_store_dword v83, off, s[0:3], 0 offset:144
.LBB40_81:
	s_or_b64 exec, exec, s[4:5]
	; wave barrier
	buffer_load_dword v83, off, s[0:3], 0 offset:152
	buffer_load_dword v84, off, s[0:3], 0 offset:156
	v_cmp_gt_u32_e32 vcc, 19, v0
	s_waitcnt vmcnt(0)
	ds_write_b64 v86, v[83:84]
	s_waitcnt lgkmcnt(0)
	; wave barrier
	s_and_saveexec_b64 s[4:5], vcc
	s_cbranch_execz .LBB40_85
; %bb.82:
	v_mov_b32_e32 v83, 0
	v_add_u32_e32 v88, -1, v0
	v_add_u32_e32 v89, 0x150, v85
	v_mov_b32_e32 v90, v85
	v_mov_b32_e32 v84, 0
	s_mov_b64 s[8:9], 0
.LBB40_83:                              ; =>This Inner Loop Header: Depth=1
	buffer_load_dword v91, v90, s[0:3], 0 offen
	buffer_load_dword v92, v90, s[0:3], 0 offen offset:4
	ds_read_b64 v[93:94], v89
	v_add_u32_e32 v88, 1, v88
	v_cmp_lt_u32_e32 vcc, 17, v88
	v_add_u32_e32 v89, 8, v89
	s_or_b64 s[8:9], vcc, s[8:9]
	v_add_u32_e32 v90, 8, v90
	s_waitcnt vmcnt(0) lgkmcnt(0)
	v_fma_f64 v[83:84], v[91:92], v[93:94], v[83:84]
	s_andn2_b64 exec, exec, s[8:9]
	s_cbranch_execnz .LBB40_83
; %bb.84:
	s_or_b64 exec, exec, s[8:9]
	v_mov_b32_e32 v88, 0
	ds_read_b64 v[88:89], v88 offset:152
	s_waitcnt lgkmcnt(0)
	v_mul_f64 v[83:84], v[83:84], v[88:89]
	buffer_store_dword v84, off, s[0:3], 0 offset:156
	buffer_store_dword v83, off, s[0:3], 0 offset:152
.LBB40_85:
	s_or_b64 exec, exec, s[4:5]
	; wave barrier
	buffer_load_dword v83, off, s[0:3], 0 offset:160
	buffer_load_dword v84, off, s[0:3], 0 offset:164
	v_cmp_gt_u32_e32 vcc, 20, v0
	s_waitcnt vmcnt(0)
	ds_write_b64 v86, v[83:84]
	s_waitcnt lgkmcnt(0)
	; wave barrier
	s_and_saveexec_b64 s[4:5], vcc
	s_cbranch_execz .LBB40_89
; %bb.86:
	v_mov_b32_e32 v83, 0
	v_add_u32_e32 v88, -1, v0
	v_add_u32_e32 v89, 0x150, v85
	v_mov_b32_e32 v90, v85
	v_mov_b32_e32 v84, 0
	s_mov_b64 s[8:9], 0
.LBB40_87:                              ; =>This Inner Loop Header: Depth=1
	buffer_load_dword v91, v90, s[0:3], 0 offen
	buffer_load_dword v92, v90, s[0:3], 0 offen offset:4
	ds_read_b64 v[93:94], v89
	v_add_u32_e32 v88, 1, v88
	v_cmp_lt_u32_e32 vcc, 18, v88
	v_add_u32_e32 v89, 8, v89
	s_or_b64 s[8:9], vcc, s[8:9]
	v_add_u32_e32 v90, 8, v90
	s_waitcnt vmcnt(0) lgkmcnt(0)
	v_fma_f64 v[83:84], v[91:92], v[93:94], v[83:84]
	s_andn2_b64 exec, exec, s[8:9]
	s_cbranch_execnz .LBB40_87
; %bb.88:
	s_or_b64 exec, exec, s[8:9]
	v_mov_b32_e32 v88, 0
	ds_read_b64 v[88:89], v88 offset:160
	s_waitcnt lgkmcnt(0)
	v_mul_f64 v[83:84], v[83:84], v[88:89]
	buffer_store_dword v84, off, s[0:3], 0 offset:164
	buffer_store_dword v83, off, s[0:3], 0 offset:160
.LBB40_89:
	s_or_b64 exec, exec, s[4:5]
	; wave barrier
	buffer_load_dword v83, off, s[0:3], 0 offset:168
	buffer_load_dword v84, off, s[0:3], 0 offset:172
	v_cmp_gt_u32_e32 vcc, 21, v0
	s_waitcnt vmcnt(0)
	ds_write_b64 v86, v[83:84]
	s_waitcnt lgkmcnt(0)
	; wave barrier
	s_and_saveexec_b64 s[4:5], vcc
	s_cbranch_execz .LBB40_93
; %bb.90:
	v_mov_b32_e32 v83, 0
	v_add_u32_e32 v88, -1, v0
	v_add_u32_e32 v89, 0x150, v85
	v_mov_b32_e32 v90, v85
	v_mov_b32_e32 v84, 0
	s_mov_b64 s[8:9], 0
.LBB40_91:                              ; =>This Inner Loop Header: Depth=1
	buffer_load_dword v91, v90, s[0:3], 0 offen
	buffer_load_dword v92, v90, s[0:3], 0 offen offset:4
	ds_read_b64 v[93:94], v89
	v_add_u32_e32 v88, 1, v88
	v_cmp_lt_u32_e32 vcc, 19, v88
	v_add_u32_e32 v89, 8, v89
	s_or_b64 s[8:9], vcc, s[8:9]
	v_add_u32_e32 v90, 8, v90
	s_waitcnt vmcnt(0) lgkmcnt(0)
	v_fma_f64 v[83:84], v[91:92], v[93:94], v[83:84]
	s_andn2_b64 exec, exec, s[8:9]
	s_cbranch_execnz .LBB40_91
; %bb.92:
	s_or_b64 exec, exec, s[8:9]
	v_mov_b32_e32 v88, 0
	ds_read_b64 v[88:89], v88 offset:168
	s_waitcnt lgkmcnt(0)
	v_mul_f64 v[83:84], v[83:84], v[88:89]
	buffer_store_dword v84, off, s[0:3], 0 offset:172
	buffer_store_dword v83, off, s[0:3], 0 offset:168
.LBB40_93:
	s_or_b64 exec, exec, s[4:5]
	; wave barrier
	buffer_load_dword v83, off, s[0:3], 0 offset:176
	buffer_load_dword v84, off, s[0:3], 0 offset:180
	v_cmp_gt_u32_e32 vcc, 22, v0
	s_waitcnt vmcnt(0)
	ds_write_b64 v86, v[83:84]
	s_waitcnt lgkmcnt(0)
	; wave barrier
	s_and_saveexec_b64 s[4:5], vcc
	s_cbranch_execz .LBB40_97
; %bb.94:
	v_mov_b32_e32 v83, 0
	v_add_u32_e32 v88, -1, v0
	v_add_u32_e32 v89, 0x150, v85
	v_mov_b32_e32 v90, v85
	v_mov_b32_e32 v84, 0
	s_mov_b64 s[8:9], 0
.LBB40_95:                              ; =>This Inner Loop Header: Depth=1
	buffer_load_dword v91, v90, s[0:3], 0 offen
	buffer_load_dword v92, v90, s[0:3], 0 offen offset:4
	ds_read_b64 v[93:94], v89
	v_add_u32_e32 v88, 1, v88
	v_cmp_lt_u32_e32 vcc, 20, v88
	v_add_u32_e32 v89, 8, v89
	s_or_b64 s[8:9], vcc, s[8:9]
	v_add_u32_e32 v90, 8, v90
	s_waitcnt vmcnt(0) lgkmcnt(0)
	v_fma_f64 v[83:84], v[91:92], v[93:94], v[83:84]
	s_andn2_b64 exec, exec, s[8:9]
	s_cbranch_execnz .LBB40_95
; %bb.96:
	s_or_b64 exec, exec, s[8:9]
	v_mov_b32_e32 v88, 0
	ds_read_b64 v[88:89], v88 offset:176
	s_waitcnt lgkmcnt(0)
	v_mul_f64 v[83:84], v[83:84], v[88:89]
	buffer_store_dword v84, off, s[0:3], 0 offset:180
	buffer_store_dword v83, off, s[0:3], 0 offset:176
.LBB40_97:
	s_or_b64 exec, exec, s[4:5]
	; wave barrier
	buffer_load_dword v83, off, s[0:3], 0 offset:184
	buffer_load_dword v84, off, s[0:3], 0 offset:188
	v_cmp_gt_u32_e32 vcc, 23, v0
	s_waitcnt vmcnt(0)
	ds_write_b64 v86, v[83:84]
	s_waitcnt lgkmcnt(0)
	; wave barrier
	s_and_saveexec_b64 s[4:5], vcc
	s_cbranch_execz .LBB40_101
; %bb.98:
	v_mov_b32_e32 v83, 0
	v_add_u32_e32 v88, -1, v0
	v_add_u32_e32 v89, 0x150, v85
	v_mov_b32_e32 v90, v85
	v_mov_b32_e32 v84, 0
	s_mov_b64 s[8:9], 0
.LBB40_99:                              ; =>This Inner Loop Header: Depth=1
	buffer_load_dword v91, v90, s[0:3], 0 offen
	buffer_load_dword v92, v90, s[0:3], 0 offen offset:4
	ds_read_b64 v[93:94], v89
	v_add_u32_e32 v88, 1, v88
	v_cmp_lt_u32_e32 vcc, 21, v88
	v_add_u32_e32 v89, 8, v89
	s_or_b64 s[8:9], vcc, s[8:9]
	v_add_u32_e32 v90, 8, v90
	s_waitcnt vmcnt(0) lgkmcnt(0)
	v_fma_f64 v[83:84], v[91:92], v[93:94], v[83:84]
	s_andn2_b64 exec, exec, s[8:9]
	s_cbranch_execnz .LBB40_99
; %bb.100:
	s_or_b64 exec, exec, s[8:9]
	v_mov_b32_e32 v88, 0
	ds_read_b64 v[88:89], v88 offset:184
	s_waitcnt lgkmcnt(0)
	v_mul_f64 v[83:84], v[83:84], v[88:89]
	buffer_store_dword v84, off, s[0:3], 0 offset:188
	buffer_store_dword v83, off, s[0:3], 0 offset:184
.LBB40_101:
	s_or_b64 exec, exec, s[4:5]
	; wave barrier
	buffer_load_dword v83, off, s[0:3], 0 offset:192
	buffer_load_dword v84, off, s[0:3], 0 offset:196
	v_cmp_gt_u32_e32 vcc, 24, v0
	s_waitcnt vmcnt(0)
	ds_write_b64 v86, v[83:84]
	s_waitcnt lgkmcnt(0)
	; wave barrier
	s_and_saveexec_b64 s[4:5], vcc
	s_cbranch_execz .LBB40_105
; %bb.102:
	v_mov_b32_e32 v83, 0
	v_add_u32_e32 v88, -1, v0
	v_add_u32_e32 v89, 0x150, v85
	v_mov_b32_e32 v90, v85
	v_mov_b32_e32 v84, 0
	s_mov_b64 s[8:9], 0
.LBB40_103:                             ; =>This Inner Loop Header: Depth=1
	buffer_load_dword v91, v90, s[0:3], 0 offen
	buffer_load_dword v92, v90, s[0:3], 0 offen offset:4
	ds_read_b64 v[93:94], v89
	v_add_u32_e32 v88, 1, v88
	v_cmp_lt_u32_e32 vcc, 22, v88
	v_add_u32_e32 v89, 8, v89
	s_or_b64 s[8:9], vcc, s[8:9]
	v_add_u32_e32 v90, 8, v90
	s_waitcnt vmcnt(0) lgkmcnt(0)
	v_fma_f64 v[83:84], v[91:92], v[93:94], v[83:84]
	s_andn2_b64 exec, exec, s[8:9]
	s_cbranch_execnz .LBB40_103
; %bb.104:
	s_or_b64 exec, exec, s[8:9]
	v_mov_b32_e32 v88, 0
	ds_read_b64 v[88:89], v88 offset:192
	s_waitcnt lgkmcnt(0)
	v_mul_f64 v[83:84], v[83:84], v[88:89]
	buffer_store_dword v84, off, s[0:3], 0 offset:196
	buffer_store_dword v83, off, s[0:3], 0 offset:192
.LBB40_105:
	s_or_b64 exec, exec, s[4:5]
	; wave barrier
	buffer_load_dword v83, off, s[0:3], 0 offset:200
	buffer_load_dword v84, off, s[0:3], 0 offset:204
	v_cmp_gt_u32_e32 vcc, 25, v0
	s_waitcnt vmcnt(0)
	ds_write_b64 v86, v[83:84]
	s_waitcnt lgkmcnt(0)
	; wave barrier
	s_and_saveexec_b64 s[4:5], vcc
	s_cbranch_execz .LBB40_109
; %bb.106:
	v_mov_b32_e32 v83, 0
	v_add_u32_e32 v88, -1, v0
	v_add_u32_e32 v89, 0x150, v85
	v_mov_b32_e32 v90, v85
	v_mov_b32_e32 v84, 0
	s_mov_b64 s[8:9], 0
.LBB40_107:                             ; =>This Inner Loop Header: Depth=1
	buffer_load_dword v91, v90, s[0:3], 0 offen
	buffer_load_dword v92, v90, s[0:3], 0 offen offset:4
	ds_read_b64 v[93:94], v89
	v_add_u32_e32 v88, 1, v88
	v_cmp_lt_u32_e32 vcc, 23, v88
	v_add_u32_e32 v89, 8, v89
	s_or_b64 s[8:9], vcc, s[8:9]
	v_add_u32_e32 v90, 8, v90
	s_waitcnt vmcnt(0) lgkmcnt(0)
	v_fma_f64 v[83:84], v[91:92], v[93:94], v[83:84]
	s_andn2_b64 exec, exec, s[8:9]
	s_cbranch_execnz .LBB40_107
; %bb.108:
	s_or_b64 exec, exec, s[8:9]
	v_mov_b32_e32 v88, 0
	ds_read_b64 v[88:89], v88 offset:200
	s_waitcnt lgkmcnt(0)
	v_mul_f64 v[83:84], v[83:84], v[88:89]
	buffer_store_dword v84, off, s[0:3], 0 offset:204
	buffer_store_dword v83, off, s[0:3], 0 offset:200
.LBB40_109:
	s_or_b64 exec, exec, s[4:5]
	; wave barrier
	buffer_load_dword v83, off, s[0:3], 0 offset:208
	buffer_load_dword v84, off, s[0:3], 0 offset:212
	v_cmp_gt_u32_e32 vcc, 26, v0
	s_waitcnt vmcnt(0)
	ds_write_b64 v86, v[83:84]
	s_waitcnt lgkmcnt(0)
	; wave barrier
	s_and_saveexec_b64 s[4:5], vcc
	s_cbranch_execz .LBB40_113
; %bb.110:
	v_mov_b32_e32 v83, 0
	v_add_u32_e32 v88, -1, v0
	v_add_u32_e32 v89, 0x150, v85
	v_mov_b32_e32 v90, v85
	v_mov_b32_e32 v84, 0
	s_mov_b64 s[8:9], 0
.LBB40_111:                             ; =>This Inner Loop Header: Depth=1
	buffer_load_dword v91, v90, s[0:3], 0 offen
	buffer_load_dword v92, v90, s[0:3], 0 offen offset:4
	ds_read_b64 v[93:94], v89
	v_add_u32_e32 v88, 1, v88
	v_cmp_lt_u32_e32 vcc, 24, v88
	v_add_u32_e32 v89, 8, v89
	s_or_b64 s[8:9], vcc, s[8:9]
	v_add_u32_e32 v90, 8, v90
	s_waitcnt vmcnt(0) lgkmcnt(0)
	v_fma_f64 v[83:84], v[91:92], v[93:94], v[83:84]
	s_andn2_b64 exec, exec, s[8:9]
	s_cbranch_execnz .LBB40_111
; %bb.112:
	s_or_b64 exec, exec, s[8:9]
	v_mov_b32_e32 v88, 0
	ds_read_b64 v[88:89], v88 offset:208
	s_waitcnt lgkmcnt(0)
	v_mul_f64 v[83:84], v[83:84], v[88:89]
	buffer_store_dword v84, off, s[0:3], 0 offset:212
	buffer_store_dword v83, off, s[0:3], 0 offset:208
.LBB40_113:
	s_or_b64 exec, exec, s[4:5]
	; wave barrier
	buffer_load_dword v83, off, s[0:3], 0 offset:216
	buffer_load_dword v84, off, s[0:3], 0 offset:220
	v_cmp_gt_u32_e32 vcc, 27, v0
	s_waitcnt vmcnt(0)
	ds_write_b64 v86, v[83:84]
	s_waitcnt lgkmcnt(0)
	; wave barrier
	s_and_saveexec_b64 s[4:5], vcc
	s_cbranch_execz .LBB40_117
; %bb.114:
	v_mov_b32_e32 v83, 0
	v_add_u32_e32 v88, -1, v0
	v_add_u32_e32 v89, 0x150, v85
	v_mov_b32_e32 v90, v85
	v_mov_b32_e32 v84, 0
	s_mov_b64 s[8:9], 0
.LBB40_115:                             ; =>This Inner Loop Header: Depth=1
	buffer_load_dword v91, v90, s[0:3], 0 offen
	buffer_load_dword v92, v90, s[0:3], 0 offen offset:4
	ds_read_b64 v[93:94], v89
	v_add_u32_e32 v88, 1, v88
	v_cmp_lt_u32_e32 vcc, 25, v88
	v_add_u32_e32 v89, 8, v89
	s_or_b64 s[8:9], vcc, s[8:9]
	v_add_u32_e32 v90, 8, v90
	s_waitcnt vmcnt(0) lgkmcnt(0)
	v_fma_f64 v[83:84], v[91:92], v[93:94], v[83:84]
	s_andn2_b64 exec, exec, s[8:9]
	s_cbranch_execnz .LBB40_115
; %bb.116:
	s_or_b64 exec, exec, s[8:9]
	v_mov_b32_e32 v88, 0
	ds_read_b64 v[88:89], v88 offset:216
	s_waitcnt lgkmcnt(0)
	v_mul_f64 v[83:84], v[83:84], v[88:89]
	buffer_store_dword v84, off, s[0:3], 0 offset:220
	buffer_store_dword v83, off, s[0:3], 0 offset:216
.LBB40_117:
	s_or_b64 exec, exec, s[4:5]
	; wave barrier
	buffer_load_dword v83, off, s[0:3], 0 offset:224
	buffer_load_dword v84, off, s[0:3], 0 offset:228
	v_cmp_gt_u32_e32 vcc, 28, v0
	s_waitcnt vmcnt(0)
	ds_write_b64 v86, v[83:84]
	s_waitcnt lgkmcnt(0)
	; wave barrier
	s_and_saveexec_b64 s[4:5], vcc
	s_cbranch_execz .LBB40_121
; %bb.118:
	v_mov_b32_e32 v83, 0
	v_add_u32_e32 v88, -1, v0
	v_add_u32_e32 v89, 0x150, v85
	v_mov_b32_e32 v90, v85
	v_mov_b32_e32 v84, 0
	s_mov_b64 s[8:9], 0
.LBB40_119:                             ; =>This Inner Loop Header: Depth=1
	buffer_load_dword v91, v90, s[0:3], 0 offen
	buffer_load_dword v92, v90, s[0:3], 0 offen offset:4
	ds_read_b64 v[93:94], v89
	v_add_u32_e32 v88, 1, v88
	v_cmp_lt_u32_e32 vcc, 26, v88
	v_add_u32_e32 v89, 8, v89
	s_or_b64 s[8:9], vcc, s[8:9]
	v_add_u32_e32 v90, 8, v90
	s_waitcnt vmcnt(0) lgkmcnt(0)
	v_fma_f64 v[83:84], v[91:92], v[93:94], v[83:84]
	s_andn2_b64 exec, exec, s[8:9]
	s_cbranch_execnz .LBB40_119
; %bb.120:
	s_or_b64 exec, exec, s[8:9]
	v_mov_b32_e32 v88, 0
	ds_read_b64 v[88:89], v88 offset:224
	s_waitcnt lgkmcnt(0)
	v_mul_f64 v[83:84], v[83:84], v[88:89]
	buffer_store_dword v84, off, s[0:3], 0 offset:228
	buffer_store_dword v83, off, s[0:3], 0 offset:224
.LBB40_121:
	s_or_b64 exec, exec, s[4:5]
	; wave barrier
	buffer_load_dword v83, off, s[0:3], 0 offset:232
	buffer_load_dword v84, off, s[0:3], 0 offset:236
	v_cmp_gt_u32_e32 vcc, 29, v0
	s_waitcnt vmcnt(0)
	ds_write_b64 v86, v[83:84]
	s_waitcnt lgkmcnt(0)
	; wave barrier
	s_and_saveexec_b64 s[4:5], vcc
	s_cbranch_execz .LBB40_125
; %bb.122:
	v_mov_b32_e32 v83, 0
	v_add_u32_e32 v88, -1, v0
	v_add_u32_e32 v89, 0x150, v85
	v_mov_b32_e32 v90, v85
	v_mov_b32_e32 v84, 0
	s_mov_b64 s[8:9], 0
.LBB40_123:                             ; =>This Inner Loop Header: Depth=1
	buffer_load_dword v91, v90, s[0:3], 0 offen
	buffer_load_dword v92, v90, s[0:3], 0 offen offset:4
	ds_read_b64 v[93:94], v89
	v_add_u32_e32 v88, 1, v88
	v_cmp_lt_u32_e32 vcc, 27, v88
	v_add_u32_e32 v89, 8, v89
	s_or_b64 s[8:9], vcc, s[8:9]
	v_add_u32_e32 v90, 8, v90
	s_waitcnt vmcnt(0) lgkmcnt(0)
	v_fma_f64 v[83:84], v[91:92], v[93:94], v[83:84]
	s_andn2_b64 exec, exec, s[8:9]
	s_cbranch_execnz .LBB40_123
; %bb.124:
	s_or_b64 exec, exec, s[8:9]
	v_mov_b32_e32 v88, 0
	ds_read_b64 v[88:89], v88 offset:232
	s_waitcnt lgkmcnt(0)
	v_mul_f64 v[83:84], v[83:84], v[88:89]
	buffer_store_dword v84, off, s[0:3], 0 offset:236
	buffer_store_dword v83, off, s[0:3], 0 offset:232
.LBB40_125:
	s_or_b64 exec, exec, s[4:5]
	; wave barrier
	buffer_load_dword v83, off, s[0:3], 0 offset:240
	buffer_load_dword v84, off, s[0:3], 0 offset:244
	v_cmp_gt_u32_e32 vcc, 30, v0
	s_waitcnt vmcnt(0)
	ds_write_b64 v86, v[83:84]
	s_waitcnt lgkmcnt(0)
	; wave barrier
	s_and_saveexec_b64 s[4:5], vcc
	s_cbranch_execz .LBB40_129
; %bb.126:
	v_mov_b32_e32 v83, 0
	v_add_u32_e32 v88, -1, v0
	v_add_u32_e32 v89, 0x150, v85
	v_mov_b32_e32 v90, v85
	v_mov_b32_e32 v84, 0
	s_mov_b64 s[8:9], 0
.LBB40_127:                             ; =>This Inner Loop Header: Depth=1
	buffer_load_dword v91, v90, s[0:3], 0 offen
	buffer_load_dword v92, v90, s[0:3], 0 offen offset:4
	ds_read_b64 v[93:94], v89
	v_add_u32_e32 v88, 1, v88
	v_cmp_lt_u32_e32 vcc, 28, v88
	v_add_u32_e32 v89, 8, v89
	s_or_b64 s[8:9], vcc, s[8:9]
	v_add_u32_e32 v90, 8, v90
	s_waitcnt vmcnt(0) lgkmcnt(0)
	v_fma_f64 v[83:84], v[91:92], v[93:94], v[83:84]
	s_andn2_b64 exec, exec, s[8:9]
	s_cbranch_execnz .LBB40_127
; %bb.128:
	s_or_b64 exec, exec, s[8:9]
	v_mov_b32_e32 v88, 0
	ds_read_b64 v[88:89], v88 offset:240
	s_waitcnt lgkmcnt(0)
	v_mul_f64 v[83:84], v[83:84], v[88:89]
	buffer_store_dword v84, off, s[0:3], 0 offset:244
	buffer_store_dword v83, off, s[0:3], 0 offset:240
.LBB40_129:
	s_or_b64 exec, exec, s[4:5]
	; wave barrier
	buffer_load_dword v83, off, s[0:3], 0 offset:248
	buffer_load_dword v84, off, s[0:3], 0 offset:252
	v_cmp_gt_u32_e32 vcc, 31, v0
	s_waitcnt vmcnt(0)
	ds_write_b64 v86, v[83:84]
	s_waitcnt lgkmcnt(0)
	; wave barrier
	s_and_saveexec_b64 s[4:5], vcc
	s_cbranch_execz .LBB40_133
; %bb.130:
	v_mov_b32_e32 v83, 0
	v_add_u32_e32 v88, -1, v0
	v_add_u32_e32 v89, 0x150, v85
	v_mov_b32_e32 v90, v85
	v_mov_b32_e32 v84, 0
	s_mov_b64 s[8:9], 0
.LBB40_131:                             ; =>This Inner Loop Header: Depth=1
	buffer_load_dword v91, v90, s[0:3], 0 offen
	buffer_load_dword v92, v90, s[0:3], 0 offen offset:4
	ds_read_b64 v[93:94], v89
	v_add_u32_e32 v88, 1, v88
	v_cmp_lt_u32_e32 vcc, 29, v88
	v_add_u32_e32 v89, 8, v89
	s_or_b64 s[8:9], vcc, s[8:9]
	v_add_u32_e32 v90, 8, v90
	s_waitcnt vmcnt(0) lgkmcnt(0)
	v_fma_f64 v[83:84], v[91:92], v[93:94], v[83:84]
	s_andn2_b64 exec, exec, s[8:9]
	s_cbranch_execnz .LBB40_131
; %bb.132:
	s_or_b64 exec, exec, s[8:9]
	v_mov_b32_e32 v88, 0
	ds_read_b64 v[88:89], v88 offset:248
	s_waitcnt lgkmcnt(0)
	v_mul_f64 v[83:84], v[83:84], v[88:89]
	buffer_store_dword v84, off, s[0:3], 0 offset:252
	buffer_store_dword v83, off, s[0:3], 0 offset:248
.LBB40_133:
	s_or_b64 exec, exec, s[4:5]
	; wave barrier
	buffer_load_dword v83, off, s[0:3], 0 offset:256
	buffer_load_dword v84, off, s[0:3], 0 offset:260
	v_cmp_gt_u32_e32 vcc, 32, v0
	s_waitcnt vmcnt(0)
	ds_write_b64 v86, v[83:84]
	s_waitcnt lgkmcnt(0)
	; wave barrier
	s_and_saveexec_b64 s[4:5], vcc
	s_cbranch_execz .LBB40_137
; %bb.134:
	v_mov_b32_e32 v83, 0
	v_add_u32_e32 v88, -1, v0
	v_add_u32_e32 v89, 0x150, v85
	v_mov_b32_e32 v90, v85
	v_mov_b32_e32 v84, 0
	s_mov_b64 s[8:9], 0
.LBB40_135:                             ; =>This Inner Loop Header: Depth=1
	buffer_load_dword v91, v90, s[0:3], 0 offen
	buffer_load_dword v92, v90, s[0:3], 0 offen offset:4
	ds_read_b64 v[93:94], v89
	v_add_u32_e32 v88, 1, v88
	v_cmp_lt_u32_e32 vcc, 30, v88
	v_add_u32_e32 v89, 8, v89
	s_or_b64 s[8:9], vcc, s[8:9]
	v_add_u32_e32 v90, 8, v90
	s_waitcnt vmcnt(0) lgkmcnt(0)
	v_fma_f64 v[83:84], v[91:92], v[93:94], v[83:84]
	s_andn2_b64 exec, exec, s[8:9]
	s_cbranch_execnz .LBB40_135
; %bb.136:
	s_or_b64 exec, exec, s[8:9]
	v_mov_b32_e32 v88, 0
	ds_read_b64 v[88:89], v88 offset:256
	s_waitcnt lgkmcnt(0)
	v_mul_f64 v[83:84], v[83:84], v[88:89]
	buffer_store_dword v84, off, s[0:3], 0 offset:260
	buffer_store_dword v83, off, s[0:3], 0 offset:256
.LBB40_137:
	s_or_b64 exec, exec, s[4:5]
	; wave barrier
	buffer_load_dword v83, off, s[0:3], 0 offset:264
	buffer_load_dword v84, off, s[0:3], 0 offset:268
	v_cmp_gt_u32_e32 vcc, 33, v0
	s_waitcnt vmcnt(0)
	ds_write_b64 v86, v[83:84]
	s_waitcnt lgkmcnt(0)
	; wave barrier
	s_and_saveexec_b64 s[4:5], vcc
	s_cbranch_execz .LBB40_141
; %bb.138:
	v_mov_b32_e32 v83, 0
	v_add_u32_e32 v88, -1, v0
	v_add_u32_e32 v89, 0x150, v85
	v_mov_b32_e32 v90, v85
	v_mov_b32_e32 v84, 0
	s_mov_b64 s[8:9], 0
.LBB40_139:                             ; =>This Inner Loop Header: Depth=1
	buffer_load_dword v91, v90, s[0:3], 0 offen
	buffer_load_dword v92, v90, s[0:3], 0 offen offset:4
	ds_read_b64 v[93:94], v89
	v_add_u32_e32 v88, 1, v88
	v_cmp_lt_u32_e32 vcc, 31, v88
	v_add_u32_e32 v89, 8, v89
	s_or_b64 s[8:9], vcc, s[8:9]
	v_add_u32_e32 v90, 8, v90
	s_waitcnt vmcnt(0) lgkmcnt(0)
	v_fma_f64 v[83:84], v[91:92], v[93:94], v[83:84]
	s_andn2_b64 exec, exec, s[8:9]
	s_cbranch_execnz .LBB40_139
; %bb.140:
	s_or_b64 exec, exec, s[8:9]
	v_mov_b32_e32 v88, 0
	ds_read_b64 v[88:89], v88 offset:264
	s_waitcnt lgkmcnt(0)
	v_mul_f64 v[83:84], v[83:84], v[88:89]
	buffer_store_dword v84, off, s[0:3], 0 offset:268
	buffer_store_dword v83, off, s[0:3], 0 offset:264
.LBB40_141:
	s_or_b64 exec, exec, s[4:5]
	; wave barrier
	buffer_load_dword v83, off, s[0:3], 0 offset:272
	buffer_load_dword v84, off, s[0:3], 0 offset:276
	v_cmp_gt_u32_e32 vcc, 34, v0
	s_waitcnt vmcnt(0)
	ds_write_b64 v86, v[83:84]
	s_waitcnt lgkmcnt(0)
	; wave barrier
	s_and_saveexec_b64 s[4:5], vcc
	s_cbranch_execz .LBB40_145
; %bb.142:
	v_mov_b32_e32 v83, 0
	v_add_u32_e32 v88, -1, v0
	v_add_u32_e32 v89, 0x150, v85
	v_mov_b32_e32 v90, v85
	v_mov_b32_e32 v84, 0
	s_mov_b64 s[8:9], 0
.LBB40_143:                             ; =>This Inner Loop Header: Depth=1
	buffer_load_dword v91, v90, s[0:3], 0 offen
	buffer_load_dword v92, v90, s[0:3], 0 offen offset:4
	ds_read_b64 v[93:94], v89
	v_add_u32_e32 v88, 1, v88
	v_cmp_lt_u32_e32 vcc, 32, v88
	v_add_u32_e32 v89, 8, v89
	s_or_b64 s[8:9], vcc, s[8:9]
	v_add_u32_e32 v90, 8, v90
	s_waitcnt vmcnt(0) lgkmcnt(0)
	v_fma_f64 v[83:84], v[91:92], v[93:94], v[83:84]
	s_andn2_b64 exec, exec, s[8:9]
	s_cbranch_execnz .LBB40_143
; %bb.144:
	s_or_b64 exec, exec, s[8:9]
	v_mov_b32_e32 v88, 0
	ds_read_b64 v[88:89], v88 offset:272
	s_waitcnt lgkmcnt(0)
	v_mul_f64 v[83:84], v[83:84], v[88:89]
	buffer_store_dword v84, off, s[0:3], 0 offset:276
	buffer_store_dword v83, off, s[0:3], 0 offset:272
.LBB40_145:
	s_or_b64 exec, exec, s[4:5]
	; wave barrier
	buffer_load_dword v83, off, s[0:3], 0 offset:280
	buffer_load_dword v84, off, s[0:3], 0 offset:284
	v_cmp_gt_u32_e32 vcc, 35, v0
	s_waitcnt vmcnt(0)
	ds_write_b64 v86, v[83:84]
	s_waitcnt lgkmcnt(0)
	; wave barrier
	s_and_saveexec_b64 s[4:5], vcc
	s_cbranch_execz .LBB40_149
; %bb.146:
	v_mov_b32_e32 v83, 0
	v_add_u32_e32 v88, -1, v0
	v_add_u32_e32 v89, 0x150, v85
	v_mov_b32_e32 v90, v85
	v_mov_b32_e32 v84, 0
	s_mov_b64 s[8:9], 0
.LBB40_147:                             ; =>This Inner Loop Header: Depth=1
	buffer_load_dword v91, v90, s[0:3], 0 offen
	buffer_load_dword v92, v90, s[0:3], 0 offen offset:4
	ds_read_b64 v[93:94], v89
	v_add_u32_e32 v88, 1, v88
	v_cmp_lt_u32_e32 vcc, 33, v88
	v_add_u32_e32 v89, 8, v89
	s_or_b64 s[8:9], vcc, s[8:9]
	v_add_u32_e32 v90, 8, v90
	s_waitcnt vmcnt(0) lgkmcnt(0)
	v_fma_f64 v[83:84], v[91:92], v[93:94], v[83:84]
	s_andn2_b64 exec, exec, s[8:9]
	s_cbranch_execnz .LBB40_147
; %bb.148:
	s_or_b64 exec, exec, s[8:9]
	v_mov_b32_e32 v88, 0
	ds_read_b64 v[88:89], v88 offset:280
	s_waitcnt lgkmcnt(0)
	v_mul_f64 v[83:84], v[83:84], v[88:89]
	buffer_store_dword v84, off, s[0:3], 0 offset:284
	buffer_store_dword v83, off, s[0:3], 0 offset:280
.LBB40_149:
	s_or_b64 exec, exec, s[4:5]
	; wave barrier
	buffer_load_dword v83, off, s[0:3], 0 offset:288
	buffer_load_dword v84, off, s[0:3], 0 offset:292
	v_cmp_gt_u32_e32 vcc, 36, v0
	s_waitcnt vmcnt(0)
	ds_write_b64 v86, v[83:84]
	s_waitcnt lgkmcnt(0)
	; wave barrier
	s_and_saveexec_b64 s[4:5], vcc
	s_cbranch_execz .LBB40_153
; %bb.150:
	v_mov_b32_e32 v83, 0
	v_add_u32_e32 v88, -1, v0
	v_add_u32_e32 v89, 0x150, v85
	v_mov_b32_e32 v90, v85
	v_mov_b32_e32 v84, 0
	s_mov_b64 s[8:9], 0
.LBB40_151:                             ; =>This Inner Loop Header: Depth=1
	buffer_load_dword v91, v90, s[0:3], 0 offen
	buffer_load_dword v92, v90, s[0:3], 0 offen offset:4
	ds_read_b64 v[93:94], v89
	v_add_u32_e32 v88, 1, v88
	v_cmp_lt_u32_e32 vcc, 34, v88
	v_add_u32_e32 v89, 8, v89
	s_or_b64 s[8:9], vcc, s[8:9]
	v_add_u32_e32 v90, 8, v90
	s_waitcnt vmcnt(0) lgkmcnt(0)
	v_fma_f64 v[83:84], v[91:92], v[93:94], v[83:84]
	s_andn2_b64 exec, exec, s[8:9]
	s_cbranch_execnz .LBB40_151
; %bb.152:
	s_or_b64 exec, exec, s[8:9]
	v_mov_b32_e32 v88, 0
	ds_read_b64 v[88:89], v88 offset:288
	s_waitcnt lgkmcnt(0)
	v_mul_f64 v[83:84], v[83:84], v[88:89]
	buffer_store_dword v84, off, s[0:3], 0 offset:292
	buffer_store_dword v83, off, s[0:3], 0 offset:288
.LBB40_153:
	s_or_b64 exec, exec, s[4:5]
	; wave barrier
	buffer_load_dword v83, off, s[0:3], 0 offset:296
	buffer_load_dword v84, off, s[0:3], 0 offset:300
	v_cmp_gt_u32_e32 vcc, 37, v0
	s_waitcnt vmcnt(0)
	ds_write_b64 v86, v[83:84]
	s_waitcnt lgkmcnt(0)
	; wave barrier
	s_and_saveexec_b64 s[4:5], vcc
	s_cbranch_execz .LBB40_157
; %bb.154:
	v_mov_b32_e32 v83, 0
	v_add_u32_e32 v88, -1, v0
	v_add_u32_e32 v89, 0x150, v85
	v_mov_b32_e32 v90, v85
	v_mov_b32_e32 v84, 0
	s_mov_b64 s[8:9], 0
.LBB40_155:                             ; =>This Inner Loop Header: Depth=1
	buffer_load_dword v91, v90, s[0:3], 0 offen
	buffer_load_dword v92, v90, s[0:3], 0 offen offset:4
	ds_read_b64 v[93:94], v89
	v_add_u32_e32 v88, 1, v88
	v_cmp_lt_u32_e32 vcc, 35, v88
	v_add_u32_e32 v89, 8, v89
	s_or_b64 s[8:9], vcc, s[8:9]
	v_add_u32_e32 v90, 8, v90
	s_waitcnt vmcnt(0) lgkmcnt(0)
	v_fma_f64 v[83:84], v[91:92], v[93:94], v[83:84]
	s_andn2_b64 exec, exec, s[8:9]
	s_cbranch_execnz .LBB40_155
; %bb.156:
	s_or_b64 exec, exec, s[8:9]
	v_mov_b32_e32 v88, 0
	ds_read_b64 v[88:89], v88 offset:296
	s_waitcnt lgkmcnt(0)
	v_mul_f64 v[83:84], v[83:84], v[88:89]
	buffer_store_dword v84, off, s[0:3], 0 offset:300
	buffer_store_dword v83, off, s[0:3], 0 offset:296
.LBB40_157:
	s_or_b64 exec, exec, s[4:5]
	; wave barrier
	buffer_load_dword v83, off, s[0:3], 0 offset:304
	buffer_load_dword v84, off, s[0:3], 0 offset:308
	v_cmp_gt_u32_e32 vcc, 38, v0
	s_waitcnt vmcnt(0)
	ds_write_b64 v86, v[83:84]
	s_waitcnt lgkmcnt(0)
	; wave barrier
	s_and_saveexec_b64 s[4:5], vcc
	s_cbranch_execz .LBB40_161
; %bb.158:
	v_mov_b32_e32 v83, 0
	v_add_u32_e32 v88, -1, v0
	v_add_u32_e32 v89, 0x150, v85
	v_mov_b32_e32 v90, v85
	v_mov_b32_e32 v84, 0
	s_mov_b64 s[8:9], 0
.LBB40_159:                             ; =>This Inner Loop Header: Depth=1
	buffer_load_dword v91, v90, s[0:3], 0 offen
	buffer_load_dword v92, v90, s[0:3], 0 offen offset:4
	ds_read_b64 v[93:94], v89
	v_add_u32_e32 v88, 1, v88
	v_cmp_lt_u32_e32 vcc, 36, v88
	v_add_u32_e32 v89, 8, v89
	s_or_b64 s[8:9], vcc, s[8:9]
	v_add_u32_e32 v90, 8, v90
	s_waitcnt vmcnt(0) lgkmcnt(0)
	v_fma_f64 v[83:84], v[91:92], v[93:94], v[83:84]
	s_andn2_b64 exec, exec, s[8:9]
	s_cbranch_execnz .LBB40_159
; %bb.160:
	s_or_b64 exec, exec, s[8:9]
	v_mov_b32_e32 v88, 0
	ds_read_b64 v[88:89], v88 offset:304
	s_waitcnt lgkmcnt(0)
	v_mul_f64 v[83:84], v[83:84], v[88:89]
	buffer_store_dword v84, off, s[0:3], 0 offset:308
	buffer_store_dword v83, off, s[0:3], 0 offset:304
.LBB40_161:
	s_or_b64 exec, exec, s[4:5]
	; wave barrier
	buffer_load_dword v83, off, s[0:3], 0 offset:312
	buffer_load_dword v84, off, s[0:3], 0 offset:316
	v_cmp_gt_u32_e32 vcc, 39, v0
	s_waitcnt vmcnt(0)
	ds_write_b64 v86, v[83:84]
	s_waitcnt lgkmcnt(0)
	; wave barrier
	s_and_saveexec_b64 s[4:5], vcc
	s_cbranch_execz .LBB40_165
; %bb.162:
	v_mov_b32_e32 v83, 0
	v_add_u32_e32 v88, -1, v0
	v_add_u32_e32 v89, 0x150, v85
	v_mov_b32_e32 v90, v85
	v_mov_b32_e32 v84, 0
	s_mov_b64 s[8:9], 0
.LBB40_163:                             ; =>This Inner Loop Header: Depth=1
	buffer_load_dword v91, v90, s[0:3], 0 offen
	buffer_load_dword v92, v90, s[0:3], 0 offen offset:4
	ds_read_b64 v[93:94], v89
	v_add_u32_e32 v88, 1, v88
	v_cmp_lt_u32_e32 vcc, 37, v88
	v_add_u32_e32 v89, 8, v89
	s_or_b64 s[8:9], vcc, s[8:9]
	v_add_u32_e32 v90, 8, v90
	s_waitcnt vmcnt(0) lgkmcnt(0)
	v_fma_f64 v[83:84], v[91:92], v[93:94], v[83:84]
	s_andn2_b64 exec, exec, s[8:9]
	s_cbranch_execnz .LBB40_163
; %bb.164:
	s_or_b64 exec, exec, s[8:9]
	v_mov_b32_e32 v88, 0
	ds_read_b64 v[88:89], v88 offset:312
	s_waitcnt lgkmcnt(0)
	v_mul_f64 v[83:84], v[83:84], v[88:89]
	buffer_store_dword v84, off, s[0:3], 0 offset:316
	buffer_store_dword v83, off, s[0:3], 0 offset:312
.LBB40_165:
	s_or_b64 exec, exec, s[4:5]
	; wave barrier
	buffer_load_dword v83, off, s[0:3], 0 offset:320
	buffer_load_dword v84, off, s[0:3], 0 offset:324
	v_cmp_ne_u32_e32 vcc, 40, v0
	s_waitcnt vmcnt(0)
	ds_write_b64 v86, v[83:84]
	s_waitcnt lgkmcnt(0)
	; wave barrier
	s_and_saveexec_b64 s[4:5], vcc
	s_cbranch_execz .LBB40_169
; %bb.166:
	v_mov_b32_e32 v83, 0
	v_add_u32_e32 v86, 0x150, v85
	v_mov_b32_e32 v84, 0
	s_mov_b64 s[8:9], 0
.LBB40_167:                             ; =>This Inner Loop Header: Depth=1
	buffer_load_dword v88, v85, s[0:3], 0 offen
	buffer_load_dword v89, v85, s[0:3], 0 offen offset:4
	ds_read_b64 v[90:91], v86
	v_add_u32_e32 v87, 1, v87
	v_cmp_lt_u32_e32 vcc, 38, v87
	v_add_u32_e32 v86, 8, v86
	s_or_b64 s[8:9], vcc, s[8:9]
	v_add_u32_e32 v85, 8, v85
	s_waitcnt vmcnt(0) lgkmcnt(0)
	v_fma_f64 v[83:84], v[88:89], v[90:91], v[83:84]
	s_andn2_b64 exec, exec, s[8:9]
	s_cbranch_execnz .LBB40_167
; %bb.168:
	s_or_b64 exec, exec, s[8:9]
	v_mov_b32_e32 v85, 0
	ds_read_b64 v[85:86], v85 offset:320
	s_waitcnt lgkmcnt(0)
	v_mul_f64 v[83:84], v[83:84], v[85:86]
	buffer_store_dword v84, off, s[0:3], 0 offset:324
	buffer_store_dword v83, off, s[0:3], 0 offset:320
.LBB40_169:
	s_or_b64 exec, exec, s[4:5]
	s_mov_b64 s[8:9], -1
	; wave barrier
.LBB40_170:
	s_and_b64 vcc, exec, s[8:9]
	s_cbranch_vccz .LBB40_172
; %bb.171:
	s_lshl_b64 s[4:5], s[6:7], 2
	s_add_u32 s4, s10, s4
	s_addc_u32 s5, s11, s5
	v_mov_b32_e32 v83, 0
	global_load_dword v83, v83, s[4:5]
	s_waitcnt vmcnt(0)
	v_cmp_ne_u32_e32 vcc, 0, v83
	s_cbranch_vccz .LBB40_173
.LBB40_172:
	s_endpgm
.LBB40_173:
	v_mov_b32_e32 v83, 0x150
	v_lshl_add_u32 v83, v0, 3, v83
	v_cmp_eq_u32_e32 vcc, 40, v0
	s_and_saveexec_b64 s[4:5], vcc
	s_cbranch_execz .LBB40_175
; %bb.174:
	buffer_load_dword v84, off, s[0:3], 0 offset:312
	buffer_load_dword v85, off, s[0:3], 0 offset:316
	v_mov_b32_e32 v86, 0
	buffer_store_dword v86, off, s[0:3], 0 offset:312
	buffer_store_dword v86, off, s[0:3], 0 offset:316
	s_waitcnt vmcnt(2)
	ds_write_b64 v83, v[84:85]
.LBB40_175:
	s_or_b64 exec, exec, s[4:5]
	s_waitcnt lgkmcnt(0)
	; wave barrier
	buffer_load_dword v85, off, s[0:3], 0 offset:320
	buffer_load_dword v86, off, s[0:3], 0 offset:324
	;; [unrolled: 1-line block ×4, first 2 shown]
	v_mov_b32_e32 v84, 0
	ds_read_b64 v[89:90], v84 offset:656
	v_cmp_lt_u32_e32 vcc, 38, v0
	s_waitcnt vmcnt(2) lgkmcnt(0)
	v_fma_f64 v[85:86], v[85:86], v[89:90], 0
	s_waitcnt vmcnt(0)
	v_add_f64 v[85:86], v[87:88], -v[85:86]
	buffer_store_dword v85, off, s[0:3], 0 offset:312
	buffer_store_dword v86, off, s[0:3], 0 offset:316
	s_and_saveexec_b64 s[4:5], vcc
	s_cbranch_execz .LBB40_177
; %bb.176:
	buffer_load_dword v85, off, s[0:3], 0 offset:304
	buffer_load_dword v86, off, s[0:3], 0 offset:308
	s_waitcnt vmcnt(0)
	ds_write_b64 v83, v[85:86]
	buffer_store_dword v84, off, s[0:3], 0 offset:304
	buffer_store_dword v84, off, s[0:3], 0 offset:308
.LBB40_177:
	s_or_b64 exec, exec, s[4:5]
	s_waitcnt lgkmcnt(0)
	; wave barrier
	buffer_load_dword v88, off, s[0:3], 0 offset:312
	buffer_load_dword v89, off, s[0:3], 0 offset:316
	;; [unrolled: 1-line block ×6, first 2 shown]
	ds_read2_b64 v[84:87], v84 offset0:81 offset1:82
	v_cmp_lt_u32_e32 vcc, 37, v0
	s_waitcnt vmcnt(4) lgkmcnt(0)
	v_fma_f64 v[84:85], v[88:89], v[84:85], 0
	s_waitcnt vmcnt(2)
	v_fma_f64 v[84:85], v[90:91], v[86:87], v[84:85]
	s_waitcnt vmcnt(0)
	v_add_f64 v[84:85], v[92:93], -v[84:85]
	buffer_store_dword v84, off, s[0:3], 0 offset:304
	buffer_store_dword v85, off, s[0:3], 0 offset:308
	s_and_saveexec_b64 s[4:5], vcc
	s_cbranch_execz .LBB40_179
; %bb.178:
	buffer_load_dword v84, off, s[0:3], 0 offset:296
	buffer_load_dword v85, off, s[0:3], 0 offset:300
	v_mov_b32_e32 v86, 0
	buffer_store_dword v86, off, s[0:3], 0 offset:296
	buffer_store_dword v86, off, s[0:3], 0 offset:300
	s_waitcnt vmcnt(2)
	ds_write_b64 v83, v[84:85]
.LBB40_179:
	s_or_b64 exec, exec, s[4:5]
	s_waitcnt lgkmcnt(0)
	; wave barrier
	buffer_load_dword v89, off, s[0:3], 0 offset:304
	buffer_load_dword v90, off, s[0:3], 0 offset:308
	;; [unrolled: 1-line block ×8, first 2 shown]
	v_mov_b32_e32 v84, 0
	ds_read_b128 v[85:88], v84 offset:640
	ds_read_b64 v[97:98], v84 offset:656
	v_cmp_lt_u32_e32 vcc, 36, v0
	s_waitcnt vmcnt(6) lgkmcnt(1)
	v_fma_f64 v[85:86], v[89:90], v[85:86], 0
	s_waitcnt vmcnt(4)
	v_fma_f64 v[85:86], v[91:92], v[87:88], v[85:86]
	s_waitcnt vmcnt(2) lgkmcnt(0)
	v_fma_f64 v[85:86], v[93:94], v[97:98], v[85:86]
	s_waitcnt vmcnt(0)
	v_add_f64 v[85:86], v[95:96], -v[85:86]
	buffer_store_dword v85, off, s[0:3], 0 offset:296
	buffer_store_dword v86, off, s[0:3], 0 offset:300
	s_and_saveexec_b64 s[4:5], vcc
	s_cbranch_execz .LBB40_181
; %bb.180:
	buffer_load_dword v85, off, s[0:3], 0 offset:288
	buffer_load_dword v86, off, s[0:3], 0 offset:292
	s_waitcnt vmcnt(0)
	ds_write_b64 v83, v[85:86]
	buffer_store_dword v84, off, s[0:3], 0 offset:288
	buffer_store_dword v84, off, s[0:3], 0 offset:292
.LBB40_181:
	s_or_b64 exec, exec, s[4:5]
	s_waitcnt lgkmcnt(0)
	; wave barrier
	buffer_load_dword v93, off, s[0:3], 0 offset:296
	buffer_load_dword v94, off, s[0:3], 0 offset:300
	buffer_load_dword v95, off, s[0:3], 0 offset:304
	buffer_load_dword v96, off, s[0:3], 0 offset:308
	buffer_load_dword v97, off, s[0:3], 0 offset:312
	buffer_load_dword v98, off, s[0:3], 0 offset:316
	buffer_load_dword v99, off, s[0:3], 0 offset:320
	buffer_load_dword v100, off, s[0:3], 0 offset:324
	buffer_load_dword v101, off, s[0:3], 0 offset:288
	buffer_load_dword v102, off, s[0:3], 0 offset:292
	ds_read2_b64 v[85:88], v84 offset0:79 offset1:80
	ds_read2_b64 v[89:92], v84 offset0:81 offset1:82
	v_cmp_lt_u32_e32 vcc, 35, v0
	s_waitcnt vmcnt(8) lgkmcnt(1)
	v_fma_f64 v[84:85], v[93:94], v[85:86], 0
	s_waitcnt vmcnt(6)
	v_fma_f64 v[84:85], v[95:96], v[87:88], v[84:85]
	s_waitcnt vmcnt(4) lgkmcnt(0)
	v_fma_f64 v[84:85], v[97:98], v[89:90], v[84:85]
	s_waitcnt vmcnt(2)
	v_fma_f64 v[84:85], v[99:100], v[91:92], v[84:85]
	s_waitcnt vmcnt(0)
	v_add_f64 v[84:85], v[101:102], -v[84:85]
	buffer_store_dword v84, off, s[0:3], 0 offset:288
	buffer_store_dword v85, off, s[0:3], 0 offset:292
	s_and_saveexec_b64 s[4:5], vcc
	s_cbranch_execz .LBB40_183
; %bb.182:
	buffer_load_dword v84, off, s[0:3], 0 offset:280
	buffer_load_dword v85, off, s[0:3], 0 offset:284
	v_mov_b32_e32 v86, 0
	buffer_store_dword v86, off, s[0:3], 0 offset:280
	buffer_store_dword v86, off, s[0:3], 0 offset:284
	s_waitcnt vmcnt(2)
	ds_write_b64 v83, v[84:85]
.LBB40_183:
	s_or_b64 exec, exec, s[4:5]
	s_waitcnt lgkmcnt(0)
	; wave barrier
	buffer_load_dword v93, off, s[0:3], 0 offset:288
	buffer_load_dword v94, off, s[0:3], 0 offset:292
	;; [unrolled: 1-line block ×12, first 2 shown]
	v_mov_b32_e32 v84, 0
	ds_read_b128 v[85:88], v84 offset:624
	ds_read_b128 v[89:92], v84 offset:640
	v_cmp_lt_u32_e32 vcc, 34, v0
	s_waitcnt vmcnt(10) lgkmcnt(1)
	v_fma_f64 v[85:86], v[93:94], v[85:86], 0
	s_waitcnt vmcnt(8)
	v_fma_f64 v[85:86], v[95:96], v[87:88], v[85:86]
	ds_read_b64 v[87:88], v84 offset:656
	s_waitcnt vmcnt(6) lgkmcnt(1)
	v_fma_f64 v[85:86], v[97:98], v[89:90], v[85:86]
	s_waitcnt vmcnt(4)
	v_fma_f64 v[85:86], v[99:100], v[91:92], v[85:86]
	s_waitcnt vmcnt(2) lgkmcnt(0)
	v_fma_f64 v[85:86], v[101:102], v[87:88], v[85:86]
	s_waitcnt vmcnt(0)
	v_add_f64 v[85:86], v[103:104], -v[85:86]
	buffer_store_dword v85, off, s[0:3], 0 offset:280
	buffer_store_dword v86, off, s[0:3], 0 offset:284
	s_and_saveexec_b64 s[4:5], vcc
	s_cbranch_execz .LBB40_185
; %bb.184:
	buffer_load_dword v85, off, s[0:3], 0 offset:272
	buffer_load_dword v86, off, s[0:3], 0 offset:276
	s_waitcnt vmcnt(0)
	ds_write_b64 v83, v[85:86]
	buffer_store_dword v84, off, s[0:3], 0 offset:272
	buffer_store_dword v84, off, s[0:3], 0 offset:276
.LBB40_185:
	s_or_b64 exec, exec, s[4:5]
	s_waitcnt lgkmcnt(0)
	; wave barrier
	buffer_load_dword v93, off, s[0:3], 0 offset:280
	buffer_load_dword v94, off, s[0:3], 0 offset:284
	;; [unrolled: 1-line block ×14, first 2 shown]
	ds_read2_b64 v[85:88], v84 offset0:77 offset1:78
	ds_read2_b64 v[89:92], v84 offset0:79 offset1:80
	v_cmp_lt_u32_e32 vcc, 33, v0
	s_waitcnt vmcnt(12) lgkmcnt(1)
	v_fma_f64 v[85:86], v[93:94], v[85:86], 0
	s_waitcnt vmcnt(10)
	v_fma_f64 v[85:86], v[95:96], v[87:88], v[85:86]
	s_waitcnt vmcnt(8) lgkmcnt(0)
	v_fma_f64 v[85:86], v[97:98], v[89:90], v[85:86]
	s_waitcnt vmcnt(6)
	v_fma_f64 v[88:89], v[99:100], v[91:92], v[85:86]
	ds_read2_b64 v[84:87], v84 offset0:81 offset1:82
	s_waitcnt vmcnt(4) lgkmcnt(0)
	v_fma_f64 v[84:85], v[101:102], v[84:85], v[88:89]
	s_waitcnt vmcnt(2)
	v_fma_f64 v[84:85], v[103:104], v[86:87], v[84:85]
	s_waitcnt vmcnt(0)
	v_add_f64 v[84:85], v[105:106], -v[84:85]
	buffer_store_dword v84, off, s[0:3], 0 offset:272
	buffer_store_dword v85, off, s[0:3], 0 offset:276
	s_and_saveexec_b64 s[4:5], vcc
	s_cbranch_execz .LBB40_187
; %bb.186:
	buffer_load_dword v84, off, s[0:3], 0 offset:264
	buffer_load_dword v85, off, s[0:3], 0 offset:268
	v_mov_b32_e32 v86, 0
	buffer_store_dword v86, off, s[0:3], 0 offset:264
	buffer_store_dword v86, off, s[0:3], 0 offset:268
	s_waitcnt vmcnt(2)
	ds_write_b64 v83, v[84:85]
.LBB40_187:
	s_or_b64 exec, exec, s[4:5]
	s_waitcnt lgkmcnt(0)
	; wave barrier
	buffer_load_dword v93, off, s[0:3], 0 offset:272
	buffer_load_dword v94, off, s[0:3], 0 offset:276
	buffer_load_dword v95, off, s[0:3], 0 offset:280
	buffer_load_dword v96, off, s[0:3], 0 offset:284
	buffer_load_dword v97, off, s[0:3], 0 offset:288
	buffer_load_dword v98, off, s[0:3], 0 offset:292
	buffer_load_dword v99, off, s[0:3], 0 offset:296
	buffer_load_dword v100, off, s[0:3], 0 offset:300
	buffer_load_dword v101, off, s[0:3], 0 offset:304
	buffer_load_dword v102, off, s[0:3], 0 offset:308
	buffer_load_dword v103, off, s[0:3], 0 offset:312
	buffer_load_dword v104, off, s[0:3], 0 offset:316
	buffer_load_dword v105, off, s[0:3], 0 offset:320
	buffer_load_dword v106, off, s[0:3], 0 offset:324
	buffer_load_dword v107, off, s[0:3], 0 offset:264
	buffer_load_dword v108, off, s[0:3], 0 offset:268
	v_mov_b32_e32 v84, 0
	ds_read_b128 v[85:88], v84 offset:608
	ds_read_b128 v[89:92], v84 offset:624
	v_cmp_lt_u32_e32 vcc, 32, v0
	s_waitcnt vmcnt(14) lgkmcnt(1)
	v_fma_f64 v[85:86], v[93:94], v[85:86], 0
	s_waitcnt vmcnt(12)
	v_fma_f64 v[85:86], v[95:96], v[87:88], v[85:86]
	s_waitcnt vmcnt(10) lgkmcnt(0)
	v_fma_f64 v[85:86], v[97:98], v[89:90], v[85:86]
	s_waitcnt vmcnt(8)
	v_fma_f64 v[89:90], v[99:100], v[91:92], v[85:86]
	ds_read_b128 v[85:88], v84 offset:640
	ds_read_b64 v[91:92], v84 offset:656
	s_waitcnt vmcnt(6) lgkmcnt(1)
	v_fma_f64 v[85:86], v[101:102], v[85:86], v[89:90]
	s_waitcnt vmcnt(4)
	v_fma_f64 v[85:86], v[103:104], v[87:88], v[85:86]
	s_waitcnt vmcnt(2) lgkmcnt(0)
	v_fma_f64 v[85:86], v[105:106], v[91:92], v[85:86]
	s_waitcnt vmcnt(0)
	v_add_f64 v[85:86], v[107:108], -v[85:86]
	buffer_store_dword v85, off, s[0:3], 0 offset:264
	buffer_store_dword v86, off, s[0:3], 0 offset:268
	s_and_saveexec_b64 s[4:5], vcc
	s_cbranch_execz .LBB40_189
; %bb.188:
	buffer_load_dword v85, off, s[0:3], 0 offset:256
	buffer_load_dword v86, off, s[0:3], 0 offset:260
	s_waitcnt vmcnt(0)
	ds_write_b64 v83, v[85:86]
	buffer_store_dword v84, off, s[0:3], 0 offset:256
	buffer_store_dword v84, off, s[0:3], 0 offset:260
.LBB40_189:
	s_or_b64 exec, exec, s[4:5]
	s_waitcnt lgkmcnt(0)
	; wave barrier
	buffer_load_dword v93, off, s[0:3], 0 offset:264
	buffer_load_dword v94, off, s[0:3], 0 offset:268
	;; [unrolled: 1-line block ×18, first 2 shown]
	ds_read2_b64 v[85:88], v84 offset0:75 offset1:76
	ds_read2_b64 v[89:92], v84 offset0:77 offset1:78
	v_cmp_lt_u32_e32 vcc, 31, v0
	s_waitcnt vmcnt(16) lgkmcnt(1)
	v_fma_f64 v[85:86], v[93:94], v[85:86], 0
	s_waitcnt vmcnt(14)
	v_fma_f64 v[85:86], v[95:96], v[87:88], v[85:86]
	s_waitcnt vmcnt(12) lgkmcnt(0)
	v_fma_f64 v[85:86], v[97:98], v[89:90], v[85:86]
	s_waitcnt vmcnt(10)
	v_fma_f64 v[93:94], v[99:100], v[91:92], v[85:86]
	ds_read2_b64 v[85:88], v84 offset0:79 offset1:80
	ds_read2_b64 v[89:92], v84 offset0:81 offset1:82
	s_waitcnt vmcnt(8) lgkmcnt(1)
	v_fma_f64 v[84:85], v[101:102], v[85:86], v[93:94]
	s_waitcnt vmcnt(6)
	v_fma_f64 v[84:85], v[103:104], v[87:88], v[84:85]
	s_waitcnt vmcnt(4) lgkmcnt(0)
	v_fma_f64 v[84:85], v[105:106], v[89:90], v[84:85]
	s_waitcnt vmcnt(2)
	v_fma_f64 v[84:85], v[107:108], v[91:92], v[84:85]
	s_waitcnt vmcnt(0)
	v_add_f64 v[84:85], v[109:110], -v[84:85]
	buffer_store_dword v84, off, s[0:3], 0 offset:256
	buffer_store_dword v85, off, s[0:3], 0 offset:260
	s_and_saveexec_b64 s[4:5], vcc
	s_cbranch_execz .LBB40_191
; %bb.190:
	buffer_load_dword v84, off, s[0:3], 0 offset:248
	buffer_load_dword v85, off, s[0:3], 0 offset:252
	v_mov_b32_e32 v86, 0
	buffer_store_dword v86, off, s[0:3], 0 offset:248
	buffer_store_dword v86, off, s[0:3], 0 offset:252
	s_waitcnt vmcnt(2)
	ds_write_b64 v83, v[84:85]
.LBB40_191:
	s_or_b64 exec, exec, s[4:5]
	s_waitcnt lgkmcnt(0)
	; wave barrier
	buffer_load_dword v93, off, s[0:3], 0 offset:256
	buffer_load_dword v94, off, s[0:3], 0 offset:260
	;; [unrolled: 1-line block ×20, first 2 shown]
	v_mov_b32_e32 v84, 0
	ds_read_b128 v[85:88], v84 offset:592
	ds_read_b128 v[89:92], v84 offset:608
	v_cmp_lt_u32_e32 vcc, 30, v0
	s_waitcnt vmcnt(18) lgkmcnt(1)
	v_fma_f64 v[85:86], v[93:94], v[85:86], 0
	s_waitcnt vmcnt(16)
	v_fma_f64 v[85:86], v[95:96], v[87:88], v[85:86]
	s_waitcnt vmcnt(14) lgkmcnt(0)
	v_fma_f64 v[85:86], v[97:98], v[89:90], v[85:86]
	s_waitcnt vmcnt(12)
	v_fma_f64 v[93:94], v[99:100], v[91:92], v[85:86]
	ds_read_b128 v[85:88], v84 offset:624
	ds_read_b128 v[89:92], v84 offset:640
	s_waitcnt vmcnt(10) lgkmcnt(1)
	v_fma_f64 v[85:86], v[101:102], v[85:86], v[93:94]
	s_waitcnt vmcnt(8)
	v_fma_f64 v[85:86], v[103:104], v[87:88], v[85:86]
	ds_read_b64 v[87:88], v84 offset:656
	s_waitcnt vmcnt(6) lgkmcnt(1)
	v_fma_f64 v[85:86], v[105:106], v[89:90], v[85:86]
	s_waitcnt vmcnt(3)
	v_fma_f64 v[85:86], v[107:108], v[91:92], v[85:86]
	s_waitcnt vmcnt(2) lgkmcnt(0)
	v_fma_f64 v[85:86], v[109:110], v[87:88], v[85:86]
	s_waitcnt vmcnt(0)
	v_add_f64 v[85:86], v[111:112], -v[85:86]
	buffer_store_dword v85, off, s[0:3], 0 offset:248
	buffer_store_dword v86, off, s[0:3], 0 offset:252
	s_and_saveexec_b64 s[4:5], vcc
	s_cbranch_execz .LBB40_193
; %bb.192:
	buffer_load_dword v85, off, s[0:3], 0 offset:240
	buffer_load_dword v86, off, s[0:3], 0 offset:244
	s_waitcnt vmcnt(0)
	ds_write_b64 v83, v[85:86]
	buffer_store_dword v84, off, s[0:3], 0 offset:240
	buffer_store_dword v84, off, s[0:3], 0 offset:244
.LBB40_193:
	s_or_b64 exec, exec, s[4:5]
	s_waitcnt lgkmcnt(0)
	; wave barrier
	buffer_load_dword v93, off, s[0:3], 0 offset:248
	buffer_load_dword v94, off, s[0:3], 0 offset:252
	;; [unrolled: 1-line block ×20, first 2 shown]
	ds_read2_b64 v[85:88], v84 offset0:73 offset1:74
	buffer_load_dword v113, off, s[0:3], 0 offset:240
	buffer_load_dword v114, off, s[0:3], 0 offset:244
	ds_read2_b64 v[89:92], v84 offset0:75 offset1:76
	v_cmp_lt_u32_e32 vcc, 29, v0
	s_waitcnt vmcnt(20) lgkmcnt(1)
	v_fma_f64 v[85:86], v[93:94], v[85:86], 0
	s_waitcnt vmcnt(18)
	v_fma_f64 v[85:86], v[95:96], v[87:88], v[85:86]
	s_waitcnt vmcnt(16) lgkmcnt(0)
	v_fma_f64 v[85:86], v[97:98], v[89:90], v[85:86]
	s_waitcnt vmcnt(14)
	v_fma_f64 v[93:94], v[99:100], v[91:92], v[85:86]
	ds_read2_b64 v[85:88], v84 offset0:77 offset1:78
	ds_read2_b64 v[89:92], v84 offset0:79 offset1:80
	s_waitcnt vmcnt(12) lgkmcnt(1)
	v_fma_f64 v[85:86], v[101:102], v[85:86], v[93:94]
	s_waitcnt vmcnt(10)
	v_fma_f64 v[85:86], v[103:104], v[87:88], v[85:86]
	s_waitcnt vmcnt(8) lgkmcnt(0)
	v_fma_f64 v[85:86], v[105:106], v[89:90], v[85:86]
	s_waitcnt vmcnt(4)
	v_fma_f64 v[88:89], v[107:108], v[91:92], v[85:86]
	ds_read2_b64 v[84:87], v84 offset0:81 offset1:82
	s_waitcnt vmcnt(3) lgkmcnt(0)
	v_fma_f64 v[84:85], v[111:112], v[84:85], v[88:89]
	s_waitcnt vmcnt(2)
	v_fma_f64 v[84:85], v[109:110], v[86:87], v[84:85]
	s_waitcnt vmcnt(0)
	v_add_f64 v[84:85], v[113:114], -v[84:85]
	buffer_store_dword v84, off, s[0:3], 0 offset:240
	buffer_store_dword v85, off, s[0:3], 0 offset:244
	s_and_saveexec_b64 s[4:5], vcc
	s_cbranch_execz .LBB40_195
; %bb.194:
	buffer_load_dword v84, off, s[0:3], 0 offset:232
	buffer_load_dword v85, off, s[0:3], 0 offset:236
	v_mov_b32_e32 v86, 0
	buffer_store_dword v86, off, s[0:3], 0 offset:232
	buffer_store_dword v86, off, s[0:3], 0 offset:236
	s_waitcnt vmcnt(2)
	ds_write_b64 v83, v[84:85]
.LBB40_195:
	s_or_b64 exec, exec, s[4:5]
	s_waitcnt lgkmcnt(0)
	; wave barrier
	buffer_load_dword v93, off, s[0:3], 0 offset:240
	buffer_load_dword v94, off, s[0:3], 0 offset:244
	;; [unrolled: 1-line block ×21, first 2 shown]
	v_mov_b32_e32 v84, 0
	ds_read_b128 v[85:88], v84 offset:576
	ds_read_b128 v[89:92], v84 offset:592
	buffer_load_dword v110, off, s[0:3], 0 offset:324
	v_cmp_lt_u32_e32 vcc, 28, v0
	s_waitcnt vmcnt(20) lgkmcnt(1)
	v_fma_f64 v[85:86], v[93:94], v[85:86], 0
	buffer_load_dword v93, off, s[0:3], 0 offset:232
	buffer_load_dword v94, off, s[0:3], 0 offset:236
	s_waitcnt vmcnt(20)
	v_fma_f64 v[85:86], v[95:96], v[87:88], v[85:86]
	s_waitcnt vmcnt(18) lgkmcnt(0)
	v_fma_f64 v[85:86], v[97:98], v[89:90], v[85:86]
	s_waitcnt vmcnt(16)
	v_fma_f64 v[95:96], v[99:100], v[91:92], v[85:86]
	ds_read_b128 v[85:88], v84 offset:608
	ds_read_b128 v[89:92], v84 offset:624
	s_waitcnt vmcnt(14) lgkmcnt(1)
	v_fma_f64 v[85:86], v[101:102], v[85:86], v[95:96]
	s_waitcnt vmcnt(12)
	v_fma_f64 v[85:86], v[103:104], v[87:88], v[85:86]
	s_waitcnt vmcnt(10) lgkmcnt(0)
	v_fma_f64 v[85:86], v[105:106], v[89:90], v[85:86]
	s_waitcnt vmcnt(5)
	v_fma_f64 v[89:90], v[107:108], v[91:92], v[85:86]
	ds_read_b128 v[85:88], v84 offset:640
	ds_read_b64 v[91:92], v84 offset:656
	s_waitcnt vmcnt(4) lgkmcnt(1)
	v_fma_f64 v[85:86], v[113:114], v[85:86], v[89:90]
	s_waitcnt vmcnt(3)
	v_fma_f64 v[85:86], v[111:112], v[87:88], v[85:86]
	s_waitcnt vmcnt(2) lgkmcnt(0)
	v_fma_f64 v[85:86], v[109:110], v[91:92], v[85:86]
	s_waitcnt vmcnt(0)
	v_add_f64 v[85:86], v[93:94], -v[85:86]
	buffer_store_dword v86, off, s[0:3], 0 offset:236
	buffer_store_dword v85, off, s[0:3], 0 offset:232
	s_and_saveexec_b64 s[4:5], vcc
	s_cbranch_execz .LBB40_197
; %bb.196:
	buffer_load_dword v85, off, s[0:3], 0 offset:224
	buffer_load_dword v86, off, s[0:3], 0 offset:228
	s_waitcnt vmcnt(0)
	ds_write_b64 v83, v[85:86]
	buffer_store_dword v84, off, s[0:3], 0 offset:224
	buffer_store_dword v84, off, s[0:3], 0 offset:228
.LBB40_197:
	s_or_b64 exec, exec, s[4:5]
	s_waitcnt lgkmcnt(0)
	; wave barrier
	buffer_load_dword v93, off, s[0:3], 0 offset:232
	buffer_load_dword v94, off, s[0:3], 0 offset:236
	;; [unrolled: 1-line block ×21, first 2 shown]
	ds_read2_b64 v[85:88], v84 offset0:71 offset1:72
	ds_read2_b64 v[89:92], v84 offset0:73 offset1:74
	buffer_load_dword v110, off, s[0:3], 0 offset:316
	v_cmp_lt_u32_e32 vcc, 27, v0
	s_waitcnt vmcnt(20) lgkmcnt(1)
	v_fma_f64 v[85:86], v[93:94], v[85:86], 0
	buffer_load_dword v94, off, s[0:3], 0 offset:324
	buffer_load_dword v93, off, s[0:3], 0 offset:320
	s_waitcnt vmcnt(20)
	v_fma_f64 v[85:86], v[95:96], v[87:88], v[85:86]
	buffer_load_dword v95, off, s[0:3], 0 offset:224
	buffer_load_dword v96, off, s[0:3], 0 offset:228
	s_waitcnt vmcnt(20) lgkmcnt(0)
	v_fma_f64 v[85:86], v[97:98], v[89:90], v[85:86]
	s_waitcnt vmcnt(18)
	v_fma_f64 v[97:98], v[99:100], v[91:92], v[85:86]
	ds_read2_b64 v[85:88], v84 offset0:75 offset1:76
	ds_read2_b64 v[89:92], v84 offset0:77 offset1:78
	s_waitcnt vmcnt(16) lgkmcnt(1)
	v_fma_f64 v[85:86], v[101:102], v[85:86], v[97:98]
	s_waitcnt vmcnt(14)
	v_fma_f64 v[85:86], v[103:104], v[87:88], v[85:86]
	s_waitcnt vmcnt(12) lgkmcnt(0)
	v_fma_f64 v[85:86], v[105:106], v[89:90], v[85:86]
	s_waitcnt vmcnt(7)
	v_fma_f64 v[97:98], v[107:108], v[91:92], v[85:86]
	ds_read2_b64 v[85:88], v84 offset0:79 offset1:80
	ds_read2_b64 v[89:92], v84 offset0:81 offset1:82
	s_waitcnt vmcnt(6) lgkmcnt(1)
	v_fma_f64 v[84:85], v[113:114], v[85:86], v[97:98]
	s_waitcnt vmcnt(5)
	v_fma_f64 v[84:85], v[111:112], v[87:88], v[84:85]
	s_waitcnt vmcnt(4) lgkmcnt(0)
	v_fma_f64 v[84:85], v[109:110], v[89:90], v[84:85]
	s_waitcnt vmcnt(2)
	v_fma_f64 v[84:85], v[93:94], v[91:92], v[84:85]
	s_waitcnt vmcnt(0)
	v_add_f64 v[84:85], v[95:96], -v[84:85]
	buffer_store_dword v85, off, s[0:3], 0 offset:228
	buffer_store_dword v84, off, s[0:3], 0 offset:224
	s_and_saveexec_b64 s[4:5], vcc
	s_cbranch_execz .LBB40_199
; %bb.198:
	buffer_load_dword v84, off, s[0:3], 0 offset:216
	buffer_load_dword v85, off, s[0:3], 0 offset:220
	v_mov_b32_e32 v86, 0
	buffer_store_dword v86, off, s[0:3], 0 offset:216
	buffer_store_dword v86, off, s[0:3], 0 offset:220
	s_waitcnt vmcnt(2)
	ds_write_b64 v83, v[84:85]
.LBB40_199:
	s_or_b64 exec, exec, s[4:5]
	s_waitcnt lgkmcnt(0)
	; wave barrier
	buffer_load_dword v93, off, s[0:3], 0 offset:224
	buffer_load_dword v94, off, s[0:3], 0 offset:228
	;; [unrolled: 1-line block ×21, first 2 shown]
	v_mov_b32_e32 v84, 0
	ds_read_b128 v[85:88], v84 offset:560
	ds_read_b128 v[89:92], v84 offset:576
	buffer_load_dword v110, off, s[0:3], 0 offset:308
	v_cmp_lt_u32_e32 vcc, 26, v0
	s_waitcnt vmcnt(20) lgkmcnt(1)
	v_fma_f64 v[85:86], v[93:94], v[85:86], 0
	s_waitcnt vmcnt(18)
	v_fma_f64 v[85:86], v[95:96], v[87:88], v[85:86]
	buffer_load_dword v94, off, s[0:3], 0 offset:316
	buffer_load_dword v95, off, s[0:3], 0 offset:320
	;; [unrolled: 1-line block ×4, first 2 shown]
	s_waitcnt vmcnt(20) lgkmcnt(0)
	v_fma_f64 v[85:86], v[97:98], v[89:90], v[85:86]
	buffer_load_dword v97, off, s[0:3], 0 offset:216
	buffer_load_dword v98, off, s[0:3], 0 offset:220
	s_waitcnt vmcnt(20)
	v_fma_f64 v[99:100], v[99:100], v[91:92], v[85:86]
	ds_read_b128 v[85:88], v84 offset:592
	ds_read_b128 v[89:92], v84 offset:608
	s_waitcnt vmcnt(18) lgkmcnt(1)
	v_fma_f64 v[85:86], v[101:102], v[85:86], v[99:100]
	s_waitcnt vmcnt(16)
	v_fma_f64 v[85:86], v[103:104], v[87:88], v[85:86]
	s_waitcnt vmcnt(14) lgkmcnt(0)
	v_fma_f64 v[85:86], v[105:106], v[89:90], v[85:86]
	s_waitcnt vmcnt(9)
	v_fma_f64 v[99:100], v[107:108], v[91:92], v[85:86]
	ds_read_b128 v[85:88], v84 offset:624
	ds_read_b128 v[89:92], v84 offset:640
	s_waitcnt vmcnt(8) lgkmcnt(1)
	v_fma_f64 v[85:86], v[113:114], v[85:86], v[99:100]
	s_waitcnt vmcnt(7)
	v_fma_f64 v[85:86], v[111:112], v[87:88], v[85:86]
	ds_read_b64 v[87:88], v84 offset:656
	s_waitcnt vmcnt(6) lgkmcnt(1)
	v_fma_f64 v[85:86], v[109:110], v[89:90], v[85:86]
	s_waitcnt vmcnt(3)
	v_fma_f64 v[85:86], v[93:94], v[91:92], v[85:86]
	s_waitcnt vmcnt(2) lgkmcnt(0)
	v_fma_f64 v[85:86], v[95:96], v[87:88], v[85:86]
	s_waitcnt vmcnt(0)
	v_add_f64 v[85:86], v[97:98], -v[85:86]
	buffer_store_dword v86, off, s[0:3], 0 offset:220
	buffer_store_dword v85, off, s[0:3], 0 offset:216
	s_and_saveexec_b64 s[4:5], vcc
	s_cbranch_execz .LBB40_201
; %bb.200:
	buffer_load_dword v85, off, s[0:3], 0 offset:208
	buffer_load_dword v86, off, s[0:3], 0 offset:212
	s_waitcnt vmcnt(0)
	ds_write_b64 v83, v[85:86]
	buffer_store_dword v84, off, s[0:3], 0 offset:208
	buffer_store_dword v84, off, s[0:3], 0 offset:212
.LBB40_201:
	s_or_b64 exec, exec, s[4:5]
	s_waitcnt lgkmcnt(0)
	; wave barrier
	buffer_load_dword v93, off, s[0:3], 0 offset:216
	buffer_load_dword v94, off, s[0:3], 0 offset:220
	;; [unrolled: 1-line block ×22, first 2 shown]
	ds_read2_b64 v[85:88], v84 offset0:69 offset1:70
	ds_read2_b64 v[89:92], v84 offset0:71 offset1:72
	v_cmp_lt_u32_e32 vcc, 25, v0
	s_waitcnt vmcnt(20) lgkmcnt(1)
	v_fma_f64 v[85:86], v[93:94], v[85:86], 0
	s_waitcnt vmcnt(18)
	v_fma_f64 v[85:86], v[95:96], v[87:88], v[85:86]
	buffer_load_dword v94, off, s[0:3], 0 offset:308
	buffer_load_dword v95, off, s[0:3], 0 offset:320
	;; [unrolled: 1-line block ×6, first 2 shown]
	s_waitcnt vmcnt(22) lgkmcnt(0)
	v_fma_f64 v[85:86], v[97:98], v[89:90], v[85:86]
	s_waitcnt vmcnt(20)
	v_fma_f64 v[97:98], v[99:100], v[91:92], v[85:86]
	ds_read2_b64 v[85:88], v84 offset0:73 offset1:74
	buffer_load_dword v99, off, s[0:3], 0 offset:208
	buffer_load_dword v100, off, s[0:3], 0 offset:212
	ds_read2_b64 v[89:92], v84 offset0:75 offset1:76
	s_waitcnt vmcnt(20) lgkmcnt(1)
	v_fma_f64 v[85:86], v[101:102], v[85:86], v[97:98]
	s_waitcnt vmcnt(18)
	v_fma_f64 v[85:86], v[103:104], v[87:88], v[85:86]
	s_waitcnt vmcnt(16) lgkmcnt(0)
	v_fma_f64 v[85:86], v[105:106], v[89:90], v[85:86]
	s_waitcnt vmcnt(11)
	v_fma_f64 v[97:98], v[107:108], v[91:92], v[85:86]
	ds_read2_b64 v[85:88], v84 offset0:77 offset1:78
	ds_read2_b64 v[89:92], v84 offset0:79 offset1:80
	s_waitcnt vmcnt(10) lgkmcnt(1)
	v_fma_f64 v[85:86], v[113:114], v[85:86], v[97:98]
	s_waitcnt vmcnt(9)
	v_fma_f64 v[85:86], v[111:112], v[87:88], v[85:86]
	s_waitcnt vmcnt(8) lgkmcnt(0)
	v_fma_f64 v[85:86], v[109:110], v[89:90], v[85:86]
	s_waitcnt vmcnt(4)
	v_fma_f64 v[88:89], v[93:94], v[91:92], v[85:86]
	ds_read2_b64 v[84:87], v84 offset0:81 offset1:82
	s_waitcnt vmcnt(3) lgkmcnt(0)
	v_fma_f64 v[84:85], v[115:116], v[84:85], v[88:89]
	s_waitcnt vmcnt(2)
	v_fma_f64 v[84:85], v[95:96], v[86:87], v[84:85]
	s_waitcnt vmcnt(0)
	v_add_f64 v[84:85], v[99:100], -v[84:85]
	buffer_store_dword v85, off, s[0:3], 0 offset:212
	buffer_store_dword v84, off, s[0:3], 0 offset:208
	s_and_saveexec_b64 s[4:5], vcc
	s_cbranch_execz .LBB40_203
; %bb.202:
	buffer_load_dword v84, off, s[0:3], 0 offset:200
	buffer_load_dword v85, off, s[0:3], 0 offset:204
	v_mov_b32_e32 v86, 0
	buffer_store_dword v86, off, s[0:3], 0 offset:200
	buffer_store_dword v86, off, s[0:3], 0 offset:204
	s_waitcnt vmcnt(2)
	ds_write_b64 v83, v[84:85]
.LBB40_203:
	s_or_b64 exec, exec, s[4:5]
	s_waitcnt lgkmcnt(0)
	; wave barrier
	buffer_load_dword v93, off, s[0:3], 0 offset:208
	buffer_load_dword v94, off, s[0:3], 0 offset:212
	;; [unrolled: 1-line block ×22, first 2 shown]
	v_mov_b32_e32 v84, 0
	ds_read_b128 v[85:88], v84 offset:544
	ds_read_b128 v[89:92], v84 offset:560
	v_cmp_lt_u32_e32 vcc, 24, v0
	s_waitcnt vmcnt(20) lgkmcnt(1)
	v_fma_f64 v[85:86], v[93:94], v[85:86], 0
	s_waitcnt vmcnt(18)
	v_fma_f64 v[85:86], v[95:96], v[87:88], v[85:86]
	buffer_load_dword v94, off, s[0:3], 0 offset:300
	buffer_load_dword v95, off, s[0:3], 0 offset:320
	;; [unrolled: 1-line block ×8, first 2 shown]
	s_waitcnt vmcnt(24) lgkmcnt(0)
	v_fma_f64 v[85:86], v[97:98], v[89:90], v[85:86]
	s_waitcnt vmcnt(22)
	v_fma_f64 v[97:98], v[99:100], v[91:92], v[85:86]
	ds_read_b128 v[85:88], v84 offset:576
	ds_read_b128 v[89:92], v84 offset:592
	s_waitcnt vmcnt(20) lgkmcnt(1)
	v_fma_f64 v[85:86], v[101:102], v[85:86], v[97:98]
	buffer_load_dword v97, off, s[0:3], 0 offset:200
	buffer_load_dword v98, off, s[0:3], 0 offset:204
	s_waitcnt vmcnt(20)
	v_fma_f64 v[85:86], v[103:104], v[87:88], v[85:86]
	s_waitcnt vmcnt(18) lgkmcnt(0)
	v_fma_f64 v[85:86], v[105:106], v[89:90], v[85:86]
	s_waitcnt vmcnt(13)
	v_fma_f64 v[99:100], v[107:108], v[91:92], v[85:86]
	ds_read_b128 v[85:88], v84 offset:608
	ds_read_b128 v[89:92], v84 offset:624
	s_waitcnt vmcnt(12) lgkmcnt(1)
	v_fma_f64 v[85:86], v[113:114], v[85:86], v[99:100]
	s_waitcnt vmcnt(11)
	v_fma_f64 v[85:86], v[111:112], v[87:88], v[85:86]
	s_waitcnt vmcnt(10) lgkmcnt(0)
	v_fma_f64 v[85:86], v[109:110], v[89:90], v[85:86]
	s_waitcnt vmcnt(5)
	v_fma_f64 v[89:90], v[93:94], v[91:92], v[85:86]
	ds_read_b128 v[85:88], v84 offset:640
	ds_read_b64 v[91:92], v84 offset:656
	s_waitcnt vmcnt(4) lgkmcnt(1)
	v_fma_f64 v[85:86], v[117:118], v[85:86], v[89:90]
	s_waitcnt vmcnt(3)
	v_fma_f64 v[85:86], v[115:116], v[87:88], v[85:86]
	s_waitcnt vmcnt(2) lgkmcnt(0)
	v_fma_f64 v[85:86], v[95:96], v[91:92], v[85:86]
	s_waitcnt vmcnt(0)
	v_add_f64 v[85:86], v[97:98], -v[85:86]
	buffer_store_dword v86, off, s[0:3], 0 offset:204
	buffer_store_dword v85, off, s[0:3], 0 offset:200
	s_and_saveexec_b64 s[4:5], vcc
	s_cbranch_execz .LBB40_205
; %bb.204:
	buffer_load_dword v85, off, s[0:3], 0 offset:192
	buffer_load_dword v86, off, s[0:3], 0 offset:196
	s_waitcnt vmcnt(0)
	ds_write_b64 v83, v[85:86]
	buffer_store_dword v84, off, s[0:3], 0 offset:192
	buffer_store_dword v84, off, s[0:3], 0 offset:196
.LBB40_205:
	s_or_b64 exec, exec, s[4:5]
	s_waitcnt lgkmcnt(0)
	; wave barrier
	buffer_load_dword v93, off, s[0:3], 0 offset:200
	buffer_load_dword v94, off, s[0:3], 0 offset:204
	;; [unrolled: 1-line block ×22, first 2 shown]
	ds_read2_b64 v[85:88], v84 offset0:67 offset1:68
	ds_read2_b64 v[89:92], v84 offset0:69 offset1:70
	v_cmp_lt_u32_e32 vcc, 23, v0
	s_waitcnt vmcnt(20) lgkmcnt(1)
	v_fma_f64 v[85:86], v[93:94], v[85:86], 0
	s_waitcnt vmcnt(18)
	v_fma_f64 v[85:86], v[95:96], v[87:88], v[85:86]
	buffer_load_dword v94, off, s[0:3], 0 offset:292
	buffer_load_dword v95, off, s[0:3], 0 offset:312
	;; [unrolled: 1-line block ×8, first 2 shown]
	s_waitcnt vmcnt(24) lgkmcnt(0)
	v_fma_f64 v[85:86], v[97:98], v[89:90], v[85:86]
	s_waitcnt vmcnt(22)
	v_fma_f64 v[97:98], v[99:100], v[91:92], v[85:86]
	ds_read2_b64 v[85:88], v84 offset0:71 offset1:72
	ds_read2_b64 v[89:92], v84 offset0:73 offset1:74
	s_waitcnt vmcnt(20) lgkmcnt(1)
	v_fma_f64 v[85:86], v[101:102], v[85:86], v[97:98]
	buffer_load_dword v98, off, s[0:3], 0 offset:324
	buffer_load_dword v97, off, s[0:3], 0 offset:320
	;; [unrolled: 1-line block ×4, first 2 shown]
	s_waitcnt vmcnt(22)
	v_fma_f64 v[85:86], v[103:104], v[87:88], v[85:86]
	s_waitcnt vmcnt(20) lgkmcnt(0)
	v_fma_f64 v[85:86], v[105:106], v[89:90], v[85:86]
	s_waitcnt vmcnt(15)
	v_fma_f64 v[101:102], v[107:108], v[91:92], v[85:86]
	ds_read2_b64 v[85:88], v84 offset0:75 offset1:76
	ds_read2_b64 v[89:92], v84 offset0:77 offset1:78
	s_waitcnt vmcnt(14) lgkmcnt(1)
	v_fma_f64 v[85:86], v[113:114], v[85:86], v[101:102]
	s_waitcnt vmcnt(13)
	v_fma_f64 v[85:86], v[111:112], v[87:88], v[85:86]
	s_waitcnt vmcnt(12) lgkmcnt(0)
	v_fma_f64 v[85:86], v[109:110], v[89:90], v[85:86]
	s_waitcnt vmcnt(7)
	v_fma_f64 v[93:94], v[93:94], v[91:92], v[85:86]
	ds_read2_b64 v[85:88], v84 offset0:79 offset1:80
	ds_read2_b64 v[89:92], v84 offset0:81 offset1:82
	s_waitcnt vmcnt(6) lgkmcnt(1)
	v_fma_f64 v[84:85], v[117:118], v[85:86], v[93:94]
	s_waitcnt vmcnt(5)
	v_fma_f64 v[84:85], v[115:116], v[87:88], v[84:85]
	s_waitcnt vmcnt(4) lgkmcnt(0)
	v_fma_f64 v[84:85], v[95:96], v[89:90], v[84:85]
	s_waitcnt vmcnt(2)
	v_fma_f64 v[84:85], v[97:98], v[91:92], v[84:85]
	s_waitcnt vmcnt(0)
	v_add_f64 v[84:85], v[99:100], -v[84:85]
	buffer_store_dword v85, off, s[0:3], 0 offset:196
	buffer_store_dword v84, off, s[0:3], 0 offset:192
	s_and_saveexec_b64 s[4:5], vcc
	s_cbranch_execz .LBB40_207
; %bb.206:
	buffer_load_dword v84, off, s[0:3], 0 offset:184
	buffer_load_dword v85, off, s[0:3], 0 offset:188
	v_mov_b32_e32 v86, 0
	buffer_store_dword v86, off, s[0:3], 0 offset:184
	buffer_store_dword v86, off, s[0:3], 0 offset:188
	s_waitcnt vmcnt(2)
	ds_write_b64 v83, v[84:85]
.LBB40_207:
	s_or_b64 exec, exec, s[4:5]
	s_waitcnt lgkmcnt(0)
	; wave barrier
	buffer_load_dword v93, off, s[0:3], 0 offset:192
	buffer_load_dword v94, off, s[0:3], 0 offset:196
	;; [unrolled: 1-line block ×22, first 2 shown]
	v_mov_b32_e32 v84, 0
	ds_read_b128 v[85:88], v84 offset:528
	ds_read_b128 v[89:92], v84 offset:544
	v_cmp_lt_u32_e32 vcc, 22, v0
	s_waitcnt vmcnt(20) lgkmcnt(1)
	v_fma_f64 v[85:86], v[93:94], v[85:86], 0
	s_waitcnt vmcnt(18)
	v_fma_f64 v[85:86], v[95:96], v[87:88], v[85:86]
	buffer_load_dword v94, off, s[0:3], 0 offset:284
	buffer_load_dword v95, off, s[0:3], 0 offset:304
	buffer_load_dword v115, off, s[0:3], 0 offset:296
	buffer_load_dword v117, off, s[0:3], 0 offset:288
	buffer_load_dword v93, off, s[0:3], 0 offset:280
	buffer_load_dword v118, off, s[0:3], 0 offset:292
	buffer_load_dword v116, off, s[0:3], 0 offset:300
	s_waitcnt vmcnt(23) lgkmcnt(0)
	v_fma_f64 v[85:86], v[97:98], v[89:90], v[85:86]
	s_waitcnt vmcnt(21)
	v_fma_f64 v[96:97], v[99:100], v[91:92], v[85:86]
	ds_read_b128 v[85:88], v84 offset:560
	ds_read_b128 v[89:92], v84 offset:576
	s_waitcnt vmcnt(19) lgkmcnt(1)
	v_fma_f64 v[85:86], v[101:102], v[85:86], v[96:97]
	buffer_load_dword v96, off, s[0:3], 0 offset:308
	buffer_load_dword v98, off, s[0:3], 0 offset:316
	;; [unrolled: 1-line block ×7, first 2 shown]
	s_waitcnt vmcnt(24)
	v_fma_f64 v[85:86], v[103:104], v[87:88], v[85:86]
	s_waitcnt vmcnt(22) lgkmcnt(0)
	v_fma_f64 v[85:86], v[105:106], v[89:90], v[85:86]
	s_waitcnt vmcnt(17)
	v_fma_f64 v[103:104], v[107:108], v[91:92], v[85:86]
	ds_read_b128 v[85:88], v84 offset:592
	ds_read_b128 v[89:92], v84 offset:608
	s_waitcnt vmcnt(16) lgkmcnt(1)
	v_fma_f64 v[85:86], v[113:114], v[85:86], v[103:104]
	s_waitcnt vmcnt(15)
	v_fma_f64 v[85:86], v[111:112], v[87:88], v[85:86]
	s_waitcnt vmcnt(14) lgkmcnt(0)
	v_fma_f64 v[85:86], v[109:110], v[89:90], v[85:86]
	s_waitcnt vmcnt(9)
	v_fma_f64 v[93:94], v[93:94], v[91:92], v[85:86]
	ds_read_b128 v[85:88], v84 offset:624
	ds_read_b128 v[89:92], v84 offset:640
	s_waitcnt vmcnt(8) lgkmcnt(1)
	v_fma_f64 v[85:86], v[117:118], v[85:86], v[93:94]
	s_waitcnt vmcnt(7)
	v_fma_f64 v[85:86], v[115:116], v[87:88], v[85:86]
	ds_read_b64 v[87:88], v84 offset:656
	s_waitcnt vmcnt(6) lgkmcnt(1)
	v_fma_f64 v[85:86], v[95:96], v[89:90], v[85:86]
	s_waitcnt vmcnt(3)
	v_fma_f64 v[85:86], v[97:98], v[91:92], v[85:86]
	s_waitcnt vmcnt(2) lgkmcnt(0)
	v_fma_f64 v[85:86], v[99:100], v[87:88], v[85:86]
	s_waitcnt vmcnt(0)
	v_add_f64 v[85:86], v[101:102], -v[85:86]
	buffer_store_dword v86, off, s[0:3], 0 offset:188
	buffer_store_dword v85, off, s[0:3], 0 offset:184
	s_and_saveexec_b64 s[4:5], vcc
	s_cbranch_execz .LBB40_209
; %bb.208:
	buffer_load_dword v85, off, s[0:3], 0 offset:176
	buffer_load_dword v86, off, s[0:3], 0 offset:180
	s_waitcnt vmcnt(0)
	ds_write_b64 v83, v[85:86]
	buffer_store_dword v84, off, s[0:3], 0 offset:176
	buffer_store_dword v84, off, s[0:3], 0 offset:180
.LBB40_209:
	s_or_b64 exec, exec, s[4:5]
	s_waitcnt lgkmcnt(0)
	; wave barrier
	buffer_load_dword v93, off, s[0:3], 0 offset:184
	buffer_load_dword v94, off, s[0:3], 0 offset:188
	;; [unrolled: 1-line block ×22, first 2 shown]
	ds_read2_b64 v[85:88], v84 offset0:65 offset1:66
	ds_read2_b64 v[89:92], v84 offset0:67 offset1:68
	v_cmp_lt_u32_e32 vcc, 21, v0
	s_waitcnt vmcnt(20) lgkmcnt(1)
	v_fma_f64 v[85:86], v[93:94], v[85:86], 0
	s_waitcnt vmcnt(18)
	v_fma_f64 v[85:86], v[95:96], v[87:88], v[85:86]
	buffer_load_dword v94, off, s[0:3], 0 offset:276
	buffer_load_dword v95, off, s[0:3], 0 offset:296
	;; [unrolled: 1-line block ×7, first 2 shown]
	s_waitcnt vmcnt(23) lgkmcnt(0)
	v_fma_f64 v[85:86], v[97:98], v[89:90], v[85:86]
	s_waitcnt vmcnt(21)
	v_fma_f64 v[96:97], v[99:100], v[91:92], v[85:86]
	ds_read2_b64 v[85:88], v84 offset0:69 offset1:70
	ds_read2_b64 v[89:92], v84 offset0:71 offset1:72
	s_waitcnt vmcnt(19) lgkmcnt(1)
	v_fma_f64 v[85:86], v[101:102], v[85:86], v[96:97]
	buffer_load_dword v96, off, s[0:3], 0 offset:300
	buffer_load_dword v98, off, s[0:3], 0 offset:308
	;; [unrolled: 1-line block ×7, first 2 shown]
	s_waitcnt vmcnt(24)
	v_fma_f64 v[85:86], v[103:104], v[87:88], v[85:86]
	s_waitcnt vmcnt(22) lgkmcnt(0)
	v_fma_f64 v[85:86], v[105:106], v[89:90], v[85:86]
	s_waitcnt vmcnt(17)
	v_fma_f64 v[103:104], v[107:108], v[91:92], v[85:86]
	ds_read2_b64 v[85:88], v84 offset0:73 offset1:74
	buffer_load_dword v105, off, s[0:3], 0 offset:176
	buffer_load_dword v106, off, s[0:3], 0 offset:180
	ds_read2_b64 v[89:92], v84 offset0:75 offset1:76
	s_waitcnt vmcnt(18) lgkmcnt(1)
	v_fma_f64 v[85:86], v[113:114], v[85:86], v[103:104]
	s_waitcnt vmcnt(17)
	v_fma_f64 v[85:86], v[111:112], v[87:88], v[85:86]
	s_waitcnt vmcnt(16) lgkmcnt(0)
	v_fma_f64 v[85:86], v[109:110], v[89:90], v[85:86]
	s_waitcnt vmcnt(11)
	v_fma_f64 v[93:94], v[93:94], v[91:92], v[85:86]
	ds_read2_b64 v[85:88], v84 offset0:77 offset1:78
	ds_read2_b64 v[89:92], v84 offset0:79 offset1:80
	s_waitcnt vmcnt(10) lgkmcnt(1)
	v_fma_f64 v[85:86], v[117:118], v[85:86], v[93:94]
	s_waitcnt vmcnt(9)
	v_fma_f64 v[85:86], v[115:116], v[87:88], v[85:86]
	s_waitcnt vmcnt(8) lgkmcnt(0)
	v_fma_f64 v[85:86], v[95:96], v[89:90], v[85:86]
	s_waitcnt vmcnt(4)
	v_fma_f64 v[88:89], v[97:98], v[91:92], v[85:86]
	ds_read2_b64 v[84:87], v84 offset0:81 offset1:82
	s_waitcnt vmcnt(3) lgkmcnt(0)
	v_fma_f64 v[84:85], v[101:102], v[84:85], v[88:89]
	s_waitcnt vmcnt(2)
	v_fma_f64 v[84:85], v[99:100], v[86:87], v[84:85]
	s_waitcnt vmcnt(0)
	v_add_f64 v[84:85], v[105:106], -v[84:85]
	buffer_store_dword v85, off, s[0:3], 0 offset:180
	buffer_store_dword v84, off, s[0:3], 0 offset:176
	s_and_saveexec_b64 s[4:5], vcc
	s_cbranch_execz .LBB40_211
; %bb.210:
	buffer_load_dword v84, off, s[0:3], 0 offset:168
	buffer_load_dword v85, off, s[0:3], 0 offset:172
	v_mov_b32_e32 v86, 0
	buffer_store_dword v86, off, s[0:3], 0 offset:168
	buffer_store_dword v86, off, s[0:3], 0 offset:172
	s_waitcnt vmcnt(2)
	ds_write_b64 v83, v[84:85]
.LBB40_211:
	s_or_b64 exec, exec, s[4:5]
	s_waitcnt lgkmcnt(0)
	; wave barrier
	buffer_load_dword v93, off, s[0:3], 0 offset:176
	buffer_load_dword v94, off, s[0:3], 0 offset:180
	;; [unrolled: 1-line block ×22, first 2 shown]
	v_mov_b32_e32 v84, 0
	ds_read_b128 v[85:88], v84 offset:512
	ds_read_b128 v[89:92], v84 offset:528
	v_cmp_lt_u32_e32 vcc, 20, v0
	s_waitcnt vmcnt(20) lgkmcnt(1)
	v_fma_f64 v[85:86], v[93:94], v[85:86], 0
	s_waitcnt vmcnt(18)
	v_fma_f64 v[85:86], v[95:96], v[87:88], v[85:86]
	buffer_load_dword v94, off, s[0:3], 0 offset:268
	buffer_load_dword v95, off, s[0:3], 0 offset:288
	;; [unrolled: 1-line block ×7, first 2 shown]
	s_waitcnt vmcnt(23) lgkmcnt(0)
	v_fma_f64 v[85:86], v[97:98], v[89:90], v[85:86]
	s_waitcnt vmcnt(21)
	v_fma_f64 v[96:97], v[99:100], v[91:92], v[85:86]
	ds_read_b128 v[85:88], v84 offset:544
	ds_read_b128 v[89:92], v84 offset:560
	s_waitcnt vmcnt(19) lgkmcnt(1)
	v_fma_f64 v[85:86], v[101:102], v[85:86], v[96:97]
	buffer_load_dword v96, off, s[0:3], 0 offset:292
	s_waitcnt vmcnt(18)
	v_fma_f64 v[85:86], v[103:104], v[87:88], v[85:86]
	buffer_load_dword v98, off, s[0:3], 0 offset:300
	buffer_load_dword v99, off, s[0:3], 0 offset:320
	;; [unrolled: 1-line block ×8, first 2 shown]
	s_waitcnt vmcnt(24) lgkmcnt(0)
	v_fma_f64 v[85:86], v[105:106], v[89:90], v[85:86]
	s_waitcnt vmcnt(19)
	v_fma_f64 v[105:106], v[107:108], v[91:92], v[85:86]
	ds_read_b128 v[85:88], v84 offset:576
	ds_read_b128 v[89:92], v84 offset:592
	s_waitcnt vmcnt(18) lgkmcnt(1)
	v_fma_f64 v[85:86], v[113:114], v[85:86], v[105:106]
	buffer_load_dword v105, off, s[0:3], 0 offset:168
	buffer_load_dword v106, off, s[0:3], 0 offset:172
	s_waitcnt vmcnt(19)
	v_fma_f64 v[85:86], v[111:112], v[87:88], v[85:86]
	s_waitcnt vmcnt(18) lgkmcnt(0)
	v_fma_f64 v[85:86], v[109:110], v[89:90], v[85:86]
	s_waitcnt vmcnt(13)
	v_fma_f64 v[93:94], v[93:94], v[91:92], v[85:86]
	ds_read_b128 v[85:88], v84 offset:608
	ds_read_b128 v[89:92], v84 offset:624
	s_waitcnt vmcnt(12) lgkmcnt(1)
	v_fma_f64 v[85:86], v[117:118], v[85:86], v[93:94]
	s_waitcnt vmcnt(11)
	v_fma_f64 v[85:86], v[115:116], v[87:88], v[85:86]
	s_waitcnt vmcnt(10) lgkmcnt(0)
	v_fma_f64 v[85:86], v[95:96], v[89:90], v[85:86]
	s_waitcnt vmcnt(5)
	v_fma_f64 v[89:90], v[97:98], v[91:92], v[85:86]
	ds_read_b128 v[85:88], v84 offset:640
	ds_read_b64 v[91:92], v84 offset:656
	s_waitcnt vmcnt(4) lgkmcnt(1)
	v_fma_f64 v[85:86], v[103:104], v[85:86], v[89:90]
	s_waitcnt vmcnt(3)
	v_fma_f64 v[85:86], v[101:102], v[87:88], v[85:86]
	s_waitcnt vmcnt(2) lgkmcnt(0)
	v_fma_f64 v[85:86], v[99:100], v[91:92], v[85:86]
	s_waitcnt vmcnt(0)
	v_add_f64 v[85:86], v[105:106], -v[85:86]
	buffer_store_dword v86, off, s[0:3], 0 offset:172
	buffer_store_dword v85, off, s[0:3], 0 offset:168
	s_and_saveexec_b64 s[4:5], vcc
	s_cbranch_execz .LBB40_213
; %bb.212:
	buffer_load_dword v85, off, s[0:3], 0 offset:160
	buffer_load_dword v86, off, s[0:3], 0 offset:164
	s_waitcnt vmcnt(0)
	ds_write_b64 v83, v[85:86]
	buffer_store_dword v84, off, s[0:3], 0 offset:160
	buffer_store_dword v84, off, s[0:3], 0 offset:164
.LBB40_213:
	s_or_b64 exec, exec, s[4:5]
	s_waitcnt lgkmcnt(0)
	; wave barrier
	buffer_load_dword v93, off, s[0:3], 0 offset:168
	buffer_load_dword v94, off, s[0:3], 0 offset:172
	;; [unrolled: 1-line block ×22, first 2 shown]
	ds_read2_b64 v[85:88], v84 offset0:63 offset1:64
	ds_read2_b64 v[89:92], v84 offset0:65 offset1:66
	v_cmp_lt_u32_e32 vcc, 19, v0
	s_waitcnt vmcnt(20) lgkmcnt(1)
	v_fma_f64 v[85:86], v[93:94], v[85:86], 0
	s_waitcnt vmcnt(18)
	v_fma_f64 v[85:86], v[95:96], v[87:88], v[85:86]
	buffer_load_dword v94, off, s[0:3], 0 offset:260
	buffer_load_dword v95, off, s[0:3], 0 offset:280
	;; [unrolled: 1-line block ×7, first 2 shown]
	s_waitcnt vmcnt(23) lgkmcnt(0)
	v_fma_f64 v[85:86], v[97:98], v[89:90], v[85:86]
	s_waitcnt vmcnt(21)
	v_fma_f64 v[96:97], v[99:100], v[91:92], v[85:86]
	ds_read2_b64 v[85:88], v84 offset0:67 offset1:68
	ds_read2_b64 v[89:92], v84 offset0:69 offset1:70
	s_waitcnt vmcnt(19) lgkmcnt(1)
	v_fma_f64 v[85:86], v[101:102], v[85:86], v[96:97]
	buffer_load_dword v96, off, s[0:3], 0 offset:284
	s_waitcnt vmcnt(18)
	v_fma_f64 v[85:86], v[103:104], v[87:88], v[85:86]
	buffer_load_dword v98, off, s[0:3], 0 offset:292
	buffer_load_dword v99, off, s[0:3], 0 offset:312
	;; [unrolled: 1-line block ×8, first 2 shown]
	s_waitcnt vmcnt(24) lgkmcnt(0)
	v_fma_f64 v[85:86], v[105:106], v[89:90], v[85:86]
	s_waitcnt vmcnt(19)
	v_fma_f64 v[105:106], v[107:108], v[91:92], v[85:86]
	ds_read2_b64 v[85:88], v84 offset0:71 offset1:72
	ds_read2_b64 v[89:92], v84 offset0:73 offset1:74
	s_waitcnt vmcnt(18) lgkmcnt(1)
	v_fma_f64 v[85:86], v[113:114], v[85:86], v[105:106]
	buffer_load_dword v106, off, s[0:3], 0 offset:324
	buffer_load_dword v105, off, s[0:3], 0 offset:320
	;; [unrolled: 1-line block ×4, first 2 shown]
	s_waitcnt vmcnt(21)
	v_fma_f64 v[85:86], v[111:112], v[87:88], v[85:86]
	s_waitcnt vmcnt(20) lgkmcnt(0)
	v_fma_f64 v[85:86], v[109:110], v[89:90], v[85:86]
	s_waitcnt vmcnt(15)
	v_fma_f64 v[93:94], v[93:94], v[91:92], v[85:86]
	ds_read2_b64 v[85:88], v84 offset0:75 offset1:76
	ds_read2_b64 v[89:92], v84 offset0:77 offset1:78
	s_waitcnt vmcnt(14) lgkmcnt(1)
	v_fma_f64 v[85:86], v[117:118], v[85:86], v[93:94]
	s_waitcnt vmcnt(13)
	v_fma_f64 v[85:86], v[115:116], v[87:88], v[85:86]
	s_waitcnt vmcnt(12) lgkmcnt(0)
	v_fma_f64 v[85:86], v[95:96], v[89:90], v[85:86]
	s_waitcnt vmcnt(7)
	v_fma_f64 v[93:94], v[97:98], v[91:92], v[85:86]
	ds_read2_b64 v[85:88], v84 offset0:79 offset1:80
	ds_read2_b64 v[89:92], v84 offset0:81 offset1:82
	s_waitcnt vmcnt(6) lgkmcnt(1)
	v_fma_f64 v[84:85], v[103:104], v[85:86], v[93:94]
	s_waitcnt vmcnt(5)
	v_fma_f64 v[84:85], v[101:102], v[87:88], v[84:85]
	s_waitcnt vmcnt(4) lgkmcnt(0)
	v_fma_f64 v[84:85], v[99:100], v[89:90], v[84:85]
	s_waitcnt vmcnt(2)
	v_fma_f64 v[84:85], v[105:106], v[91:92], v[84:85]
	s_waitcnt vmcnt(0)
	v_add_f64 v[84:85], v[107:108], -v[84:85]
	buffer_store_dword v85, off, s[0:3], 0 offset:164
	buffer_store_dword v84, off, s[0:3], 0 offset:160
	s_and_saveexec_b64 s[4:5], vcc
	s_cbranch_execz .LBB40_215
; %bb.214:
	buffer_load_dword v84, off, s[0:3], 0 offset:152
	buffer_load_dword v85, off, s[0:3], 0 offset:156
	v_mov_b32_e32 v86, 0
	buffer_store_dword v86, off, s[0:3], 0 offset:152
	buffer_store_dword v86, off, s[0:3], 0 offset:156
	s_waitcnt vmcnt(2)
	ds_write_b64 v83, v[84:85]
.LBB40_215:
	s_or_b64 exec, exec, s[4:5]
	s_waitcnt lgkmcnt(0)
	; wave barrier
	buffer_load_dword v93, off, s[0:3], 0 offset:160
	buffer_load_dword v94, off, s[0:3], 0 offset:164
	;; [unrolled: 1-line block ×21, first 2 shown]
	v_mov_b32_e32 v84, 0
	ds_read_b128 v[85:88], v84 offset:496
	ds_read_b128 v[89:92], v84 offset:512
	buffer_load_dword v110, off, s[0:3], 0 offset:244
	v_cmp_lt_u32_e32 vcc, 18, v0
	s_waitcnt vmcnt(20) lgkmcnt(1)
	v_fma_f64 v[85:86], v[93:94], v[85:86], 0
	s_waitcnt vmcnt(18)
	v_fma_f64 v[85:86], v[95:96], v[87:88], v[85:86]
	buffer_load_dword v94, off, s[0:3], 0 offset:252
	buffer_load_dword v95, off, s[0:3], 0 offset:272
	;; [unrolled: 1-line block ×7, first 2 shown]
	s_waitcnt vmcnt(23) lgkmcnt(0)
	v_fma_f64 v[85:86], v[97:98], v[89:90], v[85:86]
	s_waitcnt vmcnt(21)
	v_fma_f64 v[96:97], v[99:100], v[91:92], v[85:86]
	ds_read_b128 v[85:88], v84 offset:528
	ds_read_b128 v[89:92], v84 offset:544
	s_waitcnt vmcnt(19) lgkmcnt(1)
	v_fma_f64 v[85:86], v[101:102], v[85:86], v[96:97]
	buffer_load_dword v96, off, s[0:3], 0 offset:276
	s_waitcnt vmcnt(18)
	v_fma_f64 v[85:86], v[103:104], v[87:88], v[85:86]
	buffer_load_dword v98, off, s[0:3], 0 offset:284
	buffer_load_dword v99, off, s[0:3], 0 offset:304
	;; [unrolled: 1-line block ×7, first 2 shown]
	s_waitcnt vmcnt(23) lgkmcnt(0)
	v_fma_f64 v[85:86], v[105:106], v[89:90], v[85:86]
	s_waitcnt vmcnt(18)
	v_fma_f64 v[105:106], v[107:108], v[91:92], v[85:86]
	ds_read_b128 v[85:88], v84 offset:560
	ds_read_b128 v[89:92], v84 offset:576
	buffer_load_dword v100, off, s[0:3], 0 offset:308
	s_waitcnt vmcnt(18) lgkmcnt(1)
	v_fma_f64 v[85:86], v[113:114], v[85:86], v[105:106]
	buffer_load_dword v106, off, s[0:3], 0 offset:316
	buffer_load_dword v107, off, s[0:3], 0 offset:320
	;; [unrolled: 1-line block ×4, first 2 shown]
	s_waitcnt vmcnt(21)
	v_fma_f64 v[85:86], v[111:112], v[87:88], v[85:86]
	s_waitcnt vmcnt(20) lgkmcnt(0)
	v_fma_f64 v[85:86], v[109:110], v[89:90], v[85:86]
	buffer_load_dword v109, off, s[0:3], 0 offset:152
	buffer_load_dword v110, off, s[0:3], 0 offset:156
	s_waitcnt vmcnt(17)
	v_fma_f64 v[93:94], v[93:94], v[91:92], v[85:86]
	ds_read_b128 v[85:88], v84 offset:592
	ds_read_b128 v[89:92], v84 offset:608
	s_waitcnt vmcnt(16) lgkmcnt(1)
	v_fma_f64 v[85:86], v[117:118], v[85:86], v[93:94]
	s_waitcnt vmcnt(15)
	v_fma_f64 v[85:86], v[115:116], v[87:88], v[85:86]
	s_waitcnt vmcnt(14) lgkmcnt(0)
	v_fma_f64 v[85:86], v[95:96], v[89:90], v[85:86]
	s_waitcnt vmcnt(9)
	v_fma_f64 v[93:94], v[97:98], v[91:92], v[85:86]
	ds_read_b128 v[85:88], v84 offset:624
	ds_read_b128 v[89:92], v84 offset:640
	s_waitcnt vmcnt(8) lgkmcnt(1)
	v_fma_f64 v[85:86], v[103:104], v[85:86], v[93:94]
	s_waitcnt vmcnt(7)
	v_fma_f64 v[85:86], v[101:102], v[87:88], v[85:86]
	ds_read_b64 v[87:88], v84 offset:656
	s_waitcnt vmcnt(6) lgkmcnt(1)
	v_fma_f64 v[85:86], v[99:100], v[89:90], v[85:86]
	s_waitcnt vmcnt(3)
	v_fma_f64 v[85:86], v[105:106], v[91:92], v[85:86]
	s_waitcnt vmcnt(2) lgkmcnt(0)
	v_fma_f64 v[85:86], v[107:108], v[87:88], v[85:86]
	s_waitcnt vmcnt(0)
	v_add_f64 v[85:86], v[109:110], -v[85:86]
	buffer_store_dword v86, off, s[0:3], 0 offset:156
	buffer_store_dword v85, off, s[0:3], 0 offset:152
	s_and_saveexec_b64 s[4:5], vcc
	s_cbranch_execz .LBB40_217
; %bb.216:
	buffer_load_dword v85, off, s[0:3], 0 offset:144
	buffer_load_dword v86, off, s[0:3], 0 offset:148
	s_waitcnt vmcnt(0)
	ds_write_b64 v83, v[85:86]
	buffer_store_dword v84, off, s[0:3], 0 offset:144
	buffer_store_dword v84, off, s[0:3], 0 offset:148
.LBB40_217:
	s_or_b64 exec, exec, s[4:5]
	s_waitcnt lgkmcnt(0)
	; wave barrier
	buffer_load_dword v93, off, s[0:3], 0 offset:152
	buffer_load_dword v94, off, s[0:3], 0 offset:156
	;; [unrolled: 1-line block ×21, first 2 shown]
	ds_read2_b64 v[85:88], v84 offset0:61 offset1:62
	ds_read2_b64 v[89:92], v84 offset0:63 offset1:64
	buffer_load_dword v110, off, s[0:3], 0 offset:236
	v_cmp_lt_u32_e32 vcc, 17, v0
	s_waitcnt vmcnt(20) lgkmcnt(1)
	v_fma_f64 v[85:86], v[93:94], v[85:86], 0
	s_waitcnt vmcnt(18)
	v_fma_f64 v[85:86], v[95:96], v[87:88], v[85:86]
	buffer_load_dword v94, off, s[0:3], 0 offset:244
	buffer_load_dword v95, off, s[0:3], 0 offset:264
	;; [unrolled: 1-line block ×7, first 2 shown]
	s_waitcnt vmcnt(23) lgkmcnt(0)
	v_fma_f64 v[85:86], v[97:98], v[89:90], v[85:86]
	s_waitcnt vmcnt(21)
	v_fma_f64 v[96:97], v[99:100], v[91:92], v[85:86]
	ds_read2_b64 v[85:88], v84 offset0:65 offset1:66
	ds_read2_b64 v[89:92], v84 offset0:67 offset1:68
	s_waitcnt vmcnt(19) lgkmcnt(1)
	v_fma_f64 v[85:86], v[101:102], v[85:86], v[96:97]
	buffer_load_dword v96, off, s[0:3], 0 offset:268
	s_waitcnt vmcnt(18)
	v_fma_f64 v[85:86], v[103:104], v[87:88], v[85:86]
	buffer_load_dword v98, off, s[0:3], 0 offset:276
	buffer_load_dword v99, off, s[0:3], 0 offset:296
	;; [unrolled: 1-line block ×8, first 2 shown]
	s_waitcnt vmcnt(24) lgkmcnt(0)
	v_fma_f64 v[85:86], v[105:106], v[89:90], v[85:86]
	s_waitcnt vmcnt(19)
	v_fma_f64 v[105:106], v[107:108], v[91:92], v[85:86]
	ds_read2_b64 v[85:88], v84 offset0:69 offset1:70
	ds_read2_b64 v[89:92], v84 offset0:71 offset1:72
	s_waitcnt vmcnt(18) lgkmcnt(1)
	v_fma_f64 v[85:86], v[113:114], v[85:86], v[105:106]
	s_waitcnt vmcnt(17)
	v_fma_f64 v[85:86], v[111:112], v[87:88], v[85:86]
	buffer_load_dword v106, off, s[0:3], 0 offset:308
	buffer_load_dword v107, off, s[0:3], 0 offset:320
	;; [unrolled: 1-line block ×6, first 2 shown]
	s_waitcnt vmcnt(22) lgkmcnt(0)
	v_fma_f64 v[85:86], v[109:110], v[89:90], v[85:86]
	s_waitcnt vmcnt(17)
	v_fma_f64 v[93:94], v[93:94], v[91:92], v[85:86]
	ds_read2_b64 v[85:88], v84 offset0:73 offset1:74
	buffer_load_dword v109, off, s[0:3], 0 offset:144
	buffer_load_dword v110, off, s[0:3], 0 offset:148
	ds_read2_b64 v[89:92], v84 offset0:75 offset1:76
	s_waitcnt vmcnt(18) lgkmcnt(1)
	v_fma_f64 v[85:86], v[117:118], v[85:86], v[93:94]
	s_waitcnt vmcnt(17)
	v_fma_f64 v[85:86], v[115:116], v[87:88], v[85:86]
	s_waitcnt vmcnt(16) lgkmcnt(0)
	v_fma_f64 v[85:86], v[95:96], v[89:90], v[85:86]
	s_waitcnt vmcnt(11)
	v_fma_f64 v[93:94], v[97:98], v[91:92], v[85:86]
	ds_read2_b64 v[85:88], v84 offset0:77 offset1:78
	ds_read2_b64 v[89:92], v84 offset0:79 offset1:80
	s_waitcnt vmcnt(10) lgkmcnt(1)
	v_fma_f64 v[85:86], v[103:104], v[85:86], v[93:94]
	s_waitcnt vmcnt(9)
	v_fma_f64 v[85:86], v[101:102], v[87:88], v[85:86]
	s_waitcnt vmcnt(8) lgkmcnt(0)
	v_fma_f64 v[85:86], v[99:100], v[89:90], v[85:86]
	s_waitcnt vmcnt(4)
	v_fma_f64 v[88:89], v[105:106], v[91:92], v[85:86]
	ds_read2_b64 v[84:87], v84 offset0:81 offset1:82
	s_waitcnt vmcnt(3) lgkmcnt(0)
	v_fma_f64 v[84:85], v[111:112], v[84:85], v[88:89]
	s_waitcnt vmcnt(2)
	v_fma_f64 v[84:85], v[107:108], v[86:87], v[84:85]
	s_waitcnt vmcnt(0)
	v_add_f64 v[84:85], v[109:110], -v[84:85]
	buffer_store_dword v85, off, s[0:3], 0 offset:148
	buffer_store_dword v84, off, s[0:3], 0 offset:144
	s_and_saveexec_b64 s[4:5], vcc
	s_cbranch_execz .LBB40_219
; %bb.218:
	buffer_load_dword v84, off, s[0:3], 0 offset:136
	buffer_load_dword v85, off, s[0:3], 0 offset:140
	v_mov_b32_e32 v86, 0
	buffer_store_dword v86, off, s[0:3], 0 offset:136
	buffer_store_dword v86, off, s[0:3], 0 offset:140
	s_waitcnt vmcnt(2)
	ds_write_b64 v83, v[84:85]
.LBB40_219:
	s_or_b64 exec, exec, s[4:5]
	s_waitcnt lgkmcnt(0)
	; wave barrier
	buffer_load_dword v93, off, s[0:3], 0 offset:144
	buffer_load_dword v94, off, s[0:3], 0 offset:148
	;; [unrolled: 1-line block ×21, first 2 shown]
	v_mov_b32_e32 v84, 0
	ds_read_b128 v[85:88], v84 offset:480
	ds_read_b128 v[89:92], v84 offset:496
	buffer_load_dword v110, off, s[0:3], 0 offset:228
	v_cmp_lt_u32_e32 vcc, 16, v0
	s_waitcnt vmcnt(20) lgkmcnt(1)
	v_fma_f64 v[85:86], v[93:94], v[85:86], 0
	s_waitcnt vmcnt(18)
	v_fma_f64 v[85:86], v[95:96], v[87:88], v[85:86]
	buffer_load_dword v94, off, s[0:3], 0 offset:236
	buffer_load_dword v95, off, s[0:3], 0 offset:256
	;; [unrolled: 1-line block ×7, first 2 shown]
	s_waitcnt vmcnt(23) lgkmcnt(0)
	v_fma_f64 v[85:86], v[97:98], v[89:90], v[85:86]
	s_waitcnt vmcnt(21)
	v_fma_f64 v[96:97], v[99:100], v[91:92], v[85:86]
	ds_read_b128 v[85:88], v84 offset:512
	ds_read_b128 v[89:92], v84 offset:528
	s_waitcnt vmcnt(19) lgkmcnt(1)
	v_fma_f64 v[85:86], v[101:102], v[85:86], v[96:97]
	buffer_load_dword v96, off, s[0:3], 0 offset:260
	s_waitcnt vmcnt(18)
	v_fma_f64 v[85:86], v[103:104], v[87:88], v[85:86]
	buffer_load_dword v98, off, s[0:3], 0 offset:268
	buffer_load_dword v99, off, s[0:3], 0 offset:288
	;; [unrolled: 1-line block ×8, first 2 shown]
	s_waitcnt vmcnt(24) lgkmcnt(0)
	v_fma_f64 v[85:86], v[105:106], v[89:90], v[85:86]
	s_waitcnt vmcnt(19)
	v_fma_f64 v[105:106], v[107:108], v[91:92], v[85:86]
	ds_read_b128 v[85:88], v84 offset:544
	ds_read_b128 v[89:92], v84 offset:560
	s_waitcnt vmcnt(18) lgkmcnt(1)
	v_fma_f64 v[85:86], v[113:114], v[85:86], v[105:106]
	s_waitcnt vmcnt(17)
	v_fma_f64 v[85:86], v[111:112], v[87:88], v[85:86]
	buffer_load_dword v106, off, s[0:3], 0 offset:300
	buffer_load_dword v107, off, s[0:3], 0 offset:320
	;; [unrolled: 1-line block ×8, first 2 shown]
	s_waitcnt vmcnt(24) lgkmcnt(0)
	v_fma_f64 v[85:86], v[109:110], v[89:90], v[85:86]
	s_waitcnt vmcnt(19)
	v_fma_f64 v[93:94], v[93:94], v[91:92], v[85:86]
	ds_read_b128 v[85:88], v84 offset:576
	ds_read_b128 v[89:92], v84 offset:592
	s_waitcnt vmcnt(18) lgkmcnt(1)
	v_fma_f64 v[85:86], v[117:118], v[85:86], v[93:94]
	buffer_load_dword v93, off, s[0:3], 0 offset:136
	buffer_load_dword v94, off, s[0:3], 0 offset:140
	s_waitcnt vmcnt(19)
	v_fma_f64 v[85:86], v[115:116], v[87:88], v[85:86]
	s_waitcnt vmcnt(18) lgkmcnt(0)
	v_fma_f64 v[85:86], v[95:96], v[89:90], v[85:86]
	s_waitcnt vmcnt(13)
	v_fma_f64 v[95:96], v[97:98], v[91:92], v[85:86]
	ds_read_b128 v[85:88], v84 offset:608
	ds_read_b128 v[89:92], v84 offset:624
	s_waitcnt vmcnt(12) lgkmcnt(1)
	v_fma_f64 v[85:86], v[103:104], v[85:86], v[95:96]
	s_waitcnt vmcnt(11)
	v_fma_f64 v[85:86], v[101:102], v[87:88], v[85:86]
	s_waitcnt vmcnt(10) lgkmcnt(0)
	v_fma_f64 v[85:86], v[99:100], v[89:90], v[85:86]
	s_waitcnt vmcnt(5)
	v_fma_f64 v[89:90], v[105:106], v[91:92], v[85:86]
	ds_read_b128 v[85:88], v84 offset:640
	ds_read_b64 v[91:92], v84 offset:656
	s_waitcnt vmcnt(4) lgkmcnt(1)
	v_fma_f64 v[85:86], v[113:114], v[85:86], v[89:90]
	s_waitcnt vmcnt(3)
	v_fma_f64 v[85:86], v[111:112], v[87:88], v[85:86]
	s_waitcnt vmcnt(2) lgkmcnt(0)
	v_fma_f64 v[85:86], v[107:108], v[91:92], v[85:86]
	s_waitcnt vmcnt(0)
	v_add_f64 v[85:86], v[93:94], -v[85:86]
	buffer_store_dword v86, off, s[0:3], 0 offset:140
	buffer_store_dword v85, off, s[0:3], 0 offset:136
	s_and_saveexec_b64 s[4:5], vcc
	s_cbranch_execz .LBB40_221
; %bb.220:
	buffer_load_dword v85, off, s[0:3], 0 offset:128
	buffer_load_dword v86, off, s[0:3], 0 offset:132
	s_waitcnt vmcnt(0)
	ds_write_b64 v83, v[85:86]
	buffer_store_dword v84, off, s[0:3], 0 offset:128
	buffer_store_dword v84, off, s[0:3], 0 offset:132
.LBB40_221:
	s_or_b64 exec, exec, s[4:5]
	s_waitcnt lgkmcnt(0)
	; wave barrier
	buffer_load_dword v93, off, s[0:3], 0 offset:136
	buffer_load_dword v94, off, s[0:3], 0 offset:140
	;; [unrolled: 1-line block ×21, first 2 shown]
	ds_read2_b64 v[85:88], v84 offset0:59 offset1:60
	ds_read2_b64 v[89:92], v84 offset0:61 offset1:62
	buffer_load_dword v110, off, s[0:3], 0 offset:220
	v_cmp_lt_u32_e32 vcc, 15, v0
	s_waitcnt vmcnt(20) lgkmcnt(1)
	v_fma_f64 v[85:86], v[93:94], v[85:86], 0
	s_waitcnt vmcnt(18)
	v_fma_f64 v[85:86], v[95:96], v[87:88], v[85:86]
	buffer_load_dword v94, off, s[0:3], 0 offset:228
	buffer_load_dword v95, off, s[0:3], 0 offset:248
	;; [unrolled: 1-line block ×7, first 2 shown]
	s_waitcnt vmcnt(23) lgkmcnt(0)
	v_fma_f64 v[85:86], v[97:98], v[89:90], v[85:86]
	s_waitcnt vmcnt(21)
	v_fma_f64 v[96:97], v[99:100], v[91:92], v[85:86]
	ds_read2_b64 v[85:88], v84 offset0:63 offset1:64
	ds_read2_b64 v[89:92], v84 offset0:65 offset1:66
	s_waitcnt vmcnt(19) lgkmcnt(1)
	v_fma_f64 v[85:86], v[101:102], v[85:86], v[96:97]
	buffer_load_dword v96, off, s[0:3], 0 offset:252
	s_waitcnt vmcnt(18)
	v_fma_f64 v[85:86], v[103:104], v[87:88], v[85:86]
	buffer_load_dword v98, off, s[0:3], 0 offset:260
	buffer_load_dword v99, off, s[0:3], 0 offset:280
	;; [unrolled: 1-line block ×8, first 2 shown]
	s_waitcnt vmcnt(24) lgkmcnt(0)
	v_fma_f64 v[85:86], v[105:106], v[89:90], v[85:86]
	s_waitcnt vmcnt(19)
	v_fma_f64 v[105:106], v[107:108], v[91:92], v[85:86]
	ds_read2_b64 v[85:88], v84 offset0:67 offset1:68
	ds_read2_b64 v[89:92], v84 offset0:69 offset1:70
	s_waitcnt vmcnt(18) lgkmcnt(1)
	v_fma_f64 v[85:86], v[113:114], v[85:86], v[105:106]
	s_waitcnt vmcnt(17)
	v_fma_f64 v[85:86], v[111:112], v[87:88], v[85:86]
	buffer_load_dword v106, off, s[0:3], 0 offset:292
	buffer_load_dword v107, off, s[0:3], 0 offset:312
	;; [unrolled: 1-line block ×8, first 2 shown]
	s_waitcnt vmcnt(24) lgkmcnt(0)
	v_fma_f64 v[85:86], v[109:110], v[89:90], v[85:86]
	s_waitcnt vmcnt(19)
	v_fma_f64 v[93:94], v[93:94], v[91:92], v[85:86]
	ds_read2_b64 v[85:88], v84 offset0:71 offset1:72
	ds_read2_b64 v[89:92], v84 offset0:73 offset1:74
	s_waitcnt vmcnt(18) lgkmcnt(1)
	v_fma_f64 v[85:86], v[117:118], v[85:86], v[93:94]
	buffer_load_dword v94, off, s[0:3], 0 offset:324
	buffer_load_dword v93, off, s[0:3], 0 offset:320
	;; [unrolled: 1-line block ×4, first 2 shown]
	s_waitcnt vmcnt(21)
	v_fma_f64 v[85:86], v[115:116], v[87:88], v[85:86]
	s_waitcnt vmcnt(20) lgkmcnt(0)
	v_fma_f64 v[85:86], v[95:96], v[89:90], v[85:86]
	s_waitcnt vmcnt(15)
	v_fma_f64 v[95:96], v[97:98], v[91:92], v[85:86]
	ds_read2_b64 v[85:88], v84 offset0:75 offset1:76
	ds_read2_b64 v[89:92], v84 offset0:77 offset1:78
	s_waitcnt vmcnt(14) lgkmcnt(1)
	v_fma_f64 v[85:86], v[103:104], v[85:86], v[95:96]
	s_waitcnt vmcnt(13)
	v_fma_f64 v[85:86], v[101:102], v[87:88], v[85:86]
	s_waitcnt vmcnt(12) lgkmcnt(0)
	v_fma_f64 v[85:86], v[99:100], v[89:90], v[85:86]
	s_waitcnt vmcnt(7)
	v_fma_f64 v[95:96], v[105:106], v[91:92], v[85:86]
	ds_read2_b64 v[85:88], v84 offset0:79 offset1:80
	ds_read2_b64 v[89:92], v84 offset0:81 offset1:82
	s_waitcnt vmcnt(6) lgkmcnt(1)
	v_fma_f64 v[84:85], v[113:114], v[85:86], v[95:96]
	s_waitcnt vmcnt(5)
	v_fma_f64 v[84:85], v[111:112], v[87:88], v[84:85]
	s_waitcnt vmcnt(4) lgkmcnt(0)
	v_fma_f64 v[84:85], v[107:108], v[89:90], v[84:85]
	s_waitcnt vmcnt(2)
	v_fma_f64 v[84:85], v[93:94], v[91:92], v[84:85]
	s_waitcnt vmcnt(0)
	v_add_f64 v[84:85], v[109:110], -v[84:85]
	buffer_store_dword v85, off, s[0:3], 0 offset:132
	buffer_store_dword v84, off, s[0:3], 0 offset:128
	s_and_saveexec_b64 s[4:5], vcc
	s_cbranch_execz .LBB40_223
; %bb.222:
	buffer_load_dword v84, off, s[0:3], 0 offset:120
	buffer_load_dword v85, off, s[0:3], 0 offset:124
	v_mov_b32_e32 v86, 0
	buffer_store_dword v86, off, s[0:3], 0 offset:120
	buffer_store_dword v86, off, s[0:3], 0 offset:124
	s_waitcnt vmcnt(2)
	ds_write_b64 v83, v[84:85]
.LBB40_223:
	s_or_b64 exec, exec, s[4:5]
	s_waitcnt lgkmcnt(0)
	; wave barrier
	buffer_load_dword v93, off, s[0:3], 0 offset:128
	buffer_load_dword v94, off, s[0:3], 0 offset:132
	;; [unrolled: 1-line block ×21, first 2 shown]
	v_mov_b32_e32 v84, 0
	ds_read_b128 v[85:88], v84 offset:464
	ds_read_b128 v[89:92], v84 offset:480
	buffer_load_dword v110, off, s[0:3], 0 offset:212
	v_cmp_lt_u32_e32 vcc, 14, v0
	s_waitcnt vmcnt(20) lgkmcnt(1)
	v_fma_f64 v[85:86], v[93:94], v[85:86], 0
	s_waitcnt vmcnt(18)
	v_fma_f64 v[85:86], v[95:96], v[87:88], v[85:86]
	buffer_load_dword v94, off, s[0:3], 0 offset:220
	buffer_load_dword v95, off, s[0:3], 0 offset:240
	;; [unrolled: 1-line block ×7, first 2 shown]
	s_waitcnt vmcnt(23) lgkmcnt(0)
	v_fma_f64 v[85:86], v[97:98], v[89:90], v[85:86]
	s_waitcnt vmcnt(21)
	v_fma_f64 v[96:97], v[99:100], v[91:92], v[85:86]
	ds_read_b128 v[85:88], v84 offset:496
	ds_read_b128 v[89:92], v84 offset:512
	s_waitcnt vmcnt(19) lgkmcnt(1)
	v_fma_f64 v[85:86], v[101:102], v[85:86], v[96:97]
	buffer_load_dword v96, off, s[0:3], 0 offset:244
	s_waitcnt vmcnt(18)
	v_fma_f64 v[85:86], v[103:104], v[87:88], v[85:86]
	buffer_load_dword v98, off, s[0:3], 0 offset:252
	buffer_load_dword v99, off, s[0:3], 0 offset:272
	;; [unrolled: 1-line block ×8, first 2 shown]
	s_waitcnt vmcnt(24) lgkmcnt(0)
	v_fma_f64 v[85:86], v[105:106], v[89:90], v[85:86]
	s_waitcnt vmcnt(19)
	v_fma_f64 v[105:106], v[107:108], v[91:92], v[85:86]
	ds_read_b128 v[85:88], v84 offset:528
	ds_read_b128 v[89:92], v84 offset:544
	s_waitcnt vmcnt(18) lgkmcnt(1)
	v_fma_f64 v[85:86], v[113:114], v[85:86], v[105:106]
	s_waitcnt vmcnt(17)
	v_fma_f64 v[85:86], v[111:112], v[87:88], v[85:86]
	buffer_load_dword v106, off, s[0:3], 0 offset:284
	buffer_load_dword v107, off, s[0:3], 0 offset:304
	;; [unrolled: 1-line block ×7, first 2 shown]
	s_waitcnt vmcnt(23) lgkmcnt(0)
	v_fma_f64 v[85:86], v[109:110], v[89:90], v[85:86]
	s_waitcnt vmcnt(18)
	v_fma_f64 v[93:94], v[93:94], v[91:92], v[85:86]
	ds_read_b128 v[85:88], v84 offset:560
	ds_read_b128 v[89:92], v84 offset:576
	buffer_load_dword v108, off, s[0:3], 0 offset:308
	s_waitcnt vmcnt(18) lgkmcnt(1)
	v_fma_f64 v[85:86], v[117:118], v[85:86], v[93:94]
	buffer_load_dword v94, off, s[0:3], 0 offset:316
	buffer_load_dword v109, off, s[0:3], 0 offset:320
	;; [unrolled: 1-line block ×4, first 2 shown]
	s_waitcnt vmcnt(21)
	v_fma_f64 v[85:86], v[115:116], v[87:88], v[85:86]
	s_waitcnt vmcnt(20) lgkmcnt(0)
	v_fma_f64 v[85:86], v[95:96], v[89:90], v[85:86]
	buffer_load_dword v95, off, s[0:3], 0 offset:120
	buffer_load_dword v96, off, s[0:3], 0 offset:124
	s_waitcnt vmcnt(17)
	v_fma_f64 v[97:98], v[97:98], v[91:92], v[85:86]
	ds_read_b128 v[85:88], v84 offset:592
	ds_read_b128 v[89:92], v84 offset:608
	s_waitcnt vmcnt(16) lgkmcnt(1)
	v_fma_f64 v[85:86], v[103:104], v[85:86], v[97:98]
	s_waitcnt vmcnt(15)
	v_fma_f64 v[85:86], v[101:102], v[87:88], v[85:86]
	s_waitcnt vmcnt(14) lgkmcnt(0)
	v_fma_f64 v[85:86], v[99:100], v[89:90], v[85:86]
	s_waitcnt vmcnt(9)
	v_fma_f64 v[97:98], v[105:106], v[91:92], v[85:86]
	ds_read_b128 v[85:88], v84 offset:624
	ds_read_b128 v[89:92], v84 offset:640
	s_waitcnt vmcnt(8) lgkmcnt(1)
	v_fma_f64 v[85:86], v[113:114], v[85:86], v[97:98]
	s_waitcnt vmcnt(7)
	v_fma_f64 v[85:86], v[111:112], v[87:88], v[85:86]
	ds_read_b64 v[87:88], v84 offset:656
	s_waitcnt vmcnt(6) lgkmcnt(1)
	v_fma_f64 v[85:86], v[107:108], v[89:90], v[85:86]
	s_waitcnt vmcnt(3)
	v_fma_f64 v[85:86], v[93:94], v[91:92], v[85:86]
	s_waitcnt vmcnt(2) lgkmcnt(0)
	v_fma_f64 v[85:86], v[109:110], v[87:88], v[85:86]
	s_waitcnt vmcnt(0)
	v_add_f64 v[85:86], v[95:96], -v[85:86]
	buffer_store_dword v86, off, s[0:3], 0 offset:124
	buffer_store_dword v85, off, s[0:3], 0 offset:120
	s_and_saveexec_b64 s[4:5], vcc
	s_cbranch_execz .LBB40_225
; %bb.224:
	buffer_load_dword v85, off, s[0:3], 0 offset:112
	buffer_load_dword v86, off, s[0:3], 0 offset:116
	s_waitcnt vmcnt(0)
	ds_write_b64 v83, v[85:86]
	buffer_store_dword v84, off, s[0:3], 0 offset:112
	buffer_store_dword v84, off, s[0:3], 0 offset:116
.LBB40_225:
	s_or_b64 exec, exec, s[4:5]
	s_waitcnt lgkmcnt(0)
	; wave barrier
	buffer_load_dword v93, off, s[0:3], 0 offset:120
	buffer_load_dword v94, off, s[0:3], 0 offset:124
	;; [unrolled: 1-line block ×22, first 2 shown]
	ds_read2_b64 v[85:88], v84 offset0:57 offset1:58
	ds_read2_b64 v[89:92], v84 offset0:59 offset1:60
	v_cmp_lt_u32_e32 vcc, 13, v0
	s_waitcnt vmcnt(20) lgkmcnt(1)
	v_fma_f64 v[85:86], v[93:94], v[85:86], 0
	s_waitcnt vmcnt(18)
	v_fma_f64 v[85:86], v[95:96], v[87:88], v[85:86]
	buffer_load_dword v94, off, s[0:3], 0 offset:212
	buffer_load_dword v95, off, s[0:3], 0 offset:232
	;; [unrolled: 1-line block ×7, first 2 shown]
	s_waitcnt vmcnt(23) lgkmcnt(0)
	v_fma_f64 v[85:86], v[97:98], v[89:90], v[85:86]
	s_waitcnt vmcnt(21)
	v_fma_f64 v[96:97], v[99:100], v[91:92], v[85:86]
	ds_read2_b64 v[85:88], v84 offset0:61 offset1:62
	ds_read2_b64 v[89:92], v84 offset0:63 offset1:64
	s_waitcnt vmcnt(19) lgkmcnt(1)
	v_fma_f64 v[85:86], v[101:102], v[85:86], v[96:97]
	buffer_load_dword v96, off, s[0:3], 0 offset:236
	s_waitcnt vmcnt(18)
	v_fma_f64 v[85:86], v[103:104], v[87:88], v[85:86]
	buffer_load_dword v98, off, s[0:3], 0 offset:244
	buffer_load_dword v99, off, s[0:3], 0 offset:264
	;; [unrolled: 1-line block ×8, first 2 shown]
	s_waitcnt vmcnt(24) lgkmcnt(0)
	v_fma_f64 v[85:86], v[105:106], v[89:90], v[85:86]
	s_waitcnt vmcnt(19)
	v_fma_f64 v[105:106], v[107:108], v[91:92], v[85:86]
	ds_read2_b64 v[85:88], v84 offset0:65 offset1:66
	ds_read2_b64 v[89:92], v84 offset0:67 offset1:68
	s_waitcnt vmcnt(18) lgkmcnt(1)
	v_fma_f64 v[85:86], v[113:114], v[85:86], v[105:106]
	s_waitcnt vmcnt(17)
	v_fma_f64 v[85:86], v[111:112], v[87:88], v[85:86]
	buffer_load_dword v106, off, s[0:3], 0 offset:276
	buffer_load_dword v107, off, s[0:3], 0 offset:296
	;; [unrolled: 1-line block ×8, first 2 shown]
	s_waitcnt vmcnt(24) lgkmcnt(0)
	v_fma_f64 v[85:86], v[109:110], v[89:90], v[85:86]
	s_waitcnt vmcnt(19)
	v_fma_f64 v[93:94], v[93:94], v[91:92], v[85:86]
	ds_read2_b64 v[85:88], v84 offset0:69 offset1:70
	ds_read2_b64 v[89:92], v84 offset0:71 offset1:72
	s_waitcnt vmcnt(18) lgkmcnt(1)
	v_fma_f64 v[85:86], v[117:118], v[85:86], v[93:94]
	s_waitcnt vmcnt(17)
	v_fma_f64 v[85:86], v[115:116], v[87:88], v[85:86]
	buffer_load_dword v94, off, s[0:3], 0 offset:308
	buffer_load_dword v109, off, s[0:3], 0 offset:320
	buffer_load_dword v115, off, s[0:3], 0 offset:312
	buffer_load_dword v93, off, s[0:3], 0 offset:304
	buffer_load_dword v116, off, s[0:3], 0 offset:316
	buffer_load_dword v110, off, s[0:3], 0 offset:324
	s_waitcnt vmcnt(22) lgkmcnt(0)
	v_fma_f64 v[85:86], v[95:96], v[89:90], v[85:86]
	s_waitcnt vmcnt(17)
	v_fma_f64 v[95:96], v[97:98], v[91:92], v[85:86]
	ds_read2_b64 v[85:88], v84 offset0:73 offset1:74
	buffer_load_dword v97, off, s[0:3], 0 offset:112
	buffer_load_dword v98, off, s[0:3], 0 offset:116
	ds_read2_b64 v[89:92], v84 offset0:75 offset1:76
	s_waitcnt vmcnt(18) lgkmcnt(1)
	v_fma_f64 v[85:86], v[103:104], v[85:86], v[95:96]
	s_waitcnt vmcnt(17)
	v_fma_f64 v[85:86], v[101:102], v[87:88], v[85:86]
	s_waitcnt vmcnt(16) lgkmcnt(0)
	v_fma_f64 v[85:86], v[99:100], v[89:90], v[85:86]
	s_waitcnt vmcnt(11)
	v_fma_f64 v[95:96], v[105:106], v[91:92], v[85:86]
	ds_read2_b64 v[85:88], v84 offset0:77 offset1:78
	ds_read2_b64 v[89:92], v84 offset0:79 offset1:80
	s_waitcnt vmcnt(10) lgkmcnt(1)
	v_fma_f64 v[85:86], v[113:114], v[85:86], v[95:96]
	s_waitcnt vmcnt(9)
	v_fma_f64 v[85:86], v[111:112], v[87:88], v[85:86]
	s_waitcnt vmcnt(8) lgkmcnt(0)
	v_fma_f64 v[85:86], v[107:108], v[89:90], v[85:86]
	s_waitcnt vmcnt(4)
	v_fma_f64 v[88:89], v[93:94], v[91:92], v[85:86]
	ds_read2_b64 v[84:87], v84 offset0:81 offset1:82
	s_waitcnt vmcnt(3) lgkmcnt(0)
	v_fma_f64 v[84:85], v[115:116], v[84:85], v[88:89]
	s_waitcnt vmcnt(2)
	v_fma_f64 v[84:85], v[109:110], v[86:87], v[84:85]
	s_waitcnt vmcnt(0)
	v_add_f64 v[84:85], v[97:98], -v[84:85]
	buffer_store_dword v85, off, s[0:3], 0 offset:116
	buffer_store_dword v84, off, s[0:3], 0 offset:112
	s_and_saveexec_b64 s[4:5], vcc
	s_cbranch_execz .LBB40_227
; %bb.226:
	buffer_load_dword v84, off, s[0:3], 0 offset:104
	buffer_load_dword v85, off, s[0:3], 0 offset:108
	v_mov_b32_e32 v86, 0
	buffer_store_dword v86, off, s[0:3], 0 offset:104
	buffer_store_dword v86, off, s[0:3], 0 offset:108
	s_waitcnt vmcnt(2)
	ds_write_b64 v83, v[84:85]
.LBB40_227:
	s_or_b64 exec, exec, s[4:5]
	s_waitcnt lgkmcnt(0)
	; wave barrier
	buffer_load_dword v93, off, s[0:3], 0 offset:112
	buffer_load_dword v94, off, s[0:3], 0 offset:116
	;; [unrolled: 1-line block ×22, first 2 shown]
	v_mov_b32_e32 v84, 0
	ds_read_b128 v[85:88], v84 offset:448
	ds_read_b128 v[89:92], v84 offset:464
	v_cmp_lt_u32_e32 vcc, 12, v0
	s_waitcnt vmcnt(20) lgkmcnt(1)
	v_fma_f64 v[85:86], v[93:94], v[85:86], 0
	s_waitcnt vmcnt(18)
	v_fma_f64 v[85:86], v[95:96], v[87:88], v[85:86]
	buffer_load_dword v94, off, s[0:3], 0 offset:204
	buffer_load_dword v95, off, s[0:3], 0 offset:224
	;; [unrolled: 1-line block ×7, first 2 shown]
	s_waitcnt vmcnt(23) lgkmcnt(0)
	v_fma_f64 v[85:86], v[97:98], v[89:90], v[85:86]
	s_waitcnt vmcnt(21)
	v_fma_f64 v[96:97], v[99:100], v[91:92], v[85:86]
	ds_read_b128 v[85:88], v84 offset:480
	ds_read_b128 v[89:92], v84 offset:496
	s_waitcnt vmcnt(19) lgkmcnt(1)
	v_fma_f64 v[85:86], v[101:102], v[85:86], v[96:97]
	buffer_load_dword v96, off, s[0:3], 0 offset:228
	s_waitcnt vmcnt(18)
	v_fma_f64 v[85:86], v[103:104], v[87:88], v[85:86]
	buffer_load_dword v98, off, s[0:3], 0 offset:236
	buffer_load_dword v99, off, s[0:3], 0 offset:256
	buffer_load_dword v101, off, s[0:3], 0 offset:248
	buffer_load_dword v103, off, s[0:3], 0 offset:240
	buffer_load_dword v97, off, s[0:3], 0 offset:232
	buffer_load_dword v104, off, s[0:3], 0 offset:244
	buffer_load_dword v102, off, s[0:3], 0 offset:252
	buffer_load_dword v100, off, s[0:3], 0 offset:260
	s_waitcnt vmcnt(24) lgkmcnt(0)
	v_fma_f64 v[85:86], v[105:106], v[89:90], v[85:86]
	s_waitcnt vmcnt(19)
	v_fma_f64 v[105:106], v[107:108], v[91:92], v[85:86]
	ds_read_b128 v[85:88], v84 offset:512
	ds_read_b128 v[89:92], v84 offset:528
	s_waitcnt vmcnt(18) lgkmcnt(1)
	v_fma_f64 v[85:86], v[113:114], v[85:86], v[105:106]
	s_waitcnt vmcnt(17)
	v_fma_f64 v[85:86], v[111:112], v[87:88], v[85:86]
	buffer_load_dword v106, off, s[0:3], 0 offset:268
	buffer_load_dword v107, off, s[0:3], 0 offset:288
	buffer_load_dword v111, off, s[0:3], 0 offset:280
	buffer_load_dword v113, off, s[0:3], 0 offset:272
	buffer_load_dword v105, off, s[0:3], 0 offset:264
	buffer_load_dword v114, off, s[0:3], 0 offset:276
	buffer_load_dword v112, off, s[0:3], 0 offset:284
	buffer_load_dword v108, off, s[0:3], 0 offset:292
	s_waitcnt vmcnt(24) lgkmcnt(0)
	v_fma_f64 v[85:86], v[109:110], v[89:90], v[85:86]
	s_waitcnt vmcnt(19)
	v_fma_f64 v[93:94], v[93:94], v[91:92], v[85:86]
	ds_read_b128 v[85:88], v84 offset:544
	ds_read_b128 v[89:92], v84 offset:560
	s_waitcnt vmcnt(18) lgkmcnt(1)
	v_fma_f64 v[85:86], v[117:118], v[85:86], v[93:94]
	;; [unrolled: 18-line block ×3, first 2 shown]
	buffer_load_dword v95, off, s[0:3], 0 offset:104
	buffer_load_dword v96, off, s[0:3], 0 offset:108
	s_waitcnt vmcnt(19)
	v_fma_f64 v[85:86], v[101:102], v[87:88], v[85:86]
	s_waitcnt vmcnt(18) lgkmcnt(0)
	v_fma_f64 v[85:86], v[99:100], v[89:90], v[85:86]
	s_waitcnt vmcnt(13)
	v_fma_f64 v[97:98], v[105:106], v[91:92], v[85:86]
	ds_read_b128 v[85:88], v84 offset:608
	ds_read_b128 v[89:92], v84 offset:624
	s_waitcnt vmcnt(12) lgkmcnt(1)
	v_fma_f64 v[85:86], v[113:114], v[85:86], v[97:98]
	s_waitcnt vmcnt(11)
	v_fma_f64 v[85:86], v[111:112], v[87:88], v[85:86]
	s_waitcnt vmcnt(10) lgkmcnt(0)
	v_fma_f64 v[85:86], v[107:108], v[89:90], v[85:86]
	s_waitcnt vmcnt(5)
	v_fma_f64 v[89:90], v[93:94], v[91:92], v[85:86]
	ds_read_b128 v[85:88], v84 offset:640
	ds_read_b64 v[91:92], v84 offset:656
	s_waitcnt vmcnt(4) lgkmcnt(1)
	v_fma_f64 v[85:86], v[117:118], v[85:86], v[89:90]
	s_waitcnt vmcnt(3)
	v_fma_f64 v[85:86], v[115:116], v[87:88], v[85:86]
	s_waitcnt vmcnt(2) lgkmcnt(0)
	v_fma_f64 v[85:86], v[109:110], v[91:92], v[85:86]
	s_waitcnt vmcnt(0)
	v_add_f64 v[85:86], v[95:96], -v[85:86]
	buffer_store_dword v86, off, s[0:3], 0 offset:108
	buffer_store_dword v85, off, s[0:3], 0 offset:104
	s_and_saveexec_b64 s[4:5], vcc
	s_cbranch_execz .LBB40_229
; %bb.228:
	buffer_load_dword v85, off, s[0:3], 0 offset:96
	buffer_load_dword v86, off, s[0:3], 0 offset:100
	s_waitcnt vmcnt(0)
	ds_write_b64 v83, v[85:86]
	buffer_store_dword v84, off, s[0:3], 0 offset:96
	buffer_store_dword v84, off, s[0:3], 0 offset:100
.LBB40_229:
	s_or_b64 exec, exec, s[4:5]
	s_waitcnt lgkmcnt(0)
	; wave barrier
	buffer_load_dword v93, off, s[0:3], 0 offset:104
	buffer_load_dword v94, off, s[0:3], 0 offset:108
	;; [unrolled: 1-line block ×22, first 2 shown]
	ds_read2_b64 v[85:88], v84 offset0:55 offset1:56
	ds_read2_b64 v[89:92], v84 offset0:57 offset1:58
	v_cmp_lt_u32_e32 vcc, 11, v0
	s_waitcnt vmcnt(20) lgkmcnt(1)
	v_fma_f64 v[85:86], v[93:94], v[85:86], 0
	s_waitcnt vmcnt(18)
	v_fma_f64 v[85:86], v[95:96], v[87:88], v[85:86]
	buffer_load_dword v94, off, s[0:3], 0 offset:196
	buffer_load_dword v95, off, s[0:3], 0 offset:216
	;; [unrolled: 1-line block ×7, first 2 shown]
	s_waitcnt vmcnt(23) lgkmcnt(0)
	v_fma_f64 v[85:86], v[97:98], v[89:90], v[85:86]
	s_waitcnt vmcnt(21)
	v_fma_f64 v[96:97], v[99:100], v[91:92], v[85:86]
	ds_read2_b64 v[85:88], v84 offset0:59 offset1:60
	ds_read2_b64 v[89:92], v84 offset0:61 offset1:62
	s_waitcnt vmcnt(19) lgkmcnt(1)
	v_fma_f64 v[85:86], v[101:102], v[85:86], v[96:97]
	buffer_load_dword v96, off, s[0:3], 0 offset:220
	s_waitcnt vmcnt(18)
	v_fma_f64 v[85:86], v[103:104], v[87:88], v[85:86]
	buffer_load_dword v98, off, s[0:3], 0 offset:228
	buffer_load_dword v99, off, s[0:3], 0 offset:248
	buffer_load_dword v101, off, s[0:3], 0 offset:240
	buffer_load_dword v103, off, s[0:3], 0 offset:232
	buffer_load_dword v97, off, s[0:3], 0 offset:224
	buffer_load_dword v104, off, s[0:3], 0 offset:236
	buffer_load_dword v102, off, s[0:3], 0 offset:244
	buffer_load_dword v100, off, s[0:3], 0 offset:252
	s_waitcnt vmcnt(24) lgkmcnt(0)
	v_fma_f64 v[85:86], v[105:106], v[89:90], v[85:86]
	s_waitcnt vmcnt(19)
	v_fma_f64 v[105:106], v[107:108], v[91:92], v[85:86]
	ds_read2_b64 v[85:88], v84 offset0:63 offset1:64
	ds_read2_b64 v[89:92], v84 offset0:65 offset1:66
	s_waitcnt vmcnt(18) lgkmcnt(1)
	v_fma_f64 v[85:86], v[113:114], v[85:86], v[105:106]
	s_waitcnt vmcnt(17)
	v_fma_f64 v[85:86], v[111:112], v[87:88], v[85:86]
	buffer_load_dword v106, off, s[0:3], 0 offset:260
	buffer_load_dword v107, off, s[0:3], 0 offset:280
	buffer_load_dword v111, off, s[0:3], 0 offset:272
	buffer_load_dword v113, off, s[0:3], 0 offset:264
	buffer_load_dword v105, off, s[0:3], 0 offset:256
	buffer_load_dword v114, off, s[0:3], 0 offset:268
	buffer_load_dword v112, off, s[0:3], 0 offset:276
	buffer_load_dword v108, off, s[0:3], 0 offset:284
	s_waitcnt vmcnt(24) lgkmcnt(0)
	v_fma_f64 v[85:86], v[109:110], v[89:90], v[85:86]
	s_waitcnt vmcnt(19)
	v_fma_f64 v[93:94], v[93:94], v[91:92], v[85:86]
	ds_read2_b64 v[85:88], v84 offset0:67 offset1:68
	ds_read2_b64 v[89:92], v84 offset0:69 offset1:70
	s_waitcnt vmcnt(18) lgkmcnt(1)
	v_fma_f64 v[85:86], v[117:118], v[85:86], v[93:94]
	;; [unrolled: 18-line block ×3, first 2 shown]
	buffer_load_dword v96, off, s[0:3], 0 offset:324
	buffer_load_dword v95, off, s[0:3], 0 offset:320
	;; [unrolled: 1-line block ×4, first 2 shown]
	s_waitcnt vmcnt(21)
	v_fma_f64 v[85:86], v[101:102], v[87:88], v[85:86]
	s_waitcnt vmcnt(20) lgkmcnt(0)
	v_fma_f64 v[85:86], v[99:100], v[89:90], v[85:86]
	s_waitcnt vmcnt(15)
	v_fma_f64 v[99:100], v[105:106], v[91:92], v[85:86]
	ds_read2_b64 v[85:88], v84 offset0:75 offset1:76
	ds_read2_b64 v[89:92], v84 offset0:77 offset1:78
	s_waitcnt vmcnt(14) lgkmcnt(1)
	v_fma_f64 v[85:86], v[113:114], v[85:86], v[99:100]
	s_waitcnt vmcnt(13)
	v_fma_f64 v[85:86], v[111:112], v[87:88], v[85:86]
	s_waitcnt vmcnt(12) lgkmcnt(0)
	v_fma_f64 v[85:86], v[107:108], v[89:90], v[85:86]
	s_waitcnt vmcnt(7)
	v_fma_f64 v[93:94], v[93:94], v[91:92], v[85:86]
	ds_read2_b64 v[85:88], v84 offset0:79 offset1:80
	ds_read2_b64 v[89:92], v84 offset0:81 offset1:82
	s_waitcnt vmcnt(6) lgkmcnt(1)
	v_fma_f64 v[84:85], v[117:118], v[85:86], v[93:94]
	s_waitcnt vmcnt(5)
	v_fma_f64 v[84:85], v[115:116], v[87:88], v[84:85]
	s_waitcnt vmcnt(4) lgkmcnt(0)
	v_fma_f64 v[84:85], v[109:110], v[89:90], v[84:85]
	s_waitcnt vmcnt(2)
	v_fma_f64 v[84:85], v[95:96], v[91:92], v[84:85]
	s_waitcnt vmcnt(0)
	v_add_f64 v[84:85], v[97:98], -v[84:85]
	buffer_store_dword v85, off, s[0:3], 0 offset:100
	buffer_store_dword v84, off, s[0:3], 0 offset:96
	s_and_saveexec_b64 s[4:5], vcc
	s_cbranch_execz .LBB40_231
; %bb.230:
	buffer_load_dword v84, off, s[0:3], 0 offset:88
	buffer_load_dword v85, off, s[0:3], 0 offset:92
	v_mov_b32_e32 v86, 0
	buffer_store_dword v86, off, s[0:3], 0 offset:88
	buffer_store_dword v86, off, s[0:3], 0 offset:92
	s_waitcnt vmcnt(2)
	ds_write_b64 v83, v[84:85]
.LBB40_231:
	s_or_b64 exec, exec, s[4:5]
	s_waitcnt lgkmcnt(0)
	; wave barrier
	buffer_load_dword v93, off, s[0:3], 0 offset:96
	buffer_load_dword v94, off, s[0:3], 0 offset:100
	;; [unrolled: 1-line block ×22, first 2 shown]
	v_mov_b32_e32 v84, 0
	ds_read_b128 v[85:88], v84 offset:432
	ds_read_b128 v[89:92], v84 offset:448
	v_cmp_lt_u32_e32 vcc, 10, v0
	s_waitcnt vmcnt(20) lgkmcnt(1)
	v_fma_f64 v[85:86], v[93:94], v[85:86], 0
	s_waitcnt vmcnt(18)
	v_fma_f64 v[85:86], v[95:96], v[87:88], v[85:86]
	buffer_load_dword v94, off, s[0:3], 0 offset:188
	buffer_load_dword v95, off, s[0:3], 0 offset:208
	;; [unrolled: 1-line block ×7, first 2 shown]
	s_waitcnt vmcnt(23) lgkmcnt(0)
	v_fma_f64 v[85:86], v[97:98], v[89:90], v[85:86]
	s_waitcnt vmcnt(21)
	v_fma_f64 v[96:97], v[99:100], v[91:92], v[85:86]
	ds_read_b128 v[85:88], v84 offset:464
	ds_read_b128 v[89:92], v84 offset:480
	s_waitcnt vmcnt(19) lgkmcnt(1)
	v_fma_f64 v[85:86], v[101:102], v[85:86], v[96:97]
	buffer_load_dword v96, off, s[0:3], 0 offset:212
	s_waitcnt vmcnt(18)
	v_fma_f64 v[85:86], v[103:104], v[87:88], v[85:86]
	buffer_load_dword v98, off, s[0:3], 0 offset:220
	buffer_load_dword v99, off, s[0:3], 0 offset:240
	;; [unrolled: 1-line block ×7, first 2 shown]
	s_waitcnt vmcnt(23) lgkmcnt(0)
	v_fma_f64 v[85:86], v[105:106], v[89:90], v[85:86]
	s_waitcnt vmcnt(18)
	v_fma_f64 v[105:106], v[107:108], v[91:92], v[85:86]
	ds_read_b128 v[85:88], v84 offset:496
	ds_read_b128 v[89:92], v84 offset:512
	buffer_load_dword v100, off, s[0:3], 0 offset:244
	s_waitcnt vmcnt(18) lgkmcnt(1)
	v_fma_f64 v[85:86], v[113:114], v[85:86], v[105:106]
	s_waitcnt vmcnt(17)
	v_fma_f64 v[85:86], v[111:112], v[87:88], v[85:86]
	buffer_load_dword v106, off, s[0:3], 0 offset:252
	buffer_load_dword v107, off, s[0:3], 0 offset:272
	;; [unrolled: 1-line block ×8, first 2 shown]
	s_waitcnt vmcnt(24) lgkmcnt(0)
	v_fma_f64 v[85:86], v[109:110], v[89:90], v[85:86]
	s_waitcnt vmcnt(19)
	v_fma_f64 v[93:94], v[93:94], v[91:92], v[85:86]
	ds_read_b128 v[85:88], v84 offset:528
	ds_read_b128 v[89:92], v84 offset:544
	s_waitcnt vmcnt(18) lgkmcnt(1)
	v_fma_f64 v[85:86], v[117:118], v[85:86], v[93:94]
	s_waitcnt vmcnt(17)
	v_fma_f64 v[85:86], v[115:116], v[87:88], v[85:86]
	buffer_load_dword v94, off, s[0:3], 0 offset:284
	buffer_load_dword v109, off, s[0:3], 0 offset:304
	;; [unrolled: 1-line block ×7, first 2 shown]
	s_waitcnt vmcnt(23) lgkmcnt(0)
	v_fma_f64 v[85:86], v[95:96], v[89:90], v[85:86]
	s_waitcnt vmcnt(18)
	v_fma_f64 v[95:96], v[97:98], v[91:92], v[85:86]
	ds_read_b128 v[85:88], v84 offset:560
	ds_read_b128 v[89:92], v84 offset:576
	buffer_load_dword v110, off, s[0:3], 0 offset:308
	s_waitcnt vmcnt(18) lgkmcnt(1)
	v_fma_f64 v[85:86], v[103:104], v[85:86], v[95:96]
	buffer_load_dword v96, off, s[0:3], 0 offset:316
	buffer_load_dword v97, off, s[0:3], 0 offset:320
	;; [unrolled: 1-line block ×4, first 2 shown]
	s_waitcnt vmcnt(21)
	v_fma_f64 v[85:86], v[101:102], v[87:88], v[85:86]
	s_waitcnt vmcnt(20) lgkmcnt(0)
	v_fma_f64 v[85:86], v[99:100], v[89:90], v[85:86]
	buffer_load_dword v99, off, s[0:3], 0 offset:88
	buffer_load_dword v100, off, s[0:3], 0 offset:92
	s_waitcnt vmcnt(17)
	v_fma_f64 v[101:102], v[105:106], v[91:92], v[85:86]
	ds_read_b128 v[85:88], v84 offset:592
	ds_read_b128 v[89:92], v84 offset:608
	s_waitcnt vmcnt(16) lgkmcnt(1)
	v_fma_f64 v[85:86], v[113:114], v[85:86], v[101:102]
	s_waitcnt vmcnt(15)
	v_fma_f64 v[85:86], v[111:112], v[87:88], v[85:86]
	s_waitcnt vmcnt(14) lgkmcnt(0)
	v_fma_f64 v[85:86], v[107:108], v[89:90], v[85:86]
	s_waitcnt vmcnt(9)
	v_fma_f64 v[93:94], v[93:94], v[91:92], v[85:86]
	ds_read_b128 v[85:88], v84 offset:624
	ds_read_b128 v[89:92], v84 offset:640
	s_waitcnt vmcnt(8) lgkmcnt(1)
	v_fma_f64 v[85:86], v[117:118], v[85:86], v[93:94]
	s_waitcnt vmcnt(7)
	v_fma_f64 v[85:86], v[115:116], v[87:88], v[85:86]
	ds_read_b64 v[87:88], v84 offset:656
	s_waitcnt vmcnt(6) lgkmcnt(1)
	v_fma_f64 v[85:86], v[109:110], v[89:90], v[85:86]
	s_waitcnt vmcnt(3)
	v_fma_f64 v[85:86], v[95:96], v[91:92], v[85:86]
	s_waitcnt vmcnt(2) lgkmcnt(0)
	v_fma_f64 v[85:86], v[97:98], v[87:88], v[85:86]
	s_waitcnt vmcnt(0)
	v_add_f64 v[85:86], v[99:100], -v[85:86]
	buffer_store_dword v86, off, s[0:3], 0 offset:92
	buffer_store_dword v85, off, s[0:3], 0 offset:88
	s_and_saveexec_b64 s[4:5], vcc
	s_cbranch_execz .LBB40_233
; %bb.232:
	buffer_load_dword v85, off, s[0:3], 0 offset:80
	buffer_load_dword v86, off, s[0:3], 0 offset:84
	s_waitcnt vmcnt(0)
	ds_write_b64 v83, v[85:86]
	buffer_store_dword v84, off, s[0:3], 0 offset:80
	buffer_store_dword v84, off, s[0:3], 0 offset:84
.LBB40_233:
	s_or_b64 exec, exec, s[4:5]
	s_waitcnt lgkmcnt(0)
	; wave barrier
	buffer_load_dword v93, off, s[0:3], 0 offset:88
	buffer_load_dword v94, off, s[0:3], 0 offset:92
	;; [unrolled: 1-line block ×22, first 2 shown]
	ds_read2_b64 v[85:88], v84 offset0:53 offset1:54
	ds_read2_b64 v[89:92], v84 offset0:55 offset1:56
	v_cmp_lt_u32_e32 vcc, 9, v0
	s_waitcnt vmcnt(20) lgkmcnt(1)
	v_fma_f64 v[85:86], v[93:94], v[85:86], 0
	s_waitcnt vmcnt(18)
	v_fma_f64 v[85:86], v[95:96], v[87:88], v[85:86]
	buffer_load_dword v94, off, s[0:3], 0 offset:180
	buffer_load_dword v95, off, s[0:3], 0 offset:200
	;; [unrolled: 1-line block ×7, first 2 shown]
	s_waitcnt vmcnt(23) lgkmcnt(0)
	v_fma_f64 v[85:86], v[97:98], v[89:90], v[85:86]
	s_waitcnt vmcnt(21)
	v_fma_f64 v[96:97], v[99:100], v[91:92], v[85:86]
	ds_read2_b64 v[85:88], v84 offset0:57 offset1:58
	ds_read2_b64 v[89:92], v84 offset0:59 offset1:60
	s_waitcnt vmcnt(19) lgkmcnt(1)
	v_fma_f64 v[85:86], v[101:102], v[85:86], v[96:97]
	buffer_load_dword v96, off, s[0:3], 0 offset:204
	s_waitcnt vmcnt(18)
	v_fma_f64 v[85:86], v[103:104], v[87:88], v[85:86]
	buffer_load_dword v98, off, s[0:3], 0 offset:212
	buffer_load_dword v99, off, s[0:3], 0 offset:232
	;; [unrolled: 1-line block ×7, first 2 shown]
	s_waitcnt vmcnt(23) lgkmcnt(0)
	v_fma_f64 v[85:86], v[105:106], v[89:90], v[85:86]
	s_waitcnt vmcnt(18)
	v_fma_f64 v[105:106], v[107:108], v[91:92], v[85:86]
	ds_read2_b64 v[85:88], v84 offset0:61 offset1:62
	ds_read2_b64 v[89:92], v84 offset0:63 offset1:64
	buffer_load_dword v100, off, s[0:3], 0 offset:236
	s_waitcnt vmcnt(18) lgkmcnt(1)
	v_fma_f64 v[85:86], v[113:114], v[85:86], v[105:106]
	s_waitcnt vmcnt(17)
	v_fma_f64 v[85:86], v[111:112], v[87:88], v[85:86]
	buffer_load_dword v106, off, s[0:3], 0 offset:244
	buffer_load_dword v107, off, s[0:3], 0 offset:264
	;; [unrolled: 1-line block ×8, first 2 shown]
	s_waitcnt vmcnt(24) lgkmcnt(0)
	v_fma_f64 v[85:86], v[109:110], v[89:90], v[85:86]
	s_waitcnt vmcnt(19)
	v_fma_f64 v[93:94], v[93:94], v[91:92], v[85:86]
	ds_read2_b64 v[85:88], v84 offset0:65 offset1:66
	ds_read2_b64 v[89:92], v84 offset0:67 offset1:68
	s_waitcnt vmcnt(18) lgkmcnt(1)
	v_fma_f64 v[85:86], v[117:118], v[85:86], v[93:94]
	s_waitcnt vmcnt(17)
	v_fma_f64 v[85:86], v[115:116], v[87:88], v[85:86]
	buffer_load_dword v94, off, s[0:3], 0 offset:276
	buffer_load_dword v109, off, s[0:3], 0 offset:296
	;; [unrolled: 1-line block ×8, first 2 shown]
	s_waitcnt vmcnt(24) lgkmcnt(0)
	v_fma_f64 v[85:86], v[95:96], v[89:90], v[85:86]
	s_waitcnt vmcnt(19)
	v_fma_f64 v[95:96], v[97:98], v[91:92], v[85:86]
	ds_read2_b64 v[85:88], v84 offset0:69 offset1:70
	ds_read2_b64 v[89:92], v84 offset0:71 offset1:72
	s_waitcnt vmcnt(18) lgkmcnt(1)
	v_fma_f64 v[85:86], v[103:104], v[85:86], v[95:96]
	s_waitcnt vmcnt(17)
	v_fma_f64 v[85:86], v[101:102], v[87:88], v[85:86]
	buffer_load_dword v96, off, s[0:3], 0 offset:308
	buffer_load_dword v97, off, s[0:3], 0 offset:320
	buffer_load_dword v101, off, s[0:3], 0 offset:312
	buffer_load_dword v95, off, s[0:3], 0 offset:304
	buffer_load_dword v102, off, s[0:3], 0 offset:316
	buffer_load_dword v98, off, s[0:3], 0 offset:324
	s_waitcnt vmcnt(22) lgkmcnt(0)
	v_fma_f64 v[85:86], v[99:100], v[89:90], v[85:86]
	s_waitcnt vmcnt(17)
	v_fma_f64 v[99:100], v[105:106], v[91:92], v[85:86]
	ds_read2_b64 v[85:88], v84 offset0:73 offset1:74
	buffer_load_dword v103, off, s[0:3], 0 offset:80
	buffer_load_dword v104, off, s[0:3], 0 offset:84
	ds_read2_b64 v[89:92], v84 offset0:75 offset1:76
	s_waitcnt vmcnt(18) lgkmcnt(1)
	v_fma_f64 v[85:86], v[113:114], v[85:86], v[99:100]
	s_waitcnt vmcnt(17)
	v_fma_f64 v[85:86], v[111:112], v[87:88], v[85:86]
	s_waitcnt vmcnt(16) lgkmcnt(0)
	v_fma_f64 v[85:86], v[107:108], v[89:90], v[85:86]
	s_waitcnt vmcnt(11)
	v_fma_f64 v[93:94], v[93:94], v[91:92], v[85:86]
	ds_read2_b64 v[85:88], v84 offset0:77 offset1:78
	ds_read2_b64 v[89:92], v84 offset0:79 offset1:80
	s_waitcnt vmcnt(10) lgkmcnt(1)
	v_fma_f64 v[85:86], v[117:118], v[85:86], v[93:94]
	s_waitcnt vmcnt(9)
	v_fma_f64 v[85:86], v[115:116], v[87:88], v[85:86]
	s_waitcnt vmcnt(8) lgkmcnt(0)
	v_fma_f64 v[85:86], v[109:110], v[89:90], v[85:86]
	s_waitcnt vmcnt(4)
	v_fma_f64 v[88:89], v[95:96], v[91:92], v[85:86]
	ds_read2_b64 v[84:87], v84 offset0:81 offset1:82
	s_waitcnt vmcnt(3) lgkmcnt(0)
	v_fma_f64 v[84:85], v[101:102], v[84:85], v[88:89]
	s_waitcnt vmcnt(2)
	v_fma_f64 v[84:85], v[97:98], v[86:87], v[84:85]
	s_waitcnt vmcnt(0)
	v_add_f64 v[84:85], v[103:104], -v[84:85]
	buffer_store_dword v85, off, s[0:3], 0 offset:84
	buffer_store_dword v84, off, s[0:3], 0 offset:80
	s_and_saveexec_b64 s[4:5], vcc
	s_cbranch_execz .LBB40_235
; %bb.234:
	buffer_load_dword v84, off, s[0:3], 0 offset:72
	buffer_load_dword v85, off, s[0:3], 0 offset:76
	v_mov_b32_e32 v86, 0
	buffer_store_dword v86, off, s[0:3], 0 offset:72
	buffer_store_dword v86, off, s[0:3], 0 offset:76
	s_waitcnt vmcnt(2)
	ds_write_b64 v83, v[84:85]
.LBB40_235:
	s_or_b64 exec, exec, s[4:5]
	s_waitcnt lgkmcnt(0)
	; wave barrier
	buffer_load_dword v93, off, s[0:3], 0 offset:80
	buffer_load_dword v94, off, s[0:3], 0 offset:84
	;; [unrolled: 1-line block ×22, first 2 shown]
	v_mov_b32_e32 v84, 0
	ds_read_b128 v[85:88], v84 offset:416
	ds_read_b128 v[89:92], v84 offset:432
	v_cmp_lt_u32_e32 vcc, 8, v0
	s_waitcnt vmcnt(20) lgkmcnt(1)
	v_fma_f64 v[85:86], v[93:94], v[85:86], 0
	s_waitcnt vmcnt(18)
	v_fma_f64 v[85:86], v[95:96], v[87:88], v[85:86]
	buffer_load_dword v94, off, s[0:3], 0 offset:172
	buffer_load_dword v95, off, s[0:3], 0 offset:192
	;; [unrolled: 1-line block ×7, first 2 shown]
	s_waitcnt vmcnt(23) lgkmcnt(0)
	v_fma_f64 v[85:86], v[97:98], v[89:90], v[85:86]
	s_waitcnt vmcnt(21)
	v_fma_f64 v[96:97], v[99:100], v[91:92], v[85:86]
	ds_read_b128 v[85:88], v84 offset:448
	ds_read_b128 v[89:92], v84 offset:464
	s_waitcnt vmcnt(19) lgkmcnt(1)
	v_fma_f64 v[85:86], v[101:102], v[85:86], v[96:97]
	buffer_load_dword v96, off, s[0:3], 0 offset:196
	s_waitcnt vmcnt(18)
	v_fma_f64 v[85:86], v[103:104], v[87:88], v[85:86]
	buffer_load_dword v98, off, s[0:3], 0 offset:204
	buffer_load_dword v99, off, s[0:3], 0 offset:224
	;; [unrolled: 1-line block ×7, first 2 shown]
	s_waitcnt vmcnt(23) lgkmcnt(0)
	v_fma_f64 v[85:86], v[105:106], v[89:90], v[85:86]
	s_waitcnt vmcnt(18)
	v_fma_f64 v[105:106], v[107:108], v[91:92], v[85:86]
	ds_read_b128 v[85:88], v84 offset:480
	ds_read_b128 v[89:92], v84 offset:496
	buffer_load_dword v100, off, s[0:3], 0 offset:228
	s_waitcnt vmcnt(18) lgkmcnt(1)
	v_fma_f64 v[85:86], v[113:114], v[85:86], v[105:106]
	s_waitcnt vmcnt(17)
	v_fma_f64 v[85:86], v[111:112], v[87:88], v[85:86]
	buffer_load_dword v106, off, s[0:3], 0 offset:236
	buffer_load_dword v107, off, s[0:3], 0 offset:256
	buffer_load_dword v111, off, s[0:3], 0 offset:248
	buffer_load_dword v113, off, s[0:3], 0 offset:240
	buffer_load_dword v105, off, s[0:3], 0 offset:232
	buffer_load_dword v114, off, s[0:3], 0 offset:244
	buffer_load_dword v112, off, s[0:3], 0 offset:252
	buffer_load_dword v108, off, s[0:3], 0 offset:260
	s_waitcnt vmcnt(24) lgkmcnt(0)
	v_fma_f64 v[85:86], v[109:110], v[89:90], v[85:86]
	s_waitcnt vmcnt(19)
	v_fma_f64 v[93:94], v[93:94], v[91:92], v[85:86]
	ds_read_b128 v[85:88], v84 offset:512
	ds_read_b128 v[89:92], v84 offset:528
	s_waitcnt vmcnt(18) lgkmcnt(1)
	v_fma_f64 v[85:86], v[117:118], v[85:86], v[93:94]
	s_waitcnt vmcnt(17)
	v_fma_f64 v[85:86], v[115:116], v[87:88], v[85:86]
	buffer_load_dword v94, off, s[0:3], 0 offset:268
	buffer_load_dword v109, off, s[0:3], 0 offset:288
	buffer_load_dword v115, off, s[0:3], 0 offset:280
	buffer_load_dword v117, off, s[0:3], 0 offset:272
	buffer_load_dword v93, off, s[0:3], 0 offset:264
	buffer_load_dword v118, off, s[0:3], 0 offset:276
	buffer_load_dword v116, off, s[0:3], 0 offset:284
	buffer_load_dword v110, off, s[0:3], 0 offset:292
	s_waitcnt vmcnt(24) lgkmcnt(0)
	v_fma_f64 v[85:86], v[95:96], v[89:90], v[85:86]
	s_waitcnt vmcnt(19)
	v_fma_f64 v[95:96], v[97:98], v[91:92], v[85:86]
	ds_read_b128 v[85:88], v84 offset:544
	ds_read_b128 v[89:92], v84 offset:560
	;; [unrolled: 18-line block ×3, first 2 shown]
	s_waitcnt vmcnt(18) lgkmcnt(1)
	v_fma_f64 v[85:86], v[113:114], v[85:86], v[99:100]
	buffer_load_dword v99, off, s[0:3], 0 offset:72
	buffer_load_dword v100, off, s[0:3], 0 offset:76
	s_waitcnt vmcnt(19)
	v_fma_f64 v[85:86], v[111:112], v[87:88], v[85:86]
	s_waitcnt vmcnt(18) lgkmcnt(0)
	v_fma_f64 v[85:86], v[107:108], v[89:90], v[85:86]
	s_waitcnt vmcnt(13)
	v_fma_f64 v[93:94], v[93:94], v[91:92], v[85:86]
	ds_read_b128 v[85:88], v84 offset:608
	ds_read_b128 v[89:92], v84 offset:624
	s_waitcnt vmcnt(12) lgkmcnt(1)
	v_fma_f64 v[85:86], v[117:118], v[85:86], v[93:94]
	s_waitcnt vmcnt(11)
	v_fma_f64 v[85:86], v[115:116], v[87:88], v[85:86]
	s_waitcnt vmcnt(10) lgkmcnt(0)
	v_fma_f64 v[85:86], v[109:110], v[89:90], v[85:86]
	s_waitcnt vmcnt(5)
	v_fma_f64 v[89:90], v[95:96], v[91:92], v[85:86]
	ds_read_b128 v[85:88], v84 offset:640
	ds_read_b64 v[91:92], v84 offset:656
	s_waitcnt vmcnt(4) lgkmcnt(1)
	v_fma_f64 v[85:86], v[103:104], v[85:86], v[89:90]
	s_waitcnt vmcnt(3)
	v_fma_f64 v[85:86], v[101:102], v[87:88], v[85:86]
	s_waitcnt vmcnt(2) lgkmcnt(0)
	v_fma_f64 v[85:86], v[97:98], v[91:92], v[85:86]
	s_waitcnt vmcnt(0)
	v_add_f64 v[85:86], v[99:100], -v[85:86]
	buffer_store_dword v86, off, s[0:3], 0 offset:76
	buffer_store_dword v85, off, s[0:3], 0 offset:72
	s_and_saveexec_b64 s[4:5], vcc
	s_cbranch_execz .LBB40_237
; %bb.236:
	buffer_load_dword v85, off, s[0:3], 0 offset:64
	buffer_load_dword v86, off, s[0:3], 0 offset:68
	s_waitcnt vmcnt(0)
	ds_write_b64 v83, v[85:86]
	buffer_store_dword v84, off, s[0:3], 0 offset:64
	buffer_store_dword v84, off, s[0:3], 0 offset:68
.LBB40_237:
	s_or_b64 exec, exec, s[4:5]
	s_waitcnt lgkmcnt(0)
	; wave barrier
	buffer_load_dword v93, off, s[0:3], 0 offset:72
	buffer_load_dword v94, off, s[0:3], 0 offset:76
	;; [unrolled: 1-line block ×22, first 2 shown]
	ds_read2_b64 v[85:88], v84 offset0:51 offset1:52
	ds_read2_b64 v[89:92], v84 offset0:53 offset1:54
	v_cmp_lt_u32_e32 vcc, 7, v0
	s_waitcnt vmcnt(20) lgkmcnt(1)
	v_fma_f64 v[85:86], v[93:94], v[85:86], 0
	s_waitcnt vmcnt(18)
	v_fma_f64 v[85:86], v[95:96], v[87:88], v[85:86]
	buffer_load_dword v94, off, s[0:3], 0 offset:164
	buffer_load_dword v95, off, s[0:3], 0 offset:184
	;; [unrolled: 1-line block ×7, first 2 shown]
	s_waitcnt vmcnt(23) lgkmcnt(0)
	v_fma_f64 v[85:86], v[97:98], v[89:90], v[85:86]
	s_waitcnt vmcnt(21)
	v_fma_f64 v[96:97], v[99:100], v[91:92], v[85:86]
	ds_read2_b64 v[85:88], v84 offset0:55 offset1:56
	ds_read2_b64 v[89:92], v84 offset0:57 offset1:58
	s_waitcnt vmcnt(19) lgkmcnt(1)
	v_fma_f64 v[85:86], v[101:102], v[85:86], v[96:97]
	buffer_load_dword v96, off, s[0:3], 0 offset:188
	s_waitcnt vmcnt(18)
	v_fma_f64 v[85:86], v[103:104], v[87:88], v[85:86]
	buffer_load_dword v98, off, s[0:3], 0 offset:196
	buffer_load_dword v99, off, s[0:3], 0 offset:216
	buffer_load_dword v101, off, s[0:3], 0 offset:208
	buffer_load_dword v103, off, s[0:3], 0 offset:200
	buffer_load_dword v97, off, s[0:3], 0 offset:192
	buffer_load_dword v104, off, s[0:3], 0 offset:204
	buffer_load_dword v102, off, s[0:3], 0 offset:212
	s_waitcnt vmcnt(23) lgkmcnt(0)
	v_fma_f64 v[85:86], v[105:106], v[89:90], v[85:86]
	s_waitcnt vmcnt(18)
	v_fma_f64 v[105:106], v[107:108], v[91:92], v[85:86]
	ds_read2_b64 v[85:88], v84 offset0:59 offset1:60
	ds_read2_b64 v[89:92], v84 offset0:61 offset1:62
	buffer_load_dword v100, off, s[0:3], 0 offset:220
	s_waitcnt vmcnt(18) lgkmcnt(1)
	v_fma_f64 v[85:86], v[113:114], v[85:86], v[105:106]
	s_waitcnt vmcnt(17)
	v_fma_f64 v[85:86], v[111:112], v[87:88], v[85:86]
	buffer_load_dword v106, off, s[0:3], 0 offset:228
	buffer_load_dword v107, off, s[0:3], 0 offset:248
	buffer_load_dword v111, off, s[0:3], 0 offset:240
	buffer_load_dword v113, off, s[0:3], 0 offset:232
	buffer_load_dword v105, off, s[0:3], 0 offset:224
	buffer_load_dword v114, off, s[0:3], 0 offset:236
	buffer_load_dword v112, off, s[0:3], 0 offset:244
	buffer_load_dword v108, off, s[0:3], 0 offset:252
	s_waitcnt vmcnt(24) lgkmcnt(0)
	v_fma_f64 v[85:86], v[109:110], v[89:90], v[85:86]
	s_waitcnt vmcnt(19)
	v_fma_f64 v[93:94], v[93:94], v[91:92], v[85:86]
	ds_read2_b64 v[85:88], v84 offset0:63 offset1:64
	ds_read2_b64 v[89:92], v84 offset0:65 offset1:66
	s_waitcnt vmcnt(18) lgkmcnt(1)
	v_fma_f64 v[85:86], v[117:118], v[85:86], v[93:94]
	s_waitcnt vmcnt(17)
	v_fma_f64 v[85:86], v[115:116], v[87:88], v[85:86]
	buffer_load_dword v94, off, s[0:3], 0 offset:260
	buffer_load_dword v109, off, s[0:3], 0 offset:280
	buffer_load_dword v115, off, s[0:3], 0 offset:272
	buffer_load_dword v117, off, s[0:3], 0 offset:264
	buffer_load_dword v93, off, s[0:3], 0 offset:256
	buffer_load_dword v118, off, s[0:3], 0 offset:268
	buffer_load_dword v116, off, s[0:3], 0 offset:276
	buffer_load_dword v110, off, s[0:3], 0 offset:284
	s_waitcnt vmcnt(24) lgkmcnt(0)
	v_fma_f64 v[85:86], v[95:96], v[89:90], v[85:86]
	s_waitcnt vmcnt(19)
	v_fma_f64 v[95:96], v[97:98], v[91:92], v[85:86]
	ds_read2_b64 v[85:88], v84 offset0:67 offset1:68
	ds_read2_b64 v[89:92], v84 offset0:69 offset1:70
	;; [unrolled: 18-line block ×3, first 2 shown]
	s_waitcnt vmcnt(18) lgkmcnt(1)
	v_fma_f64 v[85:86], v[113:114], v[85:86], v[99:100]
	buffer_load_dword v100, off, s[0:3], 0 offset:324
	buffer_load_dword v99, off, s[0:3], 0 offset:320
	;; [unrolled: 1-line block ×4, first 2 shown]
	s_waitcnt vmcnt(21)
	v_fma_f64 v[85:86], v[111:112], v[87:88], v[85:86]
	s_waitcnt vmcnt(20) lgkmcnt(0)
	v_fma_f64 v[85:86], v[107:108], v[89:90], v[85:86]
	s_waitcnt vmcnt(15)
	v_fma_f64 v[93:94], v[93:94], v[91:92], v[85:86]
	ds_read2_b64 v[85:88], v84 offset0:75 offset1:76
	ds_read2_b64 v[89:92], v84 offset0:77 offset1:78
	s_waitcnt vmcnt(14) lgkmcnt(1)
	v_fma_f64 v[85:86], v[117:118], v[85:86], v[93:94]
	s_waitcnt vmcnt(13)
	v_fma_f64 v[85:86], v[115:116], v[87:88], v[85:86]
	s_waitcnt vmcnt(12) lgkmcnt(0)
	v_fma_f64 v[85:86], v[109:110], v[89:90], v[85:86]
	s_waitcnt vmcnt(7)
	v_fma_f64 v[93:94], v[95:96], v[91:92], v[85:86]
	ds_read2_b64 v[85:88], v84 offset0:79 offset1:80
	ds_read2_b64 v[89:92], v84 offset0:81 offset1:82
	s_waitcnt vmcnt(6) lgkmcnt(1)
	v_fma_f64 v[84:85], v[103:104], v[85:86], v[93:94]
	s_waitcnt vmcnt(5)
	v_fma_f64 v[84:85], v[101:102], v[87:88], v[84:85]
	s_waitcnt vmcnt(4) lgkmcnt(0)
	v_fma_f64 v[84:85], v[97:98], v[89:90], v[84:85]
	s_waitcnt vmcnt(2)
	v_fma_f64 v[84:85], v[99:100], v[91:92], v[84:85]
	s_waitcnt vmcnt(0)
	v_add_f64 v[84:85], v[105:106], -v[84:85]
	buffer_store_dword v85, off, s[0:3], 0 offset:68
	buffer_store_dword v84, off, s[0:3], 0 offset:64
	s_and_saveexec_b64 s[4:5], vcc
	s_cbranch_execz .LBB40_239
; %bb.238:
	buffer_load_dword v84, off, s[0:3], 0 offset:56
	buffer_load_dword v85, off, s[0:3], 0 offset:60
	v_mov_b32_e32 v86, 0
	buffer_store_dword v86, off, s[0:3], 0 offset:56
	buffer_store_dword v86, off, s[0:3], 0 offset:60
	s_waitcnt vmcnt(2)
	ds_write_b64 v83, v[84:85]
.LBB40_239:
	s_or_b64 exec, exec, s[4:5]
	s_waitcnt lgkmcnt(0)
	; wave barrier
	buffer_load_dword v93, off, s[0:3], 0 offset:64
	buffer_load_dword v94, off, s[0:3], 0 offset:68
	buffer_load_dword v95, off, s[0:3], 0 offset:72
	buffer_load_dword v96, off, s[0:3], 0 offset:76
	buffer_load_dword v97, off, s[0:3], 0 offset:80
	buffer_load_dword v98, off, s[0:3], 0 offset:84
	buffer_load_dword v99, off, s[0:3], 0 offset:88
	buffer_load_dword v100, off, s[0:3], 0 offset:92
	buffer_load_dword v101, off, s[0:3], 0 offset:96
	buffer_load_dword v102, off, s[0:3], 0 offset:100
	buffer_load_dword v103, off, s[0:3], 0 offset:104
	buffer_load_dword v104, off, s[0:3], 0 offset:108
	buffer_load_dword v105, off, s[0:3], 0 offset:112
	buffer_load_dword v106, off, s[0:3], 0 offset:116
	buffer_load_dword v108, off, s[0:3], 0 offset:124
	buffer_load_dword v109, off, s[0:3], 0 offset:144
	buffer_load_dword v111, off, s[0:3], 0 offset:136
	buffer_load_dword v113, off, s[0:3], 0 offset:128
	buffer_load_dword v107, off, s[0:3], 0 offset:120
	buffer_load_dword v114, off, s[0:3], 0 offset:132
	buffer_load_dword v112, off, s[0:3], 0 offset:140
	v_mov_b32_e32 v84, 0
	ds_read_b128 v[85:88], v84 offset:400
	ds_read_b128 v[89:92], v84 offset:416
	buffer_load_dword v110, off, s[0:3], 0 offset:148
	v_cmp_lt_u32_e32 vcc, 6, v0
	s_waitcnt vmcnt(20) lgkmcnt(1)
	v_fma_f64 v[85:86], v[93:94], v[85:86], 0
	s_waitcnt vmcnt(18)
	v_fma_f64 v[85:86], v[95:96], v[87:88], v[85:86]
	buffer_load_dword v94, off, s[0:3], 0 offset:156
	buffer_load_dword v95, off, s[0:3], 0 offset:176
	buffer_load_dword v115, off, s[0:3], 0 offset:168
	buffer_load_dword v117, off, s[0:3], 0 offset:160
	buffer_load_dword v93, off, s[0:3], 0 offset:152
	buffer_load_dword v118, off, s[0:3], 0 offset:164
	buffer_load_dword v116, off, s[0:3], 0 offset:172
	s_waitcnt vmcnt(23) lgkmcnt(0)
	v_fma_f64 v[85:86], v[97:98], v[89:90], v[85:86]
	s_waitcnt vmcnt(21)
	v_fma_f64 v[96:97], v[99:100], v[91:92], v[85:86]
	ds_read_b128 v[85:88], v84 offset:432
	ds_read_b128 v[89:92], v84 offset:448
	s_waitcnt vmcnt(19) lgkmcnt(1)
	v_fma_f64 v[85:86], v[101:102], v[85:86], v[96:97]
	buffer_load_dword v96, off, s[0:3], 0 offset:180
	s_waitcnt vmcnt(18)
	v_fma_f64 v[85:86], v[103:104], v[87:88], v[85:86]
	buffer_load_dword v98, off, s[0:3], 0 offset:188
	buffer_load_dword v99, off, s[0:3], 0 offset:208
	;; [unrolled: 1-line block ×7, first 2 shown]
	s_waitcnt vmcnt(23) lgkmcnt(0)
	v_fma_f64 v[85:86], v[105:106], v[89:90], v[85:86]
	s_waitcnt vmcnt(18)
	v_fma_f64 v[105:106], v[107:108], v[91:92], v[85:86]
	ds_read_b128 v[85:88], v84 offset:464
	ds_read_b128 v[89:92], v84 offset:480
	buffer_load_dword v100, off, s[0:3], 0 offset:212
	s_waitcnt vmcnt(18) lgkmcnt(1)
	v_fma_f64 v[85:86], v[113:114], v[85:86], v[105:106]
	s_waitcnt vmcnt(17)
	v_fma_f64 v[85:86], v[111:112], v[87:88], v[85:86]
	buffer_load_dword v106, off, s[0:3], 0 offset:220
	buffer_load_dword v107, off, s[0:3], 0 offset:240
	;; [unrolled: 1-line block ×7, first 2 shown]
	s_waitcnt vmcnt(23) lgkmcnt(0)
	v_fma_f64 v[85:86], v[109:110], v[89:90], v[85:86]
	s_waitcnt vmcnt(18)
	v_fma_f64 v[93:94], v[93:94], v[91:92], v[85:86]
	ds_read_b128 v[85:88], v84 offset:496
	ds_read_b128 v[89:92], v84 offset:512
	buffer_load_dword v108, off, s[0:3], 0 offset:244
	s_waitcnt vmcnt(18) lgkmcnt(1)
	v_fma_f64 v[85:86], v[117:118], v[85:86], v[93:94]
	s_waitcnt vmcnt(17)
	v_fma_f64 v[85:86], v[115:116], v[87:88], v[85:86]
	buffer_load_dword v94, off, s[0:3], 0 offset:252
	buffer_load_dword v109, off, s[0:3], 0 offset:272
	;; [unrolled: 1-line block ×8, first 2 shown]
	s_waitcnt vmcnt(24) lgkmcnt(0)
	v_fma_f64 v[85:86], v[95:96], v[89:90], v[85:86]
	s_waitcnt vmcnt(19)
	v_fma_f64 v[95:96], v[97:98], v[91:92], v[85:86]
	ds_read_b128 v[85:88], v84 offset:528
	ds_read_b128 v[89:92], v84 offset:544
	s_waitcnt vmcnt(18) lgkmcnt(1)
	v_fma_f64 v[85:86], v[103:104], v[85:86], v[95:96]
	s_waitcnt vmcnt(17)
	v_fma_f64 v[85:86], v[101:102], v[87:88], v[85:86]
	buffer_load_dword v96, off, s[0:3], 0 offset:284
	buffer_load_dword v97, off, s[0:3], 0 offset:304
	;; [unrolled: 1-line block ×7, first 2 shown]
	s_waitcnt vmcnt(23) lgkmcnt(0)
	v_fma_f64 v[85:86], v[99:100], v[89:90], v[85:86]
	s_waitcnt vmcnt(18)
	v_fma_f64 v[98:99], v[105:106], v[91:92], v[85:86]
	ds_read_b128 v[85:88], v84 offset:560
	ds_read_b128 v[89:92], v84 offset:576
	s_waitcnt vmcnt(17) lgkmcnt(1)
	v_fma_f64 v[85:86], v[113:114], v[85:86], v[98:99]
	buffer_load_dword v98, off, s[0:3], 0 offset:308
	buffer_load_dword v100, off, s[0:3], 0 offset:316
	buffer_load_dword v105, off, s[0:3], 0 offset:320
	buffer_load_dword v99, off, s[0:3], 0 offset:312
	buffer_load_dword v106, off, s[0:3], 0 offset:324
	s_waitcnt vmcnt(21)
	v_fma_f64 v[85:86], v[111:112], v[87:88], v[85:86]
	s_waitcnt vmcnt(20) lgkmcnt(0)
	v_fma_f64 v[85:86], v[107:108], v[89:90], v[85:86]
	buffer_load_dword v107, off, s[0:3], 0 offset:56
	buffer_load_dword v108, off, s[0:3], 0 offset:60
	s_waitcnt vmcnt(17)
	v_fma_f64 v[93:94], v[93:94], v[91:92], v[85:86]
	ds_read_b128 v[85:88], v84 offset:592
	ds_read_b128 v[89:92], v84 offset:608
	s_waitcnt vmcnt(16) lgkmcnt(1)
	v_fma_f64 v[85:86], v[117:118], v[85:86], v[93:94]
	s_waitcnt vmcnt(15)
	v_fma_f64 v[85:86], v[115:116], v[87:88], v[85:86]
	s_waitcnt vmcnt(14) lgkmcnt(0)
	v_fma_f64 v[85:86], v[109:110], v[89:90], v[85:86]
	s_waitcnt vmcnt(9)
	v_fma_f64 v[93:94], v[95:96], v[91:92], v[85:86]
	ds_read_b128 v[85:88], v84 offset:624
	ds_read_b128 v[89:92], v84 offset:640
	s_waitcnt vmcnt(8) lgkmcnt(1)
	v_fma_f64 v[85:86], v[103:104], v[85:86], v[93:94]
	s_waitcnt vmcnt(7)
	v_fma_f64 v[85:86], v[101:102], v[87:88], v[85:86]
	ds_read_b64 v[87:88], v84 offset:656
	s_waitcnt vmcnt(6) lgkmcnt(1)
	v_fma_f64 v[85:86], v[97:98], v[89:90], v[85:86]
	s_waitcnt vmcnt(3)
	v_fma_f64 v[85:86], v[99:100], v[91:92], v[85:86]
	s_waitcnt vmcnt(2) lgkmcnt(0)
	v_fma_f64 v[85:86], v[105:106], v[87:88], v[85:86]
	s_waitcnt vmcnt(0)
	v_add_f64 v[85:86], v[107:108], -v[85:86]
	buffer_store_dword v86, off, s[0:3], 0 offset:60
	buffer_store_dword v85, off, s[0:3], 0 offset:56
	s_and_saveexec_b64 s[4:5], vcc
	s_cbranch_execz .LBB40_241
; %bb.240:
	buffer_load_dword v85, off, s[0:3], 0 offset:48
	buffer_load_dword v86, off, s[0:3], 0 offset:52
	s_waitcnt vmcnt(0)
	ds_write_b64 v83, v[85:86]
	buffer_store_dword v84, off, s[0:3], 0 offset:48
	buffer_store_dword v84, off, s[0:3], 0 offset:52
.LBB40_241:
	s_or_b64 exec, exec, s[4:5]
	s_waitcnt lgkmcnt(0)
	; wave barrier
	buffer_load_dword v93, off, s[0:3], 0 offset:56
	buffer_load_dword v94, off, s[0:3], 0 offset:60
	;; [unrolled: 1-line block ×21, first 2 shown]
	ds_read2_b64 v[85:88], v84 offset0:49 offset1:50
	ds_read2_b64 v[89:92], v84 offset0:51 offset1:52
	buffer_load_dword v110, off, s[0:3], 0 offset:140
	v_cmp_lt_u32_e32 vcc, 5, v0
	s_waitcnt vmcnt(20) lgkmcnt(1)
	v_fma_f64 v[85:86], v[93:94], v[85:86], 0
	s_waitcnt vmcnt(18)
	v_fma_f64 v[85:86], v[95:96], v[87:88], v[85:86]
	buffer_load_dword v94, off, s[0:3], 0 offset:148
	buffer_load_dword v95, off, s[0:3], 0 offset:168
	;; [unrolled: 1-line block ×7, first 2 shown]
	s_waitcnt vmcnt(23) lgkmcnt(0)
	v_fma_f64 v[85:86], v[97:98], v[89:90], v[85:86]
	s_waitcnt vmcnt(21)
	v_fma_f64 v[96:97], v[99:100], v[91:92], v[85:86]
	ds_read2_b64 v[85:88], v84 offset0:53 offset1:54
	ds_read2_b64 v[89:92], v84 offset0:55 offset1:56
	s_waitcnt vmcnt(19) lgkmcnt(1)
	v_fma_f64 v[85:86], v[101:102], v[85:86], v[96:97]
	buffer_load_dword v96, off, s[0:3], 0 offset:172
	s_waitcnt vmcnt(18)
	v_fma_f64 v[85:86], v[103:104], v[87:88], v[85:86]
	buffer_load_dword v98, off, s[0:3], 0 offset:180
	buffer_load_dword v99, off, s[0:3], 0 offset:200
	;; [unrolled: 1-line block ×8, first 2 shown]
	s_waitcnt vmcnt(24) lgkmcnt(0)
	v_fma_f64 v[85:86], v[105:106], v[89:90], v[85:86]
	s_waitcnt vmcnt(19)
	v_fma_f64 v[105:106], v[107:108], v[91:92], v[85:86]
	ds_read2_b64 v[85:88], v84 offset0:57 offset1:58
	ds_read2_b64 v[89:92], v84 offset0:59 offset1:60
	s_waitcnt vmcnt(18) lgkmcnt(1)
	v_fma_f64 v[85:86], v[113:114], v[85:86], v[105:106]
	s_waitcnt vmcnt(17)
	v_fma_f64 v[85:86], v[111:112], v[87:88], v[85:86]
	buffer_load_dword v106, off, s[0:3], 0 offset:212
	buffer_load_dword v107, off, s[0:3], 0 offset:232
	;; [unrolled: 1-line block ×7, first 2 shown]
	s_waitcnt vmcnt(23) lgkmcnt(0)
	v_fma_f64 v[85:86], v[109:110], v[89:90], v[85:86]
	s_waitcnt vmcnt(18)
	v_fma_f64 v[93:94], v[93:94], v[91:92], v[85:86]
	ds_read2_b64 v[85:88], v84 offset0:61 offset1:62
	ds_read2_b64 v[89:92], v84 offset0:63 offset1:64
	buffer_load_dword v108, off, s[0:3], 0 offset:236
	s_waitcnt vmcnt(18) lgkmcnt(1)
	v_fma_f64 v[85:86], v[117:118], v[85:86], v[93:94]
	s_waitcnt vmcnt(17)
	v_fma_f64 v[85:86], v[115:116], v[87:88], v[85:86]
	buffer_load_dword v94, off, s[0:3], 0 offset:244
	buffer_load_dword v109, off, s[0:3], 0 offset:264
	;; [unrolled: 1-line block ×8, first 2 shown]
	s_waitcnt vmcnt(24) lgkmcnt(0)
	v_fma_f64 v[85:86], v[95:96], v[89:90], v[85:86]
	s_waitcnt vmcnt(19)
	v_fma_f64 v[95:96], v[97:98], v[91:92], v[85:86]
	ds_read2_b64 v[85:88], v84 offset0:65 offset1:66
	ds_read2_b64 v[89:92], v84 offset0:67 offset1:68
	s_waitcnt vmcnt(18) lgkmcnt(1)
	v_fma_f64 v[85:86], v[103:104], v[85:86], v[95:96]
	s_waitcnt vmcnt(17)
	v_fma_f64 v[85:86], v[101:102], v[87:88], v[85:86]
	buffer_load_dword v96, off, s[0:3], 0 offset:276
	buffer_load_dword v97, off, s[0:3], 0 offset:296
	;; [unrolled: 1-line block ×7, first 2 shown]
	s_waitcnt vmcnt(23) lgkmcnt(0)
	v_fma_f64 v[85:86], v[99:100], v[89:90], v[85:86]
	s_waitcnt vmcnt(18)
	v_fma_f64 v[98:99], v[105:106], v[91:92], v[85:86]
	ds_read2_b64 v[85:88], v84 offset0:69 offset1:70
	ds_read2_b64 v[89:92], v84 offset0:71 offset1:72
	s_waitcnt vmcnt(17) lgkmcnt(1)
	v_fma_f64 v[85:86], v[113:114], v[85:86], v[98:99]
	buffer_load_dword v98, off, s[0:3], 0 offset:300
	s_waitcnt vmcnt(17)
	v_fma_f64 v[85:86], v[111:112], v[87:88], v[85:86]
	buffer_load_dword v100, off, s[0:3], 0 offset:308
	buffer_load_dword v105, off, s[0:3], 0 offset:320
	buffer_load_dword v111, off, s[0:3], 0 offset:312
	buffer_load_dword v99, off, s[0:3], 0 offset:304
	buffer_load_dword v112, off, s[0:3], 0 offset:316
	buffer_load_dword v106, off, s[0:3], 0 offset:324
	s_waitcnt vmcnt(22) lgkmcnt(0)
	v_fma_f64 v[85:86], v[107:108], v[89:90], v[85:86]
	s_waitcnt vmcnt(17)
	v_fma_f64 v[93:94], v[93:94], v[91:92], v[85:86]
	ds_read2_b64 v[85:88], v84 offset0:73 offset1:74
	buffer_load_dword v107, off, s[0:3], 0 offset:48
	buffer_load_dword v108, off, s[0:3], 0 offset:52
	ds_read2_b64 v[89:92], v84 offset0:75 offset1:76
	s_waitcnt vmcnt(18) lgkmcnt(1)
	v_fma_f64 v[85:86], v[117:118], v[85:86], v[93:94]
	s_waitcnt vmcnt(17)
	v_fma_f64 v[85:86], v[115:116], v[87:88], v[85:86]
	s_waitcnt vmcnt(16) lgkmcnt(0)
	v_fma_f64 v[85:86], v[109:110], v[89:90], v[85:86]
	s_waitcnt vmcnt(11)
	v_fma_f64 v[93:94], v[95:96], v[91:92], v[85:86]
	ds_read2_b64 v[85:88], v84 offset0:77 offset1:78
	ds_read2_b64 v[89:92], v84 offset0:79 offset1:80
	s_waitcnt vmcnt(10) lgkmcnt(1)
	v_fma_f64 v[85:86], v[103:104], v[85:86], v[93:94]
	s_waitcnt vmcnt(9)
	v_fma_f64 v[85:86], v[101:102], v[87:88], v[85:86]
	s_waitcnt vmcnt(8) lgkmcnt(0)
	v_fma_f64 v[85:86], v[97:98], v[89:90], v[85:86]
	s_waitcnt vmcnt(4)
	v_fma_f64 v[88:89], v[99:100], v[91:92], v[85:86]
	ds_read2_b64 v[84:87], v84 offset0:81 offset1:82
	s_waitcnt vmcnt(3) lgkmcnt(0)
	v_fma_f64 v[84:85], v[111:112], v[84:85], v[88:89]
	s_waitcnt vmcnt(2)
	v_fma_f64 v[84:85], v[105:106], v[86:87], v[84:85]
	s_waitcnt vmcnt(0)
	v_add_f64 v[84:85], v[107:108], -v[84:85]
	buffer_store_dword v85, off, s[0:3], 0 offset:52
	buffer_store_dword v84, off, s[0:3], 0 offset:48
	s_and_saveexec_b64 s[4:5], vcc
	s_cbranch_execz .LBB40_243
; %bb.242:
	buffer_load_dword v84, off, s[0:3], 0 offset:40
	buffer_load_dword v85, off, s[0:3], 0 offset:44
	v_mov_b32_e32 v86, 0
	buffer_store_dword v86, off, s[0:3], 0 offset:40
	buffer_store_dword v86, off, s[0:3], 0 offset:44
	s_waitcnt vmcnt(2)
	ds_write_b64 v83, v[84:85]
.LBB40_243:
	s_or_b64 exec, exec, s[4:5]
	s_waitcnt lgkmcnt(0)
	; wave barrier
	buffer_load_dword v93, off, s[0:3], 0 offset:48
	buffer_load_dword v94, off, s[0:3], 0 offset:52
	;; [unrolled: 1-line block ×21, first 2 shown]
	v_mov_b32_e32 v84, 0
	ds_read_b128 v[85:88], v84 offset:384
	ds_read_b128 v[89:92], v84 offset:400
	buffer_load_dword v110, off, s[0:3], 0 offset:132
	v_cmp_lt_u32_e32 vcc, 4, v0
	s_waitcnt vmcnt(20) lgkmcnt(1)
	v_fma_f64 v[85:86], v[93:94], v[85:86], 0
	s_waitcnt vmcnt(18)
	v_fma_f64 v[85:86], v[95:96], v[87:88], v[85:86]
	buffer_load_dword v94, off, s[0:3], 0 offset:140
	buffer_load_dword v95, off, s[0:3], 0 offset:160
	;; [unrolled: 1-line block ×7, first 2 shown]
	s_waitcnt vmcnt(23) lgkmcnt(0)
	v_fma_f64 v[85:86], v[97:98], v[89:90], v[85:86]
	s_waitcnt vmcnt(21)
	v_fma_f64 v[96:97], v[99:100], v[91:92], v[85:86]
	ds_read_b128 v[85:88], v84 offset:416
	ds_read_b128 v[89:92], v84 offset:432
	s_waitcnt vmcnt(19) lgkmcnt(1)
	v_fma_f64 v[85:86], v[101:102], v[85:86], v[96:97]
	buffer_load_dword v96, off, s[0:3], 0 offset:164
	s_waitcnt vmcnt(18)
	v_fma_f64 v[85:86], v[103:104], v[87:88], v[85:86]
	buffer_load_dword v98, off, s[0:3], 0 offset:172
	buffer_load_dword v99, off, s[0:3], 0 offset:192
	;; [unrolled: 1-line block ×8, first 2 shown]
	s_waitcnt vmcnt(24) lgkmcnt(0)
	v_fma_f64 v[85:86], v[105:106], v[89:90], v[85:86]
	s_waitcnt vmcnt(19)
	v_fma_f64 v[105:106], v[107:108], v[91:92], v[85:86]
	ds_read_b128 v[85:88], v84 offset:448
	ds_read_b128 v[89:92], v84 offset:464
	s_waitcnt vmcnt(18) lgkmcnt(1)
	v_fma_f64 v[85:86], v[113:114], v[85:86], v[105:106]
	s_waitcnt vmcnt(17)
	v_fma_f64 v[85:86], v[111:112], v[87:88], v[85:86]
	buffer_load_dword v106, off, s[0:3], 0 offset:204
	buffer_load_dword v107, off, s[0:3], 0 offset:224
	;; [unrolled: 1-line block ×7, first 2 shown]
	s_waitcnt vmcnt(23) lgkmcnt(0)
	v_fma_f64 v[85:86], v[109:110], v[89:90], v[85:86]
	s_waitcnt vmcnt(18)
	v_fma_f64 v[93:94], v[93:94], v[91:92], v[85:86]
	ds_read_b128 v[85:88], v84 offset:480
	ds_read_b128 v[89:92], v84 offset:496
	buffer_load_dword v108, off, s[0:3], 0 offset:228
	s_waitcnt vmcnt(18) lgkmcnt(1)
	v_fma_f64 v[85:86], v[117:118], v[85:86], v[93:94]
	s_waitcnt vmcnt(17)
	v_fma_f64 v[85:86], v[115:116], v[87:88], v[85:86]
	buffer_load_dword v94, off, s[0:3], 0 offset:236
	buffer_load_dword v109, off, s[0:3], 0 offset:256
	;; [unrolled: 1-line block ×8, first 2 shown]
	s_waitcnt vmcnt(24) lgkmcnt(0)
	v_fma_f64 v[85:86], v[95:96], v[89:90], v[85:86]
	s_waitcnt vmcnt(19)
	v_fma_f64 v[95:96], v[97:98], v[91:92], v[85:86]
	ds_read_b128 v[85:88], v84 offset:512
	ds_read_b128 v[89:92], v84 offset:528
	s_waitcnt vmcnt(18) lgkmcnt(1)
	v_fma_f64 v[85:86], v[103:104], v[85:86], v[95:96]
	s_waitcnt vmcnt(17)
	v_fma_f64 v[85:86], v[101:102], v[87:88], v[85:86]
	buffer_load_dword v96, off, s[0:3], 0 offset:268
	buffer_load_dword v97, off, s[0:3], 0 offset:288
	;; [unrolled: 1-line block ×7, first 2 shown]
	s_waitcnt vmcnt(23) lgkmcnt(0)
	v_fma_f64 v[85:86], v[99:100], v[89:90], v[85:86]
	s_waitcnt vmcnt(18)
	v_fma_f64 v[98:99], v[105:106], v[91:92], v[85:86]
	ds_read_b128 v[85:88], v84 offset:544
	ds_read_b128 v[89:92], v84 offset:560
	s_waitcnt vmcnt(17) lgkmcnt(1)
	v_fma_f64 v[85:86], v[113:114], v[85:86], v[98:99]
	buffer_load_dword v98, off, s[0:3], 0 offset:292
	s_waitcnt vmcnt(17)
	v_fma_f64 v[85:86], v[111:112], v[87:88], v[85:86]
	buffer_load_dword v100, off, s[0:3], 0 offset:300
	buffer_load_dword v105, off, s[0:3], 0 offset:320
	;; [unrolled: 1-line block ×8, first 2 shown]
	s_waitcnt vmcnt(24) lgkmcnt(0)
	v_fma_f64 v[85:86], v[107:108], v[89:90], v[85:86]
	s_waitcnt vmcnt(19)
	v_fma_f64 v[93:94], v[93:94], v[91:92], v[85:86]
	ds_read_b128 v[85:88], v84 offset:576
	ds_read_b128 v[89:92], v84 offset:592
	s_waitcnt vmcnt(18) lgkmcnt(1)
	v_fma_f64 v[85:86], v[117:118], v[85:86], v[93:94]
	buffer_load_dword v93, off, s[0:3], 0 offset:40
	buffer_load_dword v94, off, s[0:3], 0 offset:44
	s_waitcnt vmcnt(19)
	v_fma_f64 v[85:86], v[115:116], v[87:88], v[85:86]
	s_waitcnt vmcnt(18) lgkmcnt(0)
	v_fma_f64 v[85:86], v[109:110], v[89:90], v[85:86]
	s_waitcnt vmcnt(13)
	v_fma_f64 v[95:96], v[95:96], v[91:92], v[85:86]
	ds_read_b128 v[85:88], v84 offset:608
	ds_read_b128 v[89:92], v84 offset:624
	s_waitcnt vmcnt(12) lgkmcnt(1)
	v_fma_f64 v[85:86], v[103:104], v[85:86], v[95:96]
	s_waitcnt vmcnt(11)
	v_fma_f64 v[85:86], v[101:102], v[87:88], v[85:86]
	s_waitcnt vmcnt(10) lgkmcnt(0)
	v_fma_f64 v[85:86], v[97:98], v[89:90], v[85:86]
	s_waitcnt vmcnt(5)
	v_fma_f64 v[89:90], v[99:100], v[91:92], v[85:86]
	ds_read_b128 v[85:88], v84 offset:640
	ds_read_b64 v[91:92], v84 offset:656
	s_waitcnt vmcnt(4) lgkmcnt(1)
	v_fma_f64 v[85:86], v[113:114], v[85:86], v[89:90]
	s_waitcnt vmcnt(3)
	v_fma_f64 v[85:86], v[111:112], v[87:88], v[85:86]
	s_waitcnt vmcnt(2) lgkmcnt(0)
	v_fma_f64 v[85:86], v[105:106], v[91:92], v[85:86]
	s_waitcnt vmcnt(0)
	v_add_f64 v[85:86], v[93:94], -v[85:86]
	buffer_store_dword v86, off, s[0:3], 0 offset:44
	buffer_store_dword v85, off, s[0:3], 0 offset:40
	s_and_saveexec_b64 s[4:5], vcc
	s_cbranch_execz .LBB40_245
; %bb.244:
	buffer_load_dword v85, off, s[0:3], 0 offset:32
	buffer_load_dword v86, off, s[0:3], 0 offset:36
	s_waitcnt vmcnt(0)
	ds_write_b64 v83, v[85:86]
	buffer_store_dword v84, off, s[0:3], 0 offset:32
	buffer_store_dword v84, off, s[0:3], 0 offset:36
.LBB40_245:
	s_or_b64 exec, exec, s[4:5]
	s_waitcnt lgkmcnt(0)
	; wave barrier
	buffer_load_dword v93, off, s[0:3], 0 offset:40
	buffer_load_dword v94, off, s[0:3], 0 offset:44
	;; [unrolled: 1-line block ×21, first 2 shown]
	ds_read2_b64 v[85:88], v84 offset0:47 offset1:48
	ds_read2_b64 v[89:92], v84 offset0:49 offset1:50
	buffer_load_dword v110, off, s[0:3], 0 offset:124
	v_cmp_lt_u32_e32 vcc, 3, v0
	s_waitcnt vmcnt(20) lgkmcnt(1)
	v_fma_f64 v[85:86], v[93:94], v[85:86], 0
	s_waitcnt vmcnt(18)
	v_fma_f64 v[85:86], v[95:96], v[87:88], v[85:86]
	buffer_load_dword v94, off, s[0:3], 0 offset:132
	buffer_load_dword v95, off, s[0:3], 0 offset:152
	;; [unrolled: 1-line block ×7, first 2 shown]
	s_waitcnt vmcnt(23) lgkmcnt(0)
	v_fma_f64 v[85:86], v[97:98], v[89:90], v[85:86]
	s_waitcnt vmcnt(21)
	v_fma_f64 v[96:97], v[99:100], v[91:92], v[85:86]
	ds_read2_b64 v[85:88], v84 offset0:51 offset1:52
	ds_read2_b64 v[89:92], v84 offset0:53 offset1:54
	s_waitcnt vmcnt(19) lgkmcnt(1)
	v_fma_f64 v[85:86], v[101:102], v[85:86], v[96:97]
	buffer_load_dword v96, off, s[0:3], 0 offset:156
	s_waitcnt vmcnt(18)
	v_fma_f64 v[85:86], v[103:104], v[87:88], v[85:86]
	buffer_load_dword v98, off, s[0:3], 0 offset:164
	buffer_load_dword v99, off, s[0:3], 0 offset:184
	;; [unrolled: 1-line block ×8, first 2 shown]
	s_waitcnt vmcnt(24) lgkmcnt(0)
	v_fma_f64 v[85:86], v[105:106], v[89:90], v[85:86]
	s_waitcnt vmcnt(19)
	v_fma_f64 v[105:106], v[107:108], v[91:92], v[85:86]
	ds_read2_b64 v[85:88], v84 offset0:55 offset1:56
	ds_read2_b64 v[89:92], v84 offset0:57 offset1:58
	s_waitcnt vmcnt(18) lgkmcnt(1)
	v_fma_f64 v[85:86], v[113:114], v[85:86], v[105:106]
	s_waitcnt vmcnt(17)
	v_fma_f64 v[85:86], v[111:112], v[87:88], v[85:86]
	buffer_load_dword v106, off, s[0:3], 0 offset:196
	buffer_load_dword v107, off, s[0:3], 0 offset:216
	;; [unrolled: 1-line block ×7, first 2 shown]
	s_waitcnt vmcnt(23) lgkmcnt(0)
	v_fma_f64 v[85:86], v[109:110], v[89:90], v[85:86]
	s_waitcnt vmcnt(18)
	v_fma_f64 v[93:94], v[93:94], v[91:92], v[85:86]
	ds_read2_b64 v[85:88], v84 offset0:59 offset1:60
	ds_read2_b64 v[89:92], v84 offset0:61 offset1:62
	buffer_load_dword v108, off, s[0:3], 0 offset:220
	s_waitcnt vmcnt(18) lgkmcnt(1)
	v_fma_f64 v[85:86], v[117:118], v[85:86], v[93:94]
	s_waitcnt vmcnt(17)
	v_fma_f64 v[85:86], v[115:116], v[87:88], v[85:86]
	buffer_load_dword v94, off, s[0:3], 0 offset:228
	buffer_load_dword v109, off, s[0:3], 0 offset:248
	;; [unrolled: 1-line block ×8, first 2 shown]
	s_waitcnt vmcnt(24) lgkmcnt(0)
	v_fma_f64 v[85:86], v[95:96], v[89:90], v[85:86]
	s_waitcnt vmcnt(19)
	v_fma_f64 v[95:96], v[97:98], v[91:92], v[85:86]
	ds_read2_b64 v[85:88], v84 offset0:63 offset1:64
	ds_read2_b64 v[89:92], v84 offset0:65 offset1:66
	s_waitcnt vmcnt(18) lgkmcnt(1)
	v_fma_f64 v[85:86], v[103:104], v[85:86], v[95:96]
	s_waitcnt vmcnt(17)
	v_fma_f64 v[85:86], v[101:102], v[87:88], v[85:86]
	buffer_load_dword v96, off, s[0:3], 0 offset:260
	buffer_load_dword v97, off, s[0:3], 0 offset:280
	;; [unrolled: 1-line block ×7, first 2 shown]
	s_waitcnt vmcnt(23) lgkmcnt(0)
	v_fma_f64 v[85:86], v[99:100], v[89:90], v[85:86]
	s_waitcnt vmcnt(18)
	v_fma_f64 v[98:99], v[105:106], v[91:92], v[85:86]
	ds_read2_b64 v[85:88], v84 offset0:67 offset1:68
	ds_read2_b64 v[89:92], v84 offset0:69 offset1:70
	s_waitcnt vmcnt(17) lgkmcnt(1)
	v_fma_f64 v[85:86], v[113:114], v[85:86], v[98:99]
	buffer_load_dword v98, off, s[0:3], 0 offset:284
	s_waitcnt vmcnt(17)
	v_fma_f64 v[85:86], v[111:112], v[87:88], v[85:86]
	buffer_load_dword v100, off, s[0:3], 0 offset:292
	buffer_load_dword v105, off, s[0:3], 0 offset:312
	;; [unrolled: 1-line block ×8, first 2 shown]
	s_waitcnt vmcnt(24) lgkmcnt(0)
	v_fma_f64 v[85:86], v[107:108], v[89:90], v[85:86]
	s_waitcnt vmcnt(19)
	v_fma_f64 v[93:94], v[93:94], v[91:92], v[85:86]
	ds_read2_b64 v[85:88], v84 offset0:71 offset1:72
	ds_read2_b64 v[89:92], v84 offset0:73 offset1:74
	s_waitcnt vmcnt(18) lgkmcnt(1)
	v_fma_f64 v[85:86], v[117:118], v[85:86], v[93:94]
	buffer_load_dword v94, off, s[0:3], 0 offset:324
	buffer_load_dword v93, off, s[0:3], 0 offset:320
	;; [unrolled: 1-line block ×4, first 2 shown]
	s_waitcnt vmcnt(21)
	v_fma_f64 v[85:86], v[115:116], v[87:88], v[85:86]
	s_waitcnt vmcnt(20) lgkmcnt(0)
	v_fma_f64 v[85:86], v[109:110], v[89:90], v[85:86]
	s_waitcnt vmcnt(15)
	v_fma_f64 v[95:96], v[95:96], v[91:92], v[85:86]
	ds_read2_b64 v[85:88], v84 offset0:75 offset1:76
	ds_read2_b64 v[89:92], v84 offset0:77 offset1:78
	s_waitcnt vmcnt(14) lgkmcnt(1)
	v_fma_f64 v[85:86], v[103:104], v[85:86], v[95:96]
	s_waitcnt vmcnt(13)
	v_fma_f64 v[85:86], v[101:102], v[87:88], v[85:86]
	s_waitcnt vmcnt(12) lgkmcnt(0)
	v_fma_f64 v[85:86], v[97:98], v[89:90], v[85:86]
	s_waitcnt vmcnt(7)
	v_fma_f64 v[95:96], v[99:100], v[91:92], v[85:86]
	ds_read2_b64 v[85:88], v84 offset0:79 offset1:80
	ds_read2_b64 v[89:92], v84 offset0:81 offset1:82
	s_waitcnt vmcnt(6) lgkmcnt(1)
	v_fma_f64 v[84:85], v[113:114], v[85:86], v[95:96]
	s_waitcnt vmcnt(5)
	v_fma_f64 v[84:85], v[111:112], v[87:88], v[84:85]
	s_waitcnt vmcnt(4) lgkmcnt(0)
	v_fma_f64 v[84:85], v[105:106], v[89:90], v[84:85]
	s_waitcnt vmcnt(2)
	v_fma_f64 v[84:85], v[93:94], v[91:92], v[84:85]
	s_waitcnt vmcnt(0)
	v_add_f64 v[84:85], v[107:108], -v[84:85]
	buffer_store_dword v85, off, s[0:3], 0 offset:36
	buffer_store_dword v84, off, s[0:3], 0 offset:32
	s_and_saveexec_b64 s[4:5], vcc
	s_cbranch_execz .LBB40_247
; %bb.246:
	buffer_load_dword v84, off, s[0:3], 0 offset:24
	buffer_load_dword v85, off, s[0:3], 0 offset:28
	v_mov_b32_e32 v86, 0
	buffer_store_dword v86, off, s[0:3], 0 offset:24
	buffer_store_dword v86, off, s[0:3], 0 offset:28
	s_waitcnt vmcnt(2)
	ds_write_b64 v83, v[84:85]
.LBB40_247:
	s_or_b64 exec, exec, s[4:5]
	s_waitcnt lgkmcnt(0)
	; wave barrier
	buffer_load_dword v93, off, s[0:3], 0 offset:32
	buffer_load_dword v94, off, s[0:3], 0 offset:36
	buffer_load_dword v95, off, s[0:3], 0 offset:40
	buffer_load_dword v96, off, s[0:3], 0 offset:44
	buffer_load_dword v97, off, s[0:3], 0 offset:48
	buffer_load_dword v98, off, s[0:3], 0 offset:52
	buffer_load_dword v99, off, s[0:3], 0 offset:56
	buffer_load_dword v100, off, s[0:3], 0 offset:60
	buffer_load_dword v101, off, s[0:3], 0 offset:64
	buffer_load_dword v102, off, s[0:3], 0 offset:68
	buffer_load_dword v103, off, s[0:3], 0 offset:72
	buffer_load_dword v104, off, s[0:3], 0 offset:76
	buffer_load_dword v105, off, s[0:3], 0 offset:80
	buffer_load_dword v106, off, s[0:3], 0 offset:84
	buffer_load_dword v108, off, s[0:3], 0 offset:92
	buffer_load_dword v109, off, s[0:3], 0 offset:112
	buffer_load_dword v111, off, s[0:3], 0 offset:104
	buffer_load_dword v113, off, s[0:3], 0 offset:96
	buffer_load_dword v107, off, s[0:3], 0 offset:88
	buffer_load_dword v114, off, s[0:3], 0 offset:100
	buffer_load_dword v112, off, s[0:3], 0 offset:108
	v_mov_b32_e32 v84, 0
	ds_read_b128 v[85:88], v84 offset:368
	ds_read_b128 v[89:92], v84 offset:384
	buffer_load_dword v110, off, s[0:3], 0 offset:116
	v_cmp_lt_u32_e32 vcc, 2, v0
	s_waitcnt vmcnt(20) lgkmcnt(1)
	v_fma_f64 v[85:86], v[93:94], v[85:86], 0
	s_waitcnt vmcnt(18)
	v_fma_f64 v[85:86], v[95:96], v[87:88], v[85:86]
	buffer_load_dword v94, off, s[0:3], 0 offset:124
	buffer_load_dword v95, off, s[0:3], 0 offset:144
	;; [unrolled: 1-line block ×7, first 2 shown]
	s_waitcnt vmcnt(23) lgkmcnt(0)
	v_fma_f64 v[85:86], v[97:98], v[89:90], v[85:86]
	s_waitcnt vmcnt(21)
	v_fma_f64 v[96:97], v[99:100], v[91:92], v[85:86]
	ds_read_b128 v[85:88], v84 offset:400
	ds_read_b128 v[89:92], v84 offset:416
	s_waitcnt vmcnt(19) lgkmcnt(1)
	v_fma_f64 v[85:86], v[101:102], v[85:86], v[96:97]
	buffer_load_dword v96, off, s[0:3], 0 offset:148
	s_waitcnt vmcnt(18)
	v_fma_f64 v[85:86], v[103:104], v[87:88], v[85:86]
	buffer_load_dword v98, off, s[0:3], 0 offset:156
	buffer_load_dword v99, off, s[0:3], 0 offset:176
	;; [unrolled: 1-line block ×8, first 2 shown]
	s_waitcnt vmcnt(24) lgkmcnt(0)
	v_fma_f64 v[85:86], v[105:106], v[89:90], v[85:86]
	s_waitcnt vmcnt(19)
	v_fma_f64 v[105:106], v[107:108], v[91:92], v[85:86]
	ds_read_b128 v[85:88], v84 offset:432
	ds_read_b128 v[89:92], v84 offset:448
	s_waitcnt vmcnt(18) lgkmcnt(1)
	v_fma_f64 v[85:86], v[113:114], v[85:86], v[105:106]
	s_waitcnt vmcnt(17)
	v_fma_f64 v[85:86], v[111:112], v[87:88], v[85:86]
	buffer_load_dword v106, off, s[0:3], 0 offset:188
	buffer_load_dword v107, off, s[0:3], 0 offset:208
	;; [unrolled: 1-line block ×7, first 2 shown]
	s_waitcnt vmcnt(23) lgkmcnt(0)
	v_fma_f64 v[85:86], v[109:110], v[89:90], v[85:86]
	s_waitcnt vmcnt(18)
	v_fma_f64 v[93:94], v[93:94], v[91:92], v[85:86]
	ds_read_b128 v[85:88], v84 offset:464
	ds_read_b128 v[89:92], v84 offset:480
	buffer_load_dword v108, off, s[0:3], 0 offset:212
	s_waitcnt vmcnt(18) lgkmcnt(1)
	v_fma_f64 v[85:86], v[117:118], v[85:86], v[93:94]
	s_waitcnt vmcnt(17)
	v_fma_f64 v[85:86], v[115:116], v[87:88], v[85:86]
	buffer_load_dword v94, off, s[0:3], 0 offset:220
	buffer_load_dword v109, off, s[0:3], 0 offset:240
	;; [unrolled: 1-line block ×7, first 2 shown]
	s_waitcnt vmcnt(23) lgkmcnt(0)
	v_fma_f64 v[85:86], v[95:96], v[89:90], v[85:86]
	s_waitcnt vmcnt(18)
	v_fma_f64 v[95:96], v[97:98], v[91:92], v[85:86]
	ds_read_b128 v[85:88], v84 offset:496
	ds_read_b128 v[89:92], v84 offset:512
	buffer_load_dword v110, off, s[0:3], 0 offset:244
	s_waitcnt vmcnt(18) lgkmcnt(1)
	v_fma_f64 v[85:86], v[103:104], v[85:86], v[95:96]
	s_waitcnt vmcnt(17)
	v_fma_f64 v[85:86], v[101:102], v[87:88], v[85:86]
	buffer_load_dword v96, off, s[0:3], 0 offset:252
	buffer_load_dword v97, off, s[0:3], 0 offset:272
	;; [unrolled: 1-line block ×7, first 2 shown]
	s_waitcnt vmcnt(23) lgkmcnt(0)
	v_fma_f64 v[85:86], v[99:100], v[89:90], v[85:86]
	s_waitcnt vmcnt(18)
	v_fma_f64 v[98:99], v[105:106], v[91:92], v[85:86]
	ds_read_b128 v[85:88], v84 offset:528
	ds_read_b128 v[89:92], v84 offset:544
	s_waitcnt vmcnt(17) lgkmcnt(1)
	v_fma_f64 v[85:86], v[113:114], v[85:86], v[98:99]
	buffer_load_dword v98, off, s[0:3], 0 offset:276
	s_waitcnt vmcnt(17)
	v_fma_f64 v[85:86], v[111:112], v[87:88], v[85:86]
	buffer_load_dword v100, off, s[0:3], 0 offset:284
	buffer_load_dword v105, off, s[0:3], 0 offset:304
	buffer_load_dword v111, off, s[0:3], 0 offset:296
	buffer_load_dword v113, off, s[0:3], 0 offset:288
	buffer_load_dword v99, off, s[0:3], 0 offset:280
	buffer_load_dword v114, off, s[0:3], 0 offset:292
	buffer_load_dword v112, off, s[0:3], 0 offset:300
	s_waitcnt vmcnt(23) lgkmcnt(0)
	v_fma_f64 v[85:86], v[107:108], v[89:90], v[85:86]
	s_waitcnt vmcnt(18)
	v_fma_f64 v[93:94], v[93:94], v[91:92], v[85:86]
	ds_read_b128 v[85:88], v84 offset:560
	ds_read_b128 v[89:92], v84 offset:576
	buffer_load_dword v106, off, s[0:3], 0 offset:308
	s_waitcnt vmcnt(18) lgkmcnt(1)
	v_fma_f64 v[85:86], v[117:118], v[85:86], v[93:94]
	buffer_load_dword v94, off, s[0:3], 0 offset:316
	buffer_load_dword v107, off, s[0:3], 0 offset:320
	;; [unrolled: 1-line block ×4, first 2 shown]
	s_waitcnt vmcnt(21)
	v_fma_f64 v[85:86], v[115:116], v[87:88], v[85:86]
	s_waitcnt vmcnt(20) lgkmcnt(0)
	v_fma_f64 v[85:86], v[109:110], v[89:90], v[85:86]
	buffer_load_dword v109, off, s[0:3], 0 offset:24
	buffer_load_dword v110, off, s[0:3], 0 offset:28
	s_waitcnt vmcnt(17)
	v_fma_f64 v[95:96], v[95:96], v[91:92], v[85:86]
	ds_read_b128 v[85:88], v84 offset:592
	ds_read_b128 v[89:92], v84 offset:608
	s_waitcnt vmcnt(16) lgkmcnt(1)
	v_fma_f64 v[85:86], v[103:104], v[85:86], v[95:96]
	s_waitcnt vmcnt(15)
	v_fma_f64 v[85:86], v[101:102], v[87:88], v[85:86]
	s_waitcnt vmcnt(14) lgkmcnt(0)
	v_fma_f64 v[85:86], v[97:98], v[89:90], v[85:86]
	s_waitcnt vmcnt(9)
	v_fma_f64 v[95:96], v[99:100], v[91:92], v[85:86]
	ds_read_b128 v[85:88], v84 offset:624
	ds_read_b128 v[89:92], v84 offset:640
	s_waitcnt vmcnt(8) lgkmcnt(1)
	v_fma_f64 v[85:86], v[113:114], v[85:86], v[95:96]
	s_waitcnt vmcnt(7)
	v_fma_f64 v[85:86], v[111:112], v[87:88], v[85:86]
	ds_read_b64 v[87:88], v84 offset:656
	s_waitcnt vmcnt(6) lgkmcnt(1)
	v_fma_f64 v[85:86], v[105:106], v[89:90], v[85:86]
	s_waitcnt vmcnt(3)
	v_fma_f64 v[85:86], v[93:94], v[91:92], v[85:86]
	s_waitcnt vmcnt(2) lgkmcnt(0)
	v_fma_f64 v[85:86], v[107:108], v[87:88], v[85:86]
	s_waitcnt vmcnt(0)
	v_add_f64 v[85:86], v[109:110], -v[85:86]
	buffer_store_dword v86, off, s[0:3], 0 offset:28
	buffer_store_dword v85, off, s[0:3], 0 offset:24
	s_and_saveexec_b64 s[4:5], vcc
	s_cbranch_execz .LBB40_249
; %bb.248:
	buffer_load_dword v85, off, s[0:3], 0 offset:16
	buffer_load_dword v86, off, s[0:3], 0 offset:20
	s_waitcnt vmcnt(0)
	ds_write_b64 v83, v[85:86]
	buffer_store_dword v84, off, s[0:3], 0 offset:16
	buffer_store_dword v84, off, s[0:3], 0 offset:20
.LBB40_249:
	s_or_b64 exec, exec, s[4:5]
	s_waitcnt lgkmcnt(0)
	; wave barrier
	buffer_load_dword v93, off, s[0:3], 0 offset:24
	buffer_load_dword v94, off, s[0:3], 0 offset:28
	;; [unrolled: 1-line block ×22, first 2 shown]
	ds_read2_b64 v[85:88], v84 offset0:45 offset1:46
	ds_read2_b64 v[89:92], v84 offset0:47 offset1:48
	v_cmp_lt_u32_e32 vcc, 1, v0
	s_waitcnt vmcnt(20) lgkmcnt(1)
	v_fma_f64 v[85:86], v[93:94], v[85:86], 0
	s_waitcnt vmcnt(18)
	v_fma_f64 v[85:86], v[95:96], v[87:88], v[85:86]
	buffer_load_dword v94, off, s[0:3], 0 offset:116
	buffer_load_dword v95, off, s[0:3], 0 offset:136
	;; [unrolled: 1-line block ×7, first 2 shown]
	s_waitcnt vmcnt(23) lgkmcnt(0)
	v_fma_f64 v[85:86], v[97:98], v[89:90], v[85:86]
	s_waitcnt vmcnt(21)
	v_fma_f64 v[96:97], v[99:100], v[91:92], v[85:86]
	ds_read2_b64 v[85:88], v84 offset0:49 offset1:50
	ds_read2_b64 v[89:92], v84 offset0:51 offset1:52
	s_waitcnt vmcnt(19) lgkmcnt(1)
	v_fma_f64 v[85:86], v[101:102], v[85:86], v[96:97]
	buffer_load_dword v96, off, s[0:3], 0 offset:140
	s_waitcnt vmcnt(18)
	v_fma_f64 v[85:86], v[103:104], v[87:88], v[85:86]
	buffer_load_dword v98, off, s[0:3], 0 offset:148
	buffer_load_dword v99, off, s[0:3], 0 offset:168
	buffer_load_dword v101, off, s[0:3], 0 offset:160
	buffer_load_dword v103, off, s[0:3], 0 offset:152
	buffer_load_dword v97, off, s[0:3], 0 offset:144
	buffer_load_dword v104, off, s[0:3], 0 offset:156
	buffer_load_dword v102, off, s[0:3], 0 offset:164
	buffer_load_dword v100, off, s[0:3], 0 offset:172
	s_waitcnt vmcnt(24) lgkmcnt(0)
	v_fma_f64 v[85:86], v[105:106], v[89:90], v[85:86]
	s_waitcnt vmcnt(19)
	v_fma_f64 v[105:106], v[107:108], v[91:92], v[85:86]
	ds_read2_b64 v[85:88], v84 offset0:53 offset1:54
	ds_read2_b64 v[89:92], v84 offset0:55 offset1:56
	s_waitcnt vmcnt(18) lgkmcnt(1)
	v_fma_f64 v[85:86], v[113:114], v[85:86], v[105:106]
	s_waitcnt vmcnt(17)
	v_fma_f64 v[85:86], v[111:112], v[87:88], v[85:86]
	buffer_load_dword v106, off, s[0:3], 0 offset:180
	buffer_load_dword v107, off, s[0:3], 0 offset:200
	;; [unrolled: 1-line block ×8, first 2 shown]
	s_waitcnt vmcnt(24) lgkmcnt(0)
	v_fma_f64 v[85:86], v[109:110], v[89:90], v[85:86]
	s_waitcnt vmcnt(19)
	v_fma_f64 v[93:94], v[93:94], v[91:92], v[85:86]
	ds_read2_b64 v[85:88], v84 offset0:57 offset1:58
	ds_read2_b64 v[89:92], v84 offset0:59 offset1:60
	s_waitcnt vmcnt(18) lgkmcnt(1)
	v_fma_f64 v[85:86], v[117:118], v[85:86], v[93:94]
	s_waitcnt vmcnt(17)
	v_fma_f64 v[85:86], v[115:116], v[87:88], v[85:86]
	buffer_load_dword v94, off, s[0:3], 0 offset:212
	buffer_load_dword v109, off, s[0:3], 0 offset:232
	;; [unrolled: 1-line block ×7, first 2 shown]
	s_waitcnt vmcnt(23) lgkmcnt(0)
	v_fma_f64 v[85:86], v[95:96], v[89:90], v[85:86]
	s_waitcnt vmcnt(18)
	v_fma_f64 v[95:96], v[97:98], v[91:92], v[85:86]
	ds_read2_b64 v[85:88], v84 offset0:61 offset1:62
	ds_read2_b64 v[89:92], v84 offset0:63 offset1:64
	buffer_load_dword v110, off, s[0:3], 0 offset:236
	s_waitcnt vmcnt(18) lgkmcnt(1)
	v_fma_f64 v[85:86], v[103:104], v[85:86], v[95:96]
	s_waitcnt vmcnt(17)
	v_fma_f64 v[85:86], v[101:102], v[87:88], v[85:86]
	buffer_load_dword v96, off, s[0:3], 0 offset:244
	buffer_load_dword v97, off, s[0:3], 0 offset:264
	;; [unrolled: 1-line block ×7, first 2 shown]
	s_waitcnt vmcnt(23) lgkmcnt(0)
	v_fma_f64 v[85:86], v[99:100], v[89:90], v[85:86]
	s_waitcnt vmcnt(18)
	v_fma_f64 v[98:99], v[105:106], v[91:92], v[85:86]
	ds_read2_b64 v[85:88], v84 offset0:65 offset1:66
	ds_read2_b64 v[89:92], v84 offset0:67 offset1:68
	s_waitcnt vmcnt(17) lgkmcnt(1)
	v_fma_f64 v[85:86], v[113:114], v[85:86], v[98:99]
	buffer_load_dword v98, off, s[0:3], 0 offset:268
	s_waitcnt vmcnt(17)
	v_fma_f64 v[85:86], v[111:112], v[87:88], v[85:86]
	buffer_load_dword v100, off, s[0:3], 0 offset:276
	buffer_load_dword v105, off, s[0:3], 0 offset:296
	;; [unrolled: 1-line block ×8, first 2 shown]
	s_waitcnt vmcnt(24) lgkmcnt(0)
	v_fma_f64 v[85:86], v[107:108], v[89:90], v[85:86]
	s_waitcnt vmcnt(19)
	v_fma_f64 v[93:94], v[93:94], v[91:92], v[85:86]
	ds_read2_b64 v[85:88], v84 offset0:69 offset1:70
	ds_read2_b64 v[89:92], v84 offset0:71 offset1:72
	s_waitcnt vmcnt(18) lgkmcnt(1)
	v_fma_f64 v[85:86], v[117:118], v[85:86], v[93:94]
	s_waitcnt vmcnt(17)
	v_fma_f64 v[85:86], v[115:116], v[87:88], v[85:86]
	buffer_load_dword v94, off, s[0:3], 0 offset:308
	buffer_load_dword v107, off, s[0:3], 0 offset:320
	;; [unrolled: 1-line block ×6, first 2 shown]
	s_waitcnt vmcnt(22) lgkmcnt(0)
	v_fma_f64 v[85:86], v[109:110], v[89:90], v[85:86]
	s_waitcnt vmcnt(17)
	v_fma_f64 v[95:96], v[95:96], v[91:92], v[85:86]
	ds_read2_b64 v[85:88], v84 offset0:73 offset1:74
	buffer_load_dword v109, off, s[0:3], 0 offset:16
	buffer_load_dword v110, off, s[0:3], 0 offset:20
	ds_read2_b64 v[89:92], v84 offset0:75 offset1:76
	s_waitcnt vmcnt(18) lgkmcnt(1)
	v_fma_f64 v[85:86], v[103:104], v[85:86], v[95:96]
	s_waitcnt vmcnt(17)
	v_fma_f64 v[85:86], v[101:102], v[87:88], v[85:86]
	s_waitcnt vmcnt(16) lgkmcnt(0)
	v_fma_f64 v[85:86], v[97:98], v[89:90], v[85:86]
	s_waitcnt vmcnt(11)
	v_fma_f64 v[95:96], v[99:100], v[91:92], v[85:86]
	ds_read2_b64 v[85:88], v84 offset0:77 offset1:78
	ds_read2_b64 v[89:92], v84 offset0:79 offset1:80
	s_waitcnt vmcnt(10) lgkmcnt(1)
	v_fma_f64 v[85:86], v[113:114], v[85:86], v[95:96]
	s_waitcnt vmcnt(9)
	v_fma_f64 v[85:86], v[111:112], v[87:88], v[85:86]
	s_waitcnt vmcnt(8) lgkmcnt(0)
	v_fma_f64 v[85:86], v[105:106], v[89:90], v[85:86]
	s_waitcnt vmcnt(4)
	v_fma_f64 v[88:89], v[93:94], v[91:92], v[85:86]
	ds_read2_b64 v[84:87], v84 offset0:81 offset1:82
	s_waitcnt vmcnt(3) lgkmcnt(0)
	v_fma_f64 v[84:85], v[115:116], v[84:85], v[88:89]
	s_waitcnt vmcnt(2)
	v_fma_f64 v[84:85], v[107:108], v[86:87], v[84:85]
	s_waitcnt vmcnt(0)
	v_add_f64 v[84:85], v[109:110], -v[84:85]
	buffer_store_dword v85, off, s[0:3], 0 offset:20
	buffer_store_dword v84, off, s[0:3], 0 offset:16
	s_and_saveexec_b64 s[4:5], vcc
	s_cbranch_execz .LBB40_251
; %bb.250:
	buffer_load_dword v84, off, s[0:3], 0 offset:8
	buffer_load_dword v85, off, s[0:3], 0 offset:12
	v_mov_b32_e32 v86, 0
	buffer_store_dword v86, off, s[0:3], 0 offset:8
	buffer_store_dword v86, off, s[0:3], 0 offset:12
	s_waitcnt vmcnt(2)
	ds_write_b64 v83, v[84:85]
.LBB40_251:
	s_or_b64 exec, exec, s[4:5]
	s_waitcnt lgkmcnt(0)
	; wave barrier
	buffer_load_dword v93, off, s[0:3], 0 offset:16
	buffer_load_dword v94, off, s[0:3], 0 offset:20
	;; [unrolled: 1-line block ×22, first 2 shown]
	v_mov_b32_e32 v84, 0
	ds_read_b128 v[85:88], v84 offset:352
	ds_read_b128 v[89:92], v84 offset:368
	v_cmp_ne_u32_e32 vcc, 0, v0
	s_waitcnt vmcnt(20) lgkmcnt(1)
	v_fma_f64 v[85:86], v[93:94], v[85:86], 0
	s_waitcnt vmcnt(18)
	v_fma_f64 v[85:86], v[95:96], v[87:88], v[85:86]
	buffer_load_dword v94, off, s[0:3], 0 offset:108
	buffer_load_dword v95, off, s[0:3], 0 offset:128
	;; [unrolled: 1-line block ×7, first 2 shown]
	s_waitcnt vmcnt(23) lgkmcnt(0)
	v_fma_f64 v[85:86], v[97:98], v[89:90], v[85:86]
	s_waitcnt vmcnt(21)
	v_fma_f64 v[96:97], v[99:100], v[91:92], v[85:86]
	ds_read_b128 v[85:88], v84 offset:384
	ds_read_b128 v[89:92], v84 offset:400
	s_waitcnt vmcnt(19) lgkmcnt(1)
	v_fma_f64 v[85:86], v[101:102], v[85:86], v[96:97]
	buffer_load_dword v96, off, s[0:3], 0 offset:132
	s_waitcnt vmcnt(18)
	v_fma_f64 v[85:86], v[103:104], v[87:88], v[85:86]
	buffer_load_dword v98, off, s[0:3], 0 offset:140
	buffer_load_dword v99, off, s[0:3], 0 offset:160
	;; [unrolled: 1-line block ×8, first 2 shown]
	s_waitcnt vmcnt(24) lgkmcnt(0)
	v_fma_f64 v[85:86], v[105:106], v[89:90], v[85:86]
	s_waitcnt vmcnt(19)
	v_fma_f64 v[105:106], v[107:108], v[91:92], v[85:86]
	ds_read_b128 v[85:88], v84 offset:416
	ds_read_b128 v[89:92], v84 offset:432
	s_waitcnt vmcnt(18) lgkmcnt(1)
	v_fma_f64 v[85:86], v[113:114], v[85:86], v[105:106]
	s_waitcnt vmcnt(17)
	v_fma_f64 v[85:86], v[111:112], v[87:88], v[85:86]
	buffer_load_dword v106, off, s[0:3], 0 offset:172
	buffer_load_dword v107, off, s[0:3], 0 offset:192
	;; [unrolled: 1-line block ×8, first 2 shown]
	s_waitcnt vmcnt(24) lgkmcnt(0)
	v_fma_f64 v[85:86], v[109:110], v[89:90], v[85:86]
	s_waitcnt vmcnt(19)
	v_fma_f64 v[93:94], v[93:94], v[91:92], v[85:86]
	ds_read_b128 v[85:88], v84 offset:448
	ds_read_b128 v[89:92], v84 offset:464
	s_waitcnt vmcnt(18) lgkmcnt(1)
	v_fma_f64 v[85:86], v[117:118], v[85:86], v[93:94]
	s_waitcnt vmcnt(17)
	v_fma_f64 v[85:86], v[115:116], v[87:88], v[85:86]
	buffer_load_dword v94, off, s[0:3], 0 offset:204
	buffer_load_dword v109, off, s[0:3], 0 offset:224
	;; [unrolled: 1-line block ×7, first 2 shown]
	s_waitcnt vmcnt(23) lgkmcnt(0)
	v_fma_f64 v[85:86], v[95:96], v[89:90], v[85:86]
	s_waitcnt vmcnt(18)
	v_fma_f64 v[95:96], v[97:98], v[91:92], v[85:86]
	ds_read_b128 v[85:88], v84 offset:480
	ds_read_b128 v[89:92], v84 offset:496
	buffer_load_dword v110, off, s[0:3], 0 offset:228
	s_waitcnt vmcnt(18) lgkmcnt(1)
	v_fma_f64 v[85:86], v[103:104], v[85:86], v[95:96]
	s_waitcnt vmcnt(17)
	v_fma_f64 v[85:86], v[101:102], v[87:88], v[85:86]
	buffer_load_dword v96, off, s[0:3], 0 offset:236
	buffer_load_dword v97, off, s[0:3], 0 offset:256
	;; [unrolled: 1-line block ×7, first 2 shown]
	s_waitcnt vmcnt(23) lgkmcnt(0)
	v_fma_f64 v[85:86], v[99:100], v[89:90], v[85:86]
	s_waitcnt vmcnt(18)
	v_fma_f64 v[98:99], v[105:106], v[91:92], v[85:86]
	ds_read_b128 v[85:88], v84 offset:512
	ds_read_b128 v[89:92], v84 offset:528
	s_waitcnt vmcnt(17) lgkmcnt(1)
	v_fma_f64 v[85:86], v[113:114], v[85:86], v[98:99]
	buffer_load_dword v98, off, s[0:3], 0 offset:260
	s_waitcnt vmcnt(17)
	v_fma_f64 v[85:86], v[111:112], v[87:88], v[85:86]
	buffer_load_dword v100, off, s[0:3], 0 offset:268
	buffer_load_dword v105, off, s[0:3], 0 offset:288
	;; [unrolled: 1-line block ×8, first 2 shown]
	s_waitcnt vmcnt(24) lgkmcnt(0)
	v_fma_f64 v[85:86], v[107:108], v[89:90], v[85:86]
	s_waitcnt vmcnt(19)
	v_fma_f64 v[93:94], v[93:94], v[91:92], v[85:86]
	ds_read_b128 v[85:88], v84 offset:544
	ds_read_b128 v[89:92], v84 offset:560
	s_waitcnt vmcnt(18) lgkmcnt(1)
	v_fma_f64 v[85:86], v[117:118], v[85:86], v[93:94]
	s_waitcnt vmcnt(17)
	v_fma_f64 v[85:86], v[115:116], v[87:88], v[85:86]
	buffer_load_dword v94, off, s[0:3], 0 offset:300
	buffer_load_dword v107, off, s[0:3], 0 offset:320
	;; [unrolled: 1-line block ×8, first 2 shown]
	s_waitcnt vmcnt(24) lgkmcnt(0)
	v_fma_f64 v[85:86], v[109:110], v[89:90], v[85:86]
	s_waitcnt vmcnt(19)
	v_fma_f64 v[95:96], v[95:96], v[91:92], v[85:86]
	ds_read_b128 v[85:88], v84 offset:576
	ds_read_b128 v[89:92], v84 offset:592
	s_waitcnt vmcnt(18) lgkmcnt(1)
	v_fma_f64 v[85:86], v[103:104], v[85:86], v[95:96]
	buffer_load_dword v95, off, s[0:3], 0 offset:8
	buffer_load_dword v96, off, s[0:3], 0 offset:12
	s_waitcnt vmcnt(19)
	v_fma_f64 v[85:86], v[101:102], v[87:88], v[85:86]
	s_waitcnt vmcnt(18) lgkmcnt(0)
	v_fma_f64 v[85:86], v[97:98], v[89:90], v[85:86]
	s_waitcnt vmcnt(13)
	v_fma_f64 v[97:98], v[99:100], v[91:92], v[85:86]
	ds_read_b128 v[85:88], v84 offset:608
	ds_read_b128 v[89:92], v84 offset:624
	s_waitcnt vmcnt(12) lgkmcnt(1)
	v_fma_f64 v[85:86], v[113:114], v[85:86], v[97:98]
	s_waitcnt vmcnt(11)
	v_fma_f64 v[85:86], v[111:112], v[87:88], v[85:86]
	s_waitcnt vmcnt(10) lgkmcnt(0)
	v_fma_f64 v[85:86], v[105:106], v[89:90], v[85:86]
	s_waitcnt vmcnt(5)
	v_fma_f64 v[89:90], v[93:94], v[91:92], v[85:86]
	ds_read_b128 v[85:88], v84 offset:640
	ds_read_b64 v[91:92], v84 offset:656
	s_waitcnt vmcnt(4) lgkmcnt(1)
	v_fma_f64 v[85:86], v[117:118], v[85:86], v[89:90]
	s_waitcnt vmcnt(3)
	v_fma_f64 v[85:86], v[115:116], v[87:88], v[85:86]
	s_waitcnt vmcnt(2) lgkmcnt(0)
	v_fma_f64 v[85:86], v[107:108], v[91:92], v[85:86]
	s_waitcnt vmcnt(0)
	v_add_f64 v[85:86], v[95:96], -v[85:86]
	buffer_store_dword v86, off, s[0:3], 0 offset:12
	buffer_store_dword v85, off, s[0:3], 0 offset:8
	s_and_saveexec_b64 s[4:5], vcc
	s_cbranch_execz .LBB40_253
; %bb.252:
	buffer_load_dword v85, off, s[0:3], 0
	buffer_load_dword v86, off, s[0:3], 0 offset:4
	s_waitcnt vmcnt(0)
	ds_write_b64 v83, v[85:86]
	buffer_store_dword v84, off, s[0:3], 0
	buffer_store_dword v84, off, s[0:3], 0 offset:4
.LBB40_253:
	s_or_b64 exec, exec, s[4:5]
	s_waitcnt lgkmcnt(0)
	; wave barrier
	buffer_load_dword v93, off, s[0:3], 0 offset:8
	buffer_load_dword v94, off, s[0:3], 0 offset:12
	;; [unrolled: 1-line block ×22, first 2 shown]
	ds_read2_b64 v[85:88], v84 offset0:43 offset1:44
	ds_read2_b64 v[89:92], v84 offset0:45 offset1:46
	s_and_b64 vcc, exec, s[22:23]
	s_waitcnt vmcnt(20) lgkmcnt(1)
	v_fma_f64 v[85:86], v[93:94], v[85:86], 0
	s_waitcnt vmcnt(18)
	v_fma_f64 v[85:86], v[95:96], v[87:88], v[85:86]
	buffer_load_dword v94, off, s[0:3], 0 offset:100
	buffer_load_dword v95, off, s[0:3], 0 offset:120
	;; [unrolled: 1-line block ×7, first 2 shown]
	s_waitcnt vmcnt(23) lgkmcnt(0)
	v_fma_f64 v[85:86], v[97:98], v[89:90], v[85:86]
	s_waitcnt vmcnt(21)
	v_fma_f64 v[96:97], v[99:100], v[91:92], v[85:86]
	ds_read2_b64 v[85:88], v84 offset0:47 offset1:48
	ds_read2_b64 v[89:92], v84 offset0:49 offset1:50
	s_waitcnt vmcnt(19) lgkmcnt(1)
	v_fma_f64 v[85:86], v[101:102], v[85:86], v[96:97]
	buffer_load_dword v96, off, s[0:3], 0 offset:124
	s_waitcnt vmcnt(18)
	v_fma_f64 v[85:86], v[103:104], v[87:88], v[85:86]
	buffer_load_dword v98, off, s[0:3], 0 offset:132
	buffer_load_dword v99, off, s[0:3], 0 offset:152
	;; [unrolled: 1-line block ×8, first 2 shown]
	s_waitcnt vmcnt(24) lgkmcnt(0)
	v_fma_f64 v[85:86], v[105:106], v[89:90], v[85:86]
	s_waitcnt vmcnt(19)
	v_fma_f64 v[105:106], v[107:108], v[91:92], v[85:86]
	ds_read2_b64 v[85:88], v84 offset0:51 offset1:52
	ds_read2_b64 v[89:92], v84 offset0:53 offset1:54
	s_waitcnt vmcnt(18) lgkmcnt(1)
	v_fma_f64 v[85:86], v[113:114], v[85:86], v[105:106]
	s_waitcnt vmcnt(17)
	v_fma_f64 v[85:86], v[111:112], v[87:88], v[85:86]
	buffer_load_dword v106, off, s[0:3], 0 offset:164
	buffer_load_dword v107, off, s[0:3], 0 offset:184
	;; [unrolled: 1-line block ×8, first 2 shown]
	s_waitcnt vmcnt(24) lgkmcnt(0)
	v_fma_f64 v[85:86], v[109:110], v[89:90], v[85:86]
	s_waitcnt vmcnt(19)
	v_fma_f64 v[93:94], v[93:94], v[91:92], v[85:86]
	ds_read2_b64 v[85:88], v84 offset0:55 offset1:56
	ds_read2_b64 v[89:92], v84 offset0:57 offset1:58
	s_waitcnt vmcnt(18) lgkmcnt(1)
	v_fma_f64 v[85:86], v[117:118], v[85:86], v[93:94]
	s_waitcnt vmcnt(17)
	v_fma_f64 v[85:86], v[115:116], v[87:88], v[85:86]
	buffer_load_dword v94, off, s[0:3], 0 offset:196
	buffer_load_dword v109, off, s[0:3], 0 offset:216
	;; [unrolled: 1-line block ×7, first 2 shown]
	s_waitcnt vmcnt(23) lgkmcnt(0)
	v_fma_f64 v[85:86], v[95:96], v[89:90], v[85:86]
	s_waitcnt vmcnt(18)
	v_fma_f64 v[95:96], v[97:98], v[91:92], v[85:86]
	ds_read2_b64 v[85:88], v84 offset0:59 offset1:60
	ds_read2_b64 v[89:92], v84 offset0:61 offset1:62
	buffer_load_dword v110, off, s[0:3], 0 offset:220
	s_waitcnt vmcnt(18) lgkmcnt(1)
	v_fma_f64 v[85:86], v[103:104], v[85:86], v[95:96]
	s_waitcnt vmcnt(17)
	v_fma_f64 v[85:86], v[101:102], v[87:88], v[85:86]
	buffer_load_dword v96, off, s[0:3], 0 offset:228
	buffer_load_dword v97, off, s[0:3], 0 offset:248
	;; [unrolled: 1-line block ×7, first 2 shown]
	s_waitcnt vmcnt(23) lgkmcnt(0)
	v_fma_f64 v[85:86], v[99:100], v[89:90], v[85:86]
	s_waitcnt vmcnt(18)
	v_fma_f64 v[98:99], v[105:106], v[91:92], v[85:86]
	ds_read2_b64 v[85:88], v84 offset0:63 offset1:64
	ds_read2_b64 v[89:92], v84 offset0:65 offset1:66
	s_waitcnt vmcnt(17) lgkmcnt(1)
	v_fma_f64 v[85:86], v[113:114], v[85:86], v[98:99]
	buffer_load_dword v98, off, s[0:3], 0 offset:252
	s_waitcnt vmcnt(17)
	v_fma_f64 v[85:86], v[111:112], v[87:88], v[85:86]
	buffer_load_dword v100, off, s[0:3], 0 offset:260
	buffer_load_dword v105, off, s[0:3], 0 offset:280
	buffer_load_dword v111, off, s[0:3], 0 offset:272
	buffer_load_dword v113, off, s[0:3], 0 offset:264
	buffer_load_dword v99, off, s[0:3], 0 offset:256
	buffer_load_dword v114, off, s[0:3], 0 offset:268
	buffer_load_dword v112, off, s[0:3], 0 offset:276
	buffer_load_dword v106, off, s[0:3], 0 offset:284
	s_waitcnt vmcnt(24) lgkmcnt(0)
	v_fma_f64 v[85:86], v[107:108], v[89:90], v[85:86]
	s_waitcnt vmcnt(19)
	v_fma_f64 v[93:94], v[93:94], v[91:92], v[85:86]
	ds_read2_b64 v[85:88], v84 offset0:67 offset1:68
	ds_read2_b64 v[89:92], v84 offset0:69 offset1:70
	s_waitcnt vmcnt(18) lgkmcnt(1)
	v_fma_f64 v[85:86], v[117:118], v[85:86], v[93:94]
	s_waitcnt vmcnt(17)
	v_fma_f64 v[86:87], v[115:116], v[87:88], v[85:86]
	buffer_load_dword v108, off, s[0:3], 0 offset:292
	buffer_load_dword v85, off, s[0:3], 0 offset:312
	buffer_load_dword v115, off, s[0:3], 0 offset:304
	buffer_load_dword v117, off, s[0:3], 0 offset:296
	buffer_load_dword v107, off, s[0:3], 0 offset:288
	buffer_load_dword v118, off, s[0:3], 0 offset:300
	buffer_load_dword v116, off, s[0:3], 0 offset:308
	s_waitcnt vmcnt(23) lgkmcnt(0)
	v_fma_f64 v[86:87], v[109:110], v[89:90], v[86:87]
	s_waitcnt vmcnt(18)
	v_fma_f64 v[95:96], v[95:96], v[91:92], v[86:87]
	ds_read2_b64 v[87:90], v84 offset0:71 offset1:72
	ds_read2_b64 v[91:94], v84 offset0:73 offset1:74
	buffer_load_dword v86, off, s[0:3], 0 offset:316
	s_waitcnt vmcnt(18) lgkmcnt(1)
	v_fma_f64 v[87:88], v[103:104], v[87:88], v[95:96]
	buffer_load_dword v96, off, s[0:3], 0 offset:324
	buffer_load_dword v95, off, s[0:3], 0 offset:320
	s_waitcnt vmcnt(19)
	v_fma_f64 v[87:88], v[101:102], v[89:90], v[87:88]
	buffer_load_dword v101, off, s[0:3], 0
	buffer_load_dword v102, off, s[0:3], 0 offset:4
	s_waitcnt vmcnt(20) lgkmcnt(0)
	v_fma_f64 v[87:88], v[97:98], v[91:92], v[87:88]
	s_waitcnt vmcnt(15)
	v_fma_f64 v[97:98], v[99:100], v[93:94], v[87:88]
	ds_read2_b64 v[87:90], v84 offset0:75 offset1:76
	ds_read2_b64 v[91:94], v84 offset0:77 offset1:78
	s_waitcnt vmcnt(14) lgkmcnt(1)
	v_fma_f64 v[87:88], v[113:114], v[87:88], v[97:98]
	s_waitcnt vmcnt(13)
	v_fma_f64 v[87:88], v[111:112], v[89:90], v[87:88]
	s_waitcnt vmcnt(12) lgkmcnt(0)
	v_fma_f64 v[87:88], v[105:106], v[91:92], v[87:88]
	s_waitcnt vmcnt(7)
	v_fma_f64 v[97:98], v[107:108], v[93:94], v[87:88]
	ds_read2_b64 v[87:90], v84 offset0:79 offset1:80
	ds_read2_b64 v[91:94], v84 offset0:81 offset1:82
	s_waitcnt vmcnt(6) lgkmcnt(1)
	v_fma_f64 v[83:84], v[117:118], v[87:88], v[97:98]
	s_waitcnt vmcnt(5)
	v_fma_f64 v[83:84], v[115:116], v[89:90], v[83:84]
	s_waitcnt vmcnt(4) lgkmcnt(0)
	v_fma_f64 v[83:84], v[85:86], v[91:92], v[83:84]
	s_waitcnt vmcnt(2)
	v_fma_f64 v[83:84], v[95:96], v[93:94], v[83:84]
	s_waitcnt vmcnt(0)
	v_add_f64 v[83:84], v[101:102], -v[83:84]
	buffer_store_dword v84, off, s[0:3], 0 offset:4
	buffer_store_dword v83, off, s[0:3], 0
	s_cbranch_vccz .LBB40_334
; %bb.254:
	v_mov_b32_e32 v0, 0
	global_load_dword v83, v0, s[20:21] offset:156
	s_waitcnt vmcnt(0)
	v_add_u32_e32 v83, -1, v83
	v_cmp_ne_u32_e32 vcc, 39, v83
	s_cbranch_vccz .LBB40_256
; %bb.255:
	v_lshlrev_b32_e32 v83, 3, v83
	buffer_load_dword v84, v83, s[0:3], 0 offen
	buffer_load_dword v87, v83, s[0:3], 0 offen offset:4
	s_waitcnt vmcnt(1)
	buffer_store_dword v84, off, s[0:3], 0 offset:312
	s_waitcnt vmcnt(1)
	buffer_store_dword v87, off, s[0:3], 0 offset:316
	buffer_store_dword v85, v83, s[0:3], 0 offen
	buffer_store_dword v86, v83, s[0:3], 0 offen offset:4
.LBB40_256:
	global_load_dword v0, v0, s[20:21] offset:152
	s_waitcnt vmcnt(0)
	v_add_u32_e32 v0, -1, v0
	v_cmp_eq_u32_e32 vcc, 38, v0
	s_cbranch_vccnz .LBB40_258
; %bb.257:
	v_lshlrev_b32_e32 v0, 3, v0
	buffer_load_dword v83, v0, s[0:3], 0 offen
	buffer_load_dword v84, v0, s[0:3], 0 offen offset:4
	buffer_load_dword v85, off, s[0:3], 0 offset:308
	buffer_load_dword v86, off, s[0:3], 0 offset:304
	s_waitcnt vmcnt(3)
	buffer_store_dword v83, off, s[0:3], 0 offset:304
	s_waitcnt vmcnt(3)
	buffer_store_dword v84, off, s[0:3], 0 offset:308
	s_waitcnt vmcnt(3)
	buffer_store_dword v85, v0, s[0:3], 0 offen offset:4
	s_waitcnt vmcnt(3)
	buffer_store_dword v86, v0, s[0:3], 0 offen
.LBB40_258:
	v_mov_b32_e32 v0, 0
	global_load_dword v83, v0, s[20:21] offset:148
	s_waitcnt vmcnt(0)
	v_add_u32_e32 v83, -1, v83
	v_cmp_eq_u32_e32 vcc, 37, v83
	s_cbranch_vccnz .LBB40_260
; %bb.259:
	v_lshlrev_b32_e32 v83, 3, v83
	buffer_load_dword v84, v83, s[0:3], 0 offen
	buffer_load_dword v85, v83, s[0:3], 0 offen offset:4
	buffer_load_dword v86, off, s[0:3], 0 offset:296
	buffer_load_dword v87, off, s[0:3], 0 offset:300
	s_waitcnt vmcnt(3)
	buffer_store_dword v84, off, s[0:3], 0 offset:296
	s_waitcnt vmcnt(3)
	buffer_store_dword v85, off, s[0:3], 0 offset:300
	s_waitcnt vmcnt(3)
	buffer_store_dword v86, v83, s[0:3], 0 offen
	s_waitcnt vmcnt(3)
	buffer_store_dword v87, v83, s[0:3], 0 offen offset:4
.LBB40_260:
	global_load_dword v0, v0, s[20:21] offset:144
	s_waitcnt vmcnt(0)
	v_add_u32_e32 v0, -1, v0
	v_cmp_eq_u32_e32 vcc, 36, v0
	s_cbranch_vccnz .LBB40_262
; %bb.261:
	v_lshlrev_b32_e32 v0, 3, v0
	buffer_load_dword v83, v0, s[0:3], 0 offen
	buffer_load_dword v84, v0, s[0:3], 0 offen offset:4
	buffer_load_dword v85, off, s[0:3], 0 offset:292
	buffer_load_dword v86, off, s[0:3], 0 offset:288
	s_waitcnt vmcnt(3)
	buffer_store_dword v83, off, s[0:3], 0 offset:288
	s_waitcnt vmcnt(3)
	buffer_store_dword v84, off, s[0:3], 0 offset:292
	s_waitcnt vmcnt(3)
	buffer_store_dword v85, v0, s[0:3], 0 offen offset:4
	s_waitcnt vmcnt(3)
	buffer_store_dword v86, v0, s[0:3], 0 offen
.LBB40_262:
	v_mov_b32_e32 v0, 0
	global_load_dword v83, v0, s[20:21] offset:140
	s_waitcnt vmcnt(0)
	v_add_u32_e32 v83, -1, v83
	v_cmp_eq_u32_e32 vcc, 35, v83
	s_cbranch_vccnz .LBB40_264
; %bb.263:
	v_lshlrev_b32_e32 v83, 3, v83
	buffer_load_dword v84, v83, s[0:3], 0 offen
	buffer_load_dword v85, v83, s[0:3], 0 offen offset:4
	buffer_load_dword v86, off, s[0:3], 0 offset:280
	buffer_load_dword v87, off, s[0:3], 0 offset:284
	s_waitcnt vmcnt(3)
	buffer_store_dword v84, off, s[0:3], 0 offset:280
	s_waitcnt vmcnt(3)
	buffer_store_dword v85, off, s[0:3], 0 offset:284
	s_waitcnt vmcnt(3)
	buffer_store_dword v86, v83, s[0:3], 0 offen
	s_waitcnt vmcnt(3)
	buffer_store_dword v87, v83, s[0:3], 0 offen offset:4
.LBB40_264:
	;; [unrolled: 41-line block ×19, first 2 shown]
	global_load_dword v0, v0, s[20:21]
	s_nop 0
	buffer_load_dword v83, off, s[0:3], 0
	buffer_load_dword v84, off, s[0:3], 0 offset:4
	s_waitcnt vmcnt(2)
	v_add_u32_e32 v0, -1, v0
	v_cmp_eq_u32_e32 vcc, 0, v0
	s_cbranch_vccnz .LBB40_334
; %bb.333:
	v_lshlrev_b32_e32 v0, 3, v0
	buffer_load_dword v85, v0, s[0:3], 0 offen offset:4
	buffer_load_dword v86, v0, s[0:3], 0 offen
	s_waitcnt vmcnt(1)
	buffer_store_dword v85, off, s[0:3], 0 offset:4
	s_waitcnt vmcnt(1)
	buffer_store_dword v86, off, s[0:3], 0
	buffer_store_dword v84, v0, s[0:3], 0 offen offset:4
	buffer_store_dword v83, v0, s[0:3], 0 offen
	buffer_load_dword v83, off, s[0:3], 0
	s_nop 0
	buffer_load_dword v84, off, s[0:3], 0 offset:4
.LBB40_334:
	buffer_load_dword v85, off, s[0:3], 0 offset:8
	buffer_load_dword v86, off, s[0:3], 0 offset:12
	;; [unrolled: 1-line block ×18, first 2 shown]
	s_waitcnt vmcnt(18)
	global_store_dwordx2 v[81:82], v[83:84], off
	buffer_load_dword v81, off, s[0:3], 0 offset:80
	s_nop 0
	buffer_load_dword v82, off, s[0:3], 0 offset:84
	buffer_load_dword v83, off, s[0:3], 0 offset:88
	;; [unrolled: 1-line block ×21, first 2 shown]
	s_waitcnt vmcnt(39)
	global_store_dwordx2 v[79:80], v[85:86], off
	buffer_load_dword v79, off, s[0:3], 0 offset:168
	s_nop 0
	buffer_load_dword v80, off, s[0:3], 0 offset:172
	buffer_load_dword v85, off, s[0:3], 0 offset:176
	;; [unrolled: 1-line block ×7, first 2 shown]
	s_waitcnt vmcnt(46)
	global_store_dwordx2 v[1:2], v[87:88], off
	s_waitcnt vmcnt(45)
	global_store_dwordx2 v[7:8], v[89:90], off
	buffer_load_dword v0, off, s[0:3], 0 offset:200
	buffer_load_dword v1, off, s[0:3], 0 offset:204
	s_nop 0
	buffer_load_dword v7, off, s[0:3], 0 offset:208
	buffer_load_dword v8, off, s[0:3], 0 offset:212
	;; [unrolled: 1-line block ×6, first 2 shown]
	s_waitcnt vmcnt(52)
	global_store_dwordx2 v[3:4], v[91:92], off
	s_waitcnt vmcnt(51)
	global_store_dwordx2 v[9:10], v[93:94], off
	buffer_load_dword v2, off, s[0:3], 0 offset:232
	buffer_load_dword v3, off, s[0:3], 0 offset:236
	s_nop 0
	buffer_load_dword v9, off, s[0:3], 0 offset:240
	buffer_load_dword v10, off, s[0:3], 0 offset:244
	;; [unrolled: 1-line block ×6, first 2 shown]
	s_waitcnt vmcnt(58)
	global_store_dwordx2 v[5:6], v[95:96], off
	s_waitcnt vmcnt(57)
	global_store_dwordx2 v[11:12], v[97:98], off
	s_waitcnt vmcnt(56)
	global_store_dwordx2 v[15:16], v[99:100], off
	s_waitcnt vmcnt(55)
	global_store_dwordx2 v[19:20], v[101:102], off
	buffer_load_dword v4, off, s[0:3], 0 offset:264
	buffer_load_dword v5, off, s[0:3], 0 offset:268
	;; [unrolled: 1-line block ×16, first 2 shown]
	s_waitcnt vmcnt(62)
	global_store_dwordx2 v[13:14], v[81:82], off
	global_store_dwordx2 v[17:18], v[83:84], off
	;; [unrolled: 1-line block ×4, first 2 shown]
	s_waitcnt vmcnt(62)
	global_store_dwordx2 v[25:26], v[107:108], off
	global_store_dwordx2 v[27:28], v[109:110], off
	s_waitcnt vmcnt(62)
	global_store_dwordx2 v[29:30], v[111:112], off
	s_waitcnt vmcnt(62)
	;; [unrolled: 2-line block ×25, first 2 shown]
	global_store_dwordx2 v[77:78], v[101:102], off
	s_endpgm
	.section	.rodata,"a",@progbits
	.p2align	6, 0x0
	.amdhsa_kernel _ZN9rocsolver6v33100L18getri_kernel_smallILi41EdPdEEvT1_iilPiilS4_bb
		.amdhsa_group_segment_fixed_size 664
		.amdhsa_private_segment_fixed_size 336
		.amdhsa_kernarg_size 60
		.amdhsa_user_sgpr_count 6
		.amdhsa_user_sgpr_private_segment_buffer 1
		.amdhsa_user_sgpr_dispatch_ptr 0
		.amdhsa_user_sgpr_queue_ptr 0
		.amdhsa_user_sgpr_kernarg_segment_ptr 1
		.amdhsa_user_sgpr_dispatch_id 0
		.amdhsa_user_sgpr_flat_scratch_init 0
		.amdhsa_user_sgpr_private_segment_size 0
		.amdhsa_uses_dynamic_stack 0
		.amdhsa_system_sgpr_private_segment_wavefront_offset 1
		.amdhsa_system_sgpr_workgroup_id_x 1
		.amdhsa_system_sgpr_workgroup_id_y 0
		.amdhsa_system_sgpr_workgroup_id_z 0
		.amdhsa_system_sgpr_workgroup_info 0
		.amdhsa_system_vgpr_workitem_id 0
		.amdhsa_next_free_vgpr 125
		.amdhsa_next_free_sgpr 24
		.amdhsa_reserve_vcc 1
		.amdhsa_reserve_flat_scratch 0
		.amdhsa_float_round_mode_32 0
		.amdhsa_float_round_mode_16_64 0
		.amdhsa_float_denorm_mode_32 3
		.amdhsa_float_denorm_mode_16_64 3
		.amdhsa_dx10_clamp 1
		.amdhsa_ieee_mode 1
		.amdhsa_fp16_overflow 0
		.amdhsa_exception_fp_ieee_invalid_op 0
		.amdhsa_exception_fp_denorm_src 0
		.amdhsa_exception_fp_ieee_div_zero 0
		.amdhsa_exception_fp_ieee_overflow 0
		.amdhsa_exception_fp_ieee_underflow 0
		.amdhsa_exception_fp_ieee_inexact 0
		.amdhsa_exception_int_div_zero 0
	.end_amdhsa_kernel
	.section	.text._ZN9rocsolver6v33100L18getri_kernel_smallILi41EdPdEEvT1_iilPiilS4_bb,"axG",@progbits,_ZN9rocsolver6v33100L18getri_kernel_smallILi41EdPdEEvT1_iilPiilS4_bb,comdat
.Lfunc_end40:
	.size	_ZN9rocsolver6v33100L18getri_kernel_smallILi41EdPdEEvT1_iilPiilS4_bb, .Lfunc_end40-_ZN9rocsolver6v33100L18getri_kernel_smallILi41EdPdEEvT1_iilPiilS4_bb
                                        ; -- End function
	.set _ZN9rocsolver6v33100L18getri_kernel_smallILi41EdPdEEvT1_iilPiilS4_bb.num_vgpr, 125
	.set _ZN9rocsolver6v33100L18getri_kernel_smallILi41EdPdEEvT1_iilPiilS4_bb.num_agpr, 0
	.set _ZN9rocsolver6v33100L18getri_kernel_smallILi41EdPdEEvT1_iilPiilS4_bb.numbered_sgpr, 24
	.set _ZN9rocsolver6v33100L18getri_kernel_smallILi41EdPdEEvT1_iilPiilS4_bb.num_named_barrier, 0
	.set _ZN9rocsolver6v33100L18getri_kernel_smallILi41EdPdEEvT1_iilPiilS4_bb.private_seg_size, 336
	.set _ZN9rocsolver6v33100L18getri_kernel_smallILi41EdPdEEvT1_iilPiilS4_bb.uses_vcc, 1
	.set _ZN9rocsolver6v33100L18getri_kernel_smallILi41EdPdEEvT1_iilPiilS4_bb.uses_flat_scratch, 0
	.set _ZN9rocsolver6v33100L18getri_kernel_smallILi41EdPdEEvT1_iilPiilS4_bb.has_dyn_sized_stack, 0
	.set _ZN9rocsolver6v33100L18getri_kernel_smallILi41EdPdEEvT1_iilPiilS4_bb.has_recursion, 0
	.set _ZN9rocsolver6v33100L18getri_kernel_smallILi41EdPdEEvT1_iilPiilS4_bb.has_indirect_call, 0
	.section	.AMDGPU.csdata,"",@progbits
; Kernel info:
; codeLenInByte = 46560
; TotalNumSgprs: 28
; NumVgprs: 125
; ScratchSize: 336
; MemoryBound: 1
; FloatMode: 240
; IeeeMode: 1
; LDSByteSize: 664 bytes/workgroup (compile time only)
; SGPRBlocks: 3
; VGPRBlocks: 31
; NumSGPRsForWavesPerEU: 28
; NumVGPRsForWavesPerEU: 125
; Occupancy: 2
; WaveLimiterHint : 1
; COMPUTE_PGM_RSRC2:SCRATCH_EN: 1
; COMPUTE_PGM_RSRC2:USER_SGPR: 6
; COMPUTE_PGM_RSRC2:TRAP_HANDLER: 0
; COMPUTE_PGM_RSRC2:TGID_X_EN: 1
; COMPUTE_PGM_RSRC2:TGID_Y_EN: 0
; COMPUTE_PGM_RSRC2:TGID_Z_EN: 0
; COMPUTE_PGM_RSRC2:TIDIG_COMP_CNT: 0
	.section	.text._ZN9rocsolver6v33100L18getri_kernel_smallILi42EdPdEEvT1_iilPiilS4_bb,"axG",@progbits,_ZN9rocsolver6v33100L18getri_kernel_smallILi42EdPdEEvT1_iilPiilS4_bb,comdat
	.globl	_ZN9rocsolver6v33100L18getri_kernel_smallILi42EdPdEEvT1_iilPiilS4_bb ; -- Begin function _ZN9rocsolver6v33100L18getri_kernel_smallILi42EdPdEEvT1_iilPiilS4_bb
	.p2align	8
	.type	_ZN9rocsolver6v33100L18getri_kernel_smallILi42EdPdEEvT1_iilPiilS4_bb,@function
_ZN9rocsolver6v33100L18getri_kernel_smallILi42EdPdEEvT1_iilPiilS4_bb: ; @_ZN9rocsolver6v33100L18getri_kernel_smallILi42EdPdEEvT1_iilPiilS4_bb
; %bb.0:
	s_add_u32 s0, s0, s7
	s_addc_u32 s1, s1, 0
	v_cmp_gt_u32_e32 vcc, 42, v0
	s_and_saveexec_b64 s[8:9], vcc
	s_cbranch_execz .LBB41_176
; %bb.1:
	s_load_dword s12, s[4:5], 0x38
	s_load_dwordx4 s[16:19], s[4:5], 0x10
	s_load_dwordx4 s[8:11], s[4:5], 0x28
                                        ; implicit-def: $sgpr20_sgpr21
	s_waitcnt lgkmcnt(0)
	s_bitcmp1_b32 s12, 8
	s_cselect_b64 s[22:23], -1, 0
	s_ashr_i32 s7, s6, 31
	s_bfe_u32 s12, s12, 0x10008
	s_cmp_eq_u32 s12, 0
	s_cbranch_scc1 .LBB41_3
; %bb.2:
	s_load_dword s12, s[4:5], 0x20
	s_mul_i32 s13, s8, s7
	s_mul_hi_u32 s14, s8, s6
	s_mul_i32 s9, s9, s6
	s_add_i32 s14, s14, s13
	s_add_i32 s9, s14, s9
	s_mul_i32 s8, s8, s6
	s_waitcnt lgkmcnt(0)
	s_ashr_i32 s13, s12, 31
	s_lshl_b64 s[8:9], s[8:9], 2
	s_add_u32 s14, s18, s8
	s_addc_u32 s15, s19, s9
	s_lshl_b64 s[8:9], s[12:13], 2
	s_add_u32 s20, s14, s8
	s_addc_u32 s21, s15, s9
.LBB41_3:
	s_load_dwordx4 s[12:15], s[4:5], 0x0
	s_load_dword s8, s[4:5], 0x38
	s_mul_i32 s9, s16, s7
	s_mul_hi_u32 s18, s16, s6
	s_add_i32 s9, s18, s9
	s_waitcnt lgkmcnt(0)
	s_ashr_i32 s5, s14, 31
	s_mov_b32 s4, s14
	s_mul_i32 s14, s17, s6
	s_add_i32 s17, s9, s14
	s_mul_i32 s16, s16, s6
	s_lshl_b64 s[16:17], s[16:17], 3
	s_add_u32 s9, s12, s16
	s_addc_u32 s12, s13, s17
	s_lshl_b64 s[4:5], s[4:5], 3
	s_add_u32 s4, s9, s4
	s_addc_u32 s5, s12, s5
	s_add_i32 s9, s15, s15
	v_add_u32_e32 v1, s9, v0
	v_ashrrev_i32_e32 v2, 31, v1
	v_lshlrev_b64 v[2:3], 3, v[1:2]
	v_mov_b32_e32 v4, s5
	v_add_co_u32_e32 v5, vcc, s4, v2
	v_addc_co_u32_e32 v6, vcc, v4, v3, vcc
	v_add_u32_e32 v3, s15, v1
	v_ashrrev_i32_e32 v4, 31, v3
	v_lshlrev_b64 v[1:2], 3, v[3:4]
	v_mov_b32_e32 v4, s5
	v_add_co_u32_e32 v1, vcc, s4, v1
	v_add_u32_e32 v3, s15, v3
	v_addc_co_u32_e32 v2, vcc, v4, v2, vcc
	v_ashrrev_i32_e32 v4, 31, v3
	v_lshlrev_b64 v[7:8], 3, v[3:4]
	v_mov_b32_e32 v4, s5
	v_add_co_u32_e32 v9, vcc, s4, v7
	v_add_u32_e32 v7, s15, v3
	v_addc_co_u32_e32 v10, vcc, v4, v8, vcc
	;; [unrolled: 6-line block ×3, first 2 shown]
	v_ashrrev_i32_e32 v8, 31, v7
	v_lshlrev_b64 v[11:12], 3, v[7:8]
	v_add_u32_e32 v13, s15, v7
	v_mov_b32_e32 v8, s5
	v_add_co_u32_e32 v11, vcc, s4, v11
	v_ashrrev_i32_e32 v14, 31, v13
	v_addc_co_u32_e32 v12, vcc, v8, v12, vcc
	v_lshlrev_b64 v[7:8], 3, v[13:14]
	v_mov_b32_e32 v14, s5
	v_add_co_u32_e32 v7, vcc, s4, v7
	v_add_u32_e32 v13, s15, v13
	v_addc_co_u32_e32 v8, vcc, v14, v8, vcc
	v_ashrrev_i32_e32 v14, 31, v13
	v_lshlrev_b64 v[15:16], 3, v[13:14]
	v_mov_b32_e32 v14, s5
	v_add_co_u32_e32 v15, vcc, s4, v15
	v_add_u32_e32 v13, s15, v13
	v_addc_co_u32_e32 v16, vcc, v14, v16, vcc
	v_ashrrev_i32_e32 v14, 31, v13
	;; [unrolled: 6-line block ×4, first 2 shown]
	v_lshlrev_b64 v[13:14], 3, v[17:18]
	v_mov_b32_e32 v25, s5
	v_add_co_u32_e32 v13, vcc, s4, v13
	v_addc_co_u32_e32 v14, vcc, v21, v14, vcc
	v_add_u32_e32 v21, s15, v17
	v_ashrrev_i32_e32 v22, 31, v21
	v_lshlrev_b64 v[17:18], 3, v[21:22]
	v_mov_b32_e32 v27, s5
	v_add_co_u32_e32 v17, vcc, s4, v17
	v_addc_co_u32_e32 v18, vcc, v25, v18, vcc
	v_add_u32_e32 v25, s15, v21
	v_ashrrev_i32_e32 v26, 31, v25
	;; [unrolled: 6-line block ×23, first 2 shown]
	v_lshlrev_b64 v[65:66], 3, v[67:68]
	v_lshlrev_b32_e32 v87, 3, v0
	v_add_co_u32_e32 v65, vcc, s4, v65
	v_addc_co_u32_e32 v66, vcc, v69, v66, vcc
	v_add_u32_e32 v69, s15, v67
	global_load_dwordx2 v[85:86], v87, s[4:5]
	global_load_dwordx2 v[90:91], v[5:6], off
	global_load_dwordx2 v[92:93], v[1:2], off
	v_mov_b32_e32 v67, s5
	v_add_co_u32_e32 v83, vcc, s4, v87
	s_ashr_i32 s13, s15, 31
	s_mov_b32 s12, s15
	v_addc_co_u32_e32 v84, vcc, 0, v67, vcc
	s_lshl_b64 s[12:13], s[12:13], 3
	v_mov_b32_e32 v67, s13
	v_add_co_u32_e32 v81, vcc, s12, v83
	v_addc_co_u32_e32 v82, vcc, v84, v67, vcc
	global_load_dwordx2 v[88:89], v[81:82], off
	v_ashrrev_i32_e32 v70, 31, v69
	v_lshlrev_b64 v[67:68], 3, v[69:70]
	v_mov_b32_e32 v71, s5
	v_add_co_u32_e32 v67, vcc, s4, v67
	v_addc_co_u32_e32 v68, vcc, v71, v68, vcc
	v_add_u32_e32 v71, s15, v69
	v_ashrrev_i32_e32 v72, 31, v71
	v_lshlrev_b64 v[69:70], 3, v[71:72]
	global_load_dwordx2 v[94:95], v[9:10], off
	global_load_dwordx2 v[96:97], v[3:4], off
	;; [unrolled: 1-line block ×4, first 2 shown]
	v_mov_b32_e32 v73, s5
	v_add_co_u32_e32 v69, vcc, s4, v69
	global_load_dwordx2 v[102:103], v[15:16], off
	global_load_dwordx2 v[104:105], v[19:20], off
	;; [unrolled: 1-line block ×7, first 2 shown]
	v_addc_co_u32_e32 v70, vcc, v73, v70, vcc
	v_add_u32_e32 v73, s15, v71
	v_ashrrev_i32_e32 v74, 31, v73
	v_lshlrev_b64 v[71:72], 3, v[73:74]
	v_mov_b32_e32 v75, s5
	v_add_co_u32_e32 v71, vcc, s4, v71
	v_addc_co_u32_e32 v72, vcc, v75, v72, vcc
	v_add_u32_e32 v75, s15, v73
	v_ashrrev_i32_e32 v76, 31, v75
	v_lshlrev_b64 v[73:74], 3, v[75:76]
	v_mov_b32_e32 v77, s5
	v_add_co_u32_e32 v73, vcc, s4, v73
	;; [unrolled: 6-line block ×3, first 2 shown]
	v_addc_co_u32_e32 v76, vcc, v79, v76, vcc
	v_add_u32_e32 v79, s15, v77
	v_ashrrev_i32_e32 v80, 31, v79
	v_lshlrev_b64 v[77:78], 3, v[79:80]
	v_add_u32_e32 v79, s15, v79
	v_ashrrev_i32_e32 v80, 31, v79
	v_mov_b32_e32 v116, s5
	v_add_co_u32_e32 v77, vcc, s4, v77
	v_lshlrev_b64 v[79:80], 3, v[79:80]
	v_addc_co_u32_e32 v78, vcc, v116, v78, vcc
	global_load_dwordx2 v[116:117], v[27:28], off
	global_load_dwordx2 v[118:119], v[29:30], off
	v_mov_b32_e32 v120, s5
	v_add_co_u32_e32 v79, vcc, s4, v79
	v_addc_co_u32_e32 v80, vcc, v120, v80, vcc
	global_load_dwordx2 v[120:121], v[31:32], off
	global_load_dwordx2 v[122:123], v[33:34], off
	s_waitcnt vmcnt(18)
	buffer_store_dword v86, off, s[0:3], 0 offset:4
	buffer_store_dword v85, off, s[0:3], 0
	global_load_dwordx2 v[85:86], v[35:36], off
	s_waitcnt vmcnt(18)
	buffer_store_dword v89, off, s[0:3], 0 offset:12
	buffer_store_dword v88, off, s[0:3], 0 offset:8
	global_load_dwordx2 v[88:89], v[37:38], off
	s_nop 0
	buffer_store_dword v91, off, s[0:3], 0 offset:20
	buffer_store_dword v90, off, s[0:3], 0 offset:16
	global_load_dwordx2 v[90:91], v[39:40], off
	s_nop 0
	buffer_store_dword v93, off, s[0:3], 0 offset:28
	buffer_store_dword v92, off, s[0:3], 0 offset:24
	global_load_dwordx2 v[92:93], v[41:42], off
	s_waitcnt vmcnt(26)
	buffer_store_dword v95, off, s[0:3], 0 offset:36
	buffer_store_dword v94, off, s[0:3], 0 offset:32
	s_waitcnt vmcnt(27)
	buffer_store_dword v97, off, s[0:3], 0 offset:44
	buffer_store_dword v96, off, s[0:3], 0 offset:40
	;; [unrolled: 3-line block ×10, first 2 shown]
	global_load_dwordx2 v[94:95], v[43:44], off
	global_load_dwordx2 v[96:97], v[45:46], off
	;; [unrolled: 1-line block ×10, first 2 shown]
	s_bitcmp0_b32 s8, 0
	s_waitcnt vmcnt(46)
	buffer_store_dword v115, off, s[0:3], 0 offset:116
	buffer_store_dword v114, off, s[0:3], 0 offset:112
	global_load_dwordx2 v[114:115], v[63:64], off
	s_mov_b64 s[8:9], -1
	s_waitcnt vmcnt(48)
	buffer_store_dword v116, off, s[0:3], 0 offset:120
	buffer_store_dword v117, off, s[0:3], 0 offset:124
	global_load_dwordx2 v[116:117], v[65:66], off
	s_waitcnt vmcnt(50)
	buffer_store_dword v118, off, s[0:3], 0 offset:128
	buffer_store_dword v119, off, s[0:3], 0 offset:132
	global_load_dwordx2 v[118:119], v[69:70], off
	s_waitcnt vmcnt(52)
	buffer_store_dword v120, off, s[0:3], 0 offset:136
	s_waitcnt vmcnt(49)
	buffer_store_dword v86, off, s[0:3], 0 offset:156
	buffer_store_dword v85, off, s[0:3], 0 offset:152
	global_load_dwordx2 v[85:86], v[67:68], off
	s_nop 0
	buffer_store_dword v121, off, s[0:3], 0 offset:140
	global_load_dwordx2 v[120:121], v[73:74], off
	s_nop 0
	buffer_store_dword v122, off, s[0:3], 0 offset:144
	buffer_store_dword v123, off, s[0:3], 0 offset:148
	global_load_dwordx2 v[122:123], v[77:78], off
	s_waitcnt vmcnt(54)
	buffer_store_dword v89, off, s[0:3], 0 offset:164
	buffer_store_dword v88, off, s[0:3], 0 offset:160
	global_load_dwordx2 v[88:89], v[71:72], off
	s_waitcnt vmcnt(54)
	;; [unrolled: 4-line block ×4, first 2 shown]
	buffer_store_dword v94, off, s[0:3], 0 offset:184
	buffer_store_dword v95, off, s[0:3], 0 offset:188
	s_waitcnt vmcnt(37)
	buffer_store_dword v96, off, s[0:3], 0 offset:192
	buffer_store_dword v97, off, s[0:3], 0 offset:196
	s_waitcnt vmcnt(38)
	;; [unrolled: 3-line block ×12, first 2 shown]
	buffer_store_dword v85, off, s[0:3], 0 offset:280
	buffer_store_dword v86, off, s[0:3], 0 offset:284
	buffer_store_dword v118, off, s[0:3], 0 offset:288
	buffer_store_dword v119, off, s[0:3], 0 offset:292
	s_waitcnt vmcnt(34)
	buffer_store_dword v89, off, s[0:3], 0 offset:300
	buffer_store_dword v88, off, s[0:3], 0 offset:296
	buffer_store_dword v121, off, s[0:3], 0 offset:308
	buffer_store_dword v120, off, s[0:3], 0 offset:304
	s_waitcnt vmcnt(35)
	;; [unrolled: 5-line block ×3, first 2 shown]
	buffer_store_dword v92, off, s[0:3], 0 offset:328
	buffer_store_dword v93, off, s[0:3], 0 offset:332
	s_cbranch_scc1 .LBB41_174
; %bb.4:
	v_cmp_eq_u32_e64 s[4:5], 0, v0
	s_and_saveexec_b64 s[8:9], s[4:5]
; %bb.5:
	v_mov_b32_e32 v85, 0
	ds_write_b32 v85, v85 offset:672
; %bb.6:
	s_or_b64 exec, exec, s[8:9]
	v_mov_b32_e32 v85, 0
	v_lshl_add_u32 v85, v0, 3, v85
	s_waitcnt lgkmcnt(0)
	; wave barrier
	buffer_load_dword v88, v85, s[0:3], 0 offen
	buffer_load_dword v89, v85, s[0:3], 0 offen offset:4
	s_waitcnt vmcnt(0)
	v_cmp_eq_f64_e32 vcc, 0, v[88:89]
	s_and_saveexec_b64 s[12:13], vcc
	s_cbranch_execz .LBB41_10
; %bb.7:
	v_mov_b32_e32 v86, 0
	ds_read_b32 v89, v86 offset:672
	v_add_u32_e32 v88, 1, v0
	s_waitcnt lgkmcnt(0)
	v_readfirstlane_b32 s8, v89
	s_cmp_eq_u32 s8, 0
	s_cselect_b64 s[14:15], -1, 0
	v_cmp_gt_i32_e32 vcc, s8, v88
	s_or_b64 s[14:15], s[14:15], vcc
	s_and_b64 exec, exec, s[14:15]
	s_cbranch_execz .LBB41_10
; %bb.8:
	s_mov_b64 s[14:15], 0
	v_mov_b32_e32 v89, s8
.LBB41_9:                               ; =>This Inner Loop Header: Depth=1
	ds_cmpst_rtn_b32 v89, v86, v89, v88 offset:672
	s_waitcnt lgkmcnt(0)
	v_cmp_ne_u32_e32 vcc, 0, v89
	v_cmp_le_i32_e64 s[8:9], v89, v88
	s_and_b64 s[8:9], vcc, s[8:9]
	s_and_b64 s[8:9], exec, s[8:9]
	s_or_b64 s[14:15], s[8:9], s[14:15]
	s_andn2_b64 exec, exec, s[14:15]
	s_cbranch_execnz .LBB41_9
.LBB41_10:
	s_or_b64 exec, exec, s[12:13]
	v_mov_b32_e32 v88, 0
	; wave barrier
	ds_read_b32 v86, v88 offset:672
	s_and_saveexec_b64 s[8:9], s[4:5]
	s_cbranch_execz .LBB41_12
; %bb.11:
	s_lshl_b64 s[12:13], s[6:7], 2
	s_add_u32 s12, s10, s12
	s_addc_u32 s13, s11, s13
	s_waitcnt lgkmcnt(0)
	global_store_dword v88, v86, s[12:13]
.LBB41_12:
	s_or_b64 exec, exec, s[8:9]
	s_waitcnt lgkmcnt(0)
	v_cmp_ne_u32_e32 vcc, 0, v86
	s_mov_b64 s[8:9], 0
	s_cbranch_vccnz .LBB41_174
; %bb.13:
	buffer_load_dword v88, v85, s[0:3], 0 offen
	buffer_load_dword v89, v85, s[0:3], 0 offen offset:4
	s_waitcnt vmcnt(0)
	v_div_scale_f64 v[90:91], s[8:9], v[88:89], v[88:89], 1.0
	v_rcp_f64_e32 v[92:93], v[90:91]
	v_fma_f64 v[94:95], -v[90:91], v[92:93], 1.0
	v_fma_f64 v[92:93], v[92:93], v[94:95], v[92:93]
	v_div_scale_f64 v[94:95], vcc, 1.0, v[88:89], 1.0
	v_fma_f64 v[96:97], -v[90:91], v[92:93], 1.0
	v_fma_f64 v[92:93], v[92:93], v[96:97], v[92:93]
	v_mul_f64 v[96:97], v[94:95], v[92:93]
	v_fma_f64 v[90:91], -v[90:91], v[96:97], v[94:95]
	v_div_fmas_f64 v[90:91], v[90:91], v[92:93], v[96:97]
	v_div_fixup_f64 v[89:90], v[90:91], v[88:89], 1.0
	v_add_u32_e32 v88, 0x150, v87
	buffer_store_dword v90, v85, s[0:3], 0 offen offset:4
	buffer_store_dword v89, v85, s[0:3], 0 offen
	buffer_load_dword v92, off, s[0:3], 0 offset:12
	buffer_load_dword v91, off, s[0:3], 0 offset:8
	v_xor_b32_e32 v90, 0x80000000, v90
	s_waitcnt vmcnt(0)
	ds_write2_b64 v87, v[89:90], v[91:92] offset1:42
	s_waitcnt lgkmcnt(0)
	; wave barrier
	s_and_saveexec_b64 s[8:9], s[4:5]
	s_cbranch_execz .LBB41_15
; %bb.14:
	buffer_load_dword v89, v85, s[0:3], 0 offen
	buffer_load_dword v90, v85, s[0:3], 0 offen offset:4
	ds_read_b64 v[91:92], v88
	v_mov_b32_e32 v86, 0
	ds_read_b64 v[93:94], v86 offset:8
	s_waitcnt vmcnt(0) lgkmcnt(1)
	v_fma_f64 v[89:90], v[89:90], v[91:92], 0
	s_waitcnt lgkmcnt(0)
	v_mul_f64 v[89:90], v[89:90], v[93:94]
	buffer_store_dword v89, off, s[0:3], 0 offset:8
	buffer_store_dword v90, off, s[0:3], 0 offset:12
.LBB41_15:
	s_or_b64 exec, exec, s[8:9]
	; wave barrier
	buffer_load_dword v89, off, s[0:3], 0 offset:16
	buffer_load_dword v90, off, s[0:3], 0 offset:20
	v_cmp_gt_u32_e32 vcc, 2, v0
	s_waitcnt vmcnt(0)
	ds_write_b64 v88, v[89:90]
	s_waitcnt lgkmcnt(0)
	; wave barrier
	s_and_saveexec_b64 s[8:9], vcc
	s_cbranch_execz .LBB41_17
; %bb.16:
	buffer_load_dword v89, v85, s[0:3], 0 offen
	buffer_load_dword v90, v85, s[0:3], 0 offen offset:4
                                        ; kill: killed $vgpr85
	s_nop 0
	buffer_load_dword v85, off, s[0:3], 0 offset:8
	buffer_load_dword v86, off, s[0:3], 0 offset:12
	ds_read_b64 v[91:92], v88
	s_waitcnt vmcnt(2) lgkmcnt(0)
	v_fma_f64 v[93:94], v[89:90], v[91:92], 0
	v_mov_b32_e32 v89, 0
	ds_read2_b64 v[89:92], v89 offset0:2 offset1:43
	s_waitcnt vmcnt(0) lgkmcnt(0)
	v_fma_f64 v[85:86], v[85:86], v[91:92], v[93:94]
	v_cndmask_b32_e64 v86, v94, v86, s[4:5]
	v_cndmask_b32_e64 v85, v93, v85, s[4:5]
	v_mul_f64 v[85:86], v[85:86], v[89:90]
	buffer_store_dword v86, off, s[0:3], 0 offset:20
	buffer_store_dword v85, off, s[0:3], 0 offset:16
.LBB41_17:
	s_or_b64 exec, exec, s[8:9]
	; wave barrier
	buffer_load_dword v85, off, s[0:3], 0 offset:24
	buffer_load_dword v86, off, s[0:3], 0 offset:28
	v_cmp_gt_u32_e32 vcc, 3, v0
	v_add_u32_e32 v89, -1, v0
	s_waitcnt vmcnt(0)
	ds_write_b64 v88, v[85:86]
	s_waitcnt lgkmcnt(0)
	; wave barrier
	s_and_saveexec_b64 s[4:5], vcc
	s_cbranch_execz .LBB41_21
; %bb.18:
	v_mov_b32_e32 v85, 0
	v_add_u32_e32 v90, -1, v0
	v_add_u32_e32 v91, 0x150, v87
	v_mov_b32_e32 v92, v87
	v_mov_b32_e32 v86, 0
	s_mov_b64 s[8:9], 0
.LBB41_19:                              ; =>This Inner Loop Header: Depth=1
	buffer_load_dword v93, v92, s[0:3], 0 offen
	buffer_load_dword v94, v92, s[0:3], 0 offen offset:4
	ds_read_b64 v[95:96], v91
	v_add_u32_e32 v90, 1, v90
	v_cmp_lt_u32_e32 vcc, 1, v90
	v_add_u32_e32 v91, 8, v91
	s_or_b64 s[8:9], vcc, s[8:9]
	v_add_u32_e32 v92, 8, v92
	s_waitcnt vmcnt(0) lgkmcnt(0)
	v_fma_f64 v[85:86], v[93:94], v[95:96], v[85:86]
	s_andn2_b64 exec, exec, s[8:9]
	s_cbranch_execnz .LBB41_19
; %bb.20:
	s_or_b64 exec, exec, s[8:9]
	v_mov_b32_e32 v90, 0
	ds_read_b64 v[90:91], v90 offset:24
	s_waitcnt lgkmcnt(0)
	v_mul_f64 v[85:86], v[85:86], v[90:91]
	buffer_store_dword v86, off, s[0:3], 0 offset:28
	buffer_store_dword v85, off, s[0:3], 0 offset:24
.LBB41_21:
	s_or_b64 exec, exec, s[4:5]
	; wave barrier
	buffer_load_dword v85, off, s[0:3], 0 offset:32
	buffer_load_dword v86, off, s[0:3], 0 offset:36
	v_cmp_gt_u32_e32 vcc, 4, v0
	s_waitcnt vmcnt(0)
	ds_write_b64 v88, v[85:86]
	s_waitcnt lgkmcnt(0)
	; wave barrier
	s_and_saveexec_b64 s[4:5], vcc
	s_cbranch_execz .LBB41_25
; %bb.22:
	v_mov_b32_e32 v85, 0
	v_add_u32_e32 v90, -1, v0
	v_add_u32_e32 v91, 0x150, v87
	v_mov_b32_e32 v92, v87
	v_mov_b32_e32 v86, 0
	s_mov_b64 s[8:9], 0
.LBB41_23:                              ; =>This Inner Loop Header: Depth=1
	buffer_load_dword v93, v92, s[0:3], 0 offen
	buffer_load_dword v94, v92, s[0:3], 0 offen offset:4
	ds_read_b64 v[95:96], v91
	v_add_u32_e32 v90, 1, v90
	v_cmp_lt_u32_e32 vcc, 2, v90
	v_add_u32_e32 v91, 8, v91
	s_or_b64 s[8:9], vcc, s[8:9]
	v_add_u32_e32 v92, 8, v92
	s_waitcnt vmcnt(0) lgkmcnt(0)
	v_fma_f64 v[85:86], v[93:94], v[95:96], v[85:86]
	s_andn2_b64 exec, exec, s[8:9]
	s_cbranch_execnz .LBB41_23
; %bb.24:
	s_or_b64 exec, exec, s[8:9]
	v_mov_b32_e32 v90, 0
	ds_read_b64 v[90:91], v90 offset:32
	s_waitcnt lgkmcnt(0)
	v_mul_f64 v[85:86], v[85:86], v[90:91]
	buffer_store_dword v86, off, s[0:3], 0 offset:36
	buffer_store_dword v85, off, s[0:3], 0 offset:32
.LBB41_25:
	s_or_b64 exec, exec, s[4:5]
	; wave barrier
	buffer_load_dword v85, off, s[0:3], 0 offset:40
	buffer_load_dword v86, off, s[0:3], 0 offset:44
	v_cmp_gt_u32_e32 vcc, 5, v0
	;; [unrolled: 40-line block ×21, first 2 shown]
	s_waitcnt vmcnt(0)
	ds_write_b64 v88, v[85:86]
	s_waitcnt lgkmcnt(0)
	; wave barrier
	s_and_saveexec_b64 s[4:5], vcc
	s_cbranch_execz .LBB41_105
; %bb.102:
	v_mov_b32_e32 v85, 0
	v_add_u32_e32 v90, -1, v0
	v_add_u32_e32 v91, 0x150, v87
	v_mov_b32_e32 v92, v87
	v_mov_b32_e32 v86, 0
	s_mov_b64 s[8:9], 0
.LBB41_103:                             ; =>This Inner Loop Header: Depth=1
	buffer_load_dword v93, v92, s[0:3], 0 offen
	buffer_load_dword v94, v92, s[0:3], 0 offen offset:4
	ds_read_b64 v[95:96], v91
	v_add_u32_e32 v90, 1, v90
	v_cmp_lt_u32_e32 vcc, 22, v90
	v_add_u32_e32 v91, 8, v91
	s_or_b64 s[8:9], vcc, s[8:9]
	v_add_u32_e32 v92, 8, v92
	s_waitcnt vmcnt(0) lgkmcnt(0)
	v_fma_f64 v[85:86], v[93:94], v[95:96], v[85:86]
	s_andn2_b64 exec, exec, s[8:9]
	s_cbranch_execnz .LBB41_103
; %bb.104:
	s_or_b64 exec, exec, s[8:9]
	v_mov_b32_e32 v90, 0
	ds_read_b64 v[90:91], v90 offset:192
	s_waitcnt lgkmcnt(0)
	v_mul_f64 v[85:86], v[85:86], v[90:91]
	buffer_store_dword v86, off, s[0:3], 0 offset:196
	buffer_store_dword v85, off, s[0:3], 0 offset:192
.LBB41_105:
	s_or_b64 exec, exec, s[4:5]
	; wave barrier
	buffer_load_dword v85, off, s[0:3], 0 offset:200
	buffer_load_dword v86, off, s[0:3], 0 offset:204
	v_cmp_gt_u32_e32 vcc, 25, v0
	s_waitcnt vmcnt(0)
	ds_write_b64 v88, v[85:86]
	s_waitcnt lgkmcnt(0)
	; wave barrier
	s_and_saveexec_b64 s[4:5], vcc
	s_cbranch_execz .LBB41_109
; %bb.106:
	v_mov_b32_e32 v85, 0
	v_add_u32_e32 v90, -1, v0
	v_add_u32_e32 v91, 0x150, v87
	v_mov_b32_e32 v92, v87
	v_mov_b32_e32 v86, 0
	s_mov_b64 s[8:9], 0
.LBB41_107:                             ; =>This Inner Loop Header: Depth=1
	buffer_load_dword v93, v92, s[0:3], 0 offen
	buffer_load_dword v94, v92, s[0:3], 0 offen offset:4
	ds_read_b64 v[95:96], v91
	v_add_u32_e32 v90, 1, v90
	v_cmp_lt_u32_e32 vcc, 23, v90
	v_add_u32_e32 v91, 8, v91
	s_or_b64 s[8:9], vcc, s[8:9]
	v_add_u32_e32 v92, 8, v92
	s_waitcnt vmcnt(0) lgkmcnt(0)
	v_fma_f64 v[85:86], v[93:94], v[95:96], v[85:86]
	s_andn2_b64 exec, exec, s[8:9]
	s_cbranch_execnz .LBB41_107
; %bb.108:
	s_or_b64 exec, exec, s[8:9]
	v_mov_b32_e32 v90, 0
	ds_read_b64 v[90:91], v90 offset:200
	s_waitcnt lgkmcnt(0)
	v_mul_f64 v[85:86], v[85:86], v[90:91]
	buffer_store_dword v86, off, s[0:3], 0 offset:204
	buffer_store_dword v85, off, s[0:3], 0 offset:200
.LBB41_109:
	s_or_b64 exec, exec, s[4:5]
	; wave barrier
	buffer_load_dword v85, off, s[0:3], 0 offset:208
	buffer_load_dword v86, off, s[0:3], 0 offset:212
	v_cmp_gt_u32_e32 vcc, 26, v0
	;; [unrolled: 40-line block ×16, first 2 shown]
	s_waitcnt vmcnt(0)
	ds_write_b64 v88, v[85:86]
	s_waitcnt lgkmcnt(0)
	; wave barrier
	s_and_saveexec_b64 s[4:5], vcc
	s_cbranch_execz .LBB41_169
; %bb.166:
	v_mov_b32_e32 v85, 0
	v_add_u32_e32 v90, -1, v0
	v_add_u32_e32 v91, 0x150, v87
	v_mov_b32_e32 v92, v87
	v_mov_b32_e32 v86, 0
	s_mov_b64 s[8:9], 0
.LBB41_167:                             ; =>This Inner Loop Header: Depth=1
	buffer_load_dword v93, v92, s[0:3], 0 offen
	buffer_load_dword v94, v92, s[0:3], 0 offen offset:4
	ds_read_b64 v[95:96], v91
	v_add_u32_e32 v90, 1, v90
	v_cmp_lt_u32_e32 vcc, 38, v90
	v_add_u32_e32 v91, 8, v91
	s_or_b64 s[8:9], vcc, s[8:9]
	v_add_u32_e32 v92, 8, v92
	s_waitcnt vmcnt(0) lgkmcnt(0)
	v_fma_f64 v[85:86], v[93:94], v[95:96], v[85:86]
	s_andn2_b64 exec, exec, s[8:9]
	s_cbranch_execnz .LBB41_167
; %bb.168:
	s_or_b64 exec, exec, s[8:9]
	v_mov_b32_e32 v90, 0
	ds_read_b64 v[90:91], v90 offset:320
	s_waitcnt lgkmcnt(0)
	v_mul_f64 v[85:86], v[85:86], v[90:91]
	buffer_store_dword v86, off, s[0:3], 0 offset:324
	buffer_store_dword v85, off, s[0:3], 0 offset:320
.LBB41_169:
	s_or_b64 exec, exec, s[4:5]
	; wave barrier
	buffer_load_dword v85, off, s[0:3], 0 offset:328
	buffer_load_dword v86, off, s[0:3], 0 offset:332
	v_cmp_ne_u32_e32 vcc, 41, v0
	s_waitcnt vmcnt(0)
	ds_write_b64 v88, v[85:86]
	s_waitcnt lgkmcnt(0)
	; wave barrier
	s_and_saveexec_b64 s[4:5], vcc
	s_cbranch_execz .LBB41_173
; %bb.170:
	v_mov_b32_e32 v85, 0
	v_add_u32_e32 v88, 0x150, v87
	v_mov_b32_e32 v86, 0
	s_mov_b64 s[8:9], 0
.LBB41_171:                             ; =>This Inner Loop Header: Depth=1
	buffer_load_dword v90, v87, s[0:3], 0 offen
	buffer_load_dword v91, v87, s[0:3], 0 offen offset:4
	ds_read_b64 v[92:93], v88
	v_add_u32_e32 v89, 1, v89
	v_cmp_lt_u32_e32 vcc, 39, v89
	v_add_u32_e32 v88, 8, v88
	s_or_b64 s[8:9], vcc, s[8:9]
	v_add_u32_e32 v87, 8, v87
	s_waitcnt vmcnt(0) lgkmcnt(0)
	v_fma_f64 v[85:86], v[90:91], v[92:93], v[85:86]
	s_andn2_b64 exec, exec, s[8:9]
	s_cbranch_execnz .LBB41_171
; %bb.172:
	s_or_b64 exec, exec, s[8:9]
	v_mov_b32_e32 v87, 0
	ds_read_b64 v[87:88], v87 offset:328
	s_waitcnt lgkmcnt(0)
	v_mul_f64 v[85:86], v[85:86], v[87:88]
	buffer_store_dword v86, off, s[0:3], 0 offset:332
	buffer_store_dword v85, off, s[0:3], 0 offset:328
.LBB41_173:
	s_or_b64 exec, exec, s[4:5]
	s_mov_b64 s[8:9], -1
	; wave barrier
.LBB41_174:
	s_and_b64 vcc, exec, s[8:9]
	s_cbranch_vccz .LBB41_176
; %bb.175:
	s_lshl_b64 s[4:5], s[6:7], 2
	s_add_u32 s4, s10, s4
	s_addc_u32 s5, s11, s5
	v_mov_b32_e32 v85, 0
	global_load_dword v85, v85, s[4:5]
	s_waitcnt vmcnt(0)
	v_cmp_ne_u32_e32 vcc, 0, v85
	s_cbranch_vccz .LBB41_177
.LBB41_176:
	s_endpgm
.LBB41_177:
	v_mov_b32_e32 v85, 0x150
	v_lshl_add_u32 v85, v0, 3, v85
	v_cmp_eq_u32_e32 vcc, 41, v0
	s_and_saveexec_b64 s[4:5], vcc
	s_cbranch_execz .LBB41_179
; %bb.178:
	buffer_load_dword v86, off, s[0:3], 0 offset:320
	buffer_load_dword v87, off, s[0:3], 0 offset:324
	v_mov_b32_e32 v88, 0
	buffer_store_dword v88, off, s[0:3], 0 offset:320
	buffer_store_dword v88, off, s[0:3], 0 offset:324
	s_waitcnt vmcnt(2)
	ds_write_b64 v85, v[86:87]
.LBB41_179:
	s_or_b64 exec, exec, s[4:5]
	s_waitcnt lgkmcnt(0)
	; wave barrier
	buffer_load_dword v87, off, s[0:3], 0 offset:328
	buffer_load_dword v88, off, s[0:3], 0 offset:332
	;; [unrolled: 1-line block ×4, first 2 shown]
	v_mov_b32_e32 v86, 0
	ds_read_b64 v[91:92], v86 offset:664
	v_cmp_lt_u32_e32 vcc, 39, v0
	s_waitcnt vmcnt(2) lgkmcnt(0)
	v_fma_f64 v[87:88], v[87:88], v[91:92], 0
	s_waitcnt vmcnt(0)
	v_add_f64 v[87:88], v[89:90], -v[87:88]
	buffer_store_dword v87, off, s[0:3], 0 offset:320
	buffer_store_dword v88, off, s[0:3], 0 offset:324
	s_and_saveexec_b64 s[4:5], vcc
	s_cbranch_execz .LBB41_181
; %bb.180:
	buffer_load_dword v87, off, s[0:3], 0 offset:312
	buffer_load_dword v88, off, s[0:3], 0 offset:316
	s_waitcnt vmcnt(0)
	ds_write_b64 v85, v[87:88]
	buffer_store_dword v86, off, s[0:3], 0 offset:312
	buffer_store_dword v86, off, s[0:3], 0 offset:316
.LBB41_181:
	s_or_b64 exec, exec, s[4:5]
	s_waitcnt lgkmcnt(0)
	; wave barrier
	buffer_load_dword v90, off, s[0:3], 0 offset:320
	buffer_load_dword v91, off, s[0:3], 0 offset:324
	;; [unrolled: 1-line block ×6, first 2 shown]
	ds_read_b128 v[86:89], v86 offset:656
	v_cmp_lt_u32_e32 vcc, 38, v0
	s_waitcnt vmcnt(4) lgkmcnt(0)
	v_fma_f64 v[86:87], v[90:91], v[86:87], 0
	s_waitcnt vmcnt(2)
	v_fma_f64 v[86:87], v[92:93], v[88:89], v[86:87]
	s_waitcnt vmcnt(0)
	v_add_f64 v[86:87], v[94:95], -v[86:87]
	buffer_store_dword v86, off, s[0:3], 0 offset:312
	buffer_store_dword v87, off, s[0:3], 0 offset:316
	s_and_saveexec_b64 s[4:5], vcc
	s_cbranch_execz .LBB41_183
; %bb.182:
	buffer_load_dword v86, off, s[0:3], 0 offset:304
	buffer_load_dword v87, off, s[0:3], 0 offset:308
	v_mov_b32_e32 v88, 0
	buffer_store_dword v88, off, s[0:3], 0 offset:304
	buffer_store_dword v88, off, s[0:3], 0 offset:308
	s_waitcnt vmcnt(2)
	ds_write_b64 v85, v[86:87]
.LBB41_183:
	s_or_b64 exec, exec, s[4:5]
	s_waitcnt lgkmcnt(0)
	; wave barrier
	buffer_load_dword v91, off, s[0:3], 0 offset:312
	buffer_load_dword v92, off, s[0:3], 0 offset:316
	;; [unrolled: 1-line block ×8, first 2 shown]
	v_mov_b32_e32 v86, 0
	ds_read2_b64 v[87:90], v86 offset0:81 offset1:82
	ds_read_b64 v[99:100], v86 offset:664
	v_cmp_lt_u32_e32 vcc, 37, v0
	s_waitcnt vmcnt(6) lgkmcnt(1)
	v_fma_f64 v[87:88], v[91:92], v[87:88], 0
	s_waitcnt vmcnt(4)
	v_fma_f64 v[87:88], v[93:94], v[89:90], v[87:88]
	s_waitcnt vmcnt(2) lgkmcnt(0)
	v_fma_f64 v[87:88], v[95:96], v[99:100], v[87:88]
	s_waitcnt vmcnt(0)
	v_add_f64 v[87:88], v[97:98], -v[87:88]
	buffer_store_dword v87, off, s[0:3], 0 offset:304
	buffer_store_dword v88, off, s[0:3], 0 offset:308
	s_and_saveexec_b64 s[4:5], vcc
	s_cbranch_execz .LBB41_185
; %bb.184:
	buffer_load_dword v87, off, s[0:3], 0 offset:296
	buffer_load_dword v88, off, s[0:3], 0 offset:300
	s_waitcnt vmcnt(0)
	ds_write_b64 v85, v[87:88]
	buffer_store_dword v86, off, s[0:3], 0 offset:296
	buffer_store_dword v86, off, s[0:3], 0 offset:300
.LBB41_185:
	s_or_b64 exec, exec, s[4:5]
	s_waitcnt lgkmcnt(0)
	; wave barrier
	buffer_load_dword v95, off, s[0:3], 0 offset:304
	buffer_load_dword v96, off, s[0:3], 0 offset:308
	;; [unrolled: 1-line block ×10, first 2 shown]
	ds_read_b128 v[87:90], v86 offset:640
	ds_read_b128 v[91:94], v86 offset:656
	v_cmp_lt_u32_e32 vcc, 36, v0
	s_waitcnt vmcnt(8) lgkmcnt(1)
	v_fma_f64 v[86:87], v[95:96], v[87:88], 0
	s_waitcnt vmcnt(6)
	v_fma_f64 v[86:87], v[97:98], v[89:90], v[86:87]
	s_waitcnt vmcnt(4) lgkmcnt(0)
	v_fma_f64 v[86:87], v[99:100], v[91:92], v[86:87]
	s_waitcnt vmcnt(2)
	v_fma_f64 v[86:87], v[101:102], v[93:94], v[86:87]
	s_waitcnt vmcnt(0)
	v_add_f64 v[86:87], v[103:104], -v[86:87]
	buffer_store_dword v86, off, s[0:3], 0 offset:296
	buffer_store_dword v87, off, s[0:3], 0 offset:300
	s_and_saveexec_b64 s[4:5], vcc
	s_cbranch_execz .LBB41_187
; %bb.186:
	buffer_load_dword v86, off, s[0:3], 0 offset:288
	buffer_load_dword v87, off, s[0:3], 0 offset:292
	v_mov_b32_e32 v88, 0
	buffer_store_dword v88, off, s[0:3], 0 offset:288
	buffer_store_dword v88, off, s[0:3], 0 offset:292
	s_waitcnt vmcnt(2)
	ds_write_b64 v85, v[86:87]
.LBB41_187:
	s_or_b64 exec, exec, s[4:5]
	s_waitcnt lgkmcnt(0)
	; wave barrier
	buffer_load_dword v95, off, s[0:3], 0 offset:296
	buffer_load_dword v96, off, s[0:3], 0 offset:300
	buffer_load_dword v97, off, s[0:3], 0 offset:304
	buffer_load_dword v98, off, s[0:3], 0 offset:308
	buffer_load_dword v99, off, s[0:3], 0 offset:312
	buffer_load_dword v100, off, s[0:3], 0 offset:316
	buffer_load_dword v101, off, s[0:3], 0 offset:320
	buffer_load_dword v102, off, s[0:3], 0 offset:324
	buffer_load_dword v103, off, s[0:3], 0 offset:328
	buffer_load_dword v104, off, s[0:3], 0 offset:332
	buffer_load_dword v105, off, s[0:3], 0 offset:288
	buffer_load_dword v106, off, s[0:3], 0 offset:292
	v_mov_b32_e32 v86, 0
	ds_read2_b64 v[87:90], v86 offset0:79 offset1:80
	ds_read2_b64 v[91:94], v86 offset0:81 offset1:82
	v_cmp_lt_u32_e32 vcc, 35, v0
	s_waitcnt vmcnt(10) lgkmcnt(1)
	v_fma_f64 v[87:88], v[95:96], v[87:88], 0
	s_waitcnt vmcnt(8)
	v_fma_f64 v[87:88], v[97:98], v[89:90], v[87:88]
	ds_read_b64 v[89:90], v86 offset:664
	s_waitcnt vmcnt(6) lgkmcnt(1)
	v_fma_f64 v[87:88], v[99:100], v[91:92], v[87:88]
	s_waitcnt vmcnt(4)
	v_fma_f64 v[87:88], v[101:102], v[93:94], v[87:88]
	s_waitcnt vmcnt(2) lgkmcnt(0)
	v_fma_f64 v[87:88], v[103:104], v[89:90], v[87:88]
	s_waitcnt vmcnt(0)
	v_add_f64 v[87:88], v[105:106], -v[87:88]
	buffer_store_dword v87, off, s[0:3], 0 offset:288
	buffer_store_dword v88, off, s[0:3], 0 offset:292
	s_and_saveexec_b64 s[4:5], vcc
	s_cbranch_execz .LBB41_189
; %bb.188:
	buffer_load_dword v87, off, s[0:3], 0 offset:280
	buffer_load_dword v88, off, s[0:3], 0 offset:284
	s_waitcnt vmcnt(0)
	ds_write_b64 v85, v[87:88]
	buffer_store_dword v86, off, s[0:3], 0 offset:280
	buffer_store_dword v86, off, s[0:3], 0 offset:284
.LBB41_189:
	s_or_b64 exec, exec, s[4:5]
	s_waitcnt lgkmcnt(0)
	; wave barrier
	buffer_load_dword v95, off, s[0:3], 0 offset:288
	buffer_load_dword v96, off, s[0:3], 0 offset:292
	;; [unrolled: 1-line block ×14, first 2 shown]
	ds_read_b128 v[87:90], v86 offset:624
	ds_read_b128 v[91:94], v86 offset:640
	v_cmp_lt_u32_e32 vcc, 34, v0
	s_waitcnt vmcnt(12) lgkmcnt(1)
	v_fma_f64 v[87:88], v[95:96], v[87:88], 0
	s_waitcnt vmcnt(10)
	v_fma_f64 v[87:88], v[97:98], v[89:90], v[87:88]
	s_waitcnt vmcnt(8) lgkmcnt(0)
	v_fma_f64 v[87:88], v[99:100], v[91:92], v[87:88]
	s_waitcnt vmcnt(6)
	v_fma_f64 v[90:91], v[101:102], v[93:94], v[87:88]
	ds_read_b128 v[86:89], v86 offset:656
	s_waitcnt vmcnt(4) lgkmcnt(0)
	v_fma_f64 v[86:87], v[103:104], v[86:87], v[90:91]
	s_waitcnt vmcnt(2)
	v_fma_f64 v[86:87], v[105:106], v[88:89], v[86:87]
	s_waitcnt vmcnt(0)
	v_add_f64 v[86:87], v[107:108], -v[86:87]
	buffer_store_dword v86, off, s[0:3], 0 offset:280
	buffer_store_dword v87, off, s[0:3], 0 offset:284
	s_and_saveexec_b64 s[4:5], vcc
	s_cbranch_execz .LBB41_191
; %bb.190:
	buffer_load_dword v86, off, s[0:3], 0 offset:272
	buffer_load_dword v87, off, s[0:3], 0 offset:276
	v_mov_b32_e32 v88, 0
	buffer_store_dword v88, off, s[0:3], 0 offset:272
	buffer_store_dword v88, off, s[0:3], 0 offset:276
	s_waitcnt vmcnt(2)
	ds_write_b64 v85, v[86:87]
.LBB41_191:
	s_or_b64 exec, exec, s[4:5]
	s_waitcnt lgkmcnt(0)
	; wave barrier
	buffer_load_dword v95, off, s[0:3], 0 offset:280
	buffer_load_dword v96, off, s[0:3], 0 offset:284
	;; [unrolled: 1-line block ×16, first 2 shown]
	v_mov_b32_e32 v86, 0
	ds_read2_b64 v[87:90], v86 offset0:77 offset1:78
	ds_read2_b64 v[91:94], v86 offset0:79 offset1:80
	v_cmp_lt_u32_e32 vcc, 33, v0
	s_waitcnt vmcnt(14) lgkmcnt(1)
	v_fma_f64 v[87:88], v[95:96], v[87:88], 0
	s_waitcnt vmcnt(12)
	v_fma_f64 v[87:88], v[97:98], v[89:90], v[87:88]
	s_waitcnt vmcnt(10) lgkmcnt(0)
	v_fma_f64 v[87:88], v[99:100], v[91:92], v[87:88]
	s_waitcnt vmcnt(8)
	v_fma_f64 v[91:92], v[101:102], v[93:94], v[87:88]
	ds_read2_b64 v[87:90], v86 offset0:81 offset1:82
	ds_read_b64 v[93:94], v86 offset:664
	s_waitcnt vmcnt(6) lgkmcnt(1)
	v_fma_f64 v[87:88], v[103:104], v[87:88], v[91:92]
	s_waitcnt vmcnt(4)
	v_fma_f64 v[87:88], v[105:106], v[89:90], v[87:88]
	s_waitcnt vmcnt(2) lgkmcnt(0)
	v_fma_f64 v[87:88], v[107:108], v[93:94], v[87:88]
	s_waitcnt vmcnt(0)
	v_add_f64 v[87:88], v[109:110], -v[87:88]
	buffer_store_dword v87, off, s[0:3], 0 offset:272
	buffer_store_dword v88, off, s[0:3], 0 offset:276
	s_and_saveexec_b64 s[4:5], vcc
	s_cbranch_execz .LBB41_193
; %bb.192:
	buffer_load_dword v87, off, s[0:3], 0 offset:264
	buffer_load_dword v88, off, s[0:3], 0 offset:268
	s_waitcnt vmcnt(0)
	ds_write_b64 v85, v[87:88]
	buffer_store_dword v86, off, s[0:3], 0 offset:264
	buffer_store_dword v86, off, s[0:3], 0 offset:268
.LBB41_193:
	s_or_b64 exec, exec, s[4:5]
	s_waitcnt lgkmcnt(0)
	; wave barrier
	buffer_load_dword v95, off, s[0:3], 0 offset:272
	buffer_load_dword v96, off, s[0:3], 0 offset:276
	;; [unrolled: 1-line block ×18, first 2 shown]
	ds_read_b128 v[87:90], v86 offset:608
	ds_read_b128 v[91:94], v86 offset:624
	v_cmp_lt_u32_e32 vcc, 32, v0
	s_waitcnt vmcnt(16) lgkmcnt(1)
	v_fma_f64 v[87:88], v[95:96], v[87:88], 0
	s_waitcnt vmcnt(14)
	v_fma_f64 v[87:88], v[97:98], v[89:90], v[87:88]
	s_waitcnt vmcnt(12) lgkmcnt(0)
	v_fma_f64 v[87:88], v[99:100], v[91:92], v[87:88]
	s_waitcnt vmcnt(10)
	v_fma_f64 v[95:96], v[101:102], v[93:94], v[87:88]
	ds_read_b128 v[87:90], v86 offset:640
	ds_read_b128 v[91:94], v86 offset:656
	s_waitcnt vmcnt(8) lgkmcnt(1)
	v_fma_f64 v[86:87], v[103:104], v[87:88], v[95:96]
	s_waitcnt vmcnt(6)
	v_fma_f64 v[86:87], v[105:106], v[89:90], v[86:87]
	s_waitcnt vmcnt(4) lgkmcnt(0)
	v_fma_f64 v[86:87], v[107:108], v[91:92], v[86:87]
	s_waitcnt vmcnt(2)
	v_fma_f64 v[86:87], v[109:110], v[93:94], v[86:87]
	s_waitcnt vmcnt(0)
	v_add_f64 v[86:87], v[111:112], -v[86:87]
	buffer_store_dword v86, off, s[0:3], 0 offset:264
	buffer_store_dword v87, off, s[0:3], 0 offset:268
	s_and_saveexec_b64 s[4:5], vcc
	s_cbranch_execz .LBB41_195
; %bb.194:
	buffer_load_dword v86, off, s[0:3], 0 offset:256
	buffer_load_dword v87, off, s[0:3], 0 offset:260
	v_mov_b32_e32 v88, 0
	buffer_store_dword v88, off, s[0:3], 0 offset:256
	buffer_store_dword v88, off, s[0:3], 0 offset:260
	s_waitcnt vmcnt(2)
	ds_write_b64 v85, v[86:87]
.LBB41_195:
	s_or_b64 exec, exec, s[4:5]
	s_waitcnt lgkmcnt(0)
	; wave barrier
	buffer_load_dword v95, off, s[0:3], 0 offset:264
	buffer_load_dword v96, off, s[0:3], 0 offset:268
	;; [unrolled: 1-line block ×20, first 2 shown]
	v_mov_b32_e32 v86, 0
	ds_read2_b64 v[87:90], v86 offset0:75 offset1:76
	ds_read2_b64 v[91:94], v86 offset0:77 offset1:78
	v_cmp_lt_u32_e32 vcc, 31, v0
	s_waitcnt vmcnt(18) lgkmcnt(1)
	v_fma_f64 v[87:88], v[95:96], v[87:88], 0
	s_waitcnt vmcnt(16)
	v_fma_f64 v[87:88], v[97:98], v[89:90], v[87:88]
	s_waitcnt vmcnt(14) lgkmcnt(0)
	v_fma_f64 v[87:88], v[99:100], v[91:92], v[87:88]
	s_waitcnt vmcnt(12)
	v_fma_f64 v[95:96], v[101:102], v[93:94], v[87:88]
	ds_read2_b64 v[87:90], v86 offset0:79 offset1:80
	ds_read2_b64 v[91:94], v86 offset0:81 offset1:82
	s_waitcnt vmcnt(10) lgkmcnt(1)
	v_fma_f64 v[87:88], v[103:104], v[87:88], v[95:96]
	s_waitcnt vmcnt(8)
	v_fma_f64 v[87:88], v[105:106], v[89:90], v[87:88]
	ds_read_b64 v[89:90], v86 offset:664
	s_waitcnt vmcnt(6) lgkmcnt(1)
	v_fma_f64 v[87:88], v[107:108], v[91:92], v[87:88]
	s_waitcnt vmcnt(3)
	v_fma_f64 v[87:88], v[109:110], v[93:94], v[87:88]
	s_waitcnt vmcnt(2) lgkmcnt(0)
	v_fma_f64 v[87:88], v[111:112], v[89:90], v[87:88]
	s_waitcnt vmcnt(0)
	v_add_f64 v[87:88], v[113:114], -v[87:88]
	buffer_store_dword v87, off, s[0:3], 0 offset:256
	buffer_store_dword v88, off, s[0:3], 0 offset:260
	s_and_saveexec_b64 s[4:5], vcc
	s_cbranch_execz .LBB41_197
; %bb.196:
	buffer_load_dword v87, off, s[0:3], 0 offset:248
	buffer_load_dword v88, off, s[0:3], 0 offset:252
	s_waitcnt vmcnt(0)
	ds_write_b64 v85, v[87:88]
	buffer_store_dword v86, off, s[0:3], 0 offset:248
	buffer_store_dword v86, off, s[0:3], 0 offset:252
.LBB41_197:
	s_or_b64 exec, exec, s[4:5]
	s_waitcnt lgkmcnt(0)
	; wave barrier
	buffer_load_dword v95, off, s[0:3], 0 offset:256
	buffer_load_dword v96, off, s[0:3], 0 offset:260
	;; [unrolled: 1-line block ×20, first 2 shown]
	ds_read_b128 v[87:90], v86 offset:592
	buffer_load_dword v115, off, s[0:3], 0 offset:248
	buffer_load_dword v116, off, s[0:3], 0 offset:252
	ds_read_b128 v[91:94], v86 offset:608
	v_cmp_lt_u32_e32 vcc, 30, v0
	s_waitcnt vmcnt(20) lgkmcnt(1)
	v_fma_f64 v[87:88], v[95:96], v[87:88], 0
	s_waitcnt vmcnt(18)
	v_fma_f64 v[87:88], v[97:98], v[89:90], v[87:88]
	s_waitcnt vmcnt(16) lgkmcnt(0)
	v_fma_f64 v[87:88], v[99:100], v[91:92], v[87:88]
	s_waitcnt vmcnt(14)
	v_fma_f64 v[95:96], v[101:102], v[93:94], v[87:88]
	ds_read_b128 v[87:90], v86 offset:624
	ds_read_b128 v[91:94], v86 offset:640
	s_waitcnt vmcnt(12) lgkmcnt(1)
	v_fma_f64 v[87:88], v[103:104], v[87:88], v[95:96]
	s_waitcnt vmcnt(10)
	v_fma_f64 v[87:88], v[105:106], v[89:90], v[87:88]
	s_waitcnt vmcnt(8) lgkmcnt(0)
	v_fma_f64 v[87:88], v[107:108], v[91:92], v[87:88]
	s_waitcnt vmcnt(4)
	v_fma_f64 v[90:91], v[109:110], v[93:94], v[87:88]
	ds_read_b128 v[86:89], v86 offset:656
	s_waitcnt vmcnt(3) lgkmcnt(0)
	v_fma_f64 v[86:87], v[113:114], v[86:87], v[90:91]
	s_waitcnt vmcnt(2)
	v_fma_f64 v[86:87], v[111:112], v[88:89], v[86:87]
	s_waitcnt vmcnt(0)
	v_add_f64 v[86:87], v[115:116], -v[86:87]
	buffer_store_dword v86, off, s[0:3], 0 offset:248
	buffer_store_dword v87, off, s[0:3], 0 offset:252
	s_and_saveexec_b64 s[4:5], vcc
	s_cbranch_execz .LBB41_199
; %bb.198:
	buffer_load_dword v86, off, s[0:3], 0 offset:240
	buffer_load_dword v87, off, s[0:3], 0 offset:244
	v_mov_b32_e32 v88, 0
	buffer_store_dword v88, off, s[0:3], 0 offset:240
	buffer_store_dword v88, off, s[0:3], 0 offset:244
	s_waitcnt vmcnt(2)
	ds_write_b64 v85, v[86:87]
.LBB41_199:
	s_or_b64 exec, exec, s[4:5]
	s_waitcnt lgkmcnt(0)
	; wave barrier
	buffer_load_dword v95, off, s[0:3], 0 offset:248
	buffer_load_dword v96, off, s[0:3], 0 offset:252
	buffer_load_dword v97, off, s[0:3], 0 offset:256
	buffer_load_dword v98, off, s[0:3], 0 offset:260
	buffer_load_dword v99, off, s[0:3], 0 offset:264
	buffer_load_dword v100, off, s[0:3], 0 offset:268
	buffer_load_dword v101, off, s[0:3], 0 offset:272
	buffer_load_dword v102, off, s[0:3], 0 offset:276
	buffer_load_dword v103, off, s[0:3], 0 offset:280
	buffer_load_dword v104, off, s[0:3], 0 offset:284
	buffer_load_dword v105, off, s[0:3], 0 offset:288
	buffer_load_dword v106, off, s[0:3], 0 offset:292
	buffer_load_dword v107, off, s[0:3], 0 offset:296
	buffer_load_dword v108, off, s[0:3], 0 offset:300
	buffer_load_dword v110, off, s[0:3], 0 offset:308
	buffer_load_dword v111, off, s[0:3], 0 offset:328
	buffer_load_dword v113, off, s[0:3], 0 offset:320
	buffer_load_dword v115, off, s[0:3], 0 offset:312
	buffer_load_dword v109, off, s[0:3], 0 offset:304
	buffer_load_dword v116, off, s[0:3], 0 offset:316
	buffer_load_dword v114, off, s[0:3], 0 offset:324
	v_mov_b32_e32 v86, 0
	ds_read2_b64 v[87:90], v86 offset0:73 offset1:74
	ds_read2_b64 v[91:94], v86 offset0:75 offset1:76
	buffer_load_dword v112, off, s[0:3], 0 offset:332
	v_cmp_lt_u32_e32 vcc, 29, v0
	s_waitcnt vmcnt(20) lgkmcnt(1)
	v_fma_f64 v[87:88], v[95:96], v[87:88], 0
	buffer_load_dword v95, off, s[0:3], 0 offset:240
	buffer_load_dword v96, off, s[0:3], 0 offset:244
	s_waitcnt vmcnt(20)
	v_fma_f64 v[87:88], v[97:98], v[89:90], v[87:88]
	s_waitcnt vmcnt(18) lgkmcnt(0)
	v_fma_f64 v[87:88], v[99:100], v[91:92], v[87:88]
	s_waitcnt vmcnt(16)
	v_fma_f64 v[97:98], v[101:102], v[93:94], v[87:88]
	ds_read2_b64 v[87:90], v86 offset0:77 offset1:78
	ds_read2_b64 v[91:94], v86 offset0:79 offset1:80
	s_waitcnt vmcnt(14) lgkmcnt(1)
	v_fma_f64 v[87:88], v[103:104], v[87:88], v[97:98]
	s_waitcnt vmcnt(12)
	v_fma_f64 v[87:88], v[105:106], v[89:90], v[87:88]
	s_waitcnt vmcnt(10) lgkmcnt(0)
	v_fma_f64 v[87:88], v[107:108], v[91:92], v[87:88]
	s_waitcnt vmcnt(5)
	v_fma_f64 v[91:92], v[109:110], v[93:94], v[87:88]
	ds_read2_b64 v[87:90], v86 offset0:81 offset1:82
	ds_read_b64 v[93:94], v86 offset:664
	s_waitcnt vmcnt(4) lgkmcnt(1)
	v_fma_f64 v[87:88], v[115:116], v[87:88], v[91:92]
	s_waitcnt vmcnt(3)
	v_fma_f64 v[87:88], v[113:114], v[89:90], v[87:88]
	s_waitcnt vmcnt(2) lgkmcnt(0)
	v_fma_f64 v[87:88], v[111:112], v[93:94], v[87:88]
	s_waitcnt vmcnt(0)
	v_add_f64 v[87:88], v[95:96], -v[87:88]
	buffer_store_dword v88, off, s[0:3], 0 offset:244
	buffer_store_dword v87, off, s[0:3], 0 offset:240
	s_and_saveexec_b64 s[4:5], vcc
	s_cbranch_execz .LBB41_201
; %bb.200:
	buffer_load_dword v87, off, s[0:3], 0 offset:232
	buffer_load_dword v88, off, s[0:3], 0 offset:236
	s_waitcnt vmcnt(0)
	ds_write_b64 v85, v[87:88]
	buffer_store_dword v86, off, s[0:3], 0 offset:232
	buffer_store_dword v86, off, s[0:3], 0 offset:236
.LBB41_201:
	s_or_b64 exec, exec, s[4:5]
	s_waitcnt lgkmcnt(0)
	; wave barrier
	buffer_load_dword v95, off, s[0:3], 0 offset:240
	buffer_load_dword v96, off, s[0:3], 0 offset:244
	;; [unrolled: 1-line block ×21, first 2 shown]
	ds_read_b128 v[87:90], v86 offset:576
	ds_read_b128 v[91:94], v86 offset:592
	buffer_load_dword v112, off, s[0:3], 0 offset:324
	v_cmp_lt_u32_e32 vcc, 28, v0
	s_waitcnt vmcnt(20) lgkmcnt(1)
	v_fma_f64 v[87:88], v[95:96], v[87:88], 0
	buffer_load_dword v96, off, s[0:3], 0 offset:332
	buffer_load_dword v95, off, s[0:3], 0 offset:328
	s_waitcnt vmcnt(20)
	v_fma_f64 v[87:88], v[97:98], v[89:90], v[87:88]
	buffer_load_dword v97, off, s[0:3], 0 offset:232
	buffer_load_dword v98, off, s[0:3], 0 offset:236
	s_waitcnt vmcnt(20) lgkmcnt(0)
	v_fma_f64 v[87:88], v[99:100], v[91:92], v[87:88]
	s_waitcnt vmcnt(18)
	v_fma_f64 v[99:100], v[101:102], v[93:94], v[87:88]
	ds_read_b128 v[87:90], v86 offset:608
	ds_read_b128 v[91:94], v86 offset:624
	s_waitcnt vmcnt(16) lgkmcnt(1)
	v_fma_f64 v[87:88], v[103:104], v[87:88], v[99:100]
	s_waitcnt vmcnt(14)
	v_fma_f64 v[87:88], v[105:106], v[89:90], v[87:88]
	s_waitcnt vmcnt(12) lgkmcnt(0)
	v_fma_f64 v[87:88], v[107:108], v[91:92], v[87:88]
	s_waitcnt vmcnt(7)
	v_fma_f64 v[99:100], v[109:110], v[93:94], v[87:88]
	ds_read_b128 v[87:90], v86 offset:640
	ds_read_b128 v[91:94], v86 offset:656
	s_waitcnt vmcnt(6) lgkmcnt(1)
	v_fma_f64 v[86:87], v[115:116], v[87:88], v[99:100]
	s_waitcnt vmcnt(5)
	v_fma_f64 v[86:87], v[113:114], v[89:90], v[86:87]
	s_waitcnt vmcnt(4) lgkmcnt(0)
	v_fma_f64 v[86:87], v[111:112], v[91:92], v[86:87]
	s_waitcnt vmcnt(2)
	v_fma_f64 v[86:87], v[95:96], v[93:94], v[86:87]
	s_waitcnt vmcnt(0)
	v_add_f64 v[86:87], v[97:98], -v[86:87]
	buffer_store_dword v87, off, s[0:3], 0 offset:236
	buffer_store_dword v86, off, s[0:3], 0 offset:232
	s_and_saveexec_b64 s[4:5], vcc
	s_cbranch_execz .LBB41_203
; %bb.202:
	buffer_load_dword v86, off, s[0:3], 0 offset:224
	buffer_load_dword v87, off, s[0:3], 0 offset:228
	v_mov_b32_e32 v88, 0
	buffer_store_dword v88, off, s[0:3], 0 offset:224
	buffer_store_dword v88, off, s[0:3], 0 offset:228
	s_waitcnt vmcnt(2)
	ds_write_b64 v85, v[86:87]
.LBB41_203:
	s_or_b64 exec, exec, s[4:5]
	s_waitcnt lgkmcnt(0)
	; wave barrier
	buffer_load_dword v95, off, s[0:3], 0 offset:232
	buffer_load_dword v96, off, s[0:3], 0 offset:236
	;; [unrolled: 1-line block ×21, first 2 shown]
	v_mov_b32_e32 v86, 0
	ds_read2_b64 v[87:90], v86 offset0:71 offset1:72
	ds_read2_b64 v[91:94], v86 offset0:73 offset1:74
	buffer_load_dword v112, off, s[0:3], 0 offset:316
	v_cmp_lt_u32_e32 vcc, 27, v0
	s_waitcnt vmcnt(20) lgkmcnt(1)
	v_fma_f64 v[87:88], v[95:96], v[87:88], 0
	s_waitcnt vmcnt(18)
	v_fma_f64 v[87:88], v[97:98], v[89:90], v[87:88]
	buffer_load_dword v96, off, s[0:3], 0 offset:324
	buffer_load_dword v97, off, s[0:3], 0 offset:328
	;; [unrolled: 1-line block ×4, first 2 shown]
	s_waitcnt vmcnt(20) lgkmcnt(0)
	v_fma_f64 v[87:88], v[99:100], v[91:92], v[87:88]
	buffer_load_dword v99, off, s[0:3], 0 offset:224
	buffer_load_dword v100, off, s[0:3], 0 offset:228
	s_waitcnt vmcnt(20)
	v_fma_f64 v[101:102], v[101:102], v[93:94], v[87:88]
	ds_read2_b64 v[87:90], v86 offset0:75 offset1:76
	ds_read2_b64 v[91:94], v86 offset0:77 offset1:78
	s_waitcnt vmcnt(18) lgkmcnt(1)
	v_fma_f64 v[87:88], v[103:104], v[87:88], v[101:102]
	s_waitcnt vmcnt(16)
	v_fma_f64 v[87:88], v[105:106], v[89:90], v[87:88]
	s_waitcnt vmcnt(14) lgkmcnt(0)
	v_fma_f64 v[87:88], v[107:108], v[91:92], v[87:88]
	s_waitcnt vmcnt(9)
	v_fma_f64 v[101:102], v[109:110], v[93:94], v[87:88]
	ds_read2_b64 v[87:90], v86 offset0:79 offset1:80
	ds_read2_b64 v[91:94], v86 offset0:81 offset1:82
	s_waitcnt vmcnt(8) lgkmcnt(1)
	v_fma_f64 v[87:88], v[115:116], v[87:88], v[101:102]
	s_waitcnt vmcnt(7)
	v_fma_f64 v[87:88], v[113:114], v[89:90], v[87:88]
	ds_read_b64 v[89:90], v86 offset:664
	s_waitcnt vmcnt(6) lgkmcnt(1)
	v_fma_f64 v[87:88], v[111:112], v[91:92], v[87:88]
	s_waitcnt vmcnt(3)
	v_fma_f64 v[87:88], v[95:96], v[93:94], v[87:88]
	s_waitcnt vmcnt(2) lgkmcnt(0)
	v_fma_f64 v[87:88], v[97:98], v[89:90], v[87:88]
	s_waitcnt vmcnt(0)
	v_add_f64 v[87:88], v[99:100], -v[87:88]
	buffer_store_dword v88, off, s[0:3], 0 offset:228
	buffer_store_dword v87, off, s[0:3], 0 offset:224
	s_and_saveexec_b64 s[4:5], vcc
	s_cbranch_execz .LBB41_205
; %bb.204:
	buffer_load_dword v87, off, s[0:3], 0 offset:216
	buffer_load_dword v88, off, s[0:3], 0 offset:220
	s_waitcnt vmcnt(0)
	ds_write_b64 v85, v[87:88]
	buffer_store_dword v86, off, s[0:3], 0 offset:216
	buffer_store_dword v86, off, s[0:3], 0 offset:220
.LBB41_205:
	s_or_b64 exec, exec, s[4:5]
	s_waitcnt lgkmcnt(0)
	; wave barrier
	buffer_load_dword v95, off, s[0:3], 0 offset:224
	buffer_load_dword v96, off, s[0:3], 0 offset:228
	;; [unrolled: 1-line block ×22, first 2 shown]
	ds_read_b128 v[87:90], v86 offset:560
	ds_read_b128 v[91:94], v86 offset:576
	v_cmp_lt_u32_e32 vcc, 26, v0
	s_waitcnt vmcnt(20) lgkmcnt(1)
	v_fma_f64 v[87:88], v[95:96], v[87:88], 0
	s_waitcnt vmcnt(18)
	v_fma_f64 v[87:88], v[97:98], v[89:90], v[87:88]
	buffer_load_dword v96, off, s[0:3], 0 offset:316
	buffer_load_dword v97, off, s[0:3], 0 offset:328
	;; [unrolled: 1-line block ×6, first 2 shown]
	s_waitcnt vmcnt(22) lgkmcnt(0)
	v_fma_f64 v[87:88], v[99:100], v[91:92], v[87:88]
	s_waitcnt vmcnt(20)
	v_fma_f64 v[99:100], v[101:102], v[93:94], v[87:88]
	ds_read_b128 v[87:90], v86 offset:592
	buffer_load_dword v101, off, s[0:3], 0 offset:216
	buffer_load_dword v102, off, s[0:3], 0 offset:220
	ds_read_b128 v[91:94], v86 offset:608
	s_waitcnt vmcnt(20) lgkmcnt(1)
	v_fma_f64 v[87:88], v[103:104], v[87:88], v[99:100]
	s_waitcnt vmcnt(18)
	v_fma_f64 v[87:88], v[105:106], v[89:90], v[87:88]
	s_waitcnt vmcnt(16) lgkmcnt(0)
	v_fma_f64 v[87:88], v[107:108], v[91:92], v[87:88]
	s_waitcnt vmcnt(11)
	v_fma_f64 v[99:100], v[109:110], v[93:94], v[87:88]
	ds_read_b128 v[87:90], v86 offset:624
	ds_read_b128 v[91:94], v86 offset:640
	s_waitcnt vmcnt(10) lgkmcnt(1)
	v_fma_f64 v[87:88], v[115:116], v[87:88], v[99:100]
	s_waitcnt vmcnt(9)
	v_fma_f64 v[87:88], v[113:114], v[89:90], v[87:88]
	s_waitcnt vmcnt(8) lgkmcnt(0)
	v_fma_f64 v[87:88], v[111:112], v[91:92], v[87:88]
	s_waitcnt vmcnt(4)
	v_fma_f64 v[90:91], v[95:96], v[93:94], v[87:88]
	ds_read_b128 v[86:89], v86 offset:656
	s_waitcnt vmcnt(3) lgkmcnt(0)
	v_fma_f64 v[86:87], v[117:118], v[86:87], v[90:91]
	s_waitcnt vmcnt(2)
	v_fma_f64 v[86:87], v[97:98], v[88:89], v[86:87]
	s_waitcnt vmcnt(0)
	v_add_f64 v[86:87], v[101:102], -v[86:87]
	buffer_store_dword v87, off, s[0:3], 0 offset:220
	buffer_store_dword v86, off, s[0:3], 0 offset:216
	s_and_saveexec_b64 s[4:5], vcc
	s_cbranch_execz .LBB41_207
; %bb.206:
	buffer_load_dword v86, off, s[0:3], 0 offset:208
	buffer_load_dword v87, off, s[0:3], 0 offset:212
	v_mov_b32_e32 v88, 0
	buffer_store_dword v88, off, s[0:3], 0 offset:208
	buffer_store_dword v88, off, s[0:3], 0 offset:212
	s_waitcnt vmcnt(2)
	ds_write_b64 v85, v[86:87]
.LBB41_207:
	s_or_b64 exec, exec, s[4:5]
	s_waitcnt lgkmcnt(0)
	; wave barrier
	buffer_load_dword v95, off, s[0:3], 0 offset:216
	buffer_load_dword v96, off, s[0:3], 0 offset:220
	;; [unrolled: 1-line block ×22, first 2 shown]
	v_mov_b32_e32 v86, 0
	ds_read2_b64 v[87:90], v86 offset0:69 offset1:70
	ds_read2_b64 v[91:94], v86 offset0:71 offset1:72
	v_cmp_lt_u32_e32 vcc, 25, v0
	s_waitcnt vmcnt(20) lgkmcnt(1)
	v_fma_f64 v[87:88], v[95:96], v[87:88], 0
	s_waitcnt vmcnt(18)
	v_fma_f64 v[87:88], v[97:98], v[89:90], v[87:88]
	buffer_load_dword v96, off, s[0:3], 0 offset:308
	buffer_load_dword v97, off, s[0:3], 0 offset:328
	;; [unrolled: 1-line block ×8, first 2 shown]
	s_waitcnt vmcnt(24) lgkmcnt(0)
	v_fma_f64 v[87:88], v[99:100], v[91:92], v[87:88]
	s_waitcnt vmcnt(22)
	v_fma_f64 v[99:100], v[101:102], v[93:94], v[87:88]
	ds_read2_b64 v[87:90], v86 offset0:73 offset1:74
	ds_read2_b64 v[91:94], v86 offset0:75 offset1:76
	s_waitcnt vmcnt(20) lgkmcnt(1)
	v_fma_f64 v[87:88], v[103:104], v[87:88], v[99:100]
	buffer_load_dword v99, off, s[0:3], 0 offset:208
	buffer_load_dword v100, off, s[0:3], 0 offset:212
	s_waitcnt vmcnt(20)
	v_fma_f64 v[87:88], v[105:106], v[89:90], v[87:88]
	s_waitcnt vmcnt(18) lgkmcnt(0)
	v_fma_f64 v[87:88], v[107:108], v[91:92], v[87:88]
	s_waitcnt vmcnt(13)
	v_fma_f64 v[101:102], v[109:110], v[93:94], v[87:88]
	ds_read2_b64 v[87:90], v86 offset0:77 offset1:78
	ds_read2_b64 v[91:94], v86 offset0:79 offset1:80
	s_waitcnt vmcnt(12) lgkmcnt(1)
	v_fma_f64 v[87:88], v[115:116], v[87:88], v[101:102]
	s_waitcnt vmcnt(11)
	v_fma_f64 v[87:88], v[113:114], v[89:90], v[87:88]
	s_waitcnt vmcnt(10) lgkmcnt(0)
	v_fma_f64 v[87:88], v[111:112], v[91:92], v[87:88]
	s_waitcnt vmcnt(5)
	v_fma_f64 v[91:92], v[95:96], v[93:94], v[87:88]
	ds_read2_b64 v[87:90], v86 offset0:81 offset1:82
	ds_read_b64 v[93:94], v86 offset:664
	s_waitcnt vmcnt(4) lgkmcnt(1)
	v_fma_f64 v[87:88], v[119:120], v[87:88], v[91:92]
	s_waitcnt vmcnt(3)
	v_fma_f64 v[87:88], v[117:118], v[89:90], v[87:88]
	s_waitcnt vmcnt(2) lgkmcnt(0)
	v_fma_f64 v[87:88], v[97:98], v[93:94], v[87:88]
	s_waitcnt vmcnt(0)
	v_add_f64 v[87:88], v[99:100], -v[87:88]
	buffer_store_dword v88, off, s[0:3], 0 offset:212
	buffer_store_dword v87, off, s[0:3], 0 offset:208
	s_and_saveexec_b64 s[4:5], vcc
	s_cbranch_execz .LBB41_209
; %bb.208:
	buffer_load_dword v87, off, s[0:3], 0 offset:200
	buffer_load_dword v88, off, s[0:3], 0 offset:204
	s_waitcnt vmcnt(0)
	ds_write_b64 v85, v[87:88]
	buffer_store_dword v86, off, s[0:3], 0 offset:200
	buffer_store_dword v86, off, s[0:3], 0 offset:204
.LBB41_209:
	s_or_b64 exec, exec, s[4:5]
	s_waitcnt lgkmcnt(0)
	; wave barrier
	buffer_load_dword v95, off, s[0:3], 0 offset:208
	buffer_load_dword v96, off, s[0:3], 0 offset:212
	;; [unrolled: 1-line block ×22, first 2 shown]
	ds_read_b128 v[87:90], v86 offset:544
	ds_read_b128 v[91:94], v86 offset:560
	v_cmp_lt_u32_e32 vcc, 24, v0
	s_waitcnt vmcnt(20) lgkmcnt(1)
	v_fma_f64 v[87:88], v[95:96], v[87:88], 0
	s_waitcnt vmcnt(18)
	v_fma_f64 v[87:88], v[97:98], v[89:90], v[87:88]
	buffer_load_dword v96, off, s[0:3], 0 offset:300
	buffer_load_dword v97, off, s[0:3], 0 offset:320
	;; [unrolled: 1-line block ×8, first 2 shown]
	s_waitcnt vmcnt(24) lgkmcnt(0)
	v_fma_f64 v[87:88], v[99:100], v[91:92], v[87:88]
	s_waitcnt vmcnt(22)
	v_fma_f64 v[99:100], v[101:102], v[93:94], v[87:88]
	ds_read_b128 v[87:90], v86 offset:576
	ds_read_b128 v[91:94], v86 offset:592
	s_waitcnt vmcnt(20) lgkmcnt(1)
	v_fma_f64 v[87:88], v[103:104], v[87:88], v[99:100]
	buffer_load_dword v100, off, s[0:3], 0 offset:332
	buffer_load_dword v99, off, s[0:3], 0 offset:328
	;; [unrolled: 1-line block ×4, first 2 shown]
	s_waitcnt vmcnt(22)
	v_fma_f64 v[87:88], v[105:106], v[89:90], v[87:88]
	s_waitcnt vmcnt(20) lgkmcnt(0)
	v_fma_f64 v[87:88], v[107:108], v[91:92], v[87:88]
	s_waitcnt vmcnt(15)
	v_fma_f64 v[103:104], v[109:110], v[93:94], v[87:88]
	ds_read_b128 v[87:90], v86 offset:608
	ds_read_b128 v[91:94], v86 offset:624
	s_waitcnt vmcnt(14) lgkmcnt(1)
	v_fma_f64 v[87:88], v[115:116], v[87:88], v[103:104]
	s_waitcnt vmcnt(13)
	v_fma_f64 v[87:88], v[113:114], v[89:90], v[87:88]
	s_waitcnt vmcnt(12) lgkmcnt(0)
	v_fma_f64 v[87:88], v[111:112], v[91:92], v[87:88]
	s_waitcnt vmcnt(7)
	v_fma_f64 v[95:96], v[95:96], v[93:94], v[87:88]
	ds_read_b128 v[87:90], v86 offset:640
	ds_read_b128 v[91:94], v86 offset:656
	s_waitcnt vmcnt(6) lgkmcnt(1)
	v_fma_f64 v[86:87], v[119:120], v[87:88], v[95:96]
	s_waitcnt vmcnt(5)
	v_fma_f64 v[86:87], v[117:118], v[89:90], v[86:87]
	s_waitcnt vmcnt(4) lgkmcnt(0)
	v_fma_f64 v[86:87], v[97:98], v[91:92], v[86:87]
	s_waitcnt vmcnt(2)
	v_fma_f64 v[86:87], v[99:100], v[93:94], v[86:87]
	s_waitcnt vmcnt(0)
	v_add_f64 v[86:87], v[101:102], -v[86:87]
	buffer_store_dword v87, off, s[0:3], 0 offset:204
	buffer_store_dword v86, off, s[0:3], 0 offset:200
	s_and_saveexec_b64 s[4:5], vcc
	s_cbranch_execz .LBB41_211
; %bb.210:
	buffer_load_dword v86, off, s[0:3], 0 offset:192
	buffer_load_dword v87, off, s[0:3], 0 offset:196
	v_mov_b32_e32 v88, 0
	buffer_store_dword v88, off, s[0:3], 0 offset:192
	buffer_store_dword v88, off, s[0:3], 0 offset:196
	s_waitcnt vmcnt(2)
	ds_write_b64 v85, v[86:87]
.LBB41_211:
	s_or_b64 exec, exec, s[4:5]
	s_waitcnt lgkmcnt(0)
	; wave barrier
	buffer_load_dword v95, off, s[0:3], 0 offset:200
	buffer_load_dword v96, off, s[0:3], 0 offset:204
	;; [unrolled: 1-line block ×22, first 2 shown]
	v_mov_b32_e32 v86, 0
	ds_read2_b64 v[87:90], v86 offset0:67 offset1:68
	ds_read2_b64 v[91:94], v86 offset0:69 offset1:70
	v_cmp_lt_u32_e32 vcc, 23, v0
	s_waitcnt vmcnt(20) lgkmcnt(1)
	v_fma_f64 v[87:88], v[95:96], v[87:88], 0
	s_waitcnt vmcnt(18)
	v_fma_f64 v[87:88], v[97:98], v[89:90], v[87:88]
	buffer_load_dword v96, off, s[0:3], 0 offset:292
	buffer_load_dword v97, off, s[0:3], 0 offset:312
	;; [unrolled: 1-line block ×7, first 2 shown]
	s_waitcnt vmcnt(23) lgkmcnt(0)
	v_fma_f64 v[87:88], v[99:100], v[91:92], v[87:88]
	s_waitcnt vmcnt(21)
	v_fma_f64 v[98:99], v[101:102], v[93:94], v[87:88]
	ds_read2_b64 v[87:90], v86 offset0:71 offset1:72
	ds_read2_b64 v[91:94], v86 offset0:73 offset1:74
	s_waitcnt vmcnt(19) lgkmcnt(1)
	v_fma_f64 v[87:88], v[103:104], v[87:88], v[98:99]
	buffer_load_dword v98, off, s[0:3], 0 offset:316
	buffer_load_dword v100, off, s[0:3], 0 offset:324
	;; [unrolled: 1-line block ×7, first 2 shown]
	s_waitcnt vmcnt(24)
	v_fma_f64 v[87:88], v[105:106], v[89:90], v[87:88]
	s_waitcnt vmcnt(22) lgkmcnt(0)
	v_fma_f64 v[87:88], v[107:108], v[91:92], v[87:88]
	s_waitcnt vmcnt(17)
	v_fma_f64 v[105:106], v[109:110], v[93:94], v[87:88]
	ds_read2_b64 v[87:90], v86 offset0:75 offset1:76
	ds_read2_b64 v[91:94], v86 offset0:77 offset1:78
	s_waitcnt vmcnt(16) lgkmcnt(1)
	v_fma_f64 v[87:88], v[115:116], v[87:88], v[105:106]
	s_waitcnt vmcnt(15)
	v_fma_f64 v[87:88], v[113:114], v[89:90], v[87:88]
	s_waitcnt vmcnt(14) lgkmcnt(0)
	v_fma_f64 v[87:88], v[111:112], v[91:92], v[87:88]
	s_waitcnt vmcnt(9)
	v_fma_f64 v[95:96], v[95:96], v[93:94], v[87:88]
	ds_read2_b64 v[87:90], v86 offset0:79 offset1:80
	ds_read2_b64 v[91:94], v86 offset0:81 offset1:82
	s_waitcnt vmcnt(8) lgkmcnt(1)
	v_fma_f64 v[87:88], v[119:120], v[87:88], v[95:96]
	s_waitcnt vmcnt(7)
	v_fma_f64 v[87:88], v[117:118], v[89:90], v[87:88]
	ds_read_b64 v[89:90], v86 offset:664
	s_waitcnt vmcnt(6) lgkmcnt(1)
	v_fma_f64 v[87:88], v[97:98], v[91:92], v[87:88]
	s_waitcnt vmcnt(3)
	v_fma_f64 v[87:88], v[99:100], v[93:94], v[87:88]
	s_waitcnt vmcnt(2) lgkmcnt(0)
	v_fma_f64 v[87:88], v[101:102], v[89:90], v[87:88]
	s_waitcnt vmcnt(0)
	v_add_f64 v[87:88], v[103:104], -v[87:88]
	buffer_store_dword v88, off, s[0:3], 0 offset:196
	buffer_store_dword v87, off, s[0:3], 0 offset:192
	s_and_saveexec_b64 s[4:5], vcc
	s_cbranch_execz .LBB41_213
; %bb.212:
	buffer_load_dword v87, off, s[0:3], 0 offset:184
	buffer_load_dword v88, off, s[0:3], 0 offset:188
	s_waitcnt vmcnt(0)
	ds_write_b64 v85, v[87:88]
	buffer_store_dword v86, off, s[0:3], 0 offset:184
	buffer_store_dword v86, off, s[0:3], 0 offset:188
.LBB41_213:
	s_or_b64 exec, exec, s[4:5]
	s_waitcnt lgkmcnt(0)
	; wave barrier
	buffer_load_dword v95, off, s[0:3], 0 offset:192
	buffer_load_dword v96, off, s[0:3], 0 offset:196
	;; [unrolled: 1-line block ×22, first 2 shown]
	ds_read_b128 v[87:90], v86 offset:528
	ds_read_b128 v[91:94], v86 offset:544
	v_cmp_lt_u32_e32 vcc, 22, v0
	s_waitcnt vmcnt(20) lgkmcnt(1)
	v_fma_f64 v[87:88], v[95:96], v[87:88], 0
	s_waitcnt vmcnt(18)
	v_fma_f64 v[87:88], v[97:98], v[89:90], v[87:88]
	buffer_load_dword v96, off, s[0:3], 0 offset:284
	buffer_load_dword v97, off, s[0:3], 0 offset:304
	;; [unrolled: 1-line block ×7, first 2 shown]
	s_waitcnt vmcnt(23) lgkmcnt(0)
	v_fma_f64 v[87:88], v[99:100], v[91:92], v[87:88]
	s_waitcnt vmcnt(21)
	v_fma_f64 v[98:99], v[101:102], v[93:94], v[87:88]
	ds_read_b128 v[87:90], v86 offset:560
	ds_read_b128 v[91:94], v86 offset:576
	s_waitcnt vmcnt(19) lgkmcnt(1)
	v_fma_f64 v[87:88], v[103:104], v[87:88], v[98:99]
	buffer_load_dword v98, off, s[0:3], 0 offset:308
	buffer_load_dword v100, off, s[0:3], 0 offset:316
	;; [unrolled: 1-line block ×7, first 2 shown]
	s_waitcnt vmcnt(24)
	v_fma_f64 v[87:88], v[105:106], v[89:90], v[87:88]
	s_waitcnt vmcnt(22) lgkmcnt(0)
	v_fma_f64 v[87:88], v[107:108], v[91:92], v[87:88]
	s_waitcnt vmcnt(17)
	v_fma_f64 v[105:106], v[109:110], v[93:94], v[87:88]
	ds_read_b128 v[87:90], v86 offset:592
	buffer_load_dword v107, off, s[0:3], 0 offset:184
	buffer_load_dword v108, off, s[0:3], 0 offset:188
	ds_read_b128 v[91:94], v86 offset:608
	s_waitcnt vmcnt(18) lgkmcnt(1)
	v_fma_f64 v[87:88], v[115:116], v[87:88], v[105:106]
	s_waitcnt vmcnt(17)
	v_fma_f64 v[87:88], v[113:114], v[89:90], v[87:88]
	s_waitcnt vmcnt(16) lgkmcnt(0)
	v_fma_f64 v[87:88], v[111:112], v[91:92], v[87:88]
	s_waitcnt vmcnt(11)
	v_fma_f64 v[95:96], v[95:96], v[93:94], v[87:88]
	ds_read_b128 v[87:90], v86 offset:624
	ds_read_b128 v[91:94], v86 offset:640
	s_waitcnt vmcnt(10) lgkmcnt(1)
	v_fma_f64 v[87:88], v[119:120], v[87:88], v[95:96]
	s_waitcnt vmcnt(9)
	v_fma_f64 v[87:88], v[117:118], v[89:90], v[87:88]
	s_waitcnt vmcnt(8) lgkmcnt(0)
	v_fma_f64 v[87:88], v[97:98], v[91:92], v[87:88]
	s_waitcnt vmcnt(4)
	v_fma_f64 v[90:91], v[99:100], v[93:94], v[87:88]
	ds_read_b128 v[86:89], v86 offset:656
	s_waitcnt vmcnt(3) lgkmcnt(0)
	v_fma_f64 v[86:87], v[103:104], v[86:87], v[90:91]
	s_waitcnt vmcnt(2)
	v_fma_f64 v[86:87], v[101:102], v[88:89], v[86:87]
	s_waitcnt vmcnt(0)
	v_add_f64 v[86:87], v[107:108], -v[86:87]
	buffer_store_dword v87, off, s[0:3], 0 offset:188
	buffer_store_dword v86, off, s[0:3], 0 offset:184
	s_and_saveexec_b64 s[4:5], vcc
	s_cbranch_execz .LBB41_215
; %bb.214:
	buffer_load_dword v86, off, s[0:3], 0 offset:176
	buffer_load_dword v87, off, s[0:3], 0 offset:180
	v_mov_b32_e32 v88, 0
	buffer_store_dword v88, off, s[0:3], 0 offset:176
	buffer_store_dword v88, off, s[0:3], 0 offset:180
	s_waitcnt vmcnt(2)
	ds_write_b64 v85, v[86:87]
.LBB41_215:
	s_or_b64 exec, exec, s[4:5]
	s_waitcnt lgkmcnt(0)
	; wave barrier
	buffer_load_dword v95, off, s[0:3], 0 offset:184
	buffer_load_dword v96, off, s[0:3], 0 offset:188
	;; [unrolled: 1-line block ×22, first 2 shown]
	v_mov_b32_e32 v86, 0
	ds_read2_b64 v[87:90], v86 offset0:65 offset1:66
	ds_read2_b64 v[91:94], v86 offset0:67 offset1:68
	v_cmp_lt_u32_e32 vcc, 21, v0
	s_waitcnt vmcnt(20) lgkmcnt(1)
	v_fma_f64 v[87:88], v[95:96], v[87:88], 0
	s_waitcnt vmcnt(18)
	v_fma_f64 v[87:88], v[97:98], v[89:90], v[87:88]
	buffer_load_dword v96, off, s[0:3], 0 offset:276
	buffer_load_dword v97, off, s[0:3], 0 offset:296
	;; [unrolled: 1-line block ×7, first 2 shown]
	s_waitcnt vmcnt(23) lgkmcnt(0)
	v_fma_f64 v[87:88], v[99:100], v[91:92], v[87:88]
	s_waitcnt vmcnt(21)
	v_fma_f64 v[98:99], v[101:102], v[93:94], v[87:88]
	ds_read2_b64 v[87:90], v86 offset0:69 offset1:70
	ds_read2_b64 v[91:94], v86 offset0:71 offset1:72
	s_waitcnt vmcnt(19) lgkmcnt(1)
	v_fma_f64 v[87:88], v[103:104], v[87:88], v[98:99]
	buffer_load_dword v98, off, s[0:3], 0 offset:300
	s_waitcnt vmcnt(18)
	v_fma_f64 v[87:88], v[105:106], v[89:90], v[87:88]
	buffer_load_dword v100, off, s[0:3], 0 offset:308
	buffer_load_dword v101, off, s[0:3], 0 offset:328
	;; [unrolled: 1-line block ×8, first 2 shown]
	s_waitcnt vmcnt(24) lgkmcnt(0)
	v_fma_f64 v[87:88], v[107:108], v[91:92], v[87:88]
	s_waitcnt vmcnt(19)
	v_fma_f64 v[107:108], v[109:110], v[93:94], v[87:88]
	ds_read2_b64 v[87:90], v86 offset0:73 offset1:74
	ds_read2_b64 v[91:94], v86 offset0:75 offset1:76
	s_waitcnt vmcnt(18) lgkmcnt(1)
	v_fma_f64 v[87:88], v[115:116], v[87:88], v[107:108]
	buffer_load_dword v107, off, s[0:3], 0 offset:176
	buffer_load_dword v108, off, s[0:3], 0 offset:180
	s_waitcnt vmcnt(19)
	v_fma_f64 v[87:88], v[113:114], v[89:90], v[87:88]
	s_waitcnt vmcnt(18) lgkmcnt(0)
	v_fma_f64 v[87:88], v[111:112], v[91:92], v[87:88]
	s_waitcnt vmcnt(13)
	v_fma_f64 v[95:96], v[95:96], v[93:94], v[87:88]
	ds_read2_b64 v[87:90], v86 offset0:77 offset1:78
	ds_read2_b64 v[91:94], v86 offset0:79 offset1:80
	s_waitcnt vmcnt(12) lgkmcnt(1)
	v_fma_f64 v[87:88], v[119:120], v[87:88], v[95:96]
	s_waitcnt vmcnt(11)
	v_fma_f64 v[87:88], v[117:118], v[89:90], v[87:88]
	s_waitcnt vmcnt(10) lgkmcnt(0)
	v_fma_f64 v[87:88], v[97:98], v[91:92], v[87:88]
	s_waitcnt vmcnt(5)
	v_fma_f64 v[91:92], v[99:100], v[93:94], v[87:88]
	ds_read2_b64 v[87:90], v86 offset0:81 offset1:82
	ds_read_b64 v[93:94], v86 offset:664
	s_waitcnt vmcnt(4) lgkmcnt(1)
	v_fma_f64 v[87:88], v[105:106], v[87:88], v[91:92]
	s_waitcnt vmcnt(3)
	v_fma_f64 v[87:88], v[103:104], v[89:90], v[87:88]
	s_waitcnt vmcnt(2) lgkmcnt(0)
	v_fma_f64 v[87:88], v[101:102], v[93:94], v[87:88]
	s_waitcnt vmcnt(0)
	v_add_f64 v[87:88], v[107:108], -v[87:88]
	buffer_store_dword v88, off, s[0:3], 0 offset:180
	buffer_store_dword v87, off, s[0:3], 0 offset:176
	s_and_saveexec_b64 s[4:5], vcc
	s_cbranch_execz .LBB41_217
; %bb.216:
	buffer_load_dword v87, off, s[0:3], 0 offset:168
	buffer_load_dword v88, off, s[0:3], 0 offset:172
	s_waitcnt vmcnt(0)
	ds_write_b64 v85, v[87:88]
	buffer_store_dword v86, off, s[0:3], 0 offset:168
	buffer_store_dword v86, off, s[0:3], 0 offset:172
.LBB41_217:
	s_or_b64 exec, exec, s[4:5]
	s_waitcnt lgkmcnt(0)
	; wave barrier
	buffer_load_dword v95, off, s[0:3], 0 offset:176
	buffer_load_dword v96, off, s[0:3], 0 offset:180
	;; [unrolled: 1-line block ×22, first 2 shown]
	ds_read_b128 v[87:90], v86 offset:512
	ds_read_b128 v[91:94], v86 offset:528
	v_cmp_lt_u32_e32 vcc, 20, v0
	s_waitcnt vmcnt(20) lgkmcnt(1)
	v_fma_f64 v[87:88], v[95:96], v[87:88], 0
	s_waitcnt vmcnt(18)
	v_fma_f64 v[87:88], v[97:98], v[89:90], v[87:88]
	buffer_load_dword v96, off, s[0:3], 0 offset:268
	buffer_load_dword v97, off, s[0:3], 0 offset:288
	;; [unrolled: 1-line block ×7, first 2 shown]
	s_waitcnt vmcnt(23) lgkmcnt(0)
	v_fma_f64 v[87:88], v[99:100], v[91:92], v[87:88]
	s_waitcnt vmcnt(21)
	v_fma_f64 v[98:99], v[101:102], v[93:94], v[87:88]
	ds_read_b128 v[87:90], v86 offset:544
	ds_read_b128 v[91:94], v86 offset:560
	s_waitcnt vmcnt(19) lgkmcnt(1)
	v_fma_f64 v[87:88], v[103:104], v[87:88], v[98:99]
	buffer_load_dword v98, off, s[0:3], 0 offset:292
	s_waitcnt vmcnt(18)
	v_fma_f64 v[87:88], v[105:106], v[89:90], v[87:88]
	buffer_load_dword v100, off, s[0:3], 0 offset:300
	buffer_load_dword v101, off, s[0:3], 0 offset:320
	;; [unrolled: 1-line block ×8, first 2 shown]
	s_waitcnt vmcnt(24) lgkmcnt(0)
	v_fma_f64 v[87:88], v[107:108], v[91:92], v[87:88]
	s_waitcnt vmcnt(19)
	v_fma_f64 v[107:108], v[109:110], v[93:94], v[87:88]
	ds_read_b128 v[87:90], v86 offset:576
	ds_read_b128 v[91:94], v86 offset:592
	s_waitcnt vmcnt(18) lgkmcnt(1)
	v_fma_f64 v[87:88], v[115:116], v[87:88], v[107:108]
	buffer_load_dword v108, off, s[0:3], 0 offset:332
	buffer_load_dword v107, off, s[0:3], 0 offset:328
	;; [unrolled: 1-line block ×4, first 2 shown]
	s_waitcnt vmcnt(21)
	v_fma_f64 v[87:88], v[113:114], v[89:90], v[87:88]
	s_waitcnt vmcnt(20) lgkmcnt(0)
	v_fma_f64 v[87:88], v[111:112], v[91:92], v[87:88]
	s_waitcnt vmcnt(15)
	v_fma_f64 v[95:96], v[95:96], v[93:94], v[87:88]
	ds_read_b128 v[87:90], v86 offset:608
	ds_read_b128 v[91:94], v86 offset:624
	s_waitcnt vmcnt(14) lgkmcnt(1)
	v_fma_f64 v[87:88], v[119:120], v[87:88], v[95:96]
	s_waitcnt vmcnt(13)
	v_fma_f64 v[87:88], v[117:118], v[89:90], v[87:88]
	s_waitcnt vmcnt(12) lgkmcnt(0)
	v_fma_f64 v[87:88], v[97:98], v[91:92], v[87:88]
	s_waitcnt vmcnt(7)
	v_fma_f64 v[95:96], v[99:100], v[93:94], v[87:88]
	ds_read_b128 v[87:90], v86 offset:640
	ds_read_b128 v[91:94], v86 offset:656
	s_waitcnt vmcnt(6) lgkmcnt(1)
	v_fma_f64 v[86:87], v[105:106], v[87:88], v[95:96]
	s_waitcnt vmcnt(5)
	v_fma_f64 v[86:87], v[103:104], v[89:90], v[86:87]
	s_waitcnt vmcnt(4) lgkmcnt(0)
	v_fma_f64 v[86:87], v[101:102], v[91:92], v[86:87]
	s_waitcnt vmcnt(2)
	v_fma_f64 v[86:87], v[107:108], v[93:94], v[86:87]
	s_waitcnt vmcnt(0)
	v_add_f64 v[86:87], v[109:110], -v[86:87]
	buffer_store_dword v87, off, s[0:3], 0 offset:172
	buffer_store_dword v86, off, s[0:3], 0 offset:168
	s_and_saveexec_b64 s[4:5], vcc
	s_cbranch_execz .LBB41_219
; %bb.218:
	buffer_load_dword v86, off, s[0:3], 0 offset:160
	buffer_load_dword v87, off, s[0:3], 0 offset:164
	v_mov_b32_e32 v88, 0
	buffer_store_dword v88, off, s[0:3], 0 offset:160
	buffer_store_dword v88, off, s[0:3], 0 offset:164
	s_waitcnt vmcnt(2)
	ds_write_b64 v85, v[86:87]
.LBB41_219:
	s_or_b64 exec, exec, s[4:5]
	s_waitcnt lgkmcnt(0)
	; wave barrier
	buffer_load_dword v95, off, s[0:3], 0 offset:168
	buffer_load_dword v96, off, s[0:3], 0 offset:172
	;; [unrolled: 1-line block ×21, first 2 shown]
	v_mov_b32_e32 v86, 0
	ds_read2_b64 v[87:90], v86 offset0:63 offset1:64
	ds_read2_b64 v[91:94], v86 offset0:65 offset1:66
	buffer_load_dword v112, off, s[0:3], 0 offset:252
	v_cmp_lt_u32_e32 vcc, 19, v0
	s_waitcnt vmcnt(20) lgkmcnt(1)
	v_fma_f64 v[87:88], v[95:96], v[87:88], 0
	s_waitcnt vmcnt(18)
	v_fma_f64 v[87:88], v[97:98], v[89:90], v[87:88]
	buffer_load_dword v96, off, s[0:3], 0 offset:260
	buffer_load_dword v97, off, s[0:3], 0 offset:280
	;; [unrolled: 1-line block ×7, first 2 shown]
	s_waitcnt vmcnt(23) lgkmcnt(0)
	v_fma_f64 v[87:88], v[99:100], v[91:92], v[87:88]
	s_waitcnt vmcnt(21)
	v_fma_f64 v[98:99], v[101:102], v[93:94], v[87:88]
	ds_read2_b64 v[87:90], v86 offset0:67 offset1:68
	ds_read2_b64 v[91:94], v86 offset0:69 offset1:70
	s_waitcnt vmcnt(19) lgkmcnt(1)
	v_fma_f64 v[87:88], v[103:104], v[87:88], v[98:99]
	buffer_load_dword v98, off, s[0:3], 0 offset:284
	s_waitcnt vmcnt(18)
	v_fma_f64 v[87:88], v[105:106], v[89:90], v[87:88]
	buffer_load_dword v100, off, s[0:3], 0 offset:292
	buffer_load_dword v101, off, s[0:3], 0 offset:312
	;; [unrolled: 1-line block ×7, first 2 shown]
	s_waitcnt vmcnt(23) lgkmcnt(0)
	v_fma_f64 v[87:88], v[107:108], v[91:92], v[87:88]
	s_waitcnt vmcnt(18)
	v_fma_f64 v[107:108], v[109:110], v[93:94], v[87:88]
	ds_read2_b64 v[87:90], v86 offset0:71 offset1:72
	ds_read2_b64 v[91:94], v86 offset0:73 offset1:74
	buffer_load_dword v102, off, s[0:3], 0 offset:316
	s_waitcnt vmcnt(18) lgkmcnt(1)
	v_fma_f64 v[87:88], v[115:116], v[87:88], v[107:108]
	buffer_load_dword v108, off, s[0:3], 0 offset:324
	buffer_load_dword v109, off, s[0:3], 0 offset:328
	;; [unrolled: 1-line block ×4, first 2 shown]
	s_waitcnt vmcnt(21)
	v_fma_f64 v[87:88], v[113:114], v[89:90], v[87:88]
	s_waitcnt vmcnt(20) lgkmcnt(0)
	v_fma_f64 v[87:88], v[111:112], v[91:92], v[87:88]
	buffer_load_dword v111, off, s[0:3], 0 offset:160
	buffer_load_dword v112, off, s[0:3], 0 offset:164
	s_waitcnt vmcnt(17)
	v_fma_f64 v[95:96], v[95:96], v[93:94], v[87:88]
	ds_read2_b64 v[87:90], v86 offset0:75 offset1:76
	ds_read2_b64 v[91:94], v86 offset0:77 offset1:78
	s_waitcnt vmcnt(16) lgkmcnt(1)
	v_fma_f64 v[87:88], v[119:120], v[87:88], v[95:96]
	s_waitcnt vmcnt(15)
	v_fma_f64 v[87:88], v[117:118], v[89:90], v[87:88]
	s_waitcnt vmcnt(14) lgkmcnt(0)
	v_fma_f64 v[87:88], v[97:98], v[91:92], v[87:88]
	s_waitcnt vmcnt(9)
	v_fma_f64 v[95:96], v[99:100], v[93:94], v[87:88]
	ds_read2_b64 v[87:90], v86 offset0:79 offset1:80
	ds_read2_b64 v[91:94], v86 offset0:81 offset1:82
	s_waitcnt vmcnt(8) lgkmcnt(1)
	v_fma_f64 v[87:88], v[105:106], v[87:88], v[95:96]
	s_waitcnt vmcnt(7)
	v_fma_f64 v[87:88], v[103:104], v[89:90], v[87:88]
	ds_read_b64 v[89:90], v86 offset:664
	s_waitcnt vmcnt(6) lgkmcnt(1)
	v_fma_f64 v[87:88], v[101:102], v[91:92], v[87:88]
	s_waitcnt vmcnt(3)
	v_fma_f64 v[87:88], v[107:108], v[93:94], v[87:88]
	s_waitcnt vmcnt(2) lgkmcnt(0)
	v_fma_f64 v[87:88], v[109:110], v[89:90], v[87:88]
	s_waitcnt vmcnt(0)
	v_add_f64 v[87:88], v[111:112], -v[87:88]
	buffer_store_dword v88, off, s[0:3], 0 offset:164
	buffer_store_dword v87, off, s[0:3], 0 offset:160
	s_and_saveexec_b64 s[4:5], vcc
	s_cbranch_execz .LBB41_221
; %bb.220:
	buffer_load_dword v87, off, s[0:3], 0 offset:152
	buffer_load_dword v88, off, s[0:3], 0 offset:156
	s_waitcnt vmcnt(0)
	ds_write_b64 v85, v[87:88]
	buffer_store_dword v86, off, s[0:3], 0 offset:152
	buffer_store_dword v86, off, s[0:3], 0 offset:156
.LBB41_221:
	s_or_b64 exec, exec, s[4:5]
	s_waitcnt lgkmcnt(0)
	; wave barrier
	buffer_load_dword v95, off, s[0:3], 0 offset:160
	buffer_load_dword v96, off, s[0:3], 0 offset:164
	;; [unrolled: 1-line block ×21, first 2 shown]
	ds_read_b128 v[87:90], v86 offset:496
	ds_read_b128 v[91:94], v86 offset:512
	buffer_load_dword v112, off, s[0:3], 0 offset:244
	v_cmp_lt_u32_e32 vcc, 18, v0
	s_waitcnt vmcnt(20) lgkmcnt(1)
	v_fma_f64 v[87:88], v[95:96], v[87:88], 0
	s_waitcnt vmcnt(18)
	v_fma_f64 v[87:88], v[97:98], v[89:90], v[87:88]
	buffer_load_dword v96, off, s[0:3], 0 offset:252
	buffer_load_dword v97, off, s[0:3], 0 offset:272
	;; [unrolled: 1-line block ×7, first 2 shown]
	s_waitcnt vmcnt(23) lgkmcnt(0)
	v_fma_f64 v[87:88], v[99:100], v[91:92], v[87:88]
	s_waitcnt vmcnt(21)
	v_fma_f64 v[98:99], v[101:102], v[93:94], v[87:88]
	ds_read_b128 v[87:90], v86 offset:528
	ds_read_b128 v[91:94], v86 offset:544
	s_waitcnt vmcnt(19) lgkmcnt(1)
	v_fma_f64 v[87:88], v[103:104], v[87:88], v[98:99]
	buffer_load_dword v98, off, s[0:3], 0 offset:276
	s_waitcnt vmcnt(18)
	v_fma_f64 v[87:88], v[105:106], v[89:90], v[87:88]
	buffer_load_dword v100, off, s[0:3], 0 offset:284
	buffer_load_dword v101, off, s[0:3], 0 offset:304
	;; [unrolled: 1-line block ×8, first 2 shown]
	s_waitcnt vmcnt(24) lgkmcnt(0)
	v_fma_f64 v[87:88], v[107:108], v[91:92], v[87:88]
	s_waitcnt vmcnt(19)
	v_fma_f64 v[107:108], v[109:110], v[93:94], v[87:88]
	ds_read_b128 v[87:90], v86 offset:560
	ds_read_b128 v[91:94], v86 offset:576
	s_waitcnt vmcnt(18) lgkmcnt(1)
	v_fma_f64 v[87:88], v[115:116], v[87:88], v[107:108]
	s_waitcnt vmcnt(17)
	v_fma_f64 v[87:88], v[113:114], v[89:90], v[87:88]
	buffer_load_dword v108, off, s[0:3], 0 offset:316
	buffer_load_dword v109, off, s[0:3], 0 offset:328
	;; [unrolled: 1-line block ×6, first 2 shown]
	s_waitcnt vmcnt(22) lgkmcnt(0)
	v_fma_f64 v[87:88], v[111:112], v[91:92], v[87:88]
	s_waitcnt vmcnt(17)
	v_fma_f64 v[95:96], v[95:96], v[93:94], v[87:88]
	ds_read_b128 v[87:90], v86 offset:592
	buffer_load_dword v111, off, s[0:3], 0 offset:152
	buffer_load_dword v112, off, s[0:3], 0 offset:156
	ds_read_b128 v[91:94], v86 offset:608
	s_waitcnt vmcnt(18) lgkmcnt(1)
	v_fma_f64 v[87:88], v[119:120], v[87:88], v[95:96]
	s_waitcnt vmcnt(17)
	v_fma_f64 v[87:88], v[117:118], v[89:90], v[87:88]
	s_waitcnt vmcnt(16) lgkmcnt(0)
	v_fma_f64 v[87:88], v[97:98], v[91:92], v[87:88]
	s_waitcnt vmcnt(11)
	v_fma_f64 v[95:96], v[99:100], v[93:94], v[87:88]
	ds_read_b128 v[87:90], v86 offset:624
	ds_read_b128 v[91:94], v86 offset:640
	s_waitcnt vmcnt(10) lgkmcnt(1)
	v_fma_f64 v[87:88], v[105:106], v[87:88], v[95:96]
	s_waitcnt vmcnt(9)
	v_fma_f64 v[87:88], v[103:104], v[89:90], v[87:88]
	s_waitcnt vmcnt(8) lgkmcnt(0)
	v_fma_f64 v[87:88], v[101:102], v[91:92], v[87:88]
	s_waitcnt vmcnt(4)
	v_fma_f64 v[90:91], v[107:108], v[93:94], v[87:88]
	ds_read_b128 v[86:89], v86 offset:656
	s_waitcnt vmcnt(3) lgkmcnt(0)
	v_fma_f64 v[86:87], v[113:114], v[86:87], v[90:91]
	s_waitcnt vmcnt(2)
	v_fma_f64 v[86:87], v[109:110], v[88:89], v[86:87]
	s_waitcnt vmcnt(0)
	v_add_f64 v[86:87], v[111:112], -v[86:87]
	buffer_store_dword v87, off, s[0:3], 0 offset:156
	buffer_store_dword v86, off, s[0:3], 0 offset:152
	s_and_saveexec_b64 s[4:5], vcc
	s_cbranch_execz .LBB41_223
; %bb.222:
	buffer_load_dword v86, off, s[0:3], 0 offset:144
	buffer_load_dword v87, off, s[0:3], 0 offset:148
	v_mov_b32_e32 v88, 0
	buffer_store_dword v88, off, s[0:3], 0 offset:144
	buffer_store_dword v88, off, s[0:3], 0 offset:148
	s_waitcnt vmcnt(2)
	ds_write_b64 v85, v[86:87]
.LBB41_223:
	s_or_b64 exec, exec, s[4:5]
	s_waitcnt lgkmcnt(0)
	; wave barrier
	buffer_load_dword v95, off, s[0:3], 0 offset:152
	buffer_load_dword v96, off, s[0:3], 0 offset:156
	;; [unrolled: 1-line block ×21, first 2 shown]
	v_mov_b32_e32 v86, 0
	ds_read2_b64 v[87:90], v86 offset0:61 offset1:62
	ds_read2_b64 v[91:94], v86 offset0:63 offset1:64
	buffer_load_dword v112, off, s[0:3], 0 offset:236
	v_cmp_lt_u32_e32 vcc, 17, v0
	s_waitcnt vmcnt(20) lgkmcnt(1)
	v_fma_f64 v[87:88], v[95:96], v[87:88], 0
	s_waitcnt vmcnt(18)
	v_fma_f64 v[87:88], v[97:98], v[89:90], v[87:88]
	buffer_load_dword v96, off, s[0:3], 0 offset:244
	buffer_load_dword v97, off, s[0:3], 0 offset:264
	;; [unrolled: 1-line block ×7, first 2 shown]
	s_waitcnt vmcnt(23) lgkmcnt(0)
	v_fma_f64 v[87:88], v[99:100], v[91:92], v[87:88]
	s_waitcnt vmcnt(21)
	v_fma_f64 v[98:99], v[101:102], v[93:94], v[87:88]
	ds_read2_b64 v[87:90], v86 offset0:65 offset1:66
	ds_read2_b64 v[91:94], v86 offset0:67 offset1:68
	s_waitcnt vmcnt(19) lgkmcnt(1)
	v_fma_f64 v[87:88], v[103:104], v[87:88], v[98:99]
	buffer_load_dword v98, off, s[0:3], 0 offset:268
	s_waitcnt vmcnt(18)
	v_fma_f64 v[87:88], v[105:106], v[89:90], v[87:88]
	buffer_load_dword v100, off, s[0:3], 0 offset:276
	buffer_load_dword v101, off, s[0:3], 0 offset:296
	;; [unrolled: 1-line block ×8, first 2 shown]
	s_waitcnt vmcnt(24) lgkmcnt(0)
	v_fma_f64 v[87:88], v[107:108], v[91:92], v[87:88]
	s_waitcnt vmcnt(19)
	v_fma_f64 v[107:108], v[109:110], v[93:94], v[87:88]
	ds_read2_b64 v[87:90], v86 offset0:69 offset1:70
	ds_read2_b64 v[91:94], v86 offset0:71 offset1:72
	s_waitcnt vmcnt(18) lgkmcnt(1)
	v_fma_f64 v[87:88], v[115:116], v[87:88], v[107:108]
	s_waitcnt vmcnt(17)
	v_fma_f64 v[87:88], v[113:114], v[89:90], v[87:88]
	buffer_load_dword v108, off, s[0:3], 0 offset:308
	buffer_load_dword v109, off, s[0:3], 0 offset:328
	;; [unrolled: 1-line block ×8, first 2 shown]
	s_waitcnt vmcnt(24) lgkmcnt(0)
	v_fma_f64 v[87:88], v[111:112], v[91:92], v[87:88]
	s_waitcnt vmcnt(19)
	v_fma_f64 v[95:96], v[95:96], v[93:94], v[87:88]
	ds_read2_b64 v[87:90], v86 offset0:73 offset1:74
	ds_read2_b64 v[91:94], v86 offset0:75 offset1:76
	s_waitcnt vmcnt(18) lgkmcnt(1)
	v_fma_f64 v[87:88], v[119:120], v[87:88], v[95:96]
	buffer_load_dword v95, off, s[0:3], 0 offset:144
	buffer_load_dword v96, off, s[0:3], 0 offset:148
	s_waitcnt vmcnt(19)
	v_fma_f64 v[87:88], v[117:118], v[89:90], v[87:88]
	s_waitcnt vmcnt(18) lgkmcnt(0)
	v_fma_f64 v[87:88], v[97:98], v[91:92], v[87:88]
	s_waitcnt vmcnt(13)
	v_fma_f64 v[97:98], v[99:100], v[93:94], v[87:88]
	ds_read2_b64 v[87:90], v86 offset0:77 offset1:78
	ds_read2_b64 v[91:94], v86 offset0:79 offset1:80
	s_waitcnt vmcnt(12) lgkmcnt(1)
	v_fma_f64 v[87:88], v[105:106], v[87:88], v[97:98]
	s_waitcnt vmcnt(11)
	v_fma_f64 v[87:88], v[103:104], v[89:90], v[87:88]
	s_waitcnt vmcnt(10) lgkmcnt(0)
	v_fma_f64 v[87:88], v[101:102], v[91:92], v[87:88]
	s_waitcnt vmcnt(5)
	v_fma_f64 v[91:92], v[107:108], v[93:94], v[87:88]
	ds_read2_b64 v[87:90], v86 offset0:81 offset1:82
	ds_read_b64 v[93:94], v86 offset:664
	s_waitcnt vmcnt(4) lgkmcnt(1)
	v_fma_f64 v[87:88], v[115:116], v[87:88], v[91:92]
	s_waitcnt vmcnt(3)
	v_fma_f64 v[87:88], v[113:114], v[89:90], v[87:88]
	s_waitcnt vmcnt(2) lgkmcnt(0)
	v_fma_f64 v[87:88], v[109:110], v[93:94], v[87:88]
	s_waitcnt vmcnt(0)
	v_add_f64 v[87:88], v[95:96], -v[87:88]
	buffer_store_dword v88, off, s[0:3], 0 offset:148
	buffer_store_dword v87, off, s[0:3], 0 offset:144
	s_and_saveexec_b64 s[4:5], vcc
	s_cbranch_execz .LBB41_225
; %bb.224:
	buffer_load_dword v87, off, s[0:3], 0 offset:136
	buffer_load_dword v88, off, s[0:3], 0 offset:140
	s_waitcnt vmcnt(0)
	ds_write_b64 v85, v[87:88]
	buffer_store_dword v86, off, s[0:3], 0 offset:136
	buffer_store_dword v86, off, s[0:3], 0 offset:140
.LBB41_225:
	s_or_b64 exec, exec, s[4:5]
	s_waitcnt lgkmcnt(0)
	; wave barrier
	buffer_load_dword v95, off, s[0:3], 0 offset:144
	buffer_load_dword v96, off, s[0:3], 0 offset:148
	;; [unrolled: 1-line block ×21, first 2 shown]
	ds_read_b128 v[87:90], v86 offset:480
	ds_read_b128 v[91:94], v86 offset:496
	buffer_load_dword v112, off, s[0:3], 0 offset:228
	v_cmp_lt_u32_e32 vcc, 16, v0
	s_waitcnt vmcnt(20) lgkmcnt(1)
	v_fma_f64 v[87:88], v[95:96], v[87:88], 0
	s_waitcnt vmcnt(18)
	v_fma_f64 v[87:88], v[97:98], v[89:90], v[87:88]
	buffer_load_dword v96, off, s[0:3], 0 offset:236
	buffer_load_dword v97, off, s[0:3], 0 offset:256
	;; [unrolled: 1-line block ×7, first 2 shown]
	s_waitcnt vmcnt(23) lgkmcnt(0)
	v_fma_f64 v[87:88], v[99:100], v[91:92], v[87:88]
	s_waitcnt vmcnt(21)
	v_fma_f64 v[98:99], v[101:102], v[93:94], v[87:88]
	ds_read_b128 v[87:90], v86 offset:512
	ds_read_b128 v[91:94], v86 offset:528
	s_waitcnt vmcnt(19) lgkmcnt(1)
	v_fma_f64 v[87:88], v[103:104], v[87:88], v[98:99]
	buffer_load_dword v98, off, s[0:3], 0 offset:260
	s_waitcnt vmcnt(18)
	v_fma_f64 v[87:88], v[105:106], v[89:90], v[87:88]
	buffer_load_dword v100, off, s[0:3], 0 offset:268
	buffer_load_dword v101, off, s[0:3], 0 offset:288
	;; [unrolled: 1-line block ×8, first 2 shown]
	s_waitcnt vmcnt(24) lgkmcnt(0)
	v_fma_f64 v[87:88], v[107:108], v[91:92], v[87:88]
	s_waitcnt vmcnt(19)
	v_fma_f64 v[107:108], v[109:110], v[93:94], v[87:88]
	ds_read_b128 v[87:90], v86 offset:544
	ds_read_b128 v[91:94], v86 offset:560
	s_waitcnt vmcnt(18) lgkmcnt(1)
	v_fma_f64 v[87:88], v[115:116], v[87:88], v[107:108]
	s_waitcnt vmcnt(17)
	v_fma_f64 v[87:88], v[113:114], v[89:90], v[87:88]
	buffer_load_dword v108, off, s[0:3], 0 offset:300
	buffer_load_dword v109, off, s[0:3], 0 offset:320
	;; [unrolled: 1-line block ×8, first 2 shown]
	s_waitcnt vmcnt(24) lgkmcnt(0)
	v_fma_f64 v[87:88], v[111:112], v[91:92], v[87:88]
	s_waitcnt vmcnt(19)
	v_fma_f64 v[95:96], v[95:96], v[93:94], v[87:88]
	ds_read_b128 v[87:90], v86 offset:576
	ds_read_b128 v[91:94], v86 offset:592
	s_waitcnt vmcnt(18) lgkmcnt(1)
	v_fma_f64 v[87:88], v[119:120], v[87:88], v[95:96]
	buffer_load_dword v96, off, s[0:3], 0 offset:332
	buffer_load_dword v95, off, s[0:3], 0 offset:328
	;; [unrolled: 1-line block ×4, first 2 shown]
	s_waitcnt vmcnt(21)
	v_fma_f64 v[87:88], v[117:118], v[89:90], v[87:88]
	s_waitcnt vmcnt(20) lgkmcnt(0)
	v_fma_f64 v[87:88], v[97:98], v[91:92], v[87:88]
	s_waitcnt vmcnt(15)
	v_fma_f64 v[97:98], v[99:100], v[93:94], v[87:88]
	ds_read_b128 v[87:90], v86 offset:608
	ds_read_b128 v[91:94], v86 offset:624
	s_waitcnt vmcnt(14) lgkmcnt(1)
	v_fma_f64 v[87:88], v[105:106], v[87:88], v[97:98]
	s_waitcnt vmcnt(13)
	v_fma_f64 v[87:88], v[103:104], v[89:90], v[87:88]
	s_waitcnt vmcnt(12) lgkmcnt(0)
	v_fma_f64 v[87:88], v[101:102], v[91:92], v[87:88]
	s_waitcnt vmcnt(7)
	v_fma_f64 v[97:98], v[107:108], v[93:94], v[87:88]
	ds_read_b128 v[87:90], v86 offset:640
	ds_read_b128 v[91:94], v86 offset:656
	s_waitcnt vmcnt(6) lgkmcnt(1)
	v_fma_f64 v[86:87], v[115:116], v[87:88], v[97:98]
	s_waitcnt vmcnt(5)
	v_fma_f64 v[86:87], v[113:114], v[89:90], v[86:87]
	s_waitcnt vmcnt(4) lgkmcnt(0)
	v_fma_f64 v[86:87], v[109:110], v[91:92], v[86:87]
	s_waitcnt vmcnt(2)
	v_fma_f64 v[86:87], v[95:96], v[93:94], v[86:87]
	s_waitcnt vmcnt(0)
	v_add_f64 v[86:87], v[111:112], -v[86:87]
	buffer_store_dword v87, off, s[0:3], 0 offset:140
	buffer_store_dword v86, off, s[0:3], 0 offset:136
	s_and_saveexec_b64 s[4:5], vcc
	s_cbranch_execz .LBB41_227
; %bb.226:
	buffer_load_dword v86, off, s[0:3], 0 offset:128
	buffer_load_dword v87, off, s[0:3], 0 offset:132
	v_mov_b32_e32 v88, 0
	buffer_store_dword v88, off, s[0:3], 0 offset:128
	buffer_store_dword v88, off, s[0:3], 0 offset:132
	s_waitcnt vmcnt(2)
	ds_write_b64 v85, v[86:87]
.LBB41_227:
	s_or_b64 exec, exec, s[4:5]
	s_waitcnt lgkmcnt(0)
	; wave barrier
	buffer_load_dword v95, off, s[0:3], 0 offset:136
	buffer_load_dword v96, off, s[0:3], 0 offset:140
	;; [unrolled: 1-line block ×21, first 2 shown]
	v_mov_b32_e32 v86, 0
	ds_read2_b64 v[87:90], v86 offset0:59 offset1:60
	ds_read2_b64 v[91:94], v86 offset0:61 offset1:62
	buffer_load_dword v112, off, s[0:3], 0 offset:220
	v_cmp_lt_u32_e32 vcc, 15, v0
	s_waitcnt vmcnt(20) lgkmcnt(1)
	v_fma_f64 v[87:88], v[95:96], v[87:88], 0
	s_waitcnt vmcnt(18)
	v_fma_f64 v[87:88], v[97:98], v[89:90], v[87:88]
	buffer_load_dword v96, off, s[0:3], 0 offset:228
	buffer_load_dword v97, off, s[0:3], 0 offset:248
	;; [unrolled: 1-line block ×7, first 2 shown]
	s_waitcnt vmcnt(23) lgkmcnt(0)
	v_fma_f64 v[87:88], v[99:100], v[91:92], v[87:88]
	s_waitcnt vmcnt(21)
	v_fma_f64 v[98:99], v[101:102], v[93:94], v[87:88]
	ds_read2_b64 v[87:90], v86 offset0:63 offset1:64
	ds_read2_b64 v[91:94], v86 offset0:65 offset1:66
	s_waitcnt vmcnt(19) lgkmcnt(1)
	v_fma_f64 v[87:88], v[103:104], v[87:88], v[98:99]
	buffer_load_dword v98, off, s[0:3], 0 offset:252
	s_waitcnt vmcnt(18)
	v_fma_f64 v[87:88], v[105:106], v[89:90], v[87:88]
	buffer_load_dword v100, off, s[0:3], 0 offset:260
	buffer_load_dword v101, off, s[0:3], 0 offset:280
	;; [unrolled: 1-line block ×8, first 2 shown]
	s_waitcnt vmcnt(24) lgkmcnt(0)
	v_fma_f64 v[87:88], v[107:108], v[91:92], v[87:88]
	s_waitcnt vmcnt(19)
	v_fma_f64 v[107:108], v[109:110], v[93:94], v[87:88]
	ds_read2_b64 v[87:90], v86 offset0:67 offset1:68
	ds_read2_b64 v[91:94], v86 offset0:69 offset1:70
	s_waitcnt vmcnt(18) lgkmcnt(1)
	v_fma_f64 v[87:88], v[115:116], v[87:88], v[107:108]
	s_waitcnt vmcnt(17)
	v_fma_f64 v[87:88], v[113:114], v[89:90], v[87:88]
	buffer_load_dword v108, off, s[0:3], 0 offset:292
	buffer_load_dword v109, off, s[0:3], 0 offset:312
	;; [unrolled: 1-line block ×7, first 2 shown]
	s_waitcnt vmcnt(23) lgkmcnt(0)
	v_fma_f64 v[87:88], v[111:112], v[91:92], v[87:88]
	s_waitcnt vmcnt(18)
	v_fma_f64 v[95:96], v[95:96], v[93:94], v[87:88]
	ds_read2_b64 v[87:90], v86 offset0:71 offset1:72
	ds_read2_b64 v[91:94], v86 offset0:73 offset1:74
	buffer_load_dword v110, off, s[0:3], 0 offset:316
	s_waitcnt vmcnt(18) lgkmcnt(1)
	v_fma_f64 v[87:88], v[119:120], v[87:88], v[95:96]
	buffer_load_dword v96, off, s[0:3], 0 offset:324
	buffer_load_dword v111, off, s[0:3], 0 offset:328
	;; [unrolled: 1-line block ×4, first 2 shown]
	s_waitcnt vmcnt(21)
	v_fma_f64 v[87:88], v[117:118], v[89:90], v[87:88]
	s_waitcnt vmcnt(20) lgkmcnt(0)
	v_fma_f64 v[87:88], v[97:98], v[91:92], v[87:88]
	buffer_load_dword v97, off, s[0:3], 0 offset:128
	buffer_load_dword v98, off, s[0:3], 0 offset:132
	s_waitcnt vmcnt(17)
	v_fma_f64 v[99:100], v[99:100], v[93:94], v[87:88]
	ds_read2_b64 v[87:90], v86 offset0:75 offset1:76
	ds_read2_b64 v[91:94], v86 offset0:77 offset1:78
	s_waitcnt vmcnt(16) lgkmcnt(1)
	v_fma_f64 v[87:88], v[105:106], v[87:88], v[99:100]
	s_waitcnt vmcnt(15)
	v_fma_f64 v[87:88], v[103:104], v[89:90], v[87:88]
	s_waitcnt vmcnt(14) lgkmcnt(0)
	v_fma_f64 v[87:88], v[101:102], v[91:92], v[87:88]
	s_waitcnt vmcnt(9)
	v_fma_f64 v[99:100], v[107:108], v[93:94], v[87:88]
	ds_read2_b64 v[87:90], v86 offset0:79 offset1:80
	ds_read2_b64 v[91:94], v86 offset0:81 offset1:82
	s_waitcnt vmcnt(8) lgkmcnt(1)
	v_fma_f64 v[87:88], v[115:116], v[87:88], v[99:100]
	s_waitcnt vmcnt(7)
	v_fma_f64 v[87:88], v[113:114], v[89:90], v[87:88]
	ds_read_b64 v[89:90], v86 offset:664
	s_waitcnt vmcnt(6) lgkmcnt(1)
	v_fma_f64 v[87:88], v[109:110], v[91:92], v[87:88]
	s_waitcnt vmcnt(3)
	v_fma_f64 v[87:88], v[95:96], v[93:94], v[87:88]
	s_waitcnt vmcnt(2) lgkmcnt(0)
	v_fma_f64 v[87:88], v[111:112], v[89:90], v[87:88]
	s_waitcnt vmcnt(0)
	v_add_f64 v[87:88], v[97:98], -v[87:88]
	buffer_store_dword v88, off, s[0:3], 0 offset:132
	buffer_store_dword v87, off, s[0:3], 0 offset:128
	s_and_saveexec_b64 s[4:5], vcc
	s_cbranch_execz .LBB41_229
; %bb.228:
	buffer_load_dword v87, off, s[0:3], 0 offset:120
	buffer_load_dword v88, off, s[0:3], 0 offset:124
	s_waitcnt vmcnt(0)
	ds_write_b64 v85, v[87:88]
	buffer_store_dword v86, off, s[0:3], 0 offset:120
	buffer_store_dword v86, off, s[0:3], 0 offset:124
.LBB41_229:
	s_or_b64 exec, exec, s[4:5]
	s_waitcnt lgkmcnt(0)
	; wave barrier
	buffer_load_dword v95, off, s[0:3], 0 offset:128
	buffer_load_dword v96, off, s[0:3], 0 offset:132
	;; [unrolled: 1-line block ×22, first 2 shown]
	ds_read_b128 v[87:90], v86 offset:464
	ds_read_b128 v[91:94], v86 offset:480
	v_cmp_lt_u32_e32 vcc, 14, v0
	s_waitcnt vmcnt(20) lgkmcnt(1)
	v_fma_f64 v[87:88], v[95:96], v[87:88], 0
	s_waitcnt vmcnt(18)
	v_fma_f64 v[87:88], v[97:98], v[89:90], v[87:88]
	buffer_load_dword v96, off, s[0:3], 0 offset:220
	buffer_load_dword v97, off, s[0:3], 0 offset:240
	;; [unrolled: 1-line block ×7, first 2 shown]
	s_waitcnt vmcnt(23) lgkmcnt(0)
	v_fma_f64 v[87:88], v[99:100], v[91:92], v[87:88]
	s_waitcnt vmcnt(21)
	v_fma_f64 v[98:99], v[101:102], v[93:94], v[87:88]
	ds_read_b128 v[87:90], v86 offset:496
	ds_read_b128 v[91:94], v86 offset:512
	s_waitcnt vmcnt(19) lgkmcnt(1)
	v_fma_f64 v[87:88], v[103:104], v[87:88], v[98:99]
	buffer_load_dword v98, off, s[0:3], 0 offset:244
	s_waitcnt vmcnt(18)
	v_fma_f64 v[87:88], v[105:106], v[89:90], v[87:88]
	buffer_load_dword v100, off, s[0:3], 0 offset:252
	buffer_load_dword v101, off, s[0:3], 0 offset:272
	;; [unrolled: 1-line block ×8, first 2 shown]
	s_waitcnt vmcnt(24) lgkmcnt(0)
	v_fma_f64 v[87:88], v[107:108], v[91:92], v[87:88]
	s_waitcnt vmcnt(19)
	v_fma_f64 v[107:108], v[109:110], v[93:94], v[87:88]
	ds_read_b128 v[87:90], v86 offset:528
	ds_read_b128 v[91:94], v86 offset:544
	s_waitcnt vmcnt(18) lgkmcnt(1)
	v_fma_f64 v[87:88], v[115:116], v[87:88], v[107:108]
	s_waitcnt vmcnt(17)
	v_fma_f64 v[87:88], v[113:114], v[89:90], v[87:88]
	buffer_load_dword v108, off, s[0:3], 0 offset:284
	buffer_load_dword v109, off, s[0:3], 0 offset:304
	;; [unrolled: 1-line block ×8, first 2 shown]
	s_waitcnt vmcnt(24) lgkmcnt(0)
	v_fma_f64 v[87:88], v[111:112], v[91:92], v[87:88]
	s_waitcnt vmcnt(19)
	v_fma_f64 v[95:96], v[95:96], v[93:94], v[87:88]
	ds_read_b128 v[87:90], v86 offset:560
	ds_read_b128 v[91:94], v86 offset:576
	s_waitcnt vmcnt(18) lgkmcnt(1)
	v_fma_f64 v[87:88], v[119:120], v[87:88], v[95:96]
	s_waitcnt vmcnt(17)
	v_fma_f64 v[87:88], v[117:118], v[89:90], v[87:88]
	buffer_load_dword v96, off, s[0:3], 0 offset:316
	buffer_load_dword v111, off, s[0:3], 0 offset:328
	;; [unrolled: 1-line block ×6, first 2 shown]
	s_waitcnt vmcnt(22) lgkmcnt(0)
	v_fma_f64 v[87:88], v[97:98], v[91:92], v[87:88]
	s_waitcnt vmcnt(17)
	v_fma_f64 v[97:98], v[99:100], v[93:94], v[87:88]
	ds_read_b128 v[87:90], v86 offset:592
	buffer_load_dword v99, off, s[0:3], 0 offset:120
	buffer_load_dword v100, off, s[0:3], 0 offset:124
	ds_read_b128 v[91:94], v86 offset:608
	s_waitcnt vmcnt(18) lgkmcnt(1)
	v_fma_f64 v[87:88], v[105:106], v[87:88], v[97:98]
	s_waitcnt vmcnt(17)
	v_fma_f64 v[87:88], v[103:104], v[89:90], v[87:88]
	s_waitcnt vmcnt(16) lgkmcnt(0)
	v_fma_f64 v[87:88], v[101:102], v[91:92], v[87:88]
	s_waitcnt vmcnt(11)
	v_fma_f64 v[97:98], v[107:108], v[93:94], v[87:88]
	ds_read_b128 v[87:90], v86 offset:624
	ds_read_b128 v[91:94], v86 offset:640
	s_waitcnt vmcnt(10) lgkmcnt(1)
	v_fma_f64 v[87:88], v[115:116], v[87:88], v[97:98]
	s_waitcnt vmcnt(9)
	v_fma_f64 v[87:88], v[113:114], v[89:90], v[87:88]
	s_waitcnt vmcnt(8) lgkmcnt(0)
	v_fma_f64 v[87:88], v[109:110], v[91:92], v[87:88]
	s_waitcnt vmcnt(4)
	v_fma_f64 v[90:91], v[95:96], v[93:94], v[87:88]
	ds_read_b128 v[86:89], v86 offset:656
	s_waitcnt vmcnt(3) lgkmcnt(0)
	v_fma_f64 v[86:87], v[117:118], v[86:87], v[90:91]
	s_waitcnt vmcnt(2)
	v_fma_f64 v[86:87], v[111:112], v[88:89], v[86:87]
	s_waitcnt vmcnt(0)
	v_add_f64 v[86:87], v[99:100], -v[86:87]
	buffer_store_dword v87, off, s[0:3], 0 offset:124
	buffer_store_dword v86, off, s[0:3], 0 offset:120
	s_and_saveexec_b64 s[4:5], vcc
	s_cbranch_execz .LBB41_231
; %bb.230:
	buffer_load_dword v86, off, s[0:3], 0 offset:112
	buffer_load_dword v87, off, s[0:3], 0 offset:116
	v_mov_b32_e32 v88, 0
	buffer_store_dword v88, off, s[0:3], 0 offset:112
	buffer_store_dword v88, off, s[0:3], 0 offset:116
	s_waitcnt vmcnt(2)
	ds_write_b64 v85, v[86:87]
.LBB41_231:
	s_or_b64 exec, exec, s[4:5]
	s_waitcnt lgkmcnt(0)
	; wave barrier
	buffer_load_dword v95, off, s[0:3], 0 offset:120
	buffer_load_dword v96, off, s[0:3], 0 offset:124
	;; [unrolled: 1-line block ×22, first 2 shown]
	v_mov_b32_e32 v86, 0
	ds_read2_b64 v[87:90], v86 offset0:57 offset1:58
	ds_read2_b64 v[91:94], v86 offset0:59 offset1:60
	v_cmp_lt_u32_e32 vcc, 13, v0
	s_waitcnt vmcnt(20) lgkmcnt(1)
	v_fma_f64 v[87:88], v[95:96], v[87:88], 0
	s_waitcnt vmcnt(18)
	v_fma_f64 v[87:88], v[97:98], v[89:90], v[87:88]
	buffer_load_dword v96, off, s[0:3], 0 offset:212
	buffer_load_dword v97, off, s[0:3], 0 offset:232
	buffer_load_dword v117, off, s[0:3], 0 offset:224
	buffer_load_dword v119, off, s[0:3], 0 offset:216
	buffer_load_dword v95, off, s[0:3], 0 offset:208
	buffer_load_dword v120, off, s[0:3], 0 offset:220
	buffer_load_dword v118, off, s[0:3], 0 offset:228
	s_waitcnt vmcnt(23) lgkmcnt(0)
	v_fma_f64 v[87:88], v[99:100], v[91:92], v[87:88]
	s_waitcnt vmcnt(21)
	v_fma_f64 v[98:99], v[101:102], v[93:94], v[87:88]
	ds_read2_b64 v[87:90], v86 offset0:61 offset1:62
	ds_read2_b64 v[91:94], v86 offset0:63 offset1:64
	s_waitcnt vmcnt(19) lgkmcnt(1)
	v_fma_f64 v[87:88], v[103:104], v[87:88], v[98:99]
	buffer_load_dword v98, off, s[0:3], 0 offset:236
	s_waitcnt vmcnt(18)
	v_fma_f64 v[87:88], v[105:106], v[89:90], v[87:88]
	buffer_load_dword v100, off, s[0:3], 0 offset:244
	buffer_load_dword v101, off, s[0:3], 0 offset:264
	buffer_load_dword v103, off, s[0:3], 0 offset:256
	buffer_load_dword v105, off, s[0:3], 0 offset:248
	buffer_load_dword v99, off, s[0:3], 0 offset:240
	buffer_load_dword v106, off, s[0:3], 0 offset:252
	buffer_load_dword v104, off, s[0:3], 0 offset:260
	buffer_load_dword v102, off, s[0:3], 0 offset:268
	s_waitcnt vmcnt(24) lgkmcnt(0)
	v_fma_f64 v[87:88], v[107:108], v[91:92], v[87:88]
	s_waitcnt vmcnt(19)
	v_fma_f64 v[107:108], v[109:110], v[93:94], v[87:88]
	ds_read2_b64 v[87:90], v86 offset0:65 offset1:66
	ds_read2_b64 v[91:94], v86 offset0:67 offset1:68
	s_waitcnt vmcnt(18) lgkmcnt(1)
	v_fma_f64 v[87:88], v[115:116], v[87:88], v[107:108]
	s_waitcnt vmcnt(17)
	v_fma_f64 v[87:88], v[113:114], v[89:90], v[87:88]
	buffer_load_dword v108, off, s[0:3], 0 offset:276
	buffer_load_dword v109, off, s[0:3], 0 offset:296
	buffer_load_dword v113, off, s[0:3], 0 offset:288
	buffer_load_dword v115, off, s[0:3], 0 offset:280
	buffer_load_dword v107, off, s[0:3], 0 offset:272
	buffer_load_dword v116, off, s[0:3], 0 offset:284
	buffer_load_dword v114, off, s[0:3], 0 offset:292
	buffer_load_dword v110, off, s[0:3], 0 offset:300
	s_waitcnt vmcnt(24) lgkmcnt(0)
	v_fma_f64 v[87:88], v[111:112], v[91:92], v[87:88]
	s_waitcnt vmcnt(19)
	v_fma_f64 v[95:96], v[95:96], v[93:94], v[87:88]
	ds_read2_b64 v[87:90], v86 offset0:69 offset1:70
	ds_read2_b64 v[91:94], v86 offset0:71 offset1:72
	s_waitcnt vmcnt(18) lgkmcnt(1)
	v_fma_f64 v[87:88], v[119:120], v[87:88], v[95:96]
	;; [unrolled: 18-line block ×3, first 2 shown]
	buffer_load_dword v97, off, s[0:3], 0 offset:112
	buffer_load_dword v98, off, s[0:3], 0 offset:116
	s_waitcnt vmcnt(19)
	v_fma_f64 v[87:88], v[103:104], v[89:90], v[87:88]
	s_waitcnt vmcnt(18) lgkmcnt(0)
	v_fma_f64 v[87:88], v[101:102], v[91:92], v[87:88]
	s_waitcnt vmcnt(13)
	v_fma_f64 v[99:100], v[107:108], v[93:94], v[87:88]
	ds_read2_b64 v[87:90], v86 offset0:77 offset1:78
	ds_read2_b64 v[91:94], v86 offset0:79 offset1:80
	s_waitcnt vmcnt(12) lgkmcnt(1)
	v_fma_f64 v[87:88], v[115:116], v[87:88], v[99:100]
	s_waitcnt vmcnt(11)
	v_fma_f64 v[87:88], v[113:114], v[89:90], v[87:88]
	s_waitcnt vmcnt(10) lgkmcnt(0)
	v_fma_f64 v[87:88], v[109:110], v[91:92], v[87:88]
	s_waitcnt vmcnt(5)
	v_fma_f64 v[91:92], v[95:96], v[93:94], v[87:88]
	ds_read2_b64 v[87:90], v86 offset0:81 offset1:82
	ds_read_b64 v[93:94], v86 offset:664
	s_waitcnt vmcnt(4) lgkmcnt(1)
	v_fma_f64 v[87:88], v[119:120], v[87:88], v[91:92]
	s_waitcnt vmcnt(3)
	v_fma_f64 v[87:88], v[117:118], v[89:90], v[87:88]
	s_waitcnt vmcnt(2) lgkmcnt(0)
	v_fma_f64 v[87:88], v[111:112], v[93:94], v[87:88]
	s_waitcnt vmcnt(0)
	v_add_f64 v[87:88], v[97:98], -v[87:88]
	buffer_store_dword v88, off, s[0:3], 0 offset:116
	buffer_store_dword v87, off, s[0:3], 0 offset:112
	s_and_saveexec_b64 s[4:5], vcc
	s_cbranch_execz .LBB41_233
; %bb.232:
	buffer_load_dword v87, off, s[0:3], 0 offset:104
	buffer_load_dword v88, off, s[0:3], 0 offset:108
	s_waitcnt vmcnt(0)
	ds_write_b64 v85, v[87:88]
	buffer_store_dword v86, off, s[0:3], 0 offset:104
	buffer_store_dword v86, off, s[0:3], 0 offset:108
.LBB41_233:
	s_or_b64 exec, exec, s[4:5]
	s_waitcnt lgkmcnt(0)
	; wave barrier
	buffer_load_dword v95, off, s[0:3], 0 offset:112
	buffer_load_dword v96, off, s[0:3], 0 offset:116
	;; [unrolled: 1-line block ×22, first 2 shown]
	ds_read_b128 v[87:90], v86 offset:448
	ds_read_b128 v[91:94], v86 offset:464
	v_cmp_lt_u32_e32 vcc, 12, v0
	s_waitcnt vmcnt(20) lgkmcnt(1)
	v_fma_f64 v[87:88], v[95:96], v[87:88], 0
	s_waitcnt vmcnt(18)
	v_fma_f64 v[87:88], v[97:98], v[89:90], v[87:88]
	buffer_load_dword v96, off, s[0:3], 0 offset:204
	buffer_load_dword v97, off, s[0:3], 0 offset:224
	buffer_load_dword v117, off, s[0:3], 0 offset:216
	buffer_load_dword v119, off, s[0:3], 0 offset:208
	buffer_load_dword v95, off, s[0:3], 0 offset:200
	buffer_load_dword v120, off, s[0:3], 0 offset:212
	buffer_load_dword v118, off, s[0:3], 0 offset:220
	s_waitcnt vmcnt(23) lgkmcnt(0)
	v_fma_f64 v[87:88], v[99:100], v[91:92], v[87:88]
	s_waitcnt vmcnt(21)
	v_fma_f64 v[98:99], v[101:102], v[93:94], v[87:88]
	ds_read_b128 v[87:90], v86 offset:480
	ds_read_b128 v[91:94], v86 offset:496
	s_waitcnt vmcnt(19) lgkmcnt(1)
	v_fma_f64 v[87:88], v[103:104], v[87:88], v[98:99]
	buffer_load_dword v98, off, s[0:3], 0 offset:228
	s_waitcnt vmcnt(18)
	v_fma_f64 v[87:88], v[105:106], v[89:90], v[87:88]
	buffer_load_dword v100, off, s[0:3], 0 offset:236
	buffer_load_dword v101, off, s[0:3], 0 offset:256
	buffer_load_dword v103, off, s[0:3], 0 offset:248
	buffer_load_dword v105, off, s[0:3], 0 offset:240
	buffer_load_dword v99, off, s[0:3], 0 offset:232
	buffer_load_dword v106, off, s[0:3], 0 offset:244
	buffer_load_dword v104, off, s[0:3], 0 offset:252
	buffer_load_dword v102, off, s[0:3], 0 offset:260
	s_waitcnt vmcnt(24) lgkmcnt(0)
	v_fma_f64 v[87:88], v[107:108], v[91:92], v[87:88]
	s_waitcnt vmcnt(19)
	v_fma_f64 v[107:108], v[109:110], v[93:94], v[87:88]
	ds_read_b128 v[87:90], v86 offset:512
	ds_read_b128 v[91:94], v86 offset:528
	s_waitcnt vmcnt(18) lgkmcnt(1)
	v_fma_f64 v[87:88], v[115:116], v[87:88], v[107:108]
	s_waitcnt vmcnt(17)
	v_fma_f64 v[87:88], v[113:114], v[89:90], v[87:88]
	buffer_load_dword v108, off, s[0:3], 0 offset:268
	buffer_load_dword v109, off, s[0:3], 0 offset:288
	buffer_load_dword v113, off, s[0:3], 0 offset:280
	buffer_load_dword v115, off, s[0:3], 0 offset:272
	buffer_load_dword v107, off, s[0:3], 0 offset:264
	buffer_load_dword v116, off, s[0:3], 0 offset:276
	buffer_load_dword v114, off, s[0:3], 0 offset:284
	buffer_load_dword v110, off, s[0:3], 0 offset:292
	s_waitcnt vmcnt(24) lgkmcnt(0)
	v_fma_f64 v[87:88], v[111:112], v[91:92], v[87:88]
	s_waitcnt vmcnt(19)
	v_fma_f64 v[95:96], v[95:96], v[93:94], v[87:88]
	ds_read_b128 v[87:90], v86 offset:544
	ds_read_b128 v[91:94], v86 offset:560
	s_waitcnt vmcnt(18) lgkmcnt(1)
	v_fma_f64 v[87:88], v[119:120], v[87:88], v[95:96]
	;; [unrolled: 18-line block ×3, first 2 shown]
	buffer_load_dword v98, off, s[0:3], 0 offset:332
	buffer_load_dword v97, off, s[0:3], 0 offset:328
	;; [unrolled: 1-line block ×4, first 2 shown]
	s_waitcnt vmcnt(21)
	v_fma_f64 v[87:88], v[103:104], v[89:90], v[87:88]
	s_waitcnt vmcnt(20) lgkmcnt(0)
	v_fma_f64 v[87:88], v[101:102], v[91:92], v[87:88]
	s_waitcnt vmcnt(15)
	v_fma_f64 v[101:102], v[107:108], v[93:94], v[87:88]
	ds_read_b128 v[87:90], v86 offset:608
	ds_read_b128 v[91:94], v86 offset:624
	s_waitcnt vmcnt(14) lgkmcnt(1)
	v_fma_f64 v[87:88], v[115:116], v[87:88], v[101:102]
	s_waitcnt vmcnt(13)
	v_fma_f64 v[87:88], v[113:114], v[89:90], v[87:88]
	s_waitcnt vmcnt(12) lgkmcnt(0)
	v_fma_f64 v[87:88], v[109:110], v[91:92], v[87:88]
	s_waitcnt vmcnt(7)
	v_fma_f64 v[95:96], v[95:96], v[93:94], v[87:88]
	ds_read_b128 v[87:90], v86 offset:640
	ds_read_b128 v[91:94], v86 offset:656
	s_waitcnt vmcnt(6) lgkmcnt(1)
	v_fma_f64 v[86:87], v[119:120], v[87:88], v[95:96]
	s_waitcnt vmcnt(5)
	v_fma_f64 v[86:87], v[117:118], v[89:90], v[86:87]
	s_waitcnt vmcnt(4) lgkmcnt(0)
	v_fma_f64 v[86:87], v[111:112], v[91:92], v[86:87]
	s_waitcnt vmcnt(2)
	v_fma_f64 v[86:87], v[97:98], v[93:94], v[86:87]
	s_waitcnt vmcnt(0)
	v_add_f64 v[86:87], v[99:100], -v[86:87]
	buffer_store_dword v87, off, s[0:3], 0 offset:108
	buffer_store_dword v86, off, s[0:3], 0 offset:104
	s_and_saveexec_b64 s[4:5], vcc
	s_cbranch_execz .LBB41_235
; %bb.234:
	buffer_load_dword v86, off, s[0:3], 0 offset:96
	buffer_load_dword v87, off, s[0:3], 0 offset:100
	v_mov_b32_e32 v88, 0
	buffer_store_dword v88, off, s[0:3], 0 offset:96
	buffer_store_dword v88, off, s[0:3], 0 offset:100
	s_waitcnt vmcnt(2)
	ds_write_b64 v85, v[86:87]
.LBB41_235:
	s_or_b64 exec, exec, s[4:5]
	s_waitcnt lgkmcnt(0)
	; wave barrier
	buffer_load_dword v95, off, s[0:3], 0 offset:104
	buffer_load_dword v96, off, s[0:3], 0 offset:108
	;; [unrolled: 1-line block ×22, first 2 shown]
	v_mov_b32_e32 v86, 0
	ds_read2_b64 v[87:90], v86 offset0:55 offset1:56
	ds_read2_b64 v[91:94], v86 offset0:57 offset1:58
	v_cmp_lt_u32_e32 vcc, 11, v0
	s_waitcnt vmcnt(20) lgkmcnt(1)
	v_fma_f64 v[87:88], v[95:96], v[87:88], 0
	s_waitcnt vmcnt(18)
	v_fma_f64 v[87:88], v[97:98], v[89:90], v[87:88]
	buffer_load_dword v96, off, s[0:3], 0 offset:196
	buffer_load_dword v97, off, s[0:3], 0 offset:216
	;; [unrolled: 1-line block ×7, first 2 shown]
	s_waitcnt vmcnt(23) lgkmcnt(0)
	v_fma_f64 v[87:88], v[99:100], v[91:92], v[87:88]
	s_waitcnt vmcnt(21)
	v_fma_f64 v[98:99], v[101:102], v[93:94], v[87:88]
	ds_read2_b64 v[87:90], v86 offset0:59 offset1:60
	ds_read2_b64 v[91:94], v86 offset0:61 offset1:62
	s_waitcnt vmcnt(19) lgkmcnt(1)
	v_fma_f64 v[87:88], v[103:104], v[87:88], v[98:99]
	buffer_load_dword v98, off, s[0:3], 0 offset:220
	s_waitcnt vmcnt(18)
	v_fma_f64 v[87:88], v[105:106], v[89:90], v[87:88]
	buffer_load_dword v100, off, s[0:3], 0 offset:228
	buffer_load_dword v101, off, s[0:3], 0 offset:248
	;; [unrolled: 1-line block ×7, first 2 shown]
	s_waitcnt vmcnt(23) lgkmcnt(0)
	v_fma_f64 v[87:88], v[107:108], v[91:92], v[87:88]
	s_waitcnt vmcnt(18)
	v_fma_f64 v[107:108], v[109:110], v[93:94], v[87:88]
	ds_read2_b64 v[87:90], v86 offset0:63 offset1:64
	ds_read2_b64 v[91:94], v86 offset0:65 offset1:66
	buffer_load_dword v102, off, s[0:3], 0 offset:252
	s_waitcnt vmcnt(18) lgkmcnt(1)
	v_fma_f64 v[87:88], v[115:116], v[87:88], v[107:108]
	s_waitcnt vmcnt(17)
	v_fma_f64 v[87:88], v[113:114], v[89:90], v[87:88]
	buffer_load_dword v108, off, s[0:3], 0 offset:260
	buffer_load_dword v109, off, s[0:3], 0 offset:280
	;; [unrolled: 1-line block ×8, first 2 shown]
	s_waitcnt vmcnt(24) lgkmcnt(0)
	v_fma_f64 v[87:88], v[111:112], v[91:92], v[87:88]
	s_waitcnt vmcnt(19)
	v_fma_f64 v[95:96], v[95:96], v[93:94], v[87:88]
	ds_read2_b64 v[87:90], v86 offset0:67 offset1:68
	ds_read2_b64 v[91:94], v86 offset0:69 offset1:70
	s_waitcnt vmcnt(18) lgkmcnt(1)
	v_fma_f64 v[87:88], v[119:120], v[87:88], v[95:96]
	s_waitcnt vmcnt(17)
	v_fma_f64 v[87:88], v[117:118], v[89:90], v[87:88]
	buffer_load_dword v96, off, s[0:3], 0 offset:292
	buffer_load_dword v111, off, s[0:3], 0 offset:312
	;; [unrolled: 1-line block ×7, first 2 shown]
	s_waitcnt vmcnt(23) lgkmcnt(0)
	v_fma_f64 v[87:88], v[97:98], v[91:92], v[87:88]
	s_waitcnt vmcnt(18)
	v_fma_f64 v[97:98], v[99:100], v[93:94], v[87:88]
	ds_read2_b64 v[87:90], v86 offset0:71 offset1:72
	ds_read2_b64 v[91:94], v86 offset0:73 offset1:74
	buffer_load_dword v112, off, s[0:3], 0 offset:316
	s_waitcnt vmcnt(18) lgkmcnt(1)
	v_fma_f64 v[87:88], v[105:106], v[87:88], v[97:98]
	buffer_load_dword v98, off, s[0:3], 0 offset:324
	buffer_load_dword v99, off, s[0:3], 0 offset:328
	;; [unrolled: 1-line block ×4, first 2 shown]
	s_waitcnt vmcnt(21)
	v_fma_f64 v[87:88], v[103:104], v[89:90], v[87:88]
	s_waitcnt vmcnt(20) lgkmcnt(0)
	v_fma_f64 v[87:88], v[101:102], v[91:92], v[87:88]
	buffer_load_dword v101, off, s[0:3], 0 offset:96
	buffer_load_dword v102, off, s[0:3], 0 offset:100
	s_waitcnt vmcnt(17)
	v_fma_f64 v[103:104], v[107:108], v[93:94], v[87:88]
	ds_read2_b64 v[87:90], v86 offset0:75 offset1:76
	ds_read2_b64 v[91:94], v86 offset0:77 offset1:78
	s_waitcnt vmcnt(16) lgkmcnt(1)
	v_fma_f64 v[87:88], v[115:116], v[87:88], v[103:104]
	s_waitcnt vmcnt(15)
	v_fma_f64 v[87:88], v[113:114], v[89:90], v[87:88]
	s_waitcnt vmcnt(14) lgkmcnt(0)
	v_fma_f64 v[87:88], v[109:110], v[91:92], v[87:88]
	s_waitcnt vmcnt(9)
	v_fma_f64 v[95:96], v[95:96], v[93:94], v[87:88]
	ds_read2_b64 v[87:90], v86 offset0:79 offset1:80
	ds_read2_b64 v[91:94], v86 offset0:81 offset1:82
	s_waitcnt vmcnt(8) lgkmcnt(1)
	v_fma_f64 v[87:88], v[119:120], v[87:88], v[95:96]
	s_waitcnt vmcnt(7)
	v_fma_f64 v[87:88], v[117:118], v[89:90], v[87:88]
	ds_read_b64 v[89:90], v86 offset:664
	s_waitcnt vmcnt(6) lgkmcnt(1)
	v_fma_f64 v[87:88], v[111:112], v[91:92], v[87:88]
	s_waitcnt vmcnt(3)
	v_fma_f64 v[87:88], v[97:98], v[93:94], v[87:88]
	s_waitcnt vmcnt(2) lgkmcnt(0)
	v_fma_f64 v[87:88], v[99:100], v[89:90], v[87:88]
	s_waitcnt vmcnt(0)
	v_add_f64 v[87:88], v[101:102], -v[87:88]
	buffer_store_dword v88, off, s[0:3], 0 offset:100
	buffer_store_dword v87, off, s[0:3], 0 offset:96
	s_and_saveexec_b64 s[4:5], vcc
	s_cbranch_execz .LBB41_237
; %bb.236:
	buffer_load_dword v87, off, s[0:3], 0 offset:88
	buffer_load_dword v88, off, s[0:3], 0 offset:92
	s_waitcnt vmcnt(0)
	ds_write_b64 v85, v[87:88]
	buffer_store_dword v86, off, s[0:3], 0 offset:88
	buffer_store_dword v86, off, s[0:3], 0 offset:92
.LBB41_237:
	s_or_b64 exec, exec, s[4:5]
	s_waitcnt lgkmcnt(0)
	; wave barrier
	buffer_load_dword v95, off, s[0:3], 0 offset:96
	buffer_load_dword v96, off, s[0:3], 0 offset:100
	;; [unrolled: 1-line block ×22, first 2 shown]
	ds_read_b128 v[87:90], v86 offset:432
	ds_read_b128 v[91:94], v86 offset:448
	v_cmp_lt_u32_e32 vcc, 10, v0
	s_waitcnt vmcnt(20) lgkmcnt(1)
	v_fma_f64 v[87:88], v[95:96], v[87:88], 0
	s_waitcnt vmcnt(18)
	v_fma_f64 v[87:88], v[97:98], v[89:90], v[87:88]
	buffer_load_dword v96, off, s[0:3], 0 offset:188
	buffer_load_dword v97, off, s[0:3], 0 offset:208
	;; [unrolled: 1-line block ×7, first 2 shown]
	s_waitcnt vmcnt(23) lgkmcnt(0)
	v_fma_f64 v[87:88], v[99:100], v[91:92], v[87:88]
	s_waitcnt vmcnt(21)
	v_fma_f64 v[98:99], v[101:102], v[93:94], v[87:88]
	ds_read_b128 v[87:90], v86 offset:464
	ds_read_b128 v[91:94], v86 offset:480
	s_waitcnt vmcnt(19) lgkmcnt(1)
	v_fma_f64 v[87:88], v[103:104], v[87:88], v[98:99]
	buffer_load_dword v98, off, s[0:3], 0 offset:212
	s_waitcnt vmcnt(18)
	v_fma_f64 v[87:88], v[105:106], v[89:90], v[87:88]
	buffer_load_dword v100, off, s[0:3], 0 offset:220
	buffer_load_dword v101, off, s[0:3], 0 offset:240
	;; [unrolled: 1-line block ×7, first 2 shown]
	s_waitcnt vmcnt(23) lgkmcnt(0)
	v_fma_f64 v[87:88], v[107:108], v[91:92], v[87:88]
	s_waitcnt vmcnt(18)
	v_fma_f64 v[107:108], v[109:110], v[93:94], v[87:88]
	ds_read_b128 v[87:90], v86 offset:496
	ds_read_b128 v[91:94], v86 offset:512
	buffer_load_dword v102, off, s[0:3], 0 offset:244
	s_waitcnt vmcnt(18) lgkmcnt(1)
	v_fma_f64 v[87:88], v[115:116], v[87:88], v[107:108]
	s_waitcnt vmcnt(17)
	v_fma_f64 v[87:88], v[113:114], v[89:90], v[87:88]
	buffer_load_dword v108, off, s[0:3], 0 offset:252
	buffer_load_dword v109, off, s[0:3], 0 offset:272
	;; [unrolled: 1-line block ×8, first 2 shown]
	s_waitcnt vmcnt(24) lgkmcnt(0)
	v_fma_f64 v[87:88], v[111:112], v[91:92], v[87:88]
	s_waitcnt vmcnt(19)
	v_fma_f64 v[95:96], v[95:96], v[93:94], v[87:88]
	ds_read_b128 v[87:90], v86 offset:528
	ds_read_b128 v[91:94], v86 offset:544
	s_waitcnt vmcnt(18) lgkmcnt(1)
	v_fma_f64 v[87:88], v[119:120], v[87:88], v[95:96]
	s_waitcnt vmcnt(17)
	v_fma_f64 v[87:88], v[117:118], v[89:90], v[87:88]
	buffer_load_dword v96, off, s[0:3], 0 offset:284
	buffer_load_dword v111, off, s[0:3], 0 offset:304
	;; [unrolled: 1-line block ×8, first 2 shown]
	s_waitcnt vmcnt(24) lgkmcnt(0)
	v_fma_f64 v[87:88], v[97:98], v[91:92], v[87:88]
	s_waitcnt vmcnt(19)
	v_fma_f64 v[97:98], v[99:100], v[93:94], v[87:88]
	ds_read_b128 v[87:90], v86 offset:560
	ds_read_b128 v[91:94], v86 offset:576
	s_waitcnt vmcnt(18) lgkmcnt(1)
	v_fma_f64 v[87:88], v[105:106], v[87:88], v[97:98]
	s_waitcnt vmcnt(17)
	v_fma_f64 v[87:88], v[103:104], v[89:90], v[87:88]
	buffer_load_dword v98, off, s[0:3], 0 offset:316
	buffer_load_dword v99, off, s[0:3], 0 offset:328
	;; [unrolled: 1-line block ×6, first 2 shown]
	s_waitcnt vmcnt(22) lgkmcnt(0)
	v_fma_f64 v[87:88], v[101:102], v[91:92], v[87:88]
	s_waitcnt vmcnt(17)
	v_fma_f64 v[101:102], v[107:108], v[93:94], v[87:88]
	ds_read_b128 v[87:90], v86 offset:592
	buffer_load_dword v105, off, s[0:3], 0 offset:88
	buffer_load_dword v106, off, s[0:3], 0 offset:92
	ds_read_b128 v[91:94], v86 offset:608
	s_waitcnt vmcnt(18) lgkmcnt(1)
	v_fma_f64 v[87:88], v[115:116], v[87:88], v[101:102]
	s_waitcnt vmcnt(17)
	v_fma_f64 v[87:88], v[113:114], v[89:90], v[87:88]
	s_waitcnt vmcnt(16) lgkmcnt(0)
	v_fma_f64 v[87:88], v[109:110], v[91:92], v[87:88]
	s_waitcnt vmcnt(11)
	v_fma_f64 v[95:96], v[95:96], v[93:94], v[87:88]
	ds_read_b128 v[87:90], v86 offset:624
	ds_read_b128 v[91:94], v86 offset:640
	s_waitcnt vmcnt(10) lgkmcnt(1)
	v_fma_f64 v[87:88], v[119:120], v[87:88], v[95:96]
	s_waitcnt vmcnt(9)
	v_fma_f64 v[87:88], v[117:118], v[89:90], v[87:88]
	s_waitcnt vmcnt(8) lgkmcnt(0)
	v_fma_f64 v[87:88], v[111:112], v[91:92], v[87:88]
	s_waitcnt vmcnt(4)
	v_fma_f64 v[90:91], v[97:98], v[93:94], v[87:88]
	ds_read_b128 v[86:89], v86 offset:656
	s_waitcnt vmcnt(3) lgkmcnt(0)
	v_fma_f64 v[86:87], v[103:104], v[86:87], v[90:91]
	s_waitcnt vmcnt(2)
	v_fma_f64 v[86:87], v[99:100], v[88:89], v[86:87]
	s_waitcnt vmcnt(0)
	v_add_f64 v[86:87], v[105:106], -v[86:87]
	buffer_store_dword v87, off, s[0:3], 0 offset:92
	buffer_store_dword v86, off, s[0:3], 0 offset:88
	s_and_saveexec_b64 s[4:5], vcc
	s_cbranch_execz .LBB41_239
; %bb.238:
	buffer_load_dword v86, off, s[0:3], 0 offset:80
	buffer_load_dword v87, off, s[0:3], 0 offset:84
	v_mov_b32_e32 v88, 0
	buffer_store_dword v88, off, s[0:3], 0 offset:80
	buffer_store_dword v88, off, s[0:3], 0 offset:84
	s_waitcnt vmcnt(2)
	ds_write_b64 v85, v[86:87]
.LBB41_239:
	s_or_b64 exec, exec, s[4:5]
	s_waitcnt lgkmcnt(0)
	; wave barrier
	buffer_load_dword v95, off, s[0:3], 0 offset:88
	buffer_load_dword v96, off, s[0:3], 0 offset:92
	;; [unrolled: 1-line block ×22, first 2 shown]
	v_mov_b32_e32 v86, 0
	ds_read2_b64 v[87:90], v86 offset0:53 offset1:54
	ds_read2_b64 v[91:94], v86 offset0:55 offset1:56
	v_cmp_lt_u32_e32 vcc, 9, v0
	s_waitcnt vmcnt(20) lgkmcnt(1)
	v_fma_f64 v[87:88], v[95:96], v[87:88], 0
	s_waitcnt vmcnt(18)
	v_fma_f64 v[87:88], v[97:98], v[89:90], v[87:88]
	buffer_load_dword v96, off, s[0:3], 0 offset:180
	buffer_load_dword v97, off, s[0:3], 0 offset:200
	;; [unrolled: 1-line block ×7, first 2 shown]
	s_waitcnt vmcnt(23) lgkmcnt(0)
	v_fma_f64 v[87:88], v[99:100], v[91:92], v[87:88]
	s_waitcnt vmcnt(21)
	v_fma_f64 v[98:99], v[101:102], v[93:94], v[87:88]
	ds_read2_b64 v[87:90], v86 offset0:57 offset1:58
	ds_read2_b64 v[91:94], v86 offset0:59 offset1:60
	s_waitcnt vmcnt(19) lgkmcnt(1)
	v_fma_f64 v[87:88], v[103:104], v[87:88], v[98:99]
	buffer_load_dword v98, off, s[0:3], 0 offset:204
	s_waitcnt vmcnt(18)
	v_fma_f64 v[87:88], v[105:106], v[89:90], v[87:88]
	buffer_load_dword v100, off, s[0:3], 0 offset:212
	buffer_load_dword v101, off, s[0:3], 0 offset:232
	;; [unrolled: 1-line block ×7, first 2 shown]
	s_waitcnt vmcnt(23) lgkmcnt(0)
	v_fma_f64 v[87:88], v[107:108], v[91:92], v[87:88]
	s_waitcnt vmcnt(18)
	v_fma_f64 v[107:108], v[109:110], v[93:94], v[87:88]
	ds_read2_b64 v[87:90], v86 offset0:61 offset1:62
	ds_read2_b64 v[91:94], v86 offset0:63 offset1:64
	buffer_load_dword v102, off, s[0:3], 0 offset:236
	s_waitcnt vmcnt(18) lgkmcnt(1)
	v_fma_f64 v[87:88], v[115:116], v[87:88], v[107:108]
	s_waitcnt vmcnt(17)
	v_fma_f64 v[87:88], v[113:114], v[89:90], v[87:88]
	buffer_load_dword v108, off, s[0:3], 0 offset:244
	buffer_load_dword v109, off, s[0:3], 0 offset:264
	buffer_load_dword v113, off, s[0:3], 0 offset:256
	buffer_load_dword v115, off, s[0:3], 0 offset:248
	buffer_load_dword v107, off, s[0:3], 0 offset:240
	buffer_load_dword v116, off, s[0:3], 0 offset:252
	buffer_load_dword v114, off, s[0:3], 0 offset:260
	buffer_load_dword v110, off, s[0:3], 0 offset:268
	s_waitcnt vmcnt(24) lgkmcnt(0)
	v_fma_f64 v[87:88], v[111:112], v[91:92], v[87:88]
	s_waitcnt vmcnt(19)
	v_fma_f64 v[95:96], v[95:96], v[93:94], v[87:88]
	ds_read2_b64 v[87:90], v86 offset0:65 offset1:66
	ds_read2_b64 v[91:94], v86 offset0:67 offset1:68
	s_waitcnt vmcnt(18) lgkmcnt(1)
	v_fma_f64 v[87:88], v[119:120], v[87:88], v[95:96]
	s_waitcnt vmcnt(17)
	v_fma_f64 v[87:88], v[117:118], v[89:90], v[87:88]
	buffer_load_dword v96, off, s[0:3], 0 offset:276
	buffer_load_dword v111, off, s[0:3], 0 offset:296
	buffer_load_dword v117, off, s[0:3], 0 offset:288
	buffer_load_dword v119, off, s[0:3], 0 offset:280
	buffer_load_dword v95, off, s[0:3], 0 offset:272
	buffer_load_dword v120, off, s[0:3], 0 offset:284
	buffer_load_dword v118, off, s[0:3], 0 offset:292
	buffer_load_dword v112, off, s[0:3], 0 offset:300
	s_waitcnt vmcnt(24) lgkmcnt(0)
	v_fma_f64 v[87:88], v[97:98], v[91:92], v[87:88]
	s_waitcnt vmcnt(19)
	v_fma_f64 v[97:98], v[99:100], v[93:94], v[87:88]
	ds_read2_b64 v[87:90], v86 offset0:69 offset1:70
	ds_read2_b64 v[91:94], v86 offset0:71 offset1:72
	;; [unrolled: 18-line block ×3, first 2 shown]
	s_waitcnt vmcnt(18) lgkmcnt(1)
	v_fma_f64 v[87:88], v[115:116], v[87:88], v[101:102]
	buffer_load_dword v101, off, s[0:3], 0 offset:80
	buffer_load_dword v102, off, s[0:3], 0 offset:84
	s_waitcnt vmcnt(19)
	v_fma_f64 v[87:88], v[113:114], v[89:90], v[87:88]
	s_waitcnt vmcnt(18) lgkmcnt(0)
	v_fma_f64 v[87:88], v[109:110], v[91:92], v[87:88]
	s_waitcnt vmcnt(13)
	v_fma_f64 v[95:96], v[95:96], v[93:94], v[87:88]
	ds_read2_b64 v[87:90], v86 offset0:77 offset1:78
	ds_read2_b64 v[91:94], v86 offset0:79 offset1:80
	s_waitcnt vmcnt(12) lgkmcnt(1)
	v_fma_f64 v[87:88], v[119:120], v[87:88], v[95:96]
	s_waitcnt vmcnt(11)
	v_fma_f64 v[87:88], v[117:118], v[89:90], v[87:88]
	s_waitcnt vmcnt(10) lgkmcnt(0)
	v_fma_f64 v[87:88], v[111:112], v[91:92], v[87:88]
	s_waitcnt vmcnt(5)
	v_fma_f64 v[91:92], v[97:98], v[93:94], v[87:88]
	ds_read2_b64 v[87:90], v86 offset0:81 offset1:82
	ds_read_b64 v[93:94], v86 offset:664
	s_waitcnt vmcnt(4) lgkmcnt(1)
	v_fma_f64 v[87:88], v[105:106], v[87:88], v[91:92]
	s_waitcnt vmcnt(3)
	v_fma_f64 v[87:88], v[103:104], v[89:90], v[87:88]
	s_waitcnt vmcnt(2) lgkmcnt(0)
	v_fma_f64 v[87:88], v[99:100], v[93:94], v[87:88]
	s_waitcnt vmcnt(0)
	v_add_f64 v[87:88], v[101:102], -v[87:88]
	buffer_store_dword v88, off, s[0:3], 0 offset:84
	buffer_store_dword v87, off, s[0:3], 0 offset:80
	s_and_saveexec_b64 s[4:5], vcc
	s_cbranch_execz .LBB41_241
; %bb.240:
	buffer_load_dword v87, off, s[0:3], 0 offset:72
	buffer_load_dword v88, off, s[0:3], 0 offset:76
	s_waitcnt vmcnt(0)
	ds_write_b64 v85, v[87:88]
	buffer_store_dword v86, off, s[0:3], 0 offset:72
	buffer_store_dword v86, off, s[0:3], 0 offset:76
.LBB41_241:
	s_or_b64 exec, exec, s[4:5]
	s_waitcnt lgkmcnt(0)
	; wave barrier
	buffer_load_dword v95, off, s[0:3], 0 offset:80
	buffer_load_dword v96, off, s[0:3], 0 offset:84
	;; [unrolled: 1-line block ×22, first 2 shown]
	ds_read_b128 v[87:90], v86 offset:416
	ds_read_b128 v[91:94], v86 offset:432
	v_cmp_lt_u32_e32 vcc, 8, v0
	s_waitcnt vmcnt(20) lgkmcnt(1)
	v_fma_f64 v[87:88], v[95:96], v[87:88], 0
	s_waitcnt vmcnt(18)
	v_fma_f64 v[87:88], v[97:98], v[89:90], v[87:88]
	buffer_load_dword v96, off, s[0:3], 0 offset:172
	buffer_load_dword v97, off, s[0:3], 0 offset:192
	buffer_load_dword v117, off, s[0:3], 0 offset:184
	buffer_load_dword v119, off, s[0:3], 0 offset:176
	buffer_load_dword v95, off, s[0:3], 0 offset:168
	buffer_load_dword v120, off, s[0:3], 0 offset:180
	buffer_load_dword v118, off, s[0:3], 0 offset:188
	s_waitcnt vmcnt(23) lgkmcnt(0)
	v_fma_f64 v[87:88], v[99:100], v[91:92], v[87:88]
	s_waitcnt vmcnt(21)
	v_fma_f64 v[98:99], v[101:102], v[93:94], v[87:88]
	ds_read_b128 v[87:90], v86 offset:448
	ds_read_b128 v[91:94], v86 offset:464
	s_waitcnt vmcnt(19) lgkmcnt(1)
	v_fma_f64 v[87:88], v[103:104], v[87:88], v[98:99]
	buffer_load_dword v98, off, s[0:3], 0 offset:196
	s_waitcnt vmcnt(18)
	v_fma_f64 v[87:88], v[105:106], v[89:90], v[87:88]
	buffer_load_dword v100, off, s[0:3], 0 offset:204
	buffer_load_dword v101, off, s[0:3], 0 offset:224
	;; [unrolled: 1-line block ×7, first 2 shown]
	s_waitcnt vmcnt(23) lgkmcnt(0)
	v_fma_f64 v[87:88], v[107:108], v[91:92], v[87:88]
	s_waitcnt vmcnt(18)
	v_fma_f64 v[107:108], v[109:110], v[93:94], v[87:88]
	ds_read_b128 v[87:90], v86 offset:480
	ds_read_b128 v[91:94], v86 offset:496
	buffer_load_dword v102, off, s[0:3], 0 offset:228
	s_waitcnt vmcnt(18) lgkmcnt(1)
	v_fma_f64 v[87:88], v[115:116], v[87:88], v[107:108]
	s_waitcnt vmcnt(17)
	v_fma_f64 v[87:88], v[113:114], v[89:90], v[87:88]
	buffer_load_dword v108, off, s[0:3], 0 offset:236
	buffer_load_dword v109, off, s[0:3], 0 offset:256
	buffer_load_dword v113, off, s[0:3], 0 offset:248
	buffer_load_dword v115, off, s[0:3], 0 offset:240
	buffer_load_dword v107, off, s[0:3], 0 offset:232
	buffer_load_dword v116, off, s[0:3], 0 offset:244
	buffer_load_dword v114, off, s[0:3], 0 offset:252
	buffer_load_dword v110, off, s[0:3], 0 offset:260
	s_waitcnt vmcnt(24) lgkmcnt(0)
	v_fma_f64 v[87:88], v[111:112], v[91:92], v[87:88]
	s_waitcnt vmcnt(19)
	v_fma_f64 v[95:96], v[95:96], v[93:94], v[87:88]
	ds_read_b128 v[87:90], v86 offset:512
	ds_read_b128 v[91:94], v86 offset:528
	s_waitcnt vmcnt(18) lgkmcnt(1)
	v_fma_f64 v[87:88], v[119:120], v[87:88], v[95:96]
	s_waitcnt vmcnt(17)
	v_fma_f64 v[87:88], v[117:118], v[89:90], v[87:88]
	buffer_load_dword v96, off, s[0:3], 0 offset:268
	buffer_load_dword v111, off, s[0:3], 0 offset:288
	buffer_load_dword v117, off, s[0:3], 0 offset:280
	buffer_load_dword v119, off, s[0:3], 0 offset:272
	buffer_load_dword v95, off, s[0:3], 0 offset:264
	buffer_load_dword v120, off, s[0:3], 0 offset:276
	buffer_load_dword v118, off, s[0:3], 0 offset:284
	buffer_load_dword v112, off, s[0:3], 0 offset:292
	s_waitcnt vmcnt(24) lgkmcnt(0)
	v_fma_f64 v[87:88], v[97:98], v[91:92], v[87:88]
	s_waitcnt vmcnt(19)
	v_fma_f64 v[97:98], v[99:100], v[93:94], v[87:88]
	ds_read_b128 v[87:90], v86 offset:544
	ds_read_b128 v[91:94], v86 offset:560
	;; [unrolled: 18-line block ×3, first 2 shown]
	s_waitcnt vmcnt(18) lgkmcnt(1)
	v_fma_f64 v[87:88], v[115:116], v[87:88], v[101:102]
	buffer_load_dword v102, off, s[0:3], 0 offset:332
	buffer_load_dword v101, off, s[0:3], 0 offset:328
	;; [unrolled: 1-line block ×4, first 2 shown]
	s_waitcnt vmcnt(21)
	v_fma_f64 v[87:88], v[113:114], v[89:90], v[87:88]
	s_waitcnt vmcnt(20) lgkmcnt(0)
	v_fma_f64 v[87:88], v[109:110], v[91:92], v[87:88]
	s_waitcnt vmcnt(15)
	v_fma_f64 v[95:96], v[95:96], v[93:94], v[87:88]
	ds_read_b128 v[87:90], v86 offset:608
	ds_read_b128 v[91:94], v86 offset:624
	s_waitcnt vmcnt(14) lgkmcnt(1)
	v_fma_f64 v[87:88], v[119:120], v[87:88], v[95:96]
	s_waitcnt vmcnt(13)
	v_fma_f64 v[87:88], v[117:118], v[89:90], v[87:88]
	s_waitcnt vmcnt(12) lgkmcnt(0)
	v_fma_f64 v[87:88], v[111:112], v[91:92], v[87:88]
	s_waitcnt vmcnt(7)
	v_fma_f64 v[95:96], v[97:98], v[93:94], v[87:88]
	ds_read_b128 v[87:90], v86 offset:640
	ds_read_b128 v[91:94], v86 offset:656
	s_waitcnt vmcnt(6) lgkmcnt(1)
	v_fma_f64 v[86:87], v[105:106], v[87:88], v[95:96]
	s_waitcnt vmcnt(5)
	v_fma_f64 v[86:87], v[103:104], v[89:90], v[86:87]
	s_waitcnt vmcnt(4) lgkmcnt(0)
	v_fma_f64 v[86:87], v[99:100], v[91:92], v[86:87]
	s_waitcnt vmcnt(2)
	v_fma_f64 v[86:87], v[101:102], v[93:94], v[86:87]
	s_waitcnt vmcnt(0)
	v_add_f64 v[86:87], v[107:108], -v[86:87]
	buffer_store_dword v87, off, s[0:3], 0 offset:76
	buffer_store_dword v86, off, s[0:3], 0 offset:72
	s_and_saveexec_b64 s[4:5], vcc
	s_cbranch_execz .LBB41_243
; %bb.242:
	buffer_load_dword v86, off, s[0:3], 0 offset:64
	buffer_load_dword v87, off, s[0:3], 0 offset:68
	v_mov_b32_e32 v88, 0
	buffer_store_dword v88, off, s[0:3], 0 offset:64
	buffer_store_dword v88, off, s[0:3], 0 offset:68
	s_waitcnt vmcnt(2)
	ds_write_b64 v85, v[86:87]
.LBB41_243:
	s_or_b64 exec, exec, s[4:5]
	s_waitcnt lgkmcnt(0)
	; wave barrier
	buffer_load_dword v95, off, s[0:3], 0 offset:72
	buffer_load_dword v96, off, s[0:3], 0 offset:76
	;; [unrolled: 1-line block ×21, first 2 shown]
	v_mov_b32_e32 v86, 0
	ds_read2_b64 v[87:90], v86 offset0:51 offset1:52
	ds_read2_b64 v[91:94], v86 offset0:53 offset1:54
	buffer_load_dword v112, off, s[0:3], 0 offset:156
	v_cmp_lt_u32_e32 vcc, 7, v0
	s_waitcnt vmcnt(20) lgkmcnt(1)
	v_fma_f64 v[87:88], v[95:96], v[87:88], 0
	s_waitcnt vmcnt(18)
	v_fma_f64 v[87:88], v[97:98], v[89:90], v[87:88]
	buffer_load_dword v96, off, s[0:3], 0 offset:164
	buffer_load_dword v97, off, s[0:3], 0 offset:184
	;; [unrolled: 1-line block ×7, first 2 shown]
	s_waitcnt vmcnt(23) lgkmcnt(0)
	v_fma_f64 v[87:88], v[99:100], v[91:92], v[87:88]
	s_waitcnt vmcnt(21)
	v_fma_f64 v[98:99], v[101:102], v[93:94], v[87:88]
	ds_read2_b64 v[87:90], v86 offset0:55 offset1:56
	ds_read2_b64 v[91:94], v86 offset0:57 offset1:58
	s_waitcnt vmcnt(19) lgkmcnt(1)
	v_fma_f64 v[87:88], v[103:104], v[87:88], v[98:99]
	buffer_load_dword v98, off, s[0:3], 0 offset:188
	s_waitcnt vmcnt(18)
	v_fma_f64 v[87:88], v[105:106], v[89:90], v[87:88]
	buffer_load_dword v100, off, s[0:3], 0 offset:196
	buffer_load_dword v101, off, s[0:3], 0 offset:216
	;; [unrolled: 1-line block ×7, first 2 shown]
	s_waitcnt vmcnt(23) lgkmcnt(0)
	v_fma_f64 v[87:88], v[107:108], v[91:92], v[87:88]
	s_waitcnt vmcnt(18)
	v_fma_f64 v[107:108], v[109:110], v[93:94], v[87:88]
	ds_read2_b64 v[87:90], v86 offset0:59 offset1:60
	ds_read2_b64 v[91:94], v86 offset0:61 offset1:62
	buffer_load_dword v102, off, s[0:3], 0 offset:220
	s_waitcnt vmcnt(18) lgkmcnt(1)
	v_fma_f64 v[87:88], v[115:116], v[87:88], v[107:108]
	s_waitcnt vmcnt(17)
	v_fma_f64 v[87:88], v[113:114], v[89:90], v[87:88]
	buffer_load_dword v108, off, s[0:3], 0 offset:228
	buffer_load_dword v109, off, s[0:3], 0 offset:248
	;; [unrolled: 1-line block ×7, first 2 shown]
	s_waitcnt vmcnt(23) lgkmcnt(0)
	v_fma_f64 v[87:88], v[111:112], v[91:92], v[87:88]
	s_waitcnt vmcnt(18)
	v_fma_f64 v[95:96], v[95:96], v[93:94], v[87:88]
	ds_read2_b64 v[87:90], v86 offset0:63 offset1:64
	ds_read2_b64 v[91:94], v86 offset0:65 offset1:66
	buffer_load_dword v110, off, s[0:3], 0 offset:252
	s_waitcnt vmcnt(18) lgkmcnt(1)
	v_fma_f64 v[87:88], v[119:120], v[87:88], v[95:96]
	s_waitcnt vmcnt(17)
	v_fma_f64 v[87:88], v[117:118], v[89:90], v[87:88]
	buffer_load_dword v96, off, s[0:3], 0 offset:260
	buffer_load_dword v111, off, s[0:3], 0 offset:280
	;; [unrolled: 1-line block ×8, first 2 shown]
	s_waitcnt vmcnt(24) lgkmcnt(0)
	v_fma_f64 v[87:88], v[97:98], v[91:92], v[87:88]
	s_waitcnt vmcnt(19)
	v_fma_f64 v[97:98], v[99:100], v[93:94], v[87:88]
	ds_read2_b64 v[87:90], v86 offset0:67 offset1:68
	ds_read2_b64 v[91:94], v86 offset0:69 offset1:70
	s_waitcnt vmcnt(18) lgkmcnt(1)
	v_fma_f64 v[87:88], v[105:106], v[87:88], v[97:98]
	s_waitcnt vmcnt(17)
	v_fma_f64 v[87:88], v[103:104], v[89:90], v[87:88]
	buffer_load_dword v98, off, s[0:3], 0 offset:292
	buffer_load_dword v99, off, s[0:3], 0 offset:312
	;; [unrolled: 1-line block ×7, first 2 shown]
	s_waitcnt vmcnt(23) lgkmcnt(0)
	v_fma_f64 v[87:88], v[101:102], v[91:92], v[87:88]
	s_waitcnt vmcnt(18)
	v_fma_f64 v[100:101], v[107:108], v[93:94], v[87:88]
	ds_read2_b64 v[87:90], v86 offset0:71 offset1:72
	ds_read2_b64 v[91:94], v86 offset0:73 offset1:74
	s_waitcnt vmcnt(17) lgkmcnt(1)
	v_fma_f64 v[87:88], v[115:116], v[87:88], v[100:101]
	buffer_load_dword v100, off, s[0:3], 0 offset:316
	buffer_load_dword v102, off, s[0:3], 0 offset:324
	;; [unrolled: 1-line block ×5, first 2 shown]
	s_waitcnt vmcnt(21)
	v_fma_f64 v[87:88], v[113:114], v[89:90], v[87:88]
	s_waitcnt vmcnt(20) lgkmcnt(0)
	v_fma_f64 v[87:88], v[109:110], v[91:92], v[87:88]
	buffer_load_dword v109, off, s[0:3], 0 offset:64
	buffer_load_dword v110, off, s[0:3], 0 offset:68
	s_waitcnt vmcnt(17)
	v_fma_f64 v[95:96], v[95:96], v[93:94], v[87:88]
	ds_read2_b64 v[87:90], v86 offset0:75 offset1:76
	ds_read2_b64 v[91:94], v86 offset0:77 offset1:78
	s_waitcnt vmcnt(16) lgkmcnt(1)
	v_fma_f64 v[87:88], v[119:120], v[87:88], v[95:96]
	s_waitcnt vmcnt(15)
	v_fma_f64 v[87:88], v[117:118], v[89:90], v[87:88]
	s_waitcnt vmcnt(14) lgkmcnt(0)
	v_fma_f64 v[87:88], v[111:112], v[91:92], v[87:88]
	s_waitcnt vmcnt(9)
	v_fma_f64 v[95:96], v[97:98], v[93:94], v[87:88]
	ds_read2_b64 v[87:90], v86 offset0:79 offset1:80
	ds_read2_b64 v[91:94], v86 offset0:81 offset1:82
	s_waitcnt vmcnt(8) lgkmcnt(1)
	v_fma_f64 v[87:88], v[105:106], v[87:88], v[95:96]
	s_waitcnt vmcnt(7)
	v_fma_f64 v[87:88], v[103:104], v[89:90], v[87:88]
	ds_read_b64 v[89:90], v86 offset:664
	s_waitcnt vmcnt(6) lgkmcnt(1)
	v_fma_f64 v[87:88], v[99:100], v[91:92], v[87:88]
	s_waitcnt vmcnt(3)
	v_fma_f64 v[87:88], v[101:102], v[93:94], v[87:88]
	s_waitcnt vmcnt(2) lgkmcnt(0)
	v_fma_f64 v[87:88], v[107:108], v[89:90], v[87:88]
	s_waitcnt vmcnt(0)
	v_add_f64 v[87:88], v[109:110], -v[87:88]
	buffer_store_dword v88, off, s[0:3], 0 offset:68
	buffer_store_dword v87, off, s[0:3], 0 offset:64
	s_and_saveexec_b64 s[4:5], vcc
	s_cbranch_execz .LBB41_245
; %bb.244:
	buffer_load_dword v87, off, s[0:3], 0 offset:56
	buffer_load_dword v88, off, s[0:3], 0 offset:60
	s_waitcnt vmcnt(0)
	ds_write_b64 v85, v[87:88]
	buffer_store_dword v86, off, s[0:3], 0 offset:56
	buffer_store_dword v86, off, s[0:3], 0 offset:60
.LBB41_245:
	s_or_b64 exec, exec, s[4:5]
	s_waitcnt lgkmcnt(0)
	; wave barrier
	buffer_load_dword v95, off, s[0:3], 0 offset:64
	buffer_load_dword v96, off, s[0:3], 0 offset:68
	;; [unrolled: 1-line block ×21, first 2 shown]
	ds_read_b128 v[87:90], v86 offset:400
	ds_read_b128 v[91:94], v86 offset:416
	buffer_load_dword v112, off, s[0:3], 0 offset:148
	v_cmp_lt_u32_e32 vcc, 6, v0
	s_waitcnt vmcnt(20) lgkmcnt(1)
	v_fma_f64 v[87:88], v[95:96], v[87:88], 0
	s_waitcnt vmcnt(18)
	v_fma_f64 v[87:88], v[97:98], v[89:90], v[87:88]
	buffer_load_dword v96, off, s[0:3], 0 offset:156
	buffer_load_dword v97, off, s[0:3], 0 offset:176
	;; [unrolled: 1-line block ×7, first 2 shown]
	s_waitcnt vmcnt(23) lgkmcnt(0)
	v_fma_f64 v[87:88], v[99:100], v[91:92], v[87:88]
	s_waitcnt vmcnt(21)
	v_fma_f64 v[98:99], v[101:102], v[93:94], v[87:88]
	ds_read_b128 v[87:90], v86 offset:432
	ds_read_b128 v[91:94], v86 offset:448
	s_waitcnt vmcnt(19) lgkmcnt(1)
	v_fma_f64 v[87:88], v[103:104], v[87:88], v[98:99]
	buffer_load_dword v98, off, s[0:3], 0 offset:180
	s_waitcnt vmcnt(18)
	v_fma_f64 v[87:88], v[105:106], v[89:90], v[87:88]
	buffer_load_dword v100, off, s[0:3], 0 offset:188
	buffer_load_dword v101, off, s[0:3], 0 offset:208
	;; [unrolled: 1-line block ×8, first 2 shown]
	s_waitcnt vmcnt(24) lgkmcnt(0)
	v_fma_f64 v[87:88], v[107:108], v[91:92], v[87:88]
	s_waitcnt vmcnt(19)
	v_fma_f64 v[107:108], v[109:110], v[93:94], v[87:88]
	ds_read_b128 v[87:90], v86 offset:464
	ds_read_b128 v[91:94], v86 offset:480
	s_waitcnt vmcnt(18) lgkmcnt(1)
	v_fma_f64 v[87:88], v[115:116], v[87:88], v[107:108]
	s_waitcnt vmcnt(17)
	v_fma_f64 v[87:88], v[113:114], v[89:90], v[87:88]
	buffer_load_dword v108, off, s[0:3], 0 offset:220
	buffer_load_dword v109, off, s[0:3], 0 offset:240
	;; [unrolled: 1-line block ×7, first 2 shown]
	s_waitcnt vmcnt(23) lgkmcnt(0)
	v_fma_f64 v[87:88], v[111:112], v[91:92], v[87:88]
	s_waitcnt vmcnt(18)
	v_fma_f64 v[95:96], v[95:96], v[93:94], v[87:88]
	ds_read_b128 v[87:90], v86 offset:496
	ds_read_b128 v[91:94], v86 offset:512
	buffer_load_dword v110, off, s[0:3], 0 offset:244
	s_waitcnt vmcnt(18) lgkmcnt(1)
	v_fma_f64 v[87:88], v[119:120], v[87:88], v[95:96]
	s_waitcnt vmcnt(17)
	v_fma_f64 v[87:88], v[117:118], v[89:90], v[87:88]
	buffer_load_dword v96, off, s[0:3], 0 offset:252
	buffer_load_dword v111, off, s[0:3], 0 offset:272
	;; [unrolled: 1-line block ×8, first 2 shown]
	s_waitcnt vmcnt(24) lgkmcnt(0)
	v_fma_f64 v[87:88], v[97:98], v[91:92], v[87:88]
	s_waitcnt vmcnt(19)
	v_fma_f64 v[97:98], v[99:100], v[93:94], v[87:88]
	ds_read_b128 v[87:90], v86 offset:528
	ds_read_b128 v[91:94], v86 offset:544
	s_waitcnt vmcnt(18) lgkmcnt(1)
	v_fma_f64 v[87:88], v[105:106], v[87:88], v[97:98]
	s_waitcnt vmcnt(17)
	v_fma_f64 v[87:88], v[103:104], v[89:90], v[87:88]
	buffer_load_dword v98, off, s[0:3], 0 offset:284
	buffer_load_dword v99, off, s[0:3], 0 offset:304
	;; [unrolled: 1-line block ×7, first 2 shown]
	s_waitcnt vmcnt(23) lgkmcnt(0)
	v_fma_f64 v[87:88], v[101:102], v[91:92], v[87:88]
	s_waitcnt vmcnt(18)
	v_fma_f64 v[100:101], v[107:108], v[93:94], v[87:88]
	ds_read_b128 v[87:90], v86 offset:560
	ds_read_b128 v[91:94], v86 offset:576
	s_waitcnt vmcnt(17) lgkmcnt(1)
	v_fma_f64 v[87:88], v[115:116], v[87:88], v[100:101]
	buffer_load_dword v100, off, s[0:3], 0 offset:308
	s_waitcnt vmcnt(17)
	v_fma_f64 v[87:88], v[113:114], v[89:90], v[87:88]
	buffer_load_dword v102, off, s[0:3], 0 offset:316
	buffer_load_dword v107, off, s[0:3], 0 offset:328
	;; [unrolled: 1-line block ×6, first 2 shown]
	s_waitcnt vmcnt(22) lgkmcnt(0)
	v_fma_f64 v[87:88], v[109:110], v[91:92], v[87:88]
	s_waitcnt vmcnt(17)
	v_fma_f64 v[95:96], v[95:96], v[93:94], v[87:88]
	ds_read_b128 v[87:90], v86 offset:592
	buffer_load_dword v109, off, s[0:3], 0 offset:56
	buffer_load_dword v110, off, s[0:3], 0 offset:60
	ds_read_b128 v[91:94], v86 offset:608
	s_waitcnt vmcnt(18) lgkmcnt(1)
	v_fma_f64 v[87:88], v[119:120], v[87:88], v[95:96]
	s_waitcnt vmcnt(17)
	v_fma_f64 v[87:88], v[117:118], v[89:90], v[87:88]
	s_waitcnt vmcnt(16) lgkmcnt(0)
	v_fma_f64 v[87:88], v[111:112], v[91:92], v[87:88]
	s_waitcnt vmcnt(11)
	v_fma_f64 v[95:96], v[97:98], v[93:94], v[87:88]
	ds_read_b128 v[87:90], v86 offset:624
	ds_read_b128 v[91:94], v86 offset:640
	s_waitcnt vmcnt(10) lgkmcnt(1)
	v_fma_f64 v[87:88], v[105:106], v[87:88], v[95:96]
	s_waitcnt vmcnt(9)
	v_fma_f64 v[87:88], v[103:104], v[89:90], v[87:88]
	s_waitcnt vmcnt(8) lgkmcnt(0)
	v_fma_f64 v[87:88], v[99:100], v[91:92], v[87:88]
	s_waitcnt vmcnt(4)
	v_fma_f64 v[90:91], v[101:102], v[93:94], v[87:88]
	ds_read_b128 v[86:89], v86 offset:656
	s_waitcnt vmcnt(3) lgkmcnt(0)
	v_fma_f64 v[86:87], v[113:114], v[86:87], v[90:91]
	s_waitcnt vmcnt(2)
	v_fma_f64 v[86:87], v[107:108], v[88:89], v[86:87]
	s_waitcnt vmcnt(0)
	v_add_f64 v[86:87], v[109:110], -v[86:87]
	buffer_store_dword v87, off, s[0:3], 0 offset:60
	buffer_store_dword v86, off, s[0:3], 0 offset:56
	s_and_saveexec_b64 s[4:5], vcc
	s_cbranch_execz .LBB41_247
; %bb.246:
	buffer_load_dword v86, off, s[0:3], 0 offset:48
	buffer_load_dword v87, off, s[0:3], 0 offset:52
	v_mov_b32_e32 v88, 0
	buffer_store_dword v88, off, s[0:3], 0 offset:48
	buffer_store_dword v88, off, s[0:3], 0 offset:52
	s_waitcnt vmcnt(2)
	ds_write_b64 v85, v[86:87]
.LBB41_247:
	s_or_b64 exec, exec, s[4:5]
	s_waitcnt lgkmcnt(0)
	; wave barrier
	buffer_load_dword v95, off, s[0:3], 0 offset:56
	buffer_load_dword v96, off, s[0:3], 0 offset:60
	;; [unrolled: 1-line block ×21, first 2 shown]
	v_mov_b32_e32 v86, 0
	ds_read2_b64 v[87:90], v86 offset0:49 offset1:50
	ds_read2_b64 v[91:94], v86 offset0:51 offset1:52
	buffer_load_dword v112, off, s[0:3], 0 offset:140
	v_cmp_lt_u32_e32 vcc, 5, v0
	s_waitcnt vmcnt(20) lgkmcnt(1)
	v_fma_f64 v[87:88], v[95:96], v[87:88], 0
	s_waitcnt vmcnt(18)
	v_fma_f64 v[87:88], v[97:98], v[89:90], v[87:88]
	buffer_load_dword v96, off, s[0:3], 0 offset:148
	buffer_load_dword v97, off, s[0:3], 0 offset:168
	;; [unrolled: 1-line block ×7, first 2 shown]
	s_waitcnt vmcnt(23) lgkmcnt(0)
	v_fma_f64 v[87:88], v[99:100], v[91:92], v[87:88]
	s_waitcnt vmcnt(21)
	v_fma_f64 v[98:99], v[101:102], v[93:94], v[87:88]
	ds_read2_b64 v[87:90], v86 offset0:53 offset1:54
	ds_read2_b64 v[91:94], v86 offset0:55 offset1:56
	s_waitcnt vmcnt(19) lgkmcnt(1)
	v_fma_f64 v[87:88], v[103:104], v[87:88], v[98:99]
	buffer_load_dword v98, off, s[0:3], 0 offset:172
	s_waitcnt vmcnt(18)
	v_fma_f64 v[87:88], v[105:106], v[89:90], v[87:88]
	buffer_load_dword v100, off, s[0:3], 0 offset:180
	buffer_load_dword v101, off, s[0:3], 0 offset:200
	;; [unrolled: 1-line block ×8, first 2 shown]
	s_waitcnt vmcnt(24) lgkmcnt(0)
	v_fma_f64 v[87:88], v[107:108], v[91:92], v[87:88]
	s_waitcnt vmcnt(19)
	v_fma_f64 v[107:108], v[109:110], v[93:94], v[87:88]
	ds_read2_b64 v[87:90], v86 offset0:57 offset1:58
	ds_read2_b64 v[91:94], v86 offset0:59 offset1:60
	s_waitcnt vmcnt(18) lgkmcnt(1)
	v_fma_f64 v[87:88], v[115:116], v[87:88], v[107:108]
	s_waitcnt vmcnt(17)
	v_fma_f64 v[87:88], v[113:114], v[89:90], v[87:88]
	buffer_load_dword v108, off, s[0:3], 0 offset:212
	buffer_load_dword v109, off, s[0:3], 0 offset:232
	;; [unrolled: 1-line block ×7, first 2 shown]
	s_waitcnt vmcnt(23) lgkmcnt(0)
	v_fma_f64 v[87:88], v[111:112], v[91:92], v[87:88]
	s_waitcnt vmcnt(18)
	v_fma_f64 v[95:96], v[95:96], v[93:94], v[87:88]
	ds_read2_b64 v[87:90], v86 offset0:61 offset1:62
	ds_read2_b64 v[91:94], v86 offset0:63 offset1:64
	buffer_load_dword v110, off, s[0:3], 0 offset:236
	s_waitcnt vmcnt(18) lgkmcnt(1)
	v_fma_f64 v[87:88], v[119:120], v[87:88], v[95:96]
	s_waitcnt vmcnt(17)
	v_fma_f64 v[87:88], v[117:118], v[89:90], v[87:88]
	buffer_load_dword v96, off, s[0:3], 0 offset:244
	buffer_load_dword v111, off, s[0:3], 0 offset:264
	;; [unrolled: 1-line block ×8, first 2 shown]
	s_waitcnt vmcnt(24) lgkmcnt(0)
	v_fma_f64 v[87:88], v[97:98], v[91:92], v[87:88]
	s_waitcnt vmcnt(19)
	v_fma_f64 v[97:98], v[99:100], v[93:94], v[87:88]
	ds_read2_b64 v[87:90], v86 offset0:65 offset1:66
	ds_read2_b64 v[91:94], v86 offset0:67 offset1:68
	s_waitcnt vmcnt(18) lgkmcnt(1)
	v_fma_f64 v[87:88], v[105:106], v[87:88], v[97:98]
	s_waitcnt vmcnt(17)
	v_fma_f64 v[87:88], v[103:104], v[89:90], v[87:88]
	buffer_load_dword v98, off, s[0:3], 0 offset:276
	buffer_load_dword v99, off, s[0:3], 0 offset:296
	;; [unrolled: 1-line block ×7, first 2 shown]
	s_waitcnt vmcnt(23) lgkmcnt(0)
	v_fma_f64 v[87:88], v[101:102], v[91:92], v[87:88]
	s_waitcnt vmcnt(18)
	v_fma_f64 v[100:101], v[107:108], v[93:94], v[87:88]
	ds_read2_b64 v[87:90], v86 offset0:69 offset1:70
	ds_read2_b64 v[91:94], v86 offset0:71 offset1:72
	s_waitcnt vmcnt(17) lgkmcnt(1)
	v_fma_f64 v[87:88], v[115:116], v[87:88], v[100:101]
	buffer_load_dword v100, off, s[0:3], 0 offset:300
	s_waitcnt vmcnt(17)
	v_fma_f64 v[87:88], v[113:114], v[89:90], v[87:88]
	buffer_load_dword v102, off, s[0:3], 0 offset:308
	buffer_load_dword v107, off, s[0:3], 0 offset:328
	;; [unrolled: 1-line block ×8, first 2 shown]
	s_waitcnt vmcnt(24) lgkmcnt(0)
	v_fma_f64 v[87:88], v[109:110], v[91:92], v[87:88]
	s_waitcnt vmcnt(19)
	v_fma_f64 v[95:96], v[95:96], v[93:94], v[87:88]
	ds_read2_b64 v[87:90], v86 offset0:73 offset1:74
	ds_read2_b64 v[91:94], v86 offset0:75 offset1:76
	s_waitcnt vmcnt(18) lgkmcnt(1)
	v_fma_f64 v[87:88], v[119:120], v[87:88], v[95:96]
	buffer_load_dword v95, off, s[0:3], 0 offset:48
	buffer_load_dword v96, off, s[0:3], 0 offset:52
	s_waitcnt vmcnt(19)
	v_fma_f64 v[87:88], v[117:118], v[89:90], v[87:88]
	s_waitcnt vmcnt(18) lgkmcnt(0)
	v_fma_f64 v[87:88], v[111:112], v[91:92], v[87:88]
	s_waitcnt vmcnt(13)
	v_fma_f64 v[97:98], v[97:98], v[93:94], v[87:88]
	ds_read2_b64 v[87:90], v86 offset0:77 offset1:78
	ds_read2_b64 v[91:94], v86 offset0:79 offset1:80
	s_waitcnt vmcnt(12) lgkmcnt(1)
	v_fma_f64 v[87:88], v[105:106], v[87:88], v[97:98]
	s_waitcnt vmcnt(11)
	v_fma_f64 v[87:88], v[103:104], v[89:90], v[87:88]
	s_waitcnt vmcnt(10) lgkmcnt(0)
	v_fma_f64 v[87:88], v[99:100], v[91:92], v[87:88]
	s_waitcnt vmcnt(5)
	v_fma_f64 v[91:92], v[101:102], v[93:94], v[87:88]
	ds_read2_b64 v[87:90], v86 offset0:81 offset1:82
	ds_read_b64 v[93:94], v86 offset:664
	s_waitcnt vmcnt(4) lgkmcnt(1)
	v_fma_f64 v[87:88], v[115:116], v[87:88], v[91:92]
	s_waitcnt vmcnt(3)
	v_fma_f64 v[87:88], v[113:114], v[89:90], v[87:88]
	s_waitcnt vmcnt(2) lgkmcnt(0)
	v_fma_f64 v[87:88], v[107:108], v[93:94], v[87:88]
	s_waitcnt vmcnt(0)
	v_add_f64 v[87:88], v[95:96], -v[87:88]
	buffer_store_dword v88, off, s[0:3], 0 offset:52
	buffer_store_dword v87, off, s[0:3], 0 offset:48
	s_and_saveexec_b64 s[4:5], vcc
	s_cbranch_execz .LBB41_249
; %bb.248:
	buffer_load_dword v87, off, s[0:3], 0 offset:40
	buffer_load_dword v88, off, s[0:3], 0 offset:44
	s_waitcnt vmcnt(0)
	ds_write_b64 v85, v[87:88]
	buffer_store_dword v86, off, s[0:3], 0 offset:40
	buffer_store_dword v86, off, s[0:3], 0 offset:44
.LBB41_249:
	s_or_b64 exec, exec, s[4:5]
	s_waitcnt lgkmcnt(0)
	; wave barrier
	buffer_load_dword v95, off, s[0:3], 0 offset:48
	buffer_load_dword v96, off, s[0:3], 0 offset:52
	;; [unrolled: 1-line block ×21, first 2 shown]
	ds_read_b128 v[87:90], v86 offset:384
	ds_read_b128 v[91:94], v86 offset:400
	buffer_load_dword v112, off, s[0:3], 0 offset:132
	v_cmp_lt_u32_e32 vcc, 4, v0
	s_waitcnt vmcnt(20) lgkmcnt(1)
	v_fma_f64 v[87:88], v[95:96], v[87:88], 0
	s_waitcnt vmcnt(18)
	v_fma_f64 v[87:88], v[97:98], v[89:90], v[87:88]
	buffer_load_dword v96, off, s[0:3], 0 offset:140
	buffer_load_dword v97, off, s[0:3], 0 offset:160
	;; [unrolled: 1-line block ×7, first 2 shown]
	s_waitcnt vmcnt(23) lgkmcnt(0)
	v_fma_f64 v[87:88], v[99:100], v[91:92], v[87:88]
	s_waitcnt vmcnt(21)
	v_fma_f64 v[98:99], v[101:102], v[93:94], v[87:88]
	ds_read_b128 v[87:90], v86 offset:416
	ds_read_b128 v[91:94], v86 offset:432
	s_waitcnt vmcnt(19) lgkmcnt(1)
	v_fma_f64 v[87:88], v[103:104], v[87:88], v[98:99]
	buffer_load_dword v98, off, s[0:3], 0 offset:164
	s_waitcnt vmcnt(18)
	v_fma_f64 v[87:88], v[105:106], v[89:90], v[87:88]
	buffer_load_dword v100, off, s[0:3], 0 offset:172
	buffer_load_dword v101, off, s[0:3], 0 offset:192
	buffer_load_dword v103, off, s[0:3], 0 offset:184
	buffer_load_dword v105, off, s[0:3], 0 offset:176
	buffer_load_dword v99, off, s[0:3], 0 offset:168
	buffer_load_dword v106, off, s[0:3], 0 offset:180
	buffer_load_dword v104, off, s[0:3], 0 offset:188
	buffer_load_dword v102, off, s[0:3], 0 offset:196
	s_waitcnt vmcnt(24) lgkmcnt(0)
	v_fma_f64 v[87:88], v[107:108], v[91:92], v[87:88]
	s_waitcnt vmcnt(19)
	v_fma_f64 v[107:108], v[109:110], v[93:94], v[87:88]
	ds_read_b128 v[87:90], v86 offset:448
	ds_read_b128 v[91:94], v86 offset:464
	s_waitcnt vmcnt(18) lgkmcnt(1)
	v_fma_f64 v[87:88], v[115:116], v[87:88], v[107:108]
	s_waitcnt vmcnt(17)
	v_fma_f64 v[87:88], v[113:114], v[89:90], v[87:88]
	buffer_load_dword v108, off, s[0:3], 0 offset:204
	buffer_load_dword v109, off, s[0:3], 0 offset:224
	;; [unrolled: 1-line block ×7, first 2 shown]
	s_waitcnt vmcnt(23) lgkmcnt(0)
	v_fma_f64 v[87:88], v[111:112], v[91:92], v[87:88]
	s_waitcnt vmcnt(18)
	v_fma_f64 v[95:96], v[95:96], v[93:94], v[87:88]
	ds_read_b128 v[87:90], v86 offset:480
	ds_read_b128 v[91:94], v86 offset:496
	buffer_load_dword v110, off, s[0:3], 0 offset:228
	s_waitcnt vmcnt(18) lgkmcnt(1)
	v_fma_f64 v[87:88], v[119:120], v[87:88], v[95:96]
	s_waitcnt vmcnt(17)
	v_fma_f64 v[87:88], v[117:118], v[89:90], v[87:88]
	buffer_load_dword v96, off, s[0:3], 0 offset:236
	buffer_load_dword v111, off, s[0:3], 0 offset:256
	;; [unrolled: 1-line block ×8, first 2 shown]
	s_waitcnt vmcnt(24) lgkmcnt(0)
	v_fma_f64 v[87:88], v[97:98], v[91:92], v[87:88]
	s_waitcnt vmcnt(19)
	v_fma_f64 v[97:98], v[99:100], v[93:94], v[87:88]
	ds_read_b128 v[87:90], v86 offset:512
	ds_read_b128 v[91:94], v86 offset:528
	s_waitcnt vmcnt(18) lgkmcnt(1)
	v_fma_f64 v[87:88], v[105:106], v[87:88], v[97:98]
	s_waitcnt vmcnt(17)
	v_fma_f64 v[87:88], v[103:104], v[89:90], v[87:88]
	buffer_load_dword v98, off, s[0:3], 0 offset:268
	buffer_load_dword v99, off, s[0:3], 0 offset:288
	;; [unrolled: 1-line block ×7, first 2 shown]
	s_waitcnt vmcnt(23) lgkmcnt(0)
	v_fma_f64 v[87:88], v[101:102], v[91:92], v[87:88]
	s_waitcnt vmcnt(18)
	v_fma_f64 v[100:101], v[107:108], v[93:94], v[87:88]
	ds_read_b128 v[87:90], v86 offset:544
	ds_read_b128 v[91:94], v86 offset:560
	s_waitcnt vmcnt(17) lgkmcnt(1)
	v_fma_f64 v[87:88], v[115:116], v[87:88], v[100:101]
	buffer_load_dword v100, off, s[0:3], 0 offset:292
	s_waitcnt vmcnt(17)
	v_fma_f64 v[87:88], v[113:114], v[89:90], v[87:88]
	buffer_load_dword v102, off, s[0:3], 0 offset:300
	buffer_load_dword v107, off, s[0:3], 0 offset:320
	;; [unrolled: 1-line block ×8, first 2 shown]
	s_waitcnt vmcnt(24) lgkmcnt(0)
	v_fma_f64 v[87:88], v[109:110], v[91:92], v[87:88]
	s_waitcnt vmcnt(19)
	v_fma_f64 v[95:96], v[95:96], v[93:94], v[87:88]
	ds_read_b128 v[87:90], v86 offset:576
	ds_read_b128 v[91:94], v86 offset:592
	s_waitcnt vmcnt(18) lgkmcnt(1)
	v_fma_f64 v[87:88], v[119:120], v[87:88], v[95:96]
	buffer_load_dword v96, off, s[0:3], 0 offset:332
	buffer_load_dword v95, off, s[0:3], 0 offset:328
	;; [unrolled: 1-line block ×4, first 2 shown]
	s_waitcnt vmcnt(21)
	v_fma_f64 v[87:88], v[117:118], v[89:90], v[87:88]
	s_waitcnt vmcnt(20) lgkmcnt(0)
	v_fma_f64 v[87:88], v[111:112], v[91:92], v[87:88]
	s_waitcnt vmcnt(15)
	v_fma_f64 v[97:98], v[97:98], v[93:94], v[87:88]
	ds_read_b128 v[87:90], v86 offset:608
	ds_read_b128 v[91:94], v86 offset:624
	s_waitcnt vmcnt(14) lgkmcnt(1)
	v_fma_f64 v[87:88], v[105:106], v[87:88], v[97:98]
	s_waitcnt vmcnt(13)
	v_fma_f64 v[87:88], v[103:104], v[89:90], v[87:88]
	s_waitcnt vmcnt(12) lgkmcnt(0)
	v_fma_f64 v[87:88], v[99:100], v[91:92], v[87:88]
	s_waitcnt vmcnt(7)
	v_fma_f64 v[97:98], v[101:102], v[93:94], v[87:88]
	ds_read_b128 v[87:90], v86 offset:640
	ds_read_b128 v[91:94], v86 offset:656
	s_waitcnt vmcnt(6) lgkmcnt(1)
	v_fma_f64 v[86:87], v[115:116], v[87:88], v[97:98]
	s_waitcnt vmcnt(5)
	v_fma_f64 v[86:87], v[113:114], v[89:90], v[86:87]
	s_waitcnt vmcnt(4) lgkmcnt(0)
	v_fma_f64 v[86:87], v[107:108], v[91:92], v[86:87]
	s_waitcnt vmcnt(2)
	v_fma_f64 v[86:87], v[95:96], v[93:94], v[86:87]
	s_waitcnt vmcnt(0)
	v_add_f64 v[86:87], v[109:110], -v[86:87]
	buffer_store_dword v87, off, s[0:3], 0 offset:44
	buffer_store_dword v86, off, s[0:3], 0 offset:40
	s_and_saveexec_b64 s[4:5], vcc
	s_cbranch_execz .LBB41_251
; %bb.250:
	buffer_load_dword v86, off, s[0:3], 0 offset:32
	buffer_load_dword v87, off, s[0:3], 0 offset:36
	v_mov_b32_e32 v88, 0
	buffer_store_dword v88, off, s[0:3], 0 offset:32
	buffer_store_dword v88, off, s[0:3], 0 offset:36
	s_waitcnt vmcnt(2)
	ds_write_b64 v85, v[86:87]
.LBB41_251:
	s_or_b64 exec, exec, s[4:5]
	s_waitcnt lgkmcnt(0)
	; wave barrier
	buffer_load_dword v95, off, s[0:3], 0 offset:40
	buffer_load_dword v96, off, s[0:3], 0 offset:44
	;; [unrolled: 1-line block ×21, first 2 shown]
	v_mov_b32_e32 v86, 0
	ds_read2_b64 v[87:90], v86 offset0:47 offset1:48
	ds_read2_b64 v[91:94], v86 offset0:49 offset1:50
	buffer_load_dword v112, off, s[0:3], 0 offset:124
	v_cmp_lt_u32_e32 vcc, 3, v0
	s_waitcnt vmcnt(20) lgkmcnt(1)
	v_fma_f64 v[87:88], v[95:96], v[87:88], 0
	s_waitcnt vmcnt(18)
	v_fma_f64 v[87:88], v[97:98], v[89:90], v[87:88]
	buffer_load_dword v96, off, s[0:3], 0 offset:132
	buffer_load_dword v97, off, s[0:3], 0 offset:152
	;; [unrolled: 1-line block ×7, first 2 shown]
	s_waitcnt vmcnt(23) lgkmcnt(0)
	v_fma_f64 v[87:88], v[99:100], v[91:92], v[87:88]
	s_waitcnt vmcnt(21)
	v_fma_f64 v[98:99], v[101:102], v[93:94], v[87:88]
	ds_read2_b64 v[87:90], v86 offset0:51 offset1:52
	ds_read2_b64 v[91:94], v86 offset0:53 offset1:54
	s_waitcnt vmcnt(19) lgkmcnt(1)
	v_fma_f64 v[87:88], v[103:104], v[87:88], v[98:99]
	buffer_load_dword v98, off, s[0:3], 0 offset:156
	s_waitcnt vmcnt(18)
	v_fma_f64 v[87:88], v[105:106], v[89:90], v[87:88]
	buffer_load_dword v100, off, s[0:3], 0 offset:164
	buffer_load_dword v101, off, s[0:3], 0 offset:184
	;; [unrolled: 1-line block ×8, first 2 shown]
	s_waitcnt vmcnt(24) lgkmcnt(0)
	v_fma_f64 v[87:88], v[107:108], v[91:92], v[87:88]
	s_waitcnt vmcnt(19)
	v_fma_f64 v[107:108], v[109:110], v[93:94], v[87:88]
	ds_read2_b64 v[87:90], v86 offset0:55 offset1:56
	ds_read2_b64 v[91:94], v86 offset0:57 offset1:58
	s_waitcnt vmcnt(18) lgkmcnt(1)
	v_fma_f64 v[87:88], v[115:116], v[87:88], v[107:108]
	s_waitcnt vmcnt(17)
	v_fma_f64 v[87:88], v[113:114], v[89:90], v[87:88]
	buffer_load_dword v108, off, s[0:3], 0 offset:196
	buffer_load_dword v109, off, s[0:3], 0 offset:216
	;; [unrolled: 1-line block ×7, first 2 shown]
	s_waitcnt vmcnt(23) lgkmcnt(0)
	v_fma_f64 v[87:88], v[111:112], v[91:92], v[87:88]
	s_waitcnt vmcnt(18)
	v_fma_f64 v[95:96], v[95:96], v[93:94], v[87:88]
	ds_read2_b64 v[87:90], v86 offset0:59 offset1:60
	ds_read2_b64 v[91:94], v86 offset0:61 offset1:62
	buffer_load_dword v110, off, s[0:3], 0 offset:220
	s_waitcnt vmcnt(18) lgkmcnt(1)
	v_fma_f64 v[87:88], v[119:120], v[87:88], v[95:96]
	s_waitcnt vmcnt(17)
	v_fma_f64 v[87:88], v[117:118], v[89:90], v[87:88]
	buffer_load_dword v96, off, s[0:3], 0 offset:228
	buffer_load_dword v111, off, s[0:3], 0 offset:248
	;; [unrolled: 1-line block ×7, first 2 shown]
	s_waitcnt vmcnt(23) lgkmcnt(0)
	v_fma_f64 v[87:88], v[97:98], v[91:92], v[87:88]
	s_waitcnt vmcnt(18)
	v_fma_f64 v[97:98], v[99:100], v[93:94], v[87:88]
	ds_read2_b64 v[87:90], v86 offset0:63 offset1:64
	ds_read2_b64 v[91:94], v86 offset0:65 offset1:66
	buffer_load_dword v112, off, s[0:3], 0 offset:252
	s_waitcnt vmcnt(18) lgkmcnt(1)
	v_fma_f64 v[87:88], v[105:106], v[87:88], v[97:98]
	s_waitcnt vmcnt(17)
	v_fma_f64 v[87:88], v[103:104], v[89:90], v[87:88]
	buffer_load_dword v98, off, s[0:3], 0 offset:260
	buffer_load_dword v99, off, s[0:3], 0 offset:280
	;; [unrolled: 1-line block ×7, first 2 shown]
	s_waitcnt vmcnt(23) lgkmcnt(0)
	v_fma_f64 v[87:88], v[101:102], v[91:92], v[87:88]
	s_waitcnt vmcnt(18)
	v_fma_f64 v[100:101], v[107:108], v[93:94], v[87:88]
	ds_read2_b64 v[87:90], v86 offset0:67 offset1:68
	ds_read2_b64 v[91:94], v86 offset0:69 offset1:70
	s_waitcnt vmcnt(17) lgkmcnt(1)
	v_fma_f64 v[87:88], v[115:116], v[87:88], v[100:101]
	buffer_load_dword v100, off, s[0:3], 0 offset:284
	s_waitcnt vmcnt(17)
	v_fma_f64 v[87:88], v[113:114], v[89:90], v[87:88]
	buffer_load_dword v102, off, s[0:3], 0 offset:292
	buffer_load_dword v107, off, s[0:3], 0 offset:312
	;; [unrolled: 1-line block ×7, first 2 shown]
	s_waitcnt vmcnt(23) lgkmcnt(0)
	v_fma_f64 v[87:88], v[109:110], v[91:92], v[87:88]
	s_waitcnt vmcnt(18)
	v_fma_f64 v[95:96], v[95:96], v[93:94], v[87:88]
	ds_read2_b64 v[87:90], v86 offset0:71 offset1:72
	ds_read2_b64 v[91:94], v86 offset0:73 offset1:74
	buffer_load_dword v108, off, s[0:3], 0 offset:316
	s_waitcnt vmcnt(18) lgkmcnt(1)
	v_fma_f64 v[87:88], v[119:120], v[87:88], v[95:96]
	buffer_load_dword v96, off, s[0:3], 0 offset:324
	buffer_load_dword v109, off, s[0:3], 0 offset:328
	;; [unrolled: 1-line block ×4, first 2 shown]
	s_waitcnt vmcnt(21)
	v_fma_f64 v[87:88], v[117:118], v[89:90], v[87:88]
	s_waitcnt vmcnt(20) lgkmcnt(0)
	v_fma_f64 v[87:88], v[111:112], v[91:92], v[87:88]
	buffer_load_dword v111, off, s[0:3], 0 offset:32
	buffer_load_dword v112, off, s[0:3], 0 offset:36
	s_waitcnt vmcnt(17)
	v_fma_f64 v[97:98], v[97:98], v[93:94], v[87:88]
	ds_read2_b64 v[87:90], v86 offset0:75 offset1:76
	ds_read2_b64 v[91:94], v86 offset0:77 offset1:78
	s_waitcnt vmcnt(16) lgkmcnt(1)
	v_fma_f64 v[87:88], v[105:106], v[87:88], v[97:98]
	s_waitcnt vmcnt(15)
	v_fma_f64 v[87:88], v[103:104], v[89:90], v[87:88]
	s_waitcnt vmcnt(14) lgkmcnt(0)
	v_fma_f64 v[87:88], v[99:100], v[91:92], v[87:88]
	s_waitcnt vmcnt(9)
	v_fma_f64 v[97:98], v[101:102], v[93:94], v[87:88]
	ds_read2_b64 v[87:90], v86 offset0:79 offset1:80
	ds_read2_b64 v[91:94], v86 offset0:81 offset1:82
	s_waitcnt vmcnt(8) lgkmcnt(1)
	v_fma_f64 v[87:88], v[115:116], v[87:88], v[97:98]
	s_waitcnt vmcnt(7)
	v_fma_f64 v[87:88], v[113:114], v[89:90], v[87:88]
	ds_read_b64 v[89:90], v86 offset:664
	s_waitcnt vmcnt(6) lgkmcnt(1)
	v_fma_f64 v[87:88], v[107:108], v[91:92], v[87:88]
	s_waitcnt vmcnt(3)
	v_fma_f64 v[87:88], v[95:96], v[93:94], v[87:88]
	s_waitcnt vmcnt(2) lgkmcnt(0)
	v_fma_f64 v[87:88], v[109:110], v[89:90], v[87:88]
	s_waitcnt vmcnt(0)
	v_add_f64 v[87:88], v[111:112], -v[87:88]
	buffer_store_dword v88, off, s[0:3], 0 offset:36
	buffer_store_dword v87, off, s[0:3], 0 offset:32
	s_and_saveexec_b64 s[4:5], vcc
	s_cbranch_execz .LBB41_253
; %bb.252:
	buffer_load_dword v87, off, s[0:3], 0 offset:24
	buffer_load_dword v88, off, s[0:3], 0 offset:28
	s_waitcnt vmcnt(0)
	ds_write_b64 v85, v[87:88]
	buffer_store_dword v86, off, s[0:3], 0 offset:24
	buffer_store_dword v86, off, s[0:3], 0 offset:28
.LBB41_253:
	s_or_b64 exec, exec, s[4:5]
	s_waitcnt lgkmcnt(0)
	; wave barrier
	buffer_load_dword v95, off, s[0:3], 0 offset:32
	buffer_load_dword v96, off, s[0:3], 0 offset:36
	;; [unrolled: 1-line block ×22, first 2 shown]
	ds_read_b128 v[87:90], v86 offset:368
	ds_read_b128 v[91:94], v86 offset:384
	v_cmp_lt_u32_e32 vcc, 2, v0
	s_waitcnt vmcnt(20) lgkmcnt(1)
	v_fma_f64 v[87:88], v[95:96], v[87:88], 0
	s_waitcnt vmcnt(18)
	v_fma_f64 v[87:88], v[97:98], v[89:90], v[87:88]
	buffer_load_dword v96, off, s[0:3], 0 offset:124
	buffer_load_dword v97, off, s[0:3], 0 offset:144
	;; [unrolled: 1-line block ×7, first 2 shown]
	s_waitcnt vmcnt(23) lgkmcnt(0)
	v_fma_f64 v[87:88], v[99:100], v[91:92], v[87:88]
	s_waitcnt vmcnt(21)
	v_fma_f64 v[98:99], v[101:102], v[93:94], v[87:88]
	ds_read_b128 v[87:90], v86 offset:400
	ds_read_b128 v[91:94], v86 offset:416
	s_waitcnt vmcnt(19) lgkmcnt(1)
	v_fma_f64 v[87:88], v[103:104], v[87:88], v[98:99]
	buffer_load_dword v98, off, s[0:3], 0 offset:148
	s_waitcnt vmcnt(18)
	v_fma_f64 v[87:88], v[105:106], v[89:90], v[87:88]
	buffer_load_dword v100, off, s[0:3], 0 offset:156
	buffer_load_dword v101, off, s[0:3], 0 offset:176
	;; [unrolled: 1-line block ×8, first 2 shown]
	s_waitcnt vmcnt(24) lgkmcnt(0)
	v_fma_f64 v[87:88], v[107:108], v[91:92], v[87:88]
	s_waitcnt vmcnt(19)
	v_fma_f64 v[107:108], v[109:110], v[93:94], v[87:88]
	ds_read_b128 v[87:90], v86 offset:432
	ds_read_b128 v[91:94], v86 offset:448
	s_waitcnt vmcnt(18) lgkmcnt(1)
	v_fma_f64 v[87:88], v[115:116], v[87:88], v[107:108]
	s_waitcnt vmcnt(17)
	v_fma_f64 v[87:88], v[113:114], v[89:90], v[87:88]
	buffer_load_dword v108, off, s[0:3], 0 offset:188
	buffer_load_dword v109, off, s[0:3], 0 offset:208
	;; [unrolled: 1-line block ×8, first 2 shown]
	s_waitcnt vmcnt(24) lgkmcnt(0)
	v_fma_f64 v[87:88], v[111:112], v[91:92], v[87:88]
	s_waitcnt vmcnt(19)
	v_fma_f64 v[95:96], v[95:96], v[93:94], v[87:88]
	ds_read_b128 v[87:90], v86 offset:464
	ds_read_b128 v[91:94], v86 offset:480
	s_waitcnt vmcnt(18) lgkmcnt(1)
	v_fma_f64 v[87:88], v[119:120], v[87:88], v[95:96]
	s_waitcnt vmcnt(17)
	v_fma_f64 v[87:88], v[117:118], v[89:90], v[87:88]
	buffer_load_dword v96, off, s[0:3], 0 offset:220
	buffer_load_dword v111, off, s[0:3], 0 offset:240
	;; [unrolled: 1-line block ×7, first 2 shown]
	s_waitcnt vmcnt(23) lgkmcnt(0)
	v_fma_f64 v[87:88], v[97:98], v[91:92], v[87:88]
	s_waitcnt vmcnt(18)
	v_fma_f64 v[97:98], v[99:100], v[93:94], v[87:88]
	ds_read_b128 v[87:90], v86 offset:496
	ds_read_b128 v[91:94], v86 offset:512
	buffer_load_dword v112, off, s[0:3], 0 offset:244
	s_waitcnt vmcnt(18) lgkmcnt(1)
	v_fma_f64 v[87:88], v[105:106], v[87:88], v[97:98]
	s_waitcnt vmcnt(17)
	v_fma_f64 v[87:88], v[103:104], v[89:90], v[87:88]
	buffer_load_dword v98, off, s[0:3], 0 offset:252
	buffer_load_dword v99, off, s[0:3], 0 offset:272
	;; [unrolled: 1-line block ×7, first 2 shown]
	s_waitcnt vmcnt(23) lgkmcnt(0)
	v_fma_f64 v[87:88], v[101:102], v[91:92], v[87:88]
	s_waitcnt vmcnt(18)
	v_fma_f64 v[100:101], v[107:108], v[93:94], v[87:88]
	ds_read_b128 v[87:90], v86 offset:528
	ds_read_b128 v[91:94], v86 offset:544
	s_waitcnt vmcnt(17) lgkmcnt(1)
	v_fma_f64 v[87:88], v[115:116], v[87:88], v[100:101]
	buffer_load_dword v100, off, s[0:3], 0 offset:276
	s_waitcnt vmcnt(17)
	v_fma_f64 v[87:88], v[113:114], v[89:90], v[87:88]
	buffer_load_dword v102, off, s[0:3], 0 offset:284
	buffer_load_dword v107, off, s[0:3], 0 offset:304
	;; [unrolled: 1-line block ×8, first 2 shown]
	s_waitcnt vmcnt(24) lgkmcnt(0)
	v_fma_f64 v[87:88], v[109:110], v[91:92], v[87:88]
	s_waitcnt vmcnt(19)
	v_fma_f64 v[95:96], v[95:96], v[93:94], v[87:88]
	ds_read_b128 v[87:90], v86 offset:560
	ds_read_b128 v[91:94], v86 offset:576
	s_waitcnt vmcnt(18) lgkmcnt(1)
	v_fma_f64 v[87:88], v[119:120], v[87:88], v[95:96]
	s_waitcnt vmcnt(17)
	v_fma_f64 v[87:88], v[117:118], v[89:90], v[87:88]
	buffer_load_dword v96, off, s[0:3], 0 offset:316
	buffer_load_dword v109, off, s[0:3], 0 offset:328
	;; [unrolled: 1-line block ×6, first 2 shown]
	s_waitcnt vmcnt(22) lgkmcnt(0)
	v_fma_f64 v[87:88], v[111:112], v[91:92], v[87:88]
	s_waitcnt vmcnt(17)
	v_fma_f64 v[97:98], v[97:98], v[93:94], v[87:88]
	ds_read_b128 v[87:90], v86 offset:592
	buffer_load_dword v111, off, s[0:3], 0 offset:24
	buffer_load_dword v112, off, s[0:3], 0 offset:28
	ds_read_b128 v[91:94], v86 offset:608
	s_waitcnt vmcnt(18) lgkmcnt(1)
	v_fma_f64 v[87:88], v[105:106], v[87:88], v[97:98]
	s_waitcnt vmcnt(17)
	v_fma_f64 v[87:88], v[103:104], v[89:90], v[87:88]
	s_waitcnt vmcnt(16) lgkmcnt(0)
	v_fma_f64 v[87:88], v[99:100], v[91:92], v[87:88]
	s_waitcnt vmcnt(11)
	v_fma_f64 v[97:98], v[101:102], v[93:94], v[87:88]
	ds_read_b128 v[87:90], v86 offset:624
	ds_read_b128 v[91:94], v86 offset:640
	s_waitcnt vmcnt(10) lgkmcnt(1)
	v_fma_f64 v[87:88], v[115:116], v[87:88], v[97:98]
	s_waitcnt vmcnt(9)
	v_fma_f64 v[87:88], v[113:114], v[89:90], v[87:88]
	s_waitcnt vmcnt(8) lgkmcnt(0)
	v_fma_f64 v[87:88], v[107:108], v[91:92], v[87:88]
	s_waitcnt vmcnt(4)
	v_fma_f64 v[90:91], v[95:96], v[93:94], v[87:88]
	ds_read_b128 v[86:89], v86 offset:656
	s_waitcnt vmcnt(3) lgkmcnt(0)
	v_fma_f64 v[86:87], v[117:118], v[86:87], v[90:91]
	s_waitcnt vmcnt(2)
	v_fma_f64 v[86:87], v[109:110], v[88:89], v[86:87]
	s_waitcnt vmcnt(0)
	v_add_f64 v[86:87], v[111:112], -v[86:87]
	buffer_store_dword v87, off, s[0:3], 0 offset:28
	buffer_store_dword v86, off, s[0:3], 0 offset:24
	s_and_saveexec_b64 s[4:5], vcc
	s_cbranch_execz .LBB41_255
; %bb.254:
	buffer_load_dword v86, off, s[0:3], 0 offset:16
	buffer_load_dword v87, off, s[0:3], 0 offset:20
	v_mov_b32_e32 v88, 0
	buffer_store_dword v88, off, s[0:3], 0 offset:16
	buffer_store_dword v88, off, s[0:3], 0 offset:20
	s_waitcnt vmcnt(2)
	ds_write_b64 v85, v[86:87]
.LBB41_255:
	s_or_b64 exec, exec, s[4:5]
	s_waitcnt lgkmcnt(0)
	; wave barrier
	buffer_load_dword v95, off, s[0:3], 0 offset:24
	buffer_load_dword v96, off, s[0:3], 0 offset:28
	;; [unrolled: 1-line block ×22, first 2 shown]
	v_mov_b32_e32 v86, 0
	ds_read2_b64 v[87:90], v86 offset0:45 offset1:46
	ds_read2_b64 v[91:94], v86 offset0:47 offset1:48
	v_cmp_lt_u32_e32 vcc, 1, v0
	s_waitcnt vmcnt(20) lgkmcnt(1)
	v_fma_f64 v[87:88], v[95:96], v[87:88], 0
	s_waitcnt vmcnt(18)
	v_fma_f64 v[87:88], v[97:98], v[89:90], v[87:88]
	buffer_load_dword v96, off, s[0:3], 0 offset:116
	buffer_load_dword v97, off, s[0:3], 0 offset:136
	;; [unrolled: 1-line block ×7, first 2 shown]
	s_waitcnt vmcnt(23) lgkmcnt(0)
	v_fma_f64 v[87:88], v[99:100], v[91:92], v[87:88]
	s_waitcnt vmcnt(21)
	v_fma_f64 v[98:99], v[101:102], v[93:94], v[87:88]
	ds_read2_b64 v[87:90], v86 offset0:49 offset1:50
	ds_read2_b64 v[91:94], v86 offset0:51 offset1:52
	s_waitcnt vmcnt(19) lgkmcnt(1)
	v_fma_f64 v[87:88], v[103:104], v[87:88], v[98:99]
	buffer_load_dword v98, off, s[0:3], 0 offset:140
	s_waitcnt vmcnt(18)
	v_fma_f64 v[87:88], v[105:106], v[89:90], v[87:88]
	buffer_load_dword v100, off, s[0:3], 0 offset:148
	buffer_load_dword v101, off, s[0:3], 0 offset:168
	;; [unrolled: 1-line block ×8, first 2 shown]
	s_waitcnt vmcnt(24) lgkmcnt(0)
	v_fma_f64 v[87:88], v[107:108], v[91:92], v[87:88]
	s_waitcnt vmcnt(19)
	v_fma_f64 v[107:108], v[109:110], v[93:94], v[87:88]
	ds_read2_b64 v[87:90], v86 offset0:53 offset1:54
	ds_read2_b64 v[91:94], v86 offset0:55 offset1:56
	s_waitcnt vmcnt(18) lgkmcnt(1)
	v_fma_f64 v[87:88], v[115:116], v[87:88], v[107:108]
	s_waitcnt vmcnt(17)
	v_fma_f64 v[87:88], v[113:114], v[89:90], v[87:88]
	buffer_load_dword v108, off, s[0:3], 0 offset:180
	buffer_load_dword v109, off, s[0:3], 0 offset:200
	;; [unrolled: 1-line block ×8, first 2 shown]
	s_waitcnt vmcnt(24) lgkmcnt(0)
	v_fma_f64 v[87:88], v[111:112], v[91:92], v[87:88]
	s_waitcnt vmcnt(19)
	v_fma_f64 v[95:96], v[95:96], v[93:94], v[87:88]
	ds_read2_b64 v[87:90], v86 offset0:57 offset1:58
	ds_read2_b64 v[91:94], v86 offset0:59 offset1:60
	s_waitcnt vmcnt(18) lgkmcnt(1)
	v_fma_f64 v[87:88], v[119:120], v[87:88], v[95:96]
	s_waitcnt vmcnt(17)
	v_fma_f64 v[87:88], v[117:118], v[89:90], v[87:88]
	buffer_load_dword v96, off, s[0:3], 0 offset:212
	buffer_load_dword v111, off, s[0:3], 0 offset:232
	;; [unrolled: 1-line block ×7, first 2 shown]
	s_waitcnt vmcnt(23) lgkmcnt(0)
	v_fma_f64 v[87:88], v[97:98], v[91:92], v[87:88]
	s_waitcnt vmcnt(18)
	v_fma_f64 v[97:98], v[99:100], v[93:94], v[87:88]
	ds_read2_b64 v[87:90], v86 offset0:61 offset1:62
	ds_read2_b64 v[91:94], v86 offset0:63 offset1:64
	buffer_load_dword v112, off, s[0:3], 0 offset:236
	s_waitcnt vmcnt(18) lgkmcnt(1)
	v_fma_f64 v[87:88], v[105:106], v[87:88], v[97:98]
	s_waitcnt vmcnt(17)
	v_fma_f64 v[87:88], v[103:104], v[89:90], v[87:88]
	buffer_load_dword v98, off, s[0:3], 0 offset:244
	buffer_load_dword v99, off, s[0:3], 0 offset:264
	;; [unrolled: 1-line block ×7, first 2 shown]
	s_waitcnt vmcnt(23) lgkmcnt(0)
	v_fma_f64 v[87:88], v[101:102], v[91:92], v[87:88]
	s_waitcnt vmcnt(18)
	v_fma_f64 v[100:101], v[107:108], v[93:94], v[87:88]
	ds_read2_b64 v[87:90], v86 offset0:65 offset1:66
	ds_read2_b64 v[91:94], v86 offset0:67 offset1:68
	s_waitcnt vmcnt(17) lgkmcnt(1)
	v_fma_f64 v[87:88], v[115:116], v[87:88], v[100:101]
	buffer_load_dword v100, off, s[0:3], 0 offset:268
	s_waitcnt vmcnt(17)
	v_fma_f64 v[87:88], v[113:114], v[89:90], v[87:88]
	buffer_load_dword v102, off, s[0:3], 0 offset:276
	buffer_load_dword v107, off, s[0:3], 0 offset:296
	;; [unrolled: 1-line block ×8, first 2 shown]
	s_waitcnt vmcnt(24) lgkmcnt(0)
	v_fma_f64 v[87:88], v[109:110], v[91:92], v[87:88]
	s_waitcnt vmcnt(19)
	v_fma_f64 v[95:96], v[95:96], v[93:94], v[87:88]
	ds_read2_b64 v[87:90], v86 offset0:69 offset1:70
	ds_read2_b64 v[91:94], v86 offset0:71 offset1:72
	s_waitcnt vmcnt(18) lgkmcnt(1)
	v_fma_f64 v[87:88], v[119:120], v[87:88], v[95:96]
	s_waitcnt vmcnt(17)
	v_fma_f64 v[87:88], v[117:118], v[89:90], v[87:88]
	buffer_load_dword v96, off, s[0:3], 0 offset:308
	buffer_load_dword v109, off, s[0:3], 0 offset:328
	;; [unrolled: 1-line block ×8, first 2 shown]
	s_waitcnt vmcnt(24) lgkmcnt(0)
	v_fma_f64 v[87:88], v[111:112], v[91:92], v[87:88]
	s_waitcnt vmcnt(19)
	v_fma_f64 v[97:98], v[97:98], v[93:94], v[87:88]
	ds_read2_b64 v[87:90], v86 offset0:73 offset1:74
	ds_read2_b64 v[91:94], v86 offset0:75 offset1:76
	s_waitcnt vmcnt(18) lgkmcnt(1)
	v_fma_f64 v[87:88], v[105:106], v[87:88], v[97:98]
	buffer_load_dword v97, off, s[0:3], 0 offset:16
	buffer_load_dword v98, off, s[0:3], 0 offset:20
	s_waitcnt vmcnt(19)
	v_fma_f64 v[87:88], v[103:104], v[89:90], v[87:88]
	s_waitcnt vmcnt(18) lgkmcnt(0)
	v_fma_f64 v[87:88], v[99:100], v[91:92], v[87:88]
	s_waitcnt vmcnt(13)
	v_fma_f64 v[99:100], v[101:102], v[93:94], v[87:88]
	ds_read2_b64 v[87:90], v86 offset0:77 offset1:78
	ds_read2_b64 v[91:94], v86 offset0:79 offset1:80
	s_waitcnt vmcnt(12) lgkmcnt(1)
	v_fma_f64 v[87:88], v[115:116], v[87:88], v[99:100]
	s_waitcnt vmcnt(11)
	v_fma_f64 v[87:88], v[113:114], v[89:90], v[87:88]
	s_waitcnt vmcnt(10) lgkmcnt(0)
	v_fma_f64 v[87:88], v[107:108], v[91:92], v[87:88]
	s_waitcnt vmcnt(5)
	v_fma_f64 v[91:92], v[95:96], v[93:94], v[87:88]
	ds_read2_b64 v[87:90], v86 offset0:81 offset1:82
	ds_read_b64 v[93:94], v86 offset:664
	s_waitcnt vmcnt(4) lgkmcnt(1)
	v_fma_f64 v[87:88], v[119:120], v[87:88], v[91:92]
	s_waitcnt vmcnt(3)
	v_fma_f64 v[87:88], v[117:118], v[89:90], v[87:88]
	s_waitcnt vmcnt(2) lgkmcnt(0)
	v_fma_f64 v[87:88], v[109:110], v[93:94], v[87:88]
	s_waitcnt vmcnt(0)
	v_add_f64 v[87:88], v[97:98], -v[87:88]
	buffer_store_dword v88, off, s[0:3], 0 offset:20
	buffer_store_dword v87, off, s[0:3], 0 offset:16
	s_and_saveexec_b64 s[4:5], vcc
	s_cbranch_execz .LBB41_257
; %bb.256:
	buffer_load_dword v87, off, s[0:3], 0 offset:8
	buffer_load_dword v88, off, s[0:3], 0 offset:12
	s_waitcnt vmcnt(0)
	ds_write_b64 v85, v[87:88]
	buffer_store_dword v86, off, s[0:3], 0 offset:8
	buffer_store_dword v86, off, s[0:3], 0 offset:12
.LBB41_257:
	s_or_b64 exec, exec, s[4:5]
	s_waitcnt lgkmcnt(0)
	; wave barrier
	buffer_load_dword v95, off, s[0:3], 0 offset:16
	buffer_load_dword v96, off, s[0:3], 0 offset:20
	;; [unrolled: 1-line block ×22, first 2 shown]
	ds_read_b128 v[87:90], v86 offset:352
	ds_read_b128 v[91:94], v86 offset:368
	v_cmp_ne_u32_e32 vcc, 0, v0
	s_waitcnt vmcnt(20) lgkmcnt(1)
	v_fma_f64 v[87:88], v[95:96], v[87:88], 0
	s_waitcnt vmcnt(18)
	v_fma_f64 v[87:88], v[97:98], v[89:90], v[87:88]
	buffer_load_dword v96, off, s[0:3], 0 offset:108
	buffer_load_dword v97, off, s[0:3], 0 offset:128
	;; [unrolled: 1-line block ×7, first 2 shown]
	s_waitcnt vmcnt(23) lgkmcnt(0)
	v_fma_f64 v[87:88], v[99:100], v[91:92], v[87:88]
	s_waitcnt vmcnt(21)
	v_fma_f64 v[98:99], v[101:102], v[93:94], v[87:88]
	ds_read_b128 v[87:90], v86 offset:384
	ds_read_b128 v[91:94], v86 offset:400
	s_waitcnt vmcnt(19) lgkmcnt(1)
	v_fma_f64 v[87:88], v[103:104], v[87:88], v[98:99]
	buffer_load_dword v98, off, s[0:3], 0 offset:132
	s_waitcnt vmcnt(18)
	v_fma_f64 v[87:88], v[105:106], v[89:90], v[87:88]
	buffer_load_dword v100, off, s[0:3], 0 offset:140
	buffer_load_dword v101, off, s[0:3], 0 offset:160
	;; [unrolled: 1-line block ×8, first 2 shown]
	s_waitcnt vmcnt(24) lgkmcnt(0)
	v_fma_f64 v[87:88], v[107:108], v[91:92], v[87:88]
	s_waitcnt vmcnt(19)
	v_fma_f64 v[107:108], v[109:110], v[93:94], v[87:88]
	ds_read_b128 v[87:90], v86 offset:416
	ds_read_b128 v[91:94], v86 offset:432
	s_waitcnt vmcnt(18) lgkmcnt(1)
	v_fma_f64 v[87:88], v[115:116], v[87:88], v[107:108]
	s_waitcnt vmcnt(17)
	v_fma_f64 v[87:88], v[113:114], v[89:90], v[87:88]
	buffer_load_dword v108, off, s[0:3], 0 offset:172
	buffer_load_dword v109, off, s[0:3], 0 offset:192
	;; [unrolled: 1-line block ×8, first 2 shown]
	s_waitcnt vmcnt(24) lgkmcnt(0)
	v_fma_f64 v[87:88], v[111:112], v[91:92], v[87:88]
	s_waitcnt vmcnt(19)
	v_fma_f64 v[95:96], v[95:96], v[93:94], v[87:88]
	ds_read_b128 v[87:90], v86 offset:448
	ds_read_b128 v[91:94], v86 offset:464
	s_waitcnt vmcnt(18) lgkmcnt(1)
	v_fma_f64 v[87:88], v[119:120], v[87:88], v[95:96]
	s_waitcnt vmcnt(17)
	v_fma_f64 v[87:88], v[117:118], v[89:90], v[87:88]
	buffer_load_dword v96, off, s[0:3], 0 offset:204
	buffer_load_dword v111, off, s[0:3], 0 offset:224
	;; [unrolled: 1-line block ×7, first 2 shown]
	s_waitcnt vmcnt(23) lgkmcnt(0)
	v_fma_f64 v[87:88], v[97:98], v[91:92], v[87:88]
	s_waitcnt vmcnt(18)
	v_fma_f64 v[97:98], v[99:100], v[93:94], v[87:88]
	ds_read_b128 v[87:90], v86 offset:480
	ds_read_b128 v[91:94], v86 offset:496
	buffer_load_dword v112, off, s[0:3], 0 offset:228
	s_waitcnt vmcnt(18) lgkmcnt(1)
	v_fma_f64 v[87:88], v[105:106], v[87:88], v[97:98]
	s_waitcnt vmcnt(17)
	v_fma_f64 v[87:88], v[103:104], v[89:90], v[87:88]
	buffer_load_dword v98, off, s[0:3], 0 offset:236
	buffer_load_dword v99, off, s[0:3], 0 offset:256
	;; [unrolled: 1-line block ×7, first 2 shown]
	s_waitcnt vmcnt(23) lgkmcnt(0)
	v_fma_f64 v[87:88], v[101:102], v[91:92], v[87:88]
	s_waitcnt vmcnt(18)
	v_fma_f64 v[100:101], v[107:108], v[93:94], v[87:88]
	ds_read_b128 v[87:90], v86 offset:512
	ds_read_b128 v[91:94], v86 offset:528
	s_waitcnt vmcnt(17) lgkmcnt(1)
	v_fma_f64 v[87:88], v[115:116], v[87:88], v[100:101]
	buffer_load_dword v100, off, s[0:3], 0 offset:260
	s_waitcnt vmcnt(17)
	v_fma_f64 v[87:88], v[113:114], v[89:90], v[87:88]
	buffer_load_dword v102, off, s[0:3], 0 offset:268
	buffer_load_dword v107, off, s[0:3], 0 offset:288
	;; [unrolled: 1-line block ×8, first 2 shown]
	s_waitcnt vmcnt(24) lgkmcnt(0)
	v_fma_f64 v[87:88], v[109:110], v[91:92], v[87:88]
	s_waitcnt vmcnt(19)
	v_fma_f64 v[95:96], v[95:96], v[93:94], v[87:88]
	ds_read_b128 v[87:90], v86 offset:544
	ds_read_b128 v[91:94], v86 offset:560
	s_waitcnt vmcnt(18) lgkmcnt(1)
	v_fma_f64 v[87:88], v[119:120], v[87:88], v[95:96]
	s_waitcnt vmcnt(17)
	v_fma_f64 v[87:88], v[117:118], v[89:90], v[87:88]
	buffer_load_dword v96, off, s[0:3], 0 offset:300
	buffer_load_dword v109, off, s[0:3], 0 offset:320
	;; [unrolled: 1-line block ×8, first 2 shown]
	s_waitcnt vmcnt(24) lgkmcnt(0)
	v_fma_f64 v[87:88], v[111:112], v[91:92], v[87:88]
	s_waitcnt vmcnt(19)
	v_fma_f64 v[97:98], v[97:98], v[93:94], v[87:88]
	ds_read_b128 v[87:90], v86 offset:576
	ds_read_b128 v[91:94], v86 offset:592
	s_waitcnt vmcnt(18) lgkmcnt(1)
	v_fma_f64 v[87:88], v[105:106], v[87:88], v[97:98]
	buffer_load_dword v98, off, s[0:3], 0 offset:332
	buffer_load_dword v97, off, s[0:3], 0 offset:328
	s_waitcnt vmcnt(19)
	v_fma_f64 v[87:88], v[103:104], v[89:90], v[87:88]
	buffer_load_dword v103, off, s[0:3], 0 offset:8
	buffer_load_dword v104, off, s[0:3], 0 offset:12
	s_waitcnt vmcnt(20) lgkmcnt(0)
	v_fma_f64 v[87:88], v[99:100], v[91:92], v[87:88]
	s_waitcnt vmcnt(15)
	v_fma_f64 v[99:100], v[101:102], v[93:94], v[87:88]
	ds_read_b128 v[87:90], v86 offset:608
	ds_read_b128 v[91:94], v86 offset:624
	s_waitcnt vmcnt(14) lgkmcnt(1)
	v_fma_f64 v[87:88], v[115:116], v[87:88], v[99:100]
	s_waitcnt vmcnt(13)
	v_fma_f64 v[87:88], v[113:114], v[89:90], v[87:88]
	s_waitcnt vmcnt(12) lgkmcnt(0)
	v_fma_f64 v[87:88], v[107:108], v[91:92], v[87:88]
	s_waitcnt vmcnt(7)
	v_fma_f64 v[95:96], v[95:96], v[93:94], v[87:88]
	ds_read_b128 v[87:90], v86 offset:640
	ds_read_b128 v[91:94], v86 offset:656
	s_waitcnt vmcnt(6) lgkmcnt(1)
	v_fma_f64 v[86:87], v[119:120], v[87:88], v[95:96]
	s_waitcnt vmcnt(5)
	v_fma_f64 v[86:87], v[117:118], v[89:90], v[86:87]
	s_waitcnt vmcnt(4) lgkmcnt(0)
	v_fma_f64 v[86:87], v[109:110], v[91:92], v[86:87]
	s_waitcnt vmcnt(2)
	v_fma_f64 v[86:87], v[97:98], v[93:94], v[86:87]
	s_waitcnt vmcnt(0)
	v_add_f64 v[86:87], v[103:104], -v[86:87]
	buffer_store_dword v87, off, s[0:3], 0 offset:12
	buffer_store_dword v86, off, s[0:3], 0 offset:8
	s_and_saveexec_b64 s[4:5], vcc
	s_cbranch_execz .LBB41_259
; %bb.258:
	buffer_load_dword v86, off, s[0:3], 0
	buffer_load_dword v87, off, s[0:3], 0 offset:4
	v_mov_b32_e32 v0, 0
	buffer_store_dword v0, off, s[0:3], 0
	buffer_store_dword v0, off, s[0:3], 0 offset:4
	s_waitcnt vmcnt(2)
	ds_write_b64 v85, v[86:87]
.LBB41_259:
	s_or_b64 exec, exec, s[4:5]
	s_waitcnt lgkmcnt(0)
	; wave barrier
	buffer_load_dword v93, off, s[0:3], 0 offset:8
	buffer_load_dword v94, off, s[0:3], 0 offset:12
	buffer_load_dword v95, off, s[0:3], 0 offset:16
	buffer_load_dword v96, off, s[0:3], 0 offset:20
	buffer_load_dword v97, off, s[0:3], 0 offset:24
	buffer_load_dword v98, off, s[0:3], 0 offset:28
	buffer_load_dword v99, off, s[0:3], 0 offset:32
	buffer_load_dword v100, off, s[0:3], 0 offset:36
	buffer_load_dword v101, off, s[0:3], 0 offset:40
	buffer_load_dword v102, off, s[0:3], 0 offset:44
	buffer_load_dword v103, off, s[0:3], 0 offset:48
	buffer_load_dword v104, off, s[0:3], 0 offset:52
	buffer_load_dword v105, off, s[0:3], 0 offset:56
	buffer_load_dword v106, off, s[0:3], 0 offset:60
	buffer_load_dword v108, off, s[0:3], 0 offset:68
	buffer_load_dword v109, off, s[0:3], 0 offset:88
	buffer_load_dword v111, off, s[0:3], 0 offset:80
	buffer_load_dword v113, off, s[0:3], 0 offset:72
	buffer_load_dword v107, off, s[0:3], 0 offset:64
	buffer_load_dword v114, off, s[0:3], 0 offset:76
	buffer_load_dword v112, off, s[0:3], 0 offset:84
	buffer_load_dword v110, off, s[0:3], 0 offset:92
	v_mov_b32_e32 v0, 0
	ds_read2_b64 v[85:88], v0 offset0:43 offset1:44
	ds_read2_b64 v[89:92], v0 offset0:45 offset1:46
	s_and_b64 vcc, exec, s[22:23]
	s_waitcnt vmcnt(20) lgkmcnt(1)
	v_fma_f64 v[85:86], v[93:94], v[85:86], 0
	s_waitcnt vmcnt(18)
	v_fma_f64 v[85:86], v[95:96], v[87:88], v[85:86]
	buffer_load_dword v94, off, s[0:3], 0 offset:100
	buffer_load_dword v95, off, s[0:3], 0 offset:120
	;; [unrolled: 1-line block ×7, first 2 shown]
	s_waitcnt vmcnt(23) lgkmcnt(0)
	v_fma_f64 v[85:86], v[97:98], v[89:90], v[85:86]
	s_waitcnt vmcnt(21)
	v_fma_f64 v[96:97], v[99:100], v[91:92], v[85:86]
	ds_read2_b64 v[85:88], v0 offset0:47 offset1:48
	ds_read2_b64 v[89:92], v0 offset0:49 offset1:50
	s_waitcnt vmcnt(19) lgkmcnt(1)
	v_fma_f64 v[85:86], v[101:102], v[85:86], v[96:97]
	buffer_load_dword v96, off, s[0:3], 0 offset:124
	s_waitcnt vmcnt(18)
	v_fma_f64 v[85:86], v[103:104], v[87:88], v[85:86]
	buffer_load_dword v98, off, s[0:3], 0 offset:132
	buffer_load_dword v99, off, s[0:3], 0 offset:152
	buffer_load_dword v101, off, s[0:3], 0 offset:144
	buffer_load_dword v103, off, s[0:3], 0 offset:136
	buffer_load_dword v97, off, s[0:3], 0 offset:128
	buffer_load_dword v104, off, s[0:3], 0 offset:140
	buffer_load_dword v102, off, s[0:3], 0 offset:148
	s_waitcnt vmcnt(23) lgkmcnt(0)
	v_fma_f64 v[85:86], v[105:106], v[89:90], v[85:86]
	s_waitcnt vmcnt(18)
	v_fma_f64 v[105:106], v[107:108], v[91:92], v[85:86]
	ds_read2_b64 v[85:88], v0 offset0:51 offset1:52
	ds_read2_b64 v[89:92], v0 offset0:53 offset1:54
	buffer_load_dword v100, off, s[0:3], 0 offset:156
	s_waitcnt vmcnt(18) lgkmcnt(1)
	v_fma_f64 v[85:86], v[113:114], v[85:86], v[105:106]
	s_waitcnt vmcnt(17)
	v_fma_f64 v[85:86], v[111:112], v[87:88], v[85:86]
	buffer_load_dword v106, off, s[0:3], 0 offset:164
	buffer_load_dword v107, off, s[0:3], 0 offset:184
	;; [unrolled: 1-line block ×8, first 2 shown]
	s_waitcnt vmcnt(24) lgkmcnt(0)
	v_fma_f64 v[85:86], v[109:110], v[89:90], v[85:86]
	s_waitcnt vmcnt(19)
	v_fma_f64 v[93:94], v[93:94], v[91:92], v[85:86]
	ds_read2_b64 v[85:88], v0 offset0:55 offset1:56
	ds_read2_b64 v[89:92], v0 offset0:57 offset1:58
	s_waitcnt vmcnt(18) lgkmcnt(1)
	v_fma_f64 v[85:86], v[117:118], v[85:86], v[93:94]
	s_waitcnt vmcnt(17)
	v_fma_f64 v[85:86], v[115:116], v[87:88], v[85:86]
	buffer_load_dword v94, off, s[0:3], 0 offset:196
	buffer_load_dword v109, off, s[0:3], 0 offset:216
	;; [unrolled: 1-line block ×7, first 2 shown]
	s_waitcnt vmcnt(23) lgkmcnt(0)
	v_fma_f64 v[85:86], v[95:96], v[89:90], v[85:86]
	s_waitcnt vmcnt(18)
	v_fma_f64 v[95:96], v[97:98], v[91:92], v[85:86]
	ds_read2_b64 v[85:88], v0 offset0:59 offset1:60
	ds_read2_b64 v[89:92], v0 offset0:61 offset1:62
	buffer_load_dword v110, off, s[0:3], 0 offset:220
	s_waitcnt vmcnt(18) lgkmcnt(1)
	v_fma_f64 v[85:86], v[103:104], v[85:86], v[95:96]
	s_waitcnt vmcnt(17)
	v_fma_f64 v[85:86], v[101:102], v[87:88], v[85:86]
	buffer_load_dword v96, off, s[0:3], 0 offset:228
	buffer_load_dword v97, off, s[0:3], 0 offset:248
	;; [unrolled: 1-line block ×7, first 2 shown]
	s_waitcnt vmcnt(23) lgkmcnt(0)
	v_fma_f64 v[85:86], v[99:100], v[89:90], v[85:86]
	s_waitcnt vmcnt(18)
	v_fma_f64 v[98:99], v[105:106], v[91:92], v[85:86]
	ds_read2_b64 v[85:88], v0 offset0:63 offset1:64
	ds_read2_b64 v[89:92], v0 offset0:65 offset1:66
	s_waitcnt vmcnt(17) lgkmcnt(1)
	v_fma_f64 v[85:86], v[113:114], v[85:86], v[98:99]
	buffer_load_dword v98, off, s[0:3], 0 offset:252
	s_waitcnt vmcnt(17)
	v_fma_f64 v[85:86], v[111:112], v[87:88], v[85:86]
	buffer_load_dword v100, off, s[0:3], 0 offset:260
	buffer_load_dword v105, off, s[0:3], 0 offset:280
	;; [unrolled: 1-line block ×8, first 2 shown]
	s_waitcnt vmcnt(24) lgkmcnt(0)
	v_fma_f64 v[85:86], v[107:108], v[89:90], v[85:86]
	s_waitcnt vmcnt(19)
	v_fma_f64 v[93:94], v[93:94], v[91:92], v[85:86]
	ds_read2_b64 v[85:88], v0 offset0:67 offset1:68
	ds_read2_b64 v[89:92], v0 offset0:69 offset1:70
	s_waitcnt vmcnt(18) lgkmcnt(1)
	v_fma_f64 v[85:86], v[117:118], v[85:86], v[93:94]
	s_waitcnt vmcnt(17)
	v_fma_f64 v[85:86], v[115:116], v[87:88], v[85:86]
	buffer_load_dword v108, off, s[0:3], 0 offset:292
	buffer_load_dword v115, off, s[0:3], 0 offset:312
	;; [unrolled: 1-line block ×7, first 2 shown]
	s_waitcnt vmcnt(23) lgkmcnt(0)
	v_fma_f64 v[85:86], v[109:110], v[89:90], v[85:86]
	s_waitcnt vmcnt(18)
	v_fma_f64 v[93:94], v[95:96], v[91:92], v[85:86]
	ds_read2_b64 v[85:88], v0 offset0:71 offset1:72
	ds_read2_b64 v[89:92], v0 offset0:73 offset1:74
	buffer_load_dword v116, off, s[0:3], 0 offset:316
	s_waitcnt vmcnt(18) lgkmcnt(1)
	v_fma_f64 v[85:86], v[103:104], v[85:86], v[93:94]
	s_waitcnt vmcnt(17)
	v_fma_f64 v[85:86], v[101:102], v[87:88], v[85:86]
	buffer_load_dword v88, off, s[0:3], 0 offset:324
	buffer_load_dword v101, off, s[0:3], 0 offset:328
	;; [unrolled: 1-line block ×4, first 2 shown]
	s_waitcnt vmcnt(20) lgkmcnt(0)
	v_fma_f64 v[85:86], v[97:98], v[89:90], v[85:86]
	buffer_load_dword v97, off, s[0:3], 0
	buffer_load_dword v98, off, s[0:3], 0 offset:4
	s_waitcnt vmcnt(17)
	v_fma_f64 v[85:86], v[99:100], v[91:92], v[85:86]
	ds_read2_b64 v[89:92], v0 offset0:75 offset1:76
	ds_read2_b64 v[93:96], v0 offset0:77 offset1:78
	s_waitcnt vmcnt(16) lgkmcnt(1)
	v_fma_f64 v[85:86], v[113:114], v[89:90], v[85:86]
	s_waitcnt vmcnt(15)
	v_fma_f64 v[85:86], v[111:112], v[91:92], v[85:86]
	s_waitcnt vmcnt(14) lgkmcnt(0)
	v_fma_f64 v[85:86], v[105:106], v[93:94], v[85:86]
	s_waitcnt vmcnt(9)
	v_fma_f64 v[85:86], v[107:108], v[95:96], v[85:86]
	ds_read2_b64 v[89:92], v0 offset0:79 offset1:80
	ds_read2_b64 v[93:96], v0 offset0:81 offset1:82
	s_waitcnt vmcnt(8) lgkmcnt(1)
	v_fma_f64 v[85:86], v[119:120], v[89:90], v[85:86]
	ds_read_b64 v[89:90], v0 offset:664
	s_waitcnt vmcnt(7)
	v_fma_f64 v[85:86], v[117:118], v[91:92], v[85:86]
	s_waitcnt vmcnt(6) lgkmcnt(1)
	v_fma_f64 v[85:86], v[115:116], v[93:94], v[85:86]
	s_waitcnt vmcnt(3)
	v_fma_f64 v[85:86], v[87:88], v[95:96], v[85:86]
	s_waitcnt vmcnt(2) lgkmcnt(0)
	v_fma_f64 v[85:86], v[101:102], v[89:90], v[85:86]
	s_waitcnt vmcnt(0)
	v_add_f64 v[85:86], v[97:98], -v[85:86]
	buffer_store_dword v86, off, s[0:3], 0 offset:4
	buffer_store_dword v85, off, s[0:3], 0
	s_cbranch_vccz .LBB41_342
; %bb.260:
	global_load_dword v0, v0, s[20:21] offset:160
	s_waitcnt vmcnt(0)
	v_add_u32_e32 v0, -1, v0
	v_cmp_ne_u32_e32 vcc, 40, v0
	s_cbranch_vccz .LBB41_262
; %bb.261:
	v_lshlrev_b32_e32 v0, 3, v0
	buffer_load_dword v85, v0, s[0:3], 0 offen offset:4
	buffer_load_dword v86, v0, s[0:3], 0 offen
	s_waitcnt vmcnt(1)
	buffer_store_dword v85, off, s[0:3], 0 offset:324
	s_waitcnt vmcnt(1)
	buffer_store_dword v86, off, s[0:3], 0 offset:320
	buffer_store_dword v88, v0, s[0:3], 0 offen offset:4
	buffer_store_dword v87, v0, s[0:3], 0 offen
.LBB41_262:
	v_mov_b32_e32 v0, 0
	global_load_dword v85, v0, s[20:21] offset:156
	s_waitcnt vmcnt(0)
	v_add_u32_e32 v85, -1, v85
	v_cmp_eq_u32_e32 vcc, 39, v85
	s_cbranch_vccnz .LBB41_264
; %bb.263:
	v_lshlrev_b32_e32 v85, 3, v85
	buffer_load_dword v86, v85, s[0:3], 0 offen
	buffer_load_dword v87, v85, s[0:3], 0 offen offset:4
	buffer_load_dword v88, off, s[0:3], 0 offset:312
	buffer_load_dword v89, off, s[0:3], 0 offset:316
	s_waitcnt vmcnt(3)
	buffer_store_dword v86, off, s[0:3], 0 offset:312
	s_waitcnt vmcnt(3)
	buffer_store_dword v87, off, s[0:3], 0 offset:316
	s_waitcnt vmcnt(3)
	buffer_store_dword v88, v85, s[0:3], 0 offen
	s_waitcnt vmcnt(3)
	buffer_store_dword v89, v85, s[0:3], 0 offen offset:4
.LBB41_264:
	global_load_dword v0, v0, s[20:21] offset:152
	s_waitcnt vmcnt(0)
	v_add_u32_e32 v0, -1, v0
	v_cmp_eq_u32_e32 vcc, 38, v0
	s_cbranch_vccnz .LBB41_266
; %bb.265:
	v_lshlrev_b32_e32 v0, 3, v0
	buffer_load_dword v85, v0, s[0:3], 0 offen
	buffer_load_dword v86, v0, s[0:3], 0 offen offset:4
	buffer_load_dword v87, off, s[0:3], 0 offset:308
	buffer_load_dword v88, off, s[0:3], 0 offset:304
	s_waitcnt vmcnt(3)
	buffer_store_dword v85, off, s[0:3], 0 offset:304
	s_waitcnt vmcnt(3)
	buffer_store_dword v86, off, s[0:3], 0 offset:308
	s_waitcnt vmcnt(3)
	buffer_store_dword v87, v0, s[0:3], 0 offen offset:4
	s_waitcnt vmcnt(3)
	buffer_store_dword v88, v0, s[0:3], 0 offen
.LBB41_266:
	v_mov_b32_e32 v0, 0
	global_load_dword v85, v0, s[20:21] offset:148
	s_waitcnt vmcnt(0)
	v_add_u32_e32 v85, -1, v85
	v_cmp_eq_u32_e32 vcc, 37, v85
	s_cbranch_vccnz .LBB41_268
; %bb.267:
	v_lshlrev_b32_e32 v85, 3, v85
	buffer_load_dword v86, v85, s[0:3], 0 offen
	buffer_load_dword v87, v85, s[0:3], 0 offen offset:4
	buffer_load_dword v88, off, s[0:3], 0 offset:296
	buffer_load_dword v89, off, s[0:3], 0 offset:300
	s_waitcnt vmcnt(3)
	buffer_store_dword v86, off, s[0:3], 0 offset:296
	s_waitcnt vmcnt(3)
	buffer_store_dword v87, off, s[0:3], 0 offset:300
	s_waitcnt vmcnt(3)
	buffer_store_dword v88, v85, s[0:3], 0 offen
	s_waitcnt vmcnt(3)
	buffer_store_dword v89, v85, s[0:3], 0 offen offset:4
.LBB41_268:
	global_load_dword v0, v0, s[20:21] offset:144
	s_waitcnt vmcnt(0)
	v_add_u32_e32 v0, -1, v0
	v_cmp_eq_u32_e32 vcc, 36, v0
	s_cbranch_vccnz .LBB41_270
; %bb.269:
	v_lshlrev_b32_e32 v0, 3, v0
	buffer_load_dword v85, v0, s[0:3], 0 offen
	buffer_load_dword v86, v0, s[0:3], 0 offen offset:4
	buffer_load_dword v87, off, s[0:3], 0 offset:292
	buffer_load_dword v88, off, s[0:3], 0 offset:288
	s_waitcnt vmcnt(3)
	buffer_store_dword v85, off, s[0:3], 0 offset:288
	s_waitcnt vmcnt(3)
	buffer_store_dword v86, off, s[0:3], 0 offset:292
	s_waitcnt vmcnt(3)
	buffer_store_dword v87, v0, s[0:3], 0 offen offset:4
	s_waitcnt vmcnt(3)
	buffer_store_dword v88, v0, s[0:3], 0 offen
.LBB41_270:
	;; [unrolled: 41-line block ×19, first 2 shown]
	v_mov_b32_e32 v0, 0
	global_load_dword v85, v0, s[20:21] offset:4
	s_waitcnt vmcnt(0)
	v_add_u32_e32 v85, -1, v85
	v_cmp_eq_u32_e32 vcc, 1, v85
	s_cbranch_vccnz .LBB41_340
; %bb.339:
	v_lshlrev_b32_e32 v85, 3, v85
	buffer_load_dword v86, v85, s[0:3], 0 offen
	buffer_load_dword v87, v85, s[0:3], 0 offen offset:4
	buffer_load_dword v88, off, s[0:3], 0 offset:8
	buffer_load_dword v89, off, s[0:3], 0 offset:12
	s_waitcnt vmcnt(3)
	buffer_store_dword v86, off, s[0:3], 0 offset:8
	s_waitcnt vmcnt(3)
	buffer_store_dword v87, off, s[0:3], 0 offset:12
	s_waitcnt vmcnt(3)
	buffer_store_dword v88, v85, s[0:3], 0 offen
	s_waitcnt vmcnt(3)
	buffer_store_dword v89, v85, s[0:3], 0 offen offset:4
.LBB41_340:
	global_load_dword v0, v0, s[20:21]
	s_nop 0
	buffer_load_dword v85, off, s[0:3], 0
	buffer_load_dword v86, off, s[0:3], 0 offset:4
	s_waitcnt vmcnt(2)
	v_add_u32_e32 v0, -1, v0
	v_cmp_eq_u32_e32 vcc, 0, v0
	s_cbranch_vccnz .LBB41_342
; %bb.341:
	v_lshlrev_b32_e32 v0, 3, v0
	buffer_load_dword v87, v0, s[0:3], 0 offen offset:4
	buffer_load_dword v88, v0, s[0:3], 0 offen
	s_waitcnt vmcnt(1)
	buffer_store_dword v87, off, s[0:3], 0 offset:4
	s_waitcnt vmcnt(1)
	buffer_store_dword v88, off, s[0:3], 0
	buffer_store_dword v86, v0, s[0:3], 0 offen offset:4
	buffer_store_dword v85, v0, s[0:3], 0 offen
	buffer_load_dword v85, off, s[0:3], 0
	s_nop 0
	buffer_load_dword v86, off, s[0:3], 0 offset:4
.LBB41_342:
	buffer_load_dword v87, off, s[0:3], 0 offset:8
	buffer_load_dword v88, off, s[0:3], 0 offset:12
	;; [unrolled: 1-line block ×20, first 2 shown]
	s_waitcnt vmcnt(20)
	global_store_dwordx2 v[83:84], v[85:86], off
	buffer_load_dword v83, off, s[0:3], 0 offset:88
	s_nop 0
	buffer_load_dword v84, off, s[0:3], 0 offset:92
	buffer_load_dword v85, off, s[0:3], 0 offset:96
	;; [unrolled: 1-line block ×19, first 2 shown]
	s_waitcnt vmcnt(39)
	global_store_dwordx2 v[81:82], v[87:88], off
	s_waitcnt vmcnt(38)
	global_store_dwordx2 v[5:6], v[89:90], off
	buffer_load_dword v5, off, s[0:3], 0 offset:168
	s_nop 0
	buffer_load_dword v6, off, s[0:3], 0 offset:172
	buffer_load_dword v81, off, s[0:3], 0 offset:176
	;; [unrolled: 1-line block ×7, first 2 shown]
	s_waitcnt vmcnt(45)
	global_store_dwordx2 v[1:2], v[91:92], off
	s_waitcnt vmcnt(44)
	global_store_dwordx2 v[9:10], v[93:94], off
	buffer_load_dword v0, off, s[0:3], 0 offset:200
	buffer_load_dword v1, off, s[0:3], 0 offset:204
	s_nop 0
	buffer_load_dword v9, off, s[0:3], 0 offset:208
	buffer_load_dword v10, off, s[0:3], 0 offset:212
	;; [unrolled: 1-line block ×6, first 2 shown]
	s_waitcnt vmcnt(51)
	global_store_dwordx2 v[3:4], v[95:96], off
	s_waitcnt vmcnt(50)
	global_store_dwordx2 v[11:12], v[97:98], off
	buffer_load_dword v2, off, s[0:3], 0 offset:232
	buffer_load_dword v3, off, s[0:3], 0 offset:236
	s_nop 0
	buffer_load_dword v11, off, s[0:3], 0 offset:240
	buffer_load_dword v12, off, s[0:3], 0 offset:244
	;; [unrolled: 1-line block ×6, first 2 shown]
	s_waitcnt vmcnt(57)
	global_store_dwordx2 v[7:8], v[99:100], off
	s_waitcnt vmcnt(56)
	global_store_dwordx2 v[15:16], v[101:102], off
	;; [unrolled: 2-line block ×4, first 2 shown]
	buffer_load_dword v7, off, s[0:3], 0 offset:264
	buffer_load_dword v8, off, s[0:3], 0 offset:268
	buffer_load_dword v15, off, s[0:3], 0 offset:272
	buffer_load_dword v16, off, s[0:3], 0 offset:276
	buffer_load_dword v19, off, s[0:3], 0 offset:280
	buffer_load_dword v20, off, s[0:3], 0 offset:284
	buffer_load_dword v23, off, s[0:3], 0 offset:288
	buffer_load_dword v24, off, s[0:3], 0 offset:292
	buffer_load_dword v99, off, s[0:3], 0 offset:296
	buffer_load_dword v100, off, s[0:3], 0 offset:300
	buffer_load_dword v101, off, s[0:3], 0 offset:304
	buffer_load_dword v102, off, s[0:3], 0 offset:308
	buffer_load_dword v103, off, s[0:3], 0 offset:312
	buffer_load_dword v104, off, s[0:3], 0 offset:316
	buffer_load_dword v105, off, s[0:3], 0 offset:320
	buffer_load_dword v106, off, s[0:3], 0 offset:324
	buffer_load_dword v123, off, s[0:3], 0 offset:328
	buffer_load_dword v124, off, s[0:3], 0 offset:332
	s_waitcnt vmcnt(62)
	global_store_dwordx2 v[13:14], v[83:84], off
	global_store_dwordx2 v[17:18], v[85:86], off
	;; [unrolled: 1-line block ×5, first 2 shown]
	s_waitcnt vmcnt(62)
	global_store_dwordx2 v[29:30], v[113:114], off
	global_store_dwordx2 v[31:32], v[115:116], off
	s_waitcnt vmcnt(62)
	global_store_dwordx2 v[33:34], v[117:118], off
	s_waitcnt vmcnt(62)
	;; [unrolled: 2-line block ×24, first 2 shown]
	global_store_dwordx2 v[79:80], v[123:124], off
	s_endpgm
	.section	.rodata,"a",@progbits
	.p2align	6, 0x0
	.amdhsa_kernel _ZN9rocsolver6v33100L18getri_kernel_smallILi42EdPdEEvT1_iilPiilS4_bb
		.amdhsa_group_segment_fixed_size 680
		.amdhsa_private_segment_fixed_size 352
		.amdhsa_kernarg_size 60
		.amdhsa_user_sgpr_count 6
		.amdhsa_user_sgpr_private_segment_buffer 1
		.amdhsa_user_sgpr_dispatch_ptr 0
		.amdhsa_user_sgpr_queue_ptr 0
		.amdhsa_user_sgpr_kernarg_segment_ptr 1
		.amdhsa_user_sgpr_dispatch_id 0
		.amdhsa_user_sgpr_flat_scratch_init 0
		.amdhsa_user_sgpr_private_segment_size 0
		.amdhsa_uses_dynamic_stack 0
		.amdhsa_system_sgpr_private_segment_wavefront_offset 1
		.amdhsa_system_sgpr_workgroup_id_x 1
		.amdhsa_system_sgpr_workgroup_id_y 0
		.amdhsa_system_sgpr_workgroup_id_z 0
		.amdhsa_system_sgpr_workgroup_info 0
		.amdhsa_system_vgpr_workitem_id 0
		.amdhsa_next_free_vgpr 125
		.amdhsa_next_free_sgpr 24
		.amdhsa_reserve_vcc 1
		.amdhsa_reserve_flat_scratch 0
		.amdhsa_float_round_mode_32 0
		.amdhsa_float_round_mode_16_64 0
		.amdhsa_float_denorm_mode_32 3
		.amdhsa_float_denorm_mode_16_64 3
		.amdhsa_dx10_clamp 1
		.amdhsa_ieee_mode 1
		.amdhsa_fp16_overflow 0
		.amdhsa_exception_fp_ieee_invalid_op 0
		.amdhsa_exception_fp_denorm_src 0
		.amdhsa_exception_fp_ieee_div_zero 0
		.amdhsa_exception_fp_ieee_overflow 0
		.amdhsa_exception_fp_ieee_underflow 0
		.amdhsa_exception_fp_ieee_inexact 0
		.amdhsa_exception_int_div_zero 0
	.end_amdhsa_kernel
	.section	.text._ZN9rocsolver6v33100L18getri_kernel_smallILi42EdPdEEvT1_iilPiilS4_bb,"axG",@progbits,_ZN9rocsolver6v33100L18getri_kernel_smallILi42EdPdEEvT1_iilPiilS4_bb,comdat
.Lfunc_end41:
	.size	_ZN9rocsolver6v33100L18getri_kernel_smallILi42EdPdEEvT1_iilPiilS4_bb, .Lfunc_end41-_ZN9rocsolver6v33100L18getri_kernel_smallILi42EdPdEEvT1_iilPiilS4_bb
                                        ; -- End function
	.set _ZN9rocsolver6v33100L18getri_kernel_smallILi42EdPdEEvT1_iilPiilS4_bb.num_vgpr, 125
	.set _ZN9rocsolver6v33100L18getri_kernel_smallILi42EdPdEEvT1_iilPiilS4_bb.num_agpr, 0
	.set _ZN9rocsolver6v33100L18getri_kernel_smallILi42EdPdEEvT1_iilPiilS4_bb.numbered_sgpr, 24
	.set _ZN9rocsolver6v33100L18getri_kernel_smallILi42EdPdEEvT1_iilPiilS4_bb.num_named_barrier, 0
	.set _ZN9rocsolver6v33100L18getri_kernel_smallILi42EdPdEEvT1_iilPiilS4_bb.private_seg_size, 352
	.set _ZN9rocsolver6v33100L18getri_kernel_smallILi42EdPdEEvT1_iilPiilS4_bb.uses_vcc, 1
	.set _ZN9rocsolver6v33100L18getri_kernel_smallILi42EdPdEEvT1_iilPiilS4_bb.uses_flat_scratch, 0
	.set _ZN9rocsolver6v33100L18getri_kernel_smallILi42EdPdEEvT1_iilPiilS4_bb.has_dyn_sized_stack, 0
	.set _ZN9rocsolver6v33100L18getri_kernel_smallILi42EdPdEEvT1_iilPiilS4_bb.has_recursion, 0
	.set _ZN9rocsolver6v33100L18getri_kernel_smallILi42EdPdEEvT1_iilPiilS4_bb.has_indirect_call, 0
	.section	.AMDGPU.csdata,"",@progbits
; Kernel info:
; codeLenInByte = 48364
; TotalNumSgprs: 28
; NumVgprs: 125
; ScratchSize: 352
; MemoryBound: 1
; FloatMode: 240
; IeeeMode: 1
; LDSByteSize: 680 bytes/workgroup (compile time only)
; SGPRBlocks: 3
; VGPRBlocks: 31
; NumSGPRsForWavesPerEU: 28
; NumVGPRsForWavesPerEU: 125
; Occupancy: 2
; WaveLimiterHint : 1
; COMPUTE_PGM_RSRC2:SCRATCH_EN: 1
; COMPUTE_PGM_RSRC2:USER_SGPR: 6
; COMPUTE_PGM_RSRC2:TRAP_HANDLER: 0
; COMPUTE_PGM_RSRC2:TGID_X_EN: 1
; COMPUTE_PGM_RSRC2:TGID_Y_EN: 0
; COMPUTE_PGM_RSRC2:TGID_Z_EN: 0
; COMPUTE_PGM_RSRC2:TIDIG_COMP_CNT: 0
	.section	.text._ZN9rocsolver6v33100L18getri_kernel_smallILi43EdPdEEvT1_iilPiilS4_bb,"axG",@progbits,_ZN9rocsolver6v33100L18getri_kernel_smallILi43EdPdEEvT1_iilPiilS4_bb,comdat
	.globl	_ZN9rocsolver6v33100L18getri_kernel_smallILi43EdPdEEvT1_iilPiilS4_bb ; -- Begin function _ZN9rocsolver6v33100L18getri_kernel_smallILi43EdPdEEvT1_iilPiilS4_bb
	.p2align	8
	.type	_ZN9rocsolver6v33100L18getri_kernel_smallILi43EdPdEEvT1_iilPiilS4_bb,@function
_ZN9rocsolver6v33100L18getri_kernel_smallILi43EdPdEEvT1_iilPiilS4_bb: ; @_ZN9rocsolver6v33100L18getri_kernel_smallILi43EdPdEEvT1_iilPiilS4_bb
; %bb.0:
	s_add_u32 s0, s0, s7
	s_addc_u32 s1, s1, 0
	v_cmp_gt_u32_e32 vcc, 43, v0
	s_and_saveexec_b64 s[8:9], vcc
	s_cbranch_execz .LBB42_180
; %bb.1:
	s_load_dword s12, s[4:5], 0x38
	s_load_dwordx4 s[16:19], s[4:5], 0x10
	s_load_dwordx4 s[8:11], s[4:5], 0x28
                                        ; implicit-def: $sgpr20_sgpr21
	s_waitcnt lgkmcnt(0)
	s_bitcmp1_b32 s12, 8
	s_cselect_b64 s[22:23], -1, 0
	s_ashr_i32 s7, s6, 31
	s_bfe_u32 s12, s12, 0x10008
	s_cmp_eq_u32 s12, 0
	s_cbranch_scc1 .LBB42_3
; %bb.2:
	s_load_dword s12, s[4:5], 0x20
	s_mul_i32 s13, s8, s7
	s_mul_hi_u32 s14, s8, s6
	s_mul_i32 s9, s9, s6
	s_add_i32 s14, s14, s13
	s_add_i32 s9, s14, s9
	s_mul_i32 s8, s8, s6
	s_waitcnt lgkmcnt(0)
	s_ashr_i32 s13, s12, 31
	s_lshl_b64 s[8:9], s[8:9], 2
	s_add_u32 s14, s18, s8
	s_addc_u32 s15, s19, s9
	s_lshl_b64 s[8:9], s[12:13], 2
	s_add_u32 s20, s14, s8
	s_addc_u32 s21, s15, s9
.LBB42_3:
	s_load_dwordx4 s[12:15], s[4:5], 0x0
	s_load_dword s8, s[4:5], 0x38
	s_mul_i32 s9, s16, s7
	s_mul_hi_u32 s18, s16, s6
	s_add_i32 s9, s18, s9
	s_waitcnt lgkmcnt(0)
	s_ashr_i32 s5, s14, 31
	s_mov_b32 s4, s14
	s_mul_i32 s14, s17, s6
	s_add_i32 s17, s9, s14
	s_mul_i32 s16, s16, s6
	s_lshl_b64 s[16:17], s[16:17], 3
	s_add_u32 s9, s12, s16
	s_addc_u32 s12, s13, s17
	s_lshl_b64 s[4:5], s[4:5], 3
	s_add_u32 s4, s9, s4
	s_addc_u32 s5, s12, s5
	s_add_i32 s9, s15, s15
	v_add_u32_e32 v1, s9, v0
	v_ashrrev_i32_e32 v2, 31, v1
	v_lshlrev_b64 v[2:3], 3, v[1:2]
	v_mov_b32_e32 v4, s5
	v_add_co_u32_e32 v5, vcc, s4, v2
	v_addc_co_u32_e32 v6, vcc, v4, v3, vcc
	v_add_u32_e32 v3, s15, v1
	v_ashrrev_i32_e32 v4, 31, v3
	v_lshlrev_b64 v[1:2], 3, v[3:4]
	v_mov_b32_e32 v4, s5
	v_add_co_u32_e32 v1, vcc, s4, v1
	v_add_u32_e32 v3, s15, v3
	v_addc_co_u32_e32 v2, vcc, v4, v2, vcc
	v_ashrrev_i32_e32 v4, 31, v3
	v_lshlrev_b64 v[7:8], 3, v[3:4]
	v_mov_b32_e32 v4, s5
	v_add_co_u32_e32 v9, vcc, s4, v7
	v_add_u32_e32 v7, s15, v3
	v_addc_co_u32_e32 v10, vcc, v4, v8, vcc
	;; [unrolled: 6-line block ×3, first 2 shown]
	v_ashrrev_i32_e32 v8, 31, v7
	v_lshlrev_b64 v[11:12], 3, v[7:8]
	v_add_u32_e32 v13, s15, v7
	v_mov_b32_e32 v8, s5
	v_add_co_u32_e32 v11, vcc, s4, v11
	v_ashrrev_i32_e32 v14, 31, v13
	v_addc_co_u32_e32 v12, vcc, v8, v12, vcc
	v_lshlrev_b64 v[7:8], 3, v[13:14]
	v_add_u32_e32 v15, s15, v13
	v_mov_b32_e32 v14, s5
	v_add_co_u32_e32 v7, vcc, s4, v7
	v_ashrrev_i32_e32 v16, 31, v15
	v_addc_co_u32_e32 v8, vcc, v14, v8, vcc
	v_lshlrev_b64 v[13:14], 3, v[15:16]
	v_mov_b32_e32 v16, s5
	v_add_co_u32_e32 v13, vcc, s4, v13
	v_add_u32_e32 v15, s15, v15
	v_addc_co_u32_e32 v14, vcc, v16, v14, vcc
	v_ashrrev_i32_e32 v16, 31, v15
	v_lshlrev_b64 v[17:18], 3, v[15:16]
	v_mov_b32_e32 v16, s5
	v_add_co_u32_e32 v17, vcc, s4, v17
	v_add_u32_e32 v15, s15, v15
	v_addc_co_u32_e32 v18, vcc, v16, v18, vcc
	v_ashrrev_i32_e32 v16, 31, v15
	v_lshlrev_b64 v[19:20], 3, v[15:16]
	v_add_u32_e32 v15, s15, v15
	v_mov_b32_e32 v22, s5
	v_add_co_u32_e32 v21, vcc, s4, v19
	v_ashrrev_i32_e32 v16, 31, v15
	v_addc_co_u32_e32 v22, vcc, v22, v20, vcc
	v_lshlrev_b64 v[19:20], 3, v[15:16]
	v_mov_b32_e32 v23, s5
	v_add_co_u32_e32 v25, vcc, s4, v19
	v_add_u32_e32 v19, s15, v15
	v_addc_co_u32_e32 v26, vcc, v23, v20, vcc
	v_ashrrev_i32_e32 v20, 31, v19
	v_lshlrev_b64 v[15:16], 3, v[19:20]
	v_mov_b32_e32 v27, s5
	v_add_co_u32_e32 v15, vcc, s4, v15
	v_addc_co_u32_e32 v16, vcc, v23, v16, vcc
	v_add_u32_e32 v23, s15, v19
	v_ashrrev_i32_e32 v24, 31, v23
	v_lshlrev_b64 v[19:20], 3, v[23:24]
	v_mov_b32_e32 v29, s5
	v_add_co_u32_e32 v19, vcc, s4, v19
	v_addc_co_u32_e32 v20, vcc, v27, v20, vcc
	v_add_u32_e32 v27, s15, v23
	;; [unrolled: 6-line block ×23, first 2 shown]
	v_ashrrev_i32_e32 v70, 31, v69
	v_lshlrev_b64 v[67:68], 3, v[69:70]
	v_lshlrev_b32_e32 v89, 3, v0
	v_add_co_u32_e32 v67, vcc, s4, v67
	v_addc_co_u32_e32 v68, vcc, v71, v68, vcc
	v_add_u32_e32 v71, s15, v69
	global_load_dwordx2 v[87:88], v89, s[4:5]
	v_mov_b32_e32 v69, s5
	v_add_co_u32_e32 v85, vcc, s4, v89
	s_ashr_i32 s13, s15, 31
	s_mov_b32 s12, s15
	v_addc_co_u32_e32 v86, vcc, 0, v69, vcc
	s_lshl_b64 s[12:13], s[12:13], 3
	v_mov_b32_e32 v69, s13
	v_add_co_u32_e32 v83, vcc, s12, v85
	v_addc_co_u32_e32 v84, vcc, v86, v69, vcc
	global_load_dwordx2 v[90:91], v[83:84], off
	global_load_dwordx2 v[92:93], v[5:6], off
	;; [unrolled: 1-line block ×7, first 2 shown]
	v_ashrrev_i32_e32 v72, 31, v71
	v_lshlrev_b64 v[69:70], 3, v[71:72]
	v_mov_b32_e32 v73, s5
	v_add_co_u32_e32 v69, vcc, s4, v69
	v_addc_co_u32_e32 v70, vcc, v73, v70, vcc
	v_add_u32_e32 v73, s15, v71
	v_ashrrev_i32_e32 v74, 31, v73
	v_lshlrev_b64 v[71:72], 3, v[73:74]
	v_mov_b32_e32 v75, s5
	v_add_co_u32_e32 v71, vcc, s4, v71
	v_addc_co_u32_e32 v72, vcc, v75, v72, vcc
	v_add_u32_e32 v75, s15, v73
	;; [unrolled: 6-line block ×5, first 2 shown]
	v_ashrrev_i32_e32 v82, 31, v81
	v_lshlrev_b64 v[79:80], 3, v[81:82]
	v_add_u32_e32 v81, s15, v81
	v_ashrrev_i32_e32 v82, 31, v81
	v_mov_b32_e32 v104, s5
	v_add_co_u32_e32 v79, vcc, s4, v79
	v_lshlrev_b64 v[81:82], 3, v[81:82]
	v_addc_co_u32_e32 v80, vcc, v104, v80, vcc
	global_load_dwordx2 v[104:105], v[13:14], off
	global_load_dwordx2 v[106:107], v[17:18], off
	;; [unrolled: 1-line block ×4, first 2 shown]
	v_mov_b32_e32 v120, s5
	global_load_dwordx2 v[112:113], v[15:16], off
	global_load_dwordx2 v[114:115], v[19:20], off
	;; [unrolled: 1-line block ×4, first 2 shown]
	v_add_co_u32_e32 v81, vcc, s4, v81
	v_addc_co_u32_e32 v82, vcc, v120, v82, vcc
	global_load_dwordx2 v[120:121], v[29:30], off
	global_load_dwordx2 v[122:123], v[31:32], off
	s_waitcnt vmcnt(17)
	buffer_store_dword v88, off, s[0:3], 0 offset:4
	buffer_store_dword v87, off, s[0:3], 0
	global_load_dwordx2 v[87:88], v[33:34], off
	s_waitcnt vmcnt(19)
	buffer_store_dword v91, off, s[0:3], 0 offset:12
	buffer_store_dword v90, off, s[0:3], 0 offset:8
	global_load_dwordx2 v[90:91], v[35:36], off
	s_waitcnt vmcnt(21)
	buffer_store_dword v93, off, s[0:3], 0 offset:20
	buffer_store_dword v92, off, s[0:3], 0 offset:16
	;; [unrolled: 4-line block ×7, first 2 shown]
	s_waitcnt vmcnt(32)
	buffer_store_dword v105, off, s[0:3], 0 offset:68
	buffer_store_dword v104, off, s[0:3], 0 offset:64
	s_waitcnt vmcnt(33)
	buffer_store_dword v106, off, s[0:3], 0 offset:72
	buffer_store_dword v107, off, s[0:3], 0 offset:76
	;; [unrolled: 3-line block ×8, first 2 shown]
	s_waitcnt vmcnt(40)
	buffer_store_dword v120, off, s[0:3], 0 offset:128
	global_load_dwordx2 v[102:103], v[47:48], off
	global_load_dwordx2 v[104:105], v[49:50], off
	;; [unrolled: 1-line block ×9, first 2 shown]
	s_bitcmp0_b32 s8, 0
	s_waitcnt vmcnt(46)
	buffer_store_dword v87, off, s[0:3], 0 offset:144
	buffer_store_dword v88, off, s[0:3], 0 offset:148
	global_load_dwordx2 v[87:88], v[57:58], off
	s_mov_b64 s[8:9], -1
	buffer_store_dword v121, off, s[0:3], 0 offset:132
	s_waitcnt vmcnt(47)
	buffer_store_dword v91, off, s[0:3], 0 offset:156
	buffer_store_dword v90, off, s[0:3], 0 offset:152
	global_load_dwordx2 v[90:91], v[61:62], off
	s_waitcnt vmcnt(47)
	buffer_store_dword v93, off, s[0:3], 0 offset:164
	buffer_store_dword v92, off, s[0:3], 0 offset:160
	global_load_dwordx2 v[92:93], v[65:66], off
	;; [unrolled: 4-line block ×4, first 2 shown]
	s_nop 0
	global_load_dwordx2 v[120:121], v[75:76], off
	s_waitcnt vmcnt(48)
	buffer_store_dword v98, off, s[0:3], 0 offset:184
	buffer_store_dword v99, off, s[0:3], 0 offset:188
	global_load_dwordx2 v[98:99], v[77:78], off
	s_nop 0
	buffer_store_dword v122, off, s[0:3], 0 offset:136
	buffer_store_dword v123, off, s[0:3], 0 offset:140
	global_load_dwordx2 v[122:123], v[79:80], off
	s_waitcnt vmcnt(51)
	buffer_store_dword v100, off, s[0:3], 0 offset:192
	buffer_store_dword v101, off, s[0:3], 0 offset:196
	global_load_dwordx2 v[100:101], v[81:82], off
	s_waitcnt vmcnt(34)
	buffer_store_dword v103, off, s[0:3], 0 offset:204
	buffer_store_dword v102, off, s[0:3], 0 offset:200
	s_waitcnt vmcnt(35)
	buffer_store_dword v105, off, s[0:3], 0 offset:212
	buffer_store_dword v104, off, s[0:3], 0 offset:208
	;; [unrolled: 3-line block ×6, first 2 shown]
	buffer_store_dword v113, off, s[0:3], 0 offset:252
	buffer_store_dword v112, off, s[0:3], 0 offset:248
	s_waitcnt vmcnt(33)
	buffer_store_dword v91, off, s[0:3], 0 offset:260
	buffer_store_dword v90, off, s[0:3], 0 offset:256
	buffer_store_dword v114, off, s[0:3], 0 offset:264
	buffer_store_dword v115, off, s[0:3], 0 offset:268
	s_waitcnt vmcnt(34)
	buffer_store_dword v92, off, s[0:3], 0 offset:272
	buffer_store_dword v93, off, s[0:3], 0 offset:276
	;; [unrolled: 5-line block ×4, first 2 shown]
	s_waitcnt vmcnt(37)
	buffer_store_dword v120, off, s[0:3], 0 offset:312
	buffer_store_dword v121, off, s[0:3], 0 offset:316
	s_waitcnt vmcnt(36)
	buffer_store_dword v98, off, s[0:3], 0 offset:320
	buffer_store_dword v99, off, s[0:3], 0 offset:324
	;; [unrolled: 3-line block ×4, first 2 shown]
	s_cbranch_scc1 .LBB42_178
; %bb.4:
	v_cmp_eq_u32_e64 s[4:5], 0, v0
	s_and_saveexec_b64 s[8:9], s[4:5]
; %bb.5:
	v_mov_b32_e32 v87, 0
	ds_write_b32 v87, v87 offset:344
; %bb.6:
	s_or_b64 exec, exec, s[8:9]
	v_mov_b32_e32 v87, 0
	v_lshl_add_u32 v87, v0, 3, v87
	s_waitcnt lgkmcnt(0)
	; wave barrier
	buffer_load_dword v90, v87, s[0:3], 0 offen
	buffer_load_dword v91, v87, s[0:3], 0 offen offset:4
	s_waitcnt vmcnt(0)
	v_cmp_eq_f64_e32 vcc, 0, v[90:91]
	s_and_saveexec_b64 s[12:13], vcc
	s_cbranch_execz .LBB42_10
; %bb.7:
	v_mov_b32_e32 v88, 0
	ds_read_b32 v91, v88 offset:344
	v_add_u32_e32 v90, 1, v0
	s_waitcnt lgkmcnt(0)
	v_readfirstlane_b32 s8, v91
	s_cmp_eq_u32 s8, 0
	s_cselect_b64 s[14:15], -1, 0
	v_cmp_gt_i32_e32 vcc, s8, v90
	s_or_b64 s[14:15], s[14:15], vcc
	s_and_b64 exec, exec, s[14:15]
	s_cbranch_execz .LBB42_10
; %bb.8:
	s_mov_b64 s[14:15], 0
	v_mov_b32_e32 v91, s8
.LBB42_9:                               ; =>This Inner Loop Header: Depth=1
	ds_cmpst_rtn_b32 v91, v88, v91, v90 offset:344
	s_waitcnt lgkmcnt(0)
	v_cmp_ne_u32_e32 vcc, 0, v91
	v_cmp_le_i32_e64 s[8:9], v91, v90
	s_and_b64 s[8:9], vcc, s[8:9]
	s_and_b64 s[8:9], exec, s[8:9]
	s_or_b64 s[14:15], s[8:9], s[14:15]
	s_andn2_b64 exec, exec, s[14:15]
	s_cbranch_execnz .LBB42_9
.LBB42_10:
	s_or_b64 exec, exec, s[12:13]
	v_mov_b32_e32 v90, 0
	; wave barrier
	ds_read_b32 v88, v90 offset:344
	s_and_saveexec_b64 s[8:9], s[4:5]
	s_cbranch_execz .LBB42_12
; %bb.11:
	s_lshl_b64 s[12:13], s[6:7], 2
	s_add_u32 s12, s10, s12
	s_addc_u32 s13, s11, s13
	s_waitcnt lgkmcnt(0)
	global_store_dword v90, v88, s[12:13]
.LBB42_12:
	s_or_b64 exec, exec, s[8:9]
	s_waitcnt lgkmcnt(0)
	v_cmp_ne_u32_e32 vcc, 0, v88
	s_mov_b64 s[8:9], 0
	s_cbranch_vccnz .LBB42_178
; %bb.13:
	buffer_load_dword v90, v87, s[0:3], 0 offen
	buffer_load_dword v91, v87, s[0:3], 0 offen offset:4
	s_waitcnt vmcnt(0)
	v_div_scale_f64 v[92:93], s[8:9], v[90:91], v[90:91], 1.0
	v_rcp_f64_e32 v[94:95], v[92:93]
	v_fma_f64 v[96:97], -v[92:93], v[94:95], 1.0
	v_fma_f64 v[94:95], v[94:95], v[96:97], v[94:95]
	v_div_scale_f64 v[96:97], vcc, 1.0, v[90:91], 1.0
	v_fma_f64 v[98:99], -v[92:93], v[94:95], 1.0
	v_fma_f64 v[94:95], v[94:95], v[98:99], v[94:95]
	v_mul_f64 v[98:99], v[96:97], v[94:95]
	v_fma_f64 v[92:93], -v[92:93], v[98:99], v[96:97]
	v_div_fmas_f64 v[92:93], v[92:93], v[94:95], v[98:99]
	v_div_fixup_f64 v[91:92], v[92:93], v[90:91], 1.0
	v_add_u32_e32 v90, 0x160, v89
	buffer_store_dword v92, v87, s[0:3], 0 offen offset:4
	buffer_store_dword v91, v87, s[0:3], 0 offen
	buffer_load_dword v94, off, s[0:3], 0 offset:12
	buffer_load_dword v93, off, s[0:3], 0 offset:8
	v_xor_b32_e32 v92, 0x80000000, v92
	s_waitcnt vmcnt(0)
	ds_write2_b64 v89, v[91:92], v[93:94] offset1:44
	s_waitcnt lgkmcnt(0)
	; wave barrier
	s_and_saveexec_b64 s[8:9], s[4:5]
	s_cbranch_execz .LBB42_15
; %bb.14:
	buffer_load_dword v91, v87, s[0:3], 0 offen
	buffer_load_dword v92, v87, s[0:3], 0 offen offset:4
	ds_read_b64 v[93:94], v90
	v_mov_b32_e32 v88, 0
	ds_read_b64 v[95:96], v88 offset:8
	s_waitcnt vmcnt(0) lgkmcnt(1)
	v_fma_f64 v[91:92], v[91:92], v[93:94], 0
	s_waitcnt lgkmcnt(0)
	v_mul_f64 v[91:92], v[91:92], v[95:96]
	buffer_store_dword v91, off, s[0:3], 0 offset:8
	buffer_store_dword v92, off, s[0:3], 0 offset:12
.LBB42_15:
	s_or_b64 exec, exec, s[8:9]
	; wave barrier
	buffer_load_dword v91, off, s[0:3], 0 offset:16
	buffer_load_dword v92, off, s[0:3], 0 offset:20
	v_cmp_gt_u32_e32 vcc, 2, v0
	s_waitcnt vmcnt(0)
	ds_write_b64 v90, v[91:92]
	s_waitcnt lgkmcnt(0)
	; wave barrier
	s_and_saveexec_b64 s[8:9], vcc
	s_cbranch_execz .LBB42_17
; %bb.16:
	buffer_load_dword v91, v87, s[0:3], 0 offen
	buffer_load_dword v92, v87, s[0:3], 0 offen offset:4
                                        ; kill: killed $vgpr87
	s_nop 0
	buffer_load_dword v87, off, s[0:3], 0 offset:8
	buffer_load_dword v88, off, s[0:3], 0 offset:12
	ds_read_b64 v[93:94], v90
	s_waitcnt vmcnt(2) lgkmcnt(0)
	v_fma_f64 v[95:96], v[91:92], v[93:94], 0
	v_mov_b32_e32 v91, 0
	ds_read2_b64 v[91:94], v91 offset0:2 offset1:45
	s_waitcnt vmcnt(0) lgkmcnt(0)
	v_fma_f64 v[87:88], v[87:88], v[93:94], v[95:96]
	v_cndmask_b32_e64 v88, v96, v88, s[4:5]
	v_cndmask_b32_e64 v87, v95, v87, s[4:5]
	v_mul_f64 v[87:88], v[87:88], v[91:92]
	buffer_store_dword v88, off, s[0:3], 0 offset:20
	buffer_store_dword v87, off, s[0:3], 0 offset:16
.LBB42_17:
	s_or_b64 exec, exec, s[8:9]
	; wave barrier
	buffer_load_dword v87, off, s[0:3], 0 offset:24
	buffer_load_dword v88, off, s[0:3], 0 offset:28
	v_cmp_gt_u32_e32 vcc, 3, v0
	v_add_u32_e32 v91, -1, v0
	s_waitcnt vmcnt(0)
	ds_write_b64 v90, v[87:88]
	s_waitcnt lgkmcnt(0)
	; wave barrier
	s_and_saveexec_b64 s[4:5], vcc
	s_cbranch_execz .LBB42_21
; %bb.18:
	v_mov_b32_e32 v87, 0
	v_add_u32_e32 v92, -1, v0
	v_add_u32_e32 v93, 0x160, v89
	v_mov_b32_e32 v94, v89
	v_mov_b32_e32 v88, 0
	s_mov_b64 s[8:9], 0
.LBB42_19:                              ; =>This Inner Loop Header: Depth=1
	buffer_load_dword v95, v94, s[0:3], 0 offen
	buffer_load_dword v96, v94, s[0:3], 0 offen offset:4
	ds_read_b64 v[97:98], v93
	v_add_u32_e32 v92, 1, v92
	v_cmp_lt_u32_e32 vcc, 1, v92
	v_add_u32_e32 v93, 8, v93
	s_or_b64 s[8:9], vcc, s[8:9]
	v_add_u32_e32 v94, 8, v94
	s_waitcnt vmcnt(0) lgkmcnt(0)
	v_fma_f64 v[87:88], v[95:96], v[97:98], v[87:88]
	s_andn2_b64 exec, exec, s[8:9]
	s_cbranch_execnz .LBB42_19
; %bb.20:
	s_or_b64 exec, exec, s[8:9]
	v_mov_b32_e32 v92, 0
	ds_read_b64 v[92:93], v92 offset:24
	s_waitcnt lgkmcnt(0)
	v_mul_f64 v[87:88], v[87:88], v[92:93]
	buffer_store_dword v88, off, s[0:3], 0 offset:28
	buffer_store_dword v87, off, s[0:3], 0 offset:24
.LBB42_21:
	s_or_b64 exec, exec, s[4:5]
	; wave barrier
	buffer_load_dword v87, off, s[0:3], 0 offset:32
	buffer_load_dword v88, off, s[0:3], 0 offset:36
	v_cmp_gt_u32_e32 vcc, 4, v0
	s_waitcnt vmcnt(0)
	ds_write_b64 v90, v[87:88]
	s_waitcnt lgkmcnt(0)
	; wave barrier
	s_and_saveexec_b64 s[4:5], vcc
	s_cbranch_execz .LBB42_25
; %bb.22:
	v_mov_b32_e32 v87, 0
	v_add_u32_e32 v92, -1, v0
	v_add_u32_e32 v93, 0x160, v89
	v_mov_b32_e32 v94, v89
	v_mov_b32_e32 v88, 0
	s_mov_b64 s[8:9], 0
.LBB42_23:                              ; =>This Inner Loop Header: Depth=1
	buffer_load_dword v95, v94, s[0:3], 0 offen
	buffer_load_dword v96, v94, s[0:3], 0 offen offset:4
	ds_read_b64 v[97:98], v93
	v_add_u32_e32 v92, 1, v92
	v_cmp_lt_u32_e32 vcc, 2, v92
	v_add_u32_e32 v93, 8, v93
	s_or_b64 s[8:9], vcc, s[8:9]
	v_add_u32_e32 v94, 8, v94
	s_waitcnt vmcnt(0) lgkmcnt(0)
	v_fma_f64 v[87:88], v[95:96], v[97:98], v[87:88]
	s_andn2_b64 exec, exec, s[8:9]
	s_cbranch_execnz .LBB42_23
; %bb.24:
	s_or_b64 exec, exec, s[8:9]
	v_mov_b32_e32 v92, 0
	ds_read_b64 v[92:93], v92 offset:32
	s_waitcnt lgkmcnt(0)
	v_mul_f64 v[87:88], v[87:88], v[92:93]
	buffer_store_dword v88, off, s[0:3], 0 offset:36
	buffer_store_dword v87, off, s[0:3], 0 offset:32
.LBB42_25:
	s_or_b64 exec, exec, s[4:5]
	; wave barrier
	buffer_load_dword v87, off, s[0:3], 0 offset:40
	buffer_load_dword v88, off, s[0:3], 0 offset:44
	v_cmp_gt_u32_e32 vcc, 5, v0
	;; [unrolled: 40-line block ×21, first 2 shown]
	s_waitcnt vmcnt(0)
	ds_write_b64 v90, v[87:88]
	s_waitcnt lgkmcnt(0)
	; wave barrier
	s_and_saveexec_b64 s[4:5], vcc
	s_cbranch_execz .LBB42_105
; %bb.102:
	v_mov_b32_e32 v87, 0
	v_add_u32_e32 v92, -1, v0
	v_add_u32_e32 v93, 0x160, v89
	v_mov_b32_e32 v94, v89
	v_mov_b32_e32 v88, 0
	s_mov_b64 s[8:9], 0
.LBB42_103:                             ; =>This Inner Loop Header: Depth=1
	buffer_load_dword v95, v94, s[0:3], 0 offen
	buffer_load_dword v96, v94, s[0:3], 0 offen offset:4
	ds_read_b64 v[97:98], v93
	v_add_u32_e32 v92, 1, v92
	v_cmp_lt_u32_e32 vcc, 22, v92
	v_add_u32_e32 v93, 8, v93
	s_or_b64 s[8:9], vcc, s[8:9]
	v_add_u32_e32 v94, 8, v94
	s_waitcnt vmcnt(0) lgkmcnt(0)
	v_fma_f64 v[87:88], v[95:96], v[97:98], v[87:88]
	s_andn2_b64 exec, exec, s[8:9]
	s_cbranch_execnz .LBB42_103
; %bb.104:
	s_or_b64 exec, exec, s[8:9]
	v_mov_b32_e32 v92, 0
	ds_read_b64 v[92:93], v92 offset:192
	s_waitcnt lgkmcnt(0)
	v_mul_f64 v[87:88], v[87:88], v[92:93]
	buffer_store_dword v88, off, s[0:3], 0 offset:196
	buffer_store_dword v87, off, s[0:3], 0 offset:192
.LBB42_105:
	s_or_b64 exec, exec, s[4:5]
	; wave barrier
	buffer_load_dword v87, off, s[0:3], 0 offset:200
	buffer_load_dword v88, off, s[0:3], 0 offset:204
	v_cmp_gt_u32_e32 vcc, 25, v0
	s_waitcnt vmcnt(0)
	ds_write_b64 v90, v[87:88]
	s_waitcnt lgkmcnt(0)
	; wave barrier
	s_and_saveexec_b64 s[4:5], vcc
	s_cbranch_execz .LBB42_109
; %bb.106:
	v_mov_b32_e32 v87, 0
	v_add_u32_e32 v92, -1, v0
	v_add_u32_e32 v93, 0x160, v89
	v_mov_b32_e32 v94, v89
	v_mov_b32_e32 v88, 0
	s_mov_b64 s[8:9], 0
.LBB42_107:                             ; =>This Inner Loop Header: Depth=1
	buffer_load_dword v95, v94, s[0:3], 0 offen
	buffer_load_dword v96, v94, s[0:3], 0 offen offset:4
	ds_read_b64 v[97:98], v93
	v_add_u32_e32 v92, 1, v92
	v_cmp_lt_u32_e32 vcc, 23, v92
	v_add_u32_e32 v93, 8, v93
	s_or_b64 s[8:9], vcc, s[8:9]
	v_add_u32_e32 v94, 8, v94
	s_waitcnt vmcnt(0) lgkmcnt(0)
	v_fma_f64 v[87:88], v[95:96], v[97:98], v[87:88]
	s_andn2_b64 exec, exec, s[8:9]
	s_cbranch_execnz .LBB42_107
; %bb.108:
	s_or_b64 exec, exec, s[8:9]
	v_mov_b32_e32 v92, 0
	ds_read_b64 v[92:93], v92 offset:200
	s_waitcnt lgkmcnt(0)
	v_mul_f64 v[87:88], v[87:88], v[92:93]
	buffer_store_dword v88, off, s[0:3], 0 offset:204
	buffer_store_dword v87, off, s[0:3], 0 offset:200
.LBB42_109:
	s_or_b64 exec, exec, s[4:5]
	; wave barrier
	buffer_load_dword v87, off, s[0:3], 0 offset:208
	buffer_load_dword v88, off, s[0:3], 0 offset:212
	v_cmp_gt_u32_e32 vcc, 26, v0
	;; [unrolled: 40-line block ×17, first 2 shown]
	s_waitcnt vmcnt(0)
	ds_write_b64 v90, v[87:88]
	s_waitcnt lgkmcnt(0)
	; wave barrier
	s_and_saveexec_b64 s[4:5], vcc
	s_cbranch_execz .LBB42_173
; %bb.170:
	v_mov_b32_e32 v87, 0
	v_add_u32_e32 v92, -1, v0
	v_add_u32_e32 v93, 0x160, v89
	v_mov_b32_e32 v94, v89
	v_mov_b32_e32 v88, 0
	s_mov_b64 s[8:9], 0
.LBB42_171:                             ; =>This Inner Loop Header: Depth=1
	buffer_load_dword v95, v94, s[0:3], 0 offen
	buffer_load_dword v96, v94, s[0:3], 0 offen offset:4
	ds_read_b64 v[97:98], v93
	v_add_u32_e32 v92, 1, v92
	v_cmp_lt_u32_e32 vcc, 39, v92
	v_add_u32_e32 v93, 8, v93
	s_or_b64 s[8:9], vcc, s[8:9]
	v_add_u32_e32 v94, 8, v94
	s_waitcnt vmcnt(0) lgkmcnt(0)
	v_fma_f64 v[87:88], v[95:96], v[97:98], v[87:88]
	s_andn2_b64 exec, exec, s[8:9]
	s_cbranch_execnz .LBB42_171
; %bb.172:
	s_or_b64 exec, exec, s[8:9]
	v_mov_b32_e32 v92, 0
	ds_read_b64 v[92:93], v92 offset:328
	s_waitcnt lgkmcnt(0)
	v_mul_f64 v[87:88], v[87:88], v[92:93]
	buffer_store_dword v88, off, s[0:3], 0 offset:332
	buffer_store_dword v87, off, s[0:3], 0 offset:328
.LBB42_173:
	s_or_b64 exec, exec, s[4:5]
	; wave barrier
	buffer_load_dword v87, off, s[0:3], 0 offset:336
	buffer_load_dword v88, off, s[0:3], 0 offset:340
	v_cmp_ne_u32_e32 vcc, 42, v0
	s_waitcnt vmcnt(0)
	ds_write_b64 v90, v[87:88]
	s_waitcnt lgkmcnt(0)
	; wave barrier
	s_and_saveexec_b64 s[4:5], vcc
	s_cbranch_execz .LBB42_177
; %bb.174:
	v_mov_b32_e32 v87, 0
	v_add_u32_e32 v90, 0x160, v89
	v_mov_b32_e32 v88, 0
	s_mov_b64 s[8:9], 0
.LBB42_175:                             ; =>This Inner Loop Header: Depth=1
	buffer_load_dword v92, v89, s[0:3], 0 offen
	buffer_load_dword v93, v89, s[0:3], 0 offen offset:4
	ds_read_b64 v[94:95], v90
	v_add_u32_e32 v91, 1, v91
	v_cmp_lt_u32_e32 vcc, 40, v91
	v_add_u32_e32 v90, 8, v90
	s_or_b64 s[8:9], vcc, s[8:9]
	v_add_u32_e32 v89, 8, v89
	s_waitcnt vmcnt(0) lgkmcnt(0)
	v_fma_f64 v[87:88], v[92:93], v[94:95], v[87:88]
	s_andn2_b64 exec, exec, s[8:9]
	s_cbranch_execnz .LBB42_175
; %bb.176:
	s_or_b64 exec, exec, s[8:9]
	v_mov_b32_e32 v89, 0
	ds_read_b64 v[89:90], v89 offset:336
	s_waitcnt lgkmcnt(0)
	v_mul_f64 v[87:88], v[87:88], v[89:90]
	buffer_store_dword v88, off, s[0:3], 0 offset:340
	buffer_store_dword v87, off, s[0:3], 0 offset:336
.LBB42_177:
	s_or_b64 exec, exec, s[4:5]
	s_mov_b64 s[8:9], -1
	; wave barrier
.LBB42_178:
	s_and_b64 vcc, exec, s[8:9]
	s_cbranch_vccz .LBB42_180
; %bb.179:
	s_lshl_b64 s[4:5], s[6:7], 2
	s_add_u32 s4, s10, s4
	s_addc_u32 s5, s11, s5
	v_mov_b32_e32 v87, 0
	global_load_dword v87, v87, s[4:5]
	s_waitcnt vmcnt(0)
	v_cmp_ne_u32_e32 vcc, 0, v87
	s_cbranch_vccz .LBB42_181
.LBB42_180:
	s_endpgm
.LBB42_181:
	v_mov_b32_e32 v87, 0x160
	v_lshl_add_u32 v87, v0, 3, v87
	v_cmp_eq_u32_e32 vcc, 42, v0
	s_and_saveexec_b64 s[4:5], vcc
	s_cbranch_execz .LBB42_183
; %bb.182:
	buffer_load_dword v88, off, s[0:3], 0 offset:328
	buffer_load_dword v89, off, s[0:3], 0 offset:332
	v_mov_b32_e32 v90, 0
	buffer_store_dword v90, off, s[0:3], 0 offset:328
	buffer_store_dword v90, off, s[0:3], 0 offset:332
	s_waitcnt vmcnt(2)
	ds_write_b64 v87, v[88:89]
.LBB42_183:
	s_or_b64 exec, exec, s[4:5]
	s_waitcnt lgkmcnt(0)
	; wave barrier
	buffer_load_dword v89, off, s[0:3], 0 offset:336
	buffer_load_dword v90, off, s[0:3], 0 offset:340
	;; [unrolled: 1-line block ×4, first 2 shown]
	v_mov_b32_e32 v88, 0
	ds_read_b64 v[93:94], v88 offset:688
	v_cmp_lt_u32_e32 vcc, 40, v0
	s_waitcnt vmcnt(2) lgkmcnt(0)
	v_fma_f64 v[89:90], v[89:90], v[93:94], 0
	s_waitcnt vmcnt(0)
	v_add_f64 v[89:90], v[91:92], -v[89:90]
	buffer_store_dword v89, off, s[0:3], 0 offset:328
	buffer_store_dword v90, off, s[0:3], 0 offset:332
	s_and_saveexec_b64 s[4:5], vcc
	s_cbranch_execz .LBB42_185
; %bb.184:
	buffer_load_dword v89, off, s[0:3], 0 offset:320
	buffer_load_dword v90, off, s[0:3], 0 offset:324
	s_waitcnt vmcnt(0)
	ds_write_b64 v87, v[89:90]
	buffer_store_dword v88, off, s[0:3], 0 offset:320
	buffer_store_dword v88, off, s[0:3], 0 offset:324
.LBB42_185:
	s_or_b64 exec, exec, s[4:5]
	s_waitcnt lgkmcnt(0)
	; wave barrier
	buffer_load_dword v92, off, s[0:3], 0 offset:328
	buffer_load_dword v93, off, s[0:3], 0 offset:332
	;; [unrolled: 1-line block ×6, first 2 shown]
	ds_read2_b64 v[88:91], v88 offset0:85 offset1:86
	v_cmp_lt_u32_e32 vcc, 39, v0
	s_waitcnt vmcnt(4) lgkmcnt(0)
	v_fma_f64 v[88:89], v[92:93], v[88:89], 0
	s_waitcnt vmcnt(2)
	v_fma_f64 v[88:89], v[94:95], v[90:91], v[88:89]
	s_waitcnt vmcnt(0)
	v_add_f64 v[88:89], v[96:97], -v[88:89]
	buffer_store_dword v88, off, s[0:3], 0 offset:320
	buffer_store_dword v89, off, s[0:3], 0 offset:324
	s_and_saveexec_b64 s[4:5], vcc
	s_cbranch_execz .LBB42_187
; %bb.186:
	buffer_load_dword v88, off, s[0:3], 0 offset:312
	buffer_load_dword v89, off, s[0:3], 0 offset:316
	v_mov_b32_e32 v90, 0
	buffer_store_dword v90, off, s[0:3], 0 offset:312
	buffer_store_dword v90, off, s[0:3], 0 offset:316
	s_waitcnt vmcnt(2)
	ds_write_b64 v87, v[88:89]
.LBB42_187:
	s_or_b64 exec, exec, s[4:5]
	s_waitcnt lgkmcnt(0)
	; wave barrier
	buffer_load_dword v93, off, s[0:3], 0 offset:320
	buffer_load_dword v94, off, s[0:3], 0 offset:324
	;; [unrolled: 1-line block ×8, first 2 shown]
	v_mov_b32_e32 v88, 0
	ds_read_b128 v[89:92], v88 offset:672
	ds_read_b64 v[101:102], v88 offset:688
	v_cmp_lt_u32_e32 vcc, 38, v0
	s_waitcnt vmcnt(6) lgkmcnt(1)
	v_fma_f64 v[89:90], v[93:94], v[89:90], 0
	s_waitcnt vmcnt(4)
	v_fma_f64 v[89:90], v[95:96], v[91:92], v[89:90]
	s_waitcnt vmcnt(2) lgkmcnt(0)
	v_fma_f64 v[89:90], v[97:98], v[101:102], v[89:90]
	s_waitcnt vmcnt(0)
	v_add_f64 v[89:90], v[99:100], -v[89:90]
	buffer_store_dword v89, off, s[0:3], 0 offset:312
	buffer_store_dword v90, off, s[0:3], 0 offset:316
	s_and_saveexec_b64 s[4:5], vcc
	s_cbranch_execz .LBB42_189
; %bb.188:
	buffer_load_dword v89, off, s[0:3], 0 offset:304
	buffer_load_dword v90, off, s[0:3], 0 offset:308
	s_waitcnt vmcnt(0)
	ds_write_b64 v87, v[89:90]
	buffer_store_dword v88, off, s[0:3], 0 offset:304
	buffer_store_dword v88, off, s[0:3], 0 offset:308
.LBB42_189:
	s_or_b64 exec, exec, s[4:5]
	s_waitcnt lgkmcnt(0)
	; wave barrier
	buffer_load_dword v97, off, s[0:3], 0 offset:312
	buffer_load_dword v98, off, s[0:3], 0 offset:316
	;; [unrolled: 1-line block ×10, first 2 shown]
	ds_read2_b64 v[89:92], v88 offset0:83 offset1:84
	ds_read2_b64 v[93:96], v88 offset0:85 offset1:86
	v_cmp_lt_u32_e32 vcc, 37, v0
	s_waitcnt vmcnt(8) lgkmcnt(1)
	v_fma_f64 v[88:89], v[97:98], v[89:90], 0
	s_waitcnt vmcnt(6)
	v_fma_f64 v[88:89], v[99:100], v[91:92], v[88:89]
	s_waitcnt vmcnt(4) lgkmcnt(0)
	v_fma_f64 v[88:89], v[101:102], v[93:94], v[88:89]
	s_waitcnt vmcnt(2)
	v_fma_f64 v[88:89], v[103:104], v[95:96], v[88:89]
	s_waitcnt vmcnt(0)
	v_add_f64 v[88:89], v[105:106], -v[88:89]
	buffer_store_dword v88, off, s[0:3], 0 offset:304
	buffer_store_dword v89, off, s[0:3], 0 offset:308
	s_and_saveexec_b64 s[4:5], vcc
	s_cbranch_execz .LBB42_191
; %bb.190:
	buffer_load_dword v88, off, s[0:3], 0 offset:296
	buffer_load_dword v89, off, s[0:3], 0 offset:300
	v_mov_b32_e32 v90, 0
	buffer_store_dword v90, off, s[0:3], 0 offset:296
	buffer_store_dword v90, off, s[0:3], 0 offset:300
	s_waitcnt vmcnt(2)
	ds_write_b64 v87, v[88:89]
.LBB42_191:
	s_or_b64 exec, exec, s[4:5]
	s_waitcnt lgkmcnt(0)
	; wave barrier
	buffer_load_dword v97, off, s[0:3], 0 offset:304
	buffer_load_dword v98, off, s[0:3], 0 offset:308
	;; [unrolled: 1-line block ×12, first 2 shown]
	v_mov_b32_e32 v88, 0
	ds_read_b128 v[89:92], v88 offset:656
	ds_read_b128 v[93:96], v88 offset:672
	v_cmp_lt_u32_e32 vcc, 36, v0
	s_waitcnt vmcnt(10) lgkmcnt(1)
	v_fma_f64 v[89:90], v[97:98], v[89:90], 0
	s_waitcnt vmcnt(8)
	v_fma_f64 v[89:90], v[99:100], v[91:92], v[89:90]
	ds_read_b64 v[91:92], v88 offset:688
	s_waitcnt vmcnt(6) lgkmcnt(1)
	v_fma_f64 v[89:90], v[101:102], v[93:94], v[89:90]
	s_waitcnt vmcnt(4)
	v_fma_f64 v[89:90], v[103:104], v[95:96], v[89:90]
	s_waitcnt vmcnt(2) lgkmcnt(0)
	v_fma_f64 v[89:90], v[105:106], v[91:92], v[89:90]
	s_waitcnt vmcnt(0)
	v_add_f64 v[89:90], v[107:108], -v[89:90]
	buffer_store_dword v89, off, s[0:3], 0 offset:296
	buffer_store_dword v90, off, s[0:3], 0 offset:300
	s_and_saveexec_b64 s[4:5], vcc
	s_cbranch_execz .LBB42_193
; %bb.192:
	buffer_load_dword v89, off, s[0:3], 0 offset:288
	buffer_load_dword v90, off, s[0:3], 0 offset:292
	s_waitcnt vmcnt(0)
	ds_write_b64 v87, v[89:90]
	buffer_store_dword v88, off, s[0:3], 0 offset:288
	buffer_store_dword v88, off, s[0:3], 0 offset:292
.LBB42_193:
	s_or_b64 exec, exec, s[4:5]
	s_waitcnt lgkmcnt(0)
	; wave barrier
	buffer_load_dword v97, off, s[0:3], 0 offset:296
	buffer_load_dword v98, off, s[0:3], 0 offset:300
	;; [unrolled: 1-line block ×14, first 2 shown]
	ds_read2_b64 v[89:92], v88 offset0:81 offset1:82
	ds_read2_b64 v[93:96], v88 offset0:83 offset1:84
	v_cmp_lt_u32_e32 vcc, 35, v0
	s_waitcnt vmcnt(12) lgkmcnt(1)
	v_fma_f64 v[89:90], v[97:98], v[89:90], 0
	s_waitcnt vmcnt(10)
	v_fma_f64 v[89:90], v[99:100], v[91:92], v[89:90]
	s_waitcnt vmcnt(8) lgkmcnt(0)
	v_fma_f64 v[89:90], v[101:102], v[93:94], v[89:90]
	s_waitcnt vmcnt(6)
	v_fma_f64 v[92:93], v[103:104], v[95:96], v[89:90]
	ds_read2_b64 v[88:91], v88 offset0:85 offset1:86
	s_waitcnt vmcnt(4) lgkmcnt(0)
	v_fma_f64 v[88:89], v[105:106], v[88:89], v[92:93]
	s_waitcnt vmcnt(2)
	v_fma_f64 v[88:89], v[107:108], v[90:91], v[88:89]
	s_waitcnt vmcnt(0)
	v_add_f64 v[88:89], v[109:110], -v[88:89]
	buffer_store_dword v88, off, s[0:3], 0 offset:288
	buffer_store_dword v89, off, s[0:3], 0 offset:292
	s_and_saveexec_b64 s[4:5], vcc
	s_cbranch_execz .LBB42_195
; %bb.194:
	buffer_load_dword v88, off, s[0:3], 0 offset:280
	buffer_load_dword v89, off, s[0:3], 0 offset:284
	v_mov_b32_e32 v90, 0
	buffer_store_dword v90, off, s[0:3], 0 offset:280
	buffer_store_dword v90, off, s[0:3], 0 offset:284
	s_waitcnt vmcnt(2)
	ds_write_b64 v87, v[88:89]
.LBB42_195:
	s_or_b64 exec, exec, s[4:5]
	s_waitcnt lgkmcnt(0)
	; wave barrier
	buffer_load_dword v97, off, s[0:3], 0 offset:288
	buffer_load_dword v98, off, s[0:3], 0 offset:292
	;; [unrolled: 1-line block ×16, first 2 shown]
	v_mov_b32_e32 v88, 0
	ds_read_b128 v[89:92], v88 offset:640
	ds_read_b128 v[93:96], v88 offset:656
	v_cmp_lt_u32_e32 vcc, 34, v0
	s_waitcnt vmcnt(14) lgkmcnt(1)
	v_fma_f64 v[89:90], v[97:98], v[89:90], 0
	s_waitcnt vmcnt(12)
	v_fma_f64 v[89:90], v[99:100], v[91:92], v[89:90]
	s_waitcnt vmcnt(10) lgkmcnt(0)
	v_fma_f64 v[89:90], v[101:102], v[93:94], v[89:90]
	s_waitcnt vmcnt(8)
	v_fma_f64 v[93:94], v[103:104], v[95:96], v[89:90]
	ds_read_b128 v[89:92], v88 offset:672
	ds_read_b64 v[95:96], v88 offset:688
	s_waitcnt vmcnt(6) lgkmcnt(1)
	v_fma_f64 v[89:90], v[105:106], v[89:90], v[93:94]
	s_waitcnt vmcnt(4)
	v_fma_f64 v[89:90], v[107:108], v[91:92], v[89:90]
	s_waitcnt vmcnt(2) lgkmcnt(0)
	v_fma_f64 v[89:90], v[109:110], v[95:96], v[89:90]
	s_waitcnt vmcnt(0)
	v_add_f64 v[89:90], v[111:112], -v[89:90]
	buffer_store_dword v89, off, s[0:3], 0 offset:280
	buffer_store_dword v90, off, s[0:3], 0 offset:284
	s_and_saveexec_b64 s[4:5], vcc
	s_cbranch_execz .LBB42_197
; %bb.196:
	buffer_load_dword v89, off, s[0:3], 0 offset:272
	buffer_load_dword v90, off, s[0:3], 0 offset:276
	s_waitcnt vmcnt(0)
	ds_write_b64 v87, v[89:90]
	buffer_store_dword v88, off, s[0:3], 0 offset:272
	buffer_store_dword v88, off, s[0:3], 0 offset:276
.LBB42_197:
	s_or_b64 exec, exec, s[4:5]
	s_waitcnt lgkmcnt(0)
	; wave barrier
	buffer_load_dword v97, off, s[0:3], 0 offset:280
	buffer_load_dword v98, off, s[0:3], 0 offset:284
	;; [unrolled: 1-line block ×18, first 2 shown]
	ds_read2_b64 v[89:92], v88 offset0:79 offset1:80
	ds_read2_b64 v[93:96], v88 offset0:81 offset1:82
	v_cmp_lt_u32_e32 vcc, 33, v0
	s_waitcnt vmcnt(16) lgkmcnt(1)
	v_fma_f64 v[89:90], v[97:98], v[89:90], 0
	s_waitcnt vmcnt(14)
	v_fma_f64 v[89:90], v[99:100], v[91:92], v[89:90]
	s_waitcnt vmcnt(12) lgkmcnt(0)
	v_fma_f64 v[89:90], v[101:102], v[93:94], v[89:90]
	s_waitcnt vmcnt(10)
	v_fma_f64 v[97:98], v[103:104], v[95:96], v[89:90]
	ds_read2_b64 v[89:92], v88 offset0:83 offset1:84
	ds_read2_b64 v[93:96], v88 offset0:85 offset1:86
	s_waitcnt vmcnt(8) lgkmcnt(1)
	v_fma_f64 v[88:89], v[105:106], v[89:90], v[97:98]
	s_waitcnt vmcnt(6)
	v_fma_f64 v[88:89], v[107:108], v[91:92], v[88:89]
	s_waitcnt vmcnt(4) lgkmcnt(0)
	v_fma_f64 v[88:89], v[109:110], v[93:94], v[88:89]
	s_waitcnt vmcnt(2)
	v_fma_f64 v[88:89], v[111:112], v[95:96], v[88:89]
	s_waitcnt vmcnt(0)
	v_add_f64 v[88:89], v[113:114], -v[88:89]
	buffer_store_dword v88, off, s[0:3], 0 offset:272
	buffer_store_dword v89, off, s[0:3], 0 offset:276
	s_and_saveexec_b64 s[4:5], vcc
	s_cbranch_execz .LBB42_199
; %bb.198:
	buffer_load_dword v88, off, s[0:3], 0 offset:264
	buffer_load_dword v89, off, s[0:3], 0 offset:268
	v_mov_b32_e32 v90, 0
	buffer_store_dword v90, off, s[0:3], 0 offset:264
	buffer_store_dword v90, off, s[0:3], 0 offset:268
	s_waitcnt vmcnt(2)
	ds_write_b64 v87, v[88:89]
.LBB42_199:
	s_or_b64 exec, exec, s[4:5]
	s_waitcnt lgkmcnt(0)
	; wave barrier
	buffer_load_dword v97, off, s[0:3], 0 offset:272
	buffer_load_dword v98, off, s[0:3], 0 offset:276
	;; [unrolled: 1-line block ×20, first 2 shown]
	v_mov_b32_e32 v88, 0
	ds_read_b128 v[89:92], v88 offset:624
	ds_read_b128 v[93:96], v88 offset:640
	v_cmp_lt_u32_e32 vcc, 32, v0
	s_waitcnt vmcnt(18) lgkmcnt(1)
	v_fma_f64 v[89:90], v[97:98], v[89:90], 0
	s_waitcnt vmcnt(16)
	v_fma_f64 v[89:90], v[99:100], v[91:92], v[89:90]
	s_waitcnt vmcnt(14) lgkmcnt(0)
	v_fma_f64 v[89:90], v[101:102], v[93:94], v[89:90]
	s_waitcnt vmcnt(12)
	v_fma_f64 v[97:98], v[103:104], v[95:96], v[89:90]
	ds_read_b128 v[89:92], v88 offset:656
	ds_read_b128 v[93:96], v88 offset:672
	s_waitcnt vmcnt(10) lgkmcnt(1)
	v_fma_f64 v[89:90], v[105:106], v[89:90], v[97:98]
	s_waitcnt vmcnt(8)
	v_fma_f64 v[89:90], v[107:108], v[91:92], v[89:90]
	ds_read_b64 v[91:92], v88 offset:688
	s_waitcnt vmcnt(6) lgkmcnt(1)
	v_fma_f64 v[89:90], v[109:110], v[93:94], v[89:90]
	s_waitcnt vmcnt(3)
	v_fma_f64 v[89:90], v[111:112], v[95:96], v[89:90]
	s_waitcnt vmcnt(2) lgkmcnt(0)
	v_fma_f64 v[89:90], v[113:114], v[91:92], v[89:90]
	s_waitcnt vmcnt(0)
	v_add_f64 v[89:90], v[115:116], -v[89:90]
	buffer_store_dword v89, off, s[0:3], 0 offset:264
	buffer_store_dword v90, off, s[0:3], 0 offset:268
	s_and_saveexec_b64 s[4:5], vcc
	s_cbranch_execz .LBB42_201
; %bb.200:
	buffer_load_dword v89, off, s[0:3], 0 offset:256
	buffer_load_dword v90, off, s[0:3], 0 offset:260
	s_waitcnt vmcnt(0)
	ds_write_b64 v87, v[89:90]
	buffer_store_dword v88, off, s[0:3], 0 offset:256
	buffer_store_dword v88, off, s[0:3], 0 offset:260
.LBB42_201:
	s_or_b64 exec, exec, s[4:5]
	s_waitcnt lgkmcnt(0)
	; wave barrier
	buffer_load_dword v97, off, s[0:3], 0 offset:264
	buffer_load_dword v98, off, s[0:3], 0 offset:268
	;; [unrolled: 1-line block ×20, first 2 shown]
	ds_read2_b64 v[89:92], v88 offset0:77 offset1:78
	buffer_load_dword v117, off, s[0:3], 0 offset:256
	buffer_load_dword v118, off, s[0:3], 0 offset:260
	ds_read2_b64 v[93:96], v88 offset0:79 offset1:80
	v_cmp_lt_u32_e32 vcc, 31, v0
	s_waitcnt vmcnt(20) lgkmcnt(1)
	v_fma_f64 v[89:90], v[97:98], v[89:90], 0
	s_waitcnt vmcnt(18)
	v_fma_f64 v[89:90], v[99:100], v[91:92], v[89:90]
	s_waitcnt vmcnt(16) lgkmcnt(0)
	v_fma_f64 v[89:90], v[101:102], v[93:94], v[89:90]
	s_waitcnt vmcnt(14)
	v_fma_f64 v[97:98], v[103:104], v[95:96], v[89:90]
	ds_read2_b64 v[89:92], v88 offset0:81 offset1:82
	ds_read2_b64 v[93:96], v88 offset0:83 offset1:84
	s_waitcnt vmcnt(12) lgkmcnt(1)
	v_fma_f64 v[89:90], v[105:106], v[89:90], v[97:98]
	s_waitcnt vmcnt(10)
	v_fma_f64 v[89:90], v[107:108], v[91:92], v[89:90]
	s_waitcnt vmcnt(8) lgkmcnt(0)
	v_fma_f64 v[89:90], v[109:110], v[93:94], v[89:90]
	s_waitcnt vmcnt(4)
	v_fma_f64 v[92:93], v[111:112], v[95:96], v[89:90]
	ds_read2_b64 v[88:91], v88 offset0:85 offset1:86
	s_waitcnt vmcnt(3) lgkmcnt(0)
	v_fma_f64 v[88:89], v[115:116], v[88:89], v[92:93]
	s_waitcnt vmcnt(2)
	v_fma_f64 v[88:89], v[113:114], v[90:91], v[88:89]
	s_waitcnt vmcnt(0)
	v_add_f64 v[88:89], v[117:118], -v[88:89]
	buffer_store_dword v88, off, s[0:3], 0 offset:256
	buffer_store_dword v89, off, s[0:3], 0 offset:260
	s_and_saveexec_b64 s[4:5], vcc
	s_cbranch_execz .LBB42_203
; %bb.202:
	buffer_load_dword v88, off, s[0:3], 0 offset:248
	buffer_load_dword v89, off, s[0:3], 0 offset:252
	v_mov_b32_e32 v90, 0
	buffer_store_dword v90, off, s[0:3], 0 offset:248
	buffer_store_dword v90, off, s[0:3], 0 offset:252
	s_waitcnt vmcnt(2)
	ds_write_b64 v87, v[88:89]
.LBB42_203:
	s_or_b64 exec, exec, s[4:5]
	s_waitcnt lgkmcnt(0)
	; wave barrier
	buffer_load_dword v97, off, s[0:3], 0 offset:256
	buffer_load_dword v98, off, s[0:3], 0 offset:260
	;; [unrolled: 1-line block ×21, first 2 shown]
	v_mov_b32_e32 v88, 0
	ds_read_b128 v[89:92], v88 offset:608
	ds_read_b128 v[93:96], v88 offset:624
	buffer_load_dword v114, off, s[0:3], 0 offset:340
	v_cmp_lt_u32_e32 vcc, 30, v0
	s_waitcnt vmcnt(20) lgkmcnt(1)
	v_fma_f64 v[89:90], v[97:98], v[89:90], 0
	buffer_load_dword v97, off, s[0:3], 0 offset:248
	buffer_load_dword v98, off, s[0:3], 0 offset:252
	s_waitcnt vmcnt(20)
	v_fma_f64 v[89:90], v[99:100], v[91:92], v[89:90]
	s_waitcnt vmcnt(18) lgkmcnt(0)
	v_fma_f64 v[89:90], v[101:102], v[93:94], v[89:90]
	s_waitcnt vmcnt(16)
	v_fma_f64 v[99:100], v[103:104], v[95:96], v[89:90]
	ds_read_b128 v[89:92], v88 offset:640
	ds_read_b128 v[93:96], v88 offset:656
	s_waitcnt vmcnt(14) lgkmcnt(1)
	v_fma_f64 v[89:90], v[105:106], v[89:90], v[99:100]
	s_waitcnt vmcnt(12)
	v_fma_f64 v[89:90], v[107:108], v[91:92], v[89:90]
	s_waitcnt vmcnt(10) lgkmcnt(0)
	v_fma_f64 v[89:90], v[109:110], v[93:94], v[89:90]
	s_waitcnt vmcnt(5)
	v_fma_f64 v[93:94], v[111:112], v[95:96], v[89:90]
	ds_read_b128 v[89:92], v88 offset:672
	ds_read_b64 v[95:96], v88 offset:688
	s_waitcnt vmcnt(4) lgkmcnt(1)
	v_fma_f64 v[89:90], v[117:118], v[89:90], v[93:94]
	s_waitcnt vmcnt(3)
	v_fma_f64 v[89:90], v[115:116], v[91:92], v[89:90]
	s_waitcnt vmcnt(2) lgkmcnt(0)
	v_fma_f64 v[89:90], v[113:114], v[95:96], v[89:90]
	s_waitcnt vmcnt(0)
	v_add_f64 v[89:90], v[97:98], -v[89:90]
	buffer_store_dword v90, off, s[0:3], 0 offset:252
	buffer_store_dword v89, off, s[0:3], 0 offset:248
	s_and_saveexec_b64 s[4:5], vcc
	s_cbranch_execz .LBB42_205
; %bb.204:
	buffer_load_dword v89, off, s[0:3], 0 offset:240
	buffer_load_dword v90, off, s[0:3], 0 offset:244
	s_waitcnt vmcnt(0)
	ds_write_b64 v87, v[89:90]
	buffer_store_dword v88, off, s[0:3], 0 offset:240
	buffer_store_dword v88, off, s[0:3], 0 offset:244
.LBB42_205:
	s_or_b64 exec, exec, s[4:5]
	s_waitcnt lgkmcnt(0)
	; wave barrier
	buffer_load_dword v97, off, s[0:3], 0 offset:248
	buffer_load_dword v98, off, s[0:3], 0 offset:252
	;; [unrolled: 1-line block ×21, first 2 shown]
	ds_read2_b64 v[89:92], v88 offset0:75 offset1:76
	ds_read2_b64 v[93:96], v88 offset0:77 offset1:78
	buffer_load_dword v114, off, s[0:3], 0 offset:332
	v_cmp_lt_u32_e32 vcc, 29, v0
	s_waitcnt vmcnt(20) lgkmcnt(1)
	v_fma_f64 v[89:90], v[97:98], v[89:90], 0
	buffer_load_dword v98, off, s[0:3], 0 offset:340
	buffer_load_dword v97, off, s[0:3], 0 offset:336
	s_waitcnt vmcnt(20)
	v_fma_f64 v[89:90], v[99:100], v[91:92], v[89:90]
	buffer_load_dword v99, off, s[0:3], 0 offset:240
	buffer_load_dword v100, off, s[0:3], 0 offset:244
	s_waitcnt vmcnt(20) lgkmcnt(0)
	v_fma_f64 v[89:90], v[101:102], v[93:94], v[89:90]
	s_waitcnt vmcnt(18)
	v_fma_f64 v[101:102], v[103:104], v[95:96], v[89:90]
	ds_read2_b64 v[89:92], v88 offset0:79 offset1:80
	ds_read2_b64 v[93:96], v88 offset0:81 offset1:82
	s_waitcnt vmcnt(16) lgkmcnt(1)
	v_fma_f64 v[89:90], v[105:106], v[89:90], v[101:102]
	s_waitcnt vmcnt(14)
	v_fma_f64 v[89:90], v[107:108], v[91:92], v[89:90]
	s_waitcnt vmcnt(12) lgkmcnt(0)
	v_fma_f64 v[89:90], v[109:110], v[93:94], v[89:90]
	s_waitcnt vmcnt(7)
	v_fma_f64 v[101:102], v[111:112], v[95:96], v[89:90]
	ds_read2_b64 v[89:92], v88 offset0:83 offset1:84
	ds_read2_b64 v[93:96], v88 offset0:85 offset1:86
	s_waitcnt vmcnt(6) lgkmcnt(1)
	v_fma_f64 v[88:89], v[117:118], v[89:90], v[101:102]
	s_waitcnt vmcnt(5)
	v_fma_f64 v[88:89], v[115:116], v[91:92], v[88:89]
	s_waitcnt vmcnt(4) lgkmcnt(0)
	v_fma_f64 v[88:89], v[113:114], v[93:94], v[88:89]
	s_waitcnt vmcnt(2)
	v_fma_f64 v[88:89], v[97:98], v[95:96], v[88:89]
	s_waitcnt vmcnt(0)
	v_add_f64 v[88:89], v[99:100], -v[88:89]
	buffer_store_dword v89, off, s[0:3], 0 offset:244
	buffer_store_dword v88, off, s[0:3], 0 offset:240
	s_and_saveexec_b64 s[4:5], vcc
	s_cbranch_execz .LBB42_207
; %bb.206:
	buffer_load_dword v88, off, s[0:3], 0 offset:232
	buffer_load_dword v89, off, s[0:3], 0 offset:236
	v_mov_b32_e32 v90, 0
	buffer_store_dword v90, off, s[0:3], 0 offset:232
	buffer_store_dword v90, off, s[0:3], 0 offset:236
	s_waitcnt vmcnt(2)
	ds_write_b64 v87, v[88:89]
.LBB42_207:
	s_or_b64 exec, exec, s[4:5]
	s_waitcnt lgkmcnt(0)
	; wave barrier
	buffer_load_dword v97, off, s[0:3], 0 offset:240
	buffer_load_dword v98, off, s[0:3], 0 offset:244
	;; [unrolled: 1-line block ×21, first 2 shown]
	v_mov_b32_e32 v88, 0
	ds_read_b128 v[89:92], v88 offset:592
	ds_read_b128 v[93:96], v88 offset:608
	buffer_load_dword v114, off, s[0:3], 0 offset:324
	v_cmp_lt_u32_e32 vcc, 28, v0
	s_waitcnt vmcnt(20) lgkmcnt(1)
	v_fma_f64 v[89:90], v[97:98], v[89:90], 0
	s_waitcnt vmcnt(18)
	v_fma_f64 v[89:90], v[99:100], v[91:92], v[89:90]
	buffer_load_dword v98, off, s[0:3], 0 offset:332
	buffer_load_dword v99, off, s[0:3], 0 offset:336
	buffer_load_dword v97, off, s[0:3], 0 offset:328
	buffer_load_dword v100, off, s[0:3], 0 offset:340
	s_waitcnt vmcnt(20) lgkmcnt(0)
	v_fma_f64 v[89:90], v[101:102], v[93:94], v[89:90]
	buffer_load_dword v101, off, s[0:3], 0 offset:232
	buffer_load_dword v102, off, s[0:3], 0 offset:236
	s_waitcnt vmcnt(20)
	v_fma_f64 v[103:104], v[103:104], v[95:96], v[89:90]
	ds_read_b128 v[89:92], v88 offset:624
	ds_read_b128 v[93:96], v88 offset:640
	s_waitcnt vmcnt(18) lgkmcnt(1)
	v_fma_f64 v[89:90], v[105:106], v[89:90], v[103:104]
	s_waitcnt vmcnt(16)
	v_fma_f64 v[89:90], v[107:108], v[91:92], v[89:90]
	s_waitcnt vmcnt(14) lgkmcnt(0)
	v_fma_f64 v[89:90], v[109:110], v[93:94], v[89:90]
	s_waitcnt vmcnt(9)
	v_fma_f64 v[103:104], v[111:112], v[95:96], v[89:90]
	ds_read_b128 v[89:92], v88 offset:656
	ds_read_b128 v[93:96], v88 offset:672
	s_waitcnt vmcnt(8) lgkmcnt(1)
	v_fma_f64 v[89:90], v[117:118], v[89:90], v[103:104]
	s_waitcnt vmcnt(7)
	v_fma_f64 v[89:90], v[115:116], v[91:92], v[89:90]
	ds_read_b64 v[91:92], v88 offset:688
	s_waitcnt vmcnt(6) lgkmcnt(1)
	v_fma_f64 v[89:90], v[113:114], v[93:94], v[89:90]
	s_waitcnt vmcnt(3)
	v_fma_f64 v[89:90], v[97:98], v[95:96], v[89:90]
	s_waitcnt vmcnt(2) lgkmcnt(0)
	v_fma_f64 v[89:90], v[99:100], v[91:92], v[89:90]
	s_waitcnt vmcnt(0)
	v_add_f64 v[89:90], v[101:102], -v[89:90]
	buffer_store_dword v90, off, s[0:3], 0 offset:236
	buffer_store_dword v89, off, s[0:3], 0 offset:232
	s_and_saveexec_b64 s[4:5], vcc
	s_cbranch_execz .LBB42_209
; %bb.208:
	buffer_load_dword v89, off, s[0:3], 0 offset:224
	buffer_load_dword v90, off, s[0:3], 0 offset:228
	s_waitcnt vmcnt(0)
	ds_write_b64 v87, v[89:90]
	buffer_store_dword v88, off, s[0:3], 0 offset:224
	buffer_store_dword v88, off, s[0:3], 0 offset:228
.LBB42_209:
	s_or_b64 exec, exec, s[4:5]
	s_waitcnt lgkmcnt(0)
	; wave barrier
	buffer_load_dword v97, off, s[0:3], 0 offset:232
	buffer_load_dword v98, off, s[0:3], 0 offset:236
	;; [unrolled: 1-line block ×22, first 2 shown]
	ds_read2_b64 v[89:92], v88 offset0:73 offset1:74
	ds_read2_b64 v[93:96], v88 offset0:75 offset1:76
	v_cmp_lt_u32_e32 vcc, 27, v0
	s_waitcnt vmcnt(20) lgkmcnt(1)
	v_fma_f64 v[89:90], v[97:98], v[89:90], 0
	s_waitcnt vmcnt(18)
	v_fma_f64 v[89:90], v[99:100], v[91:92], v[89:90]
	buffer_load_dword v98, off, s[0:3], 0 offset:324
	buffer_load_dword v99, off, s[0:3], 0 offset:336
	buffer_load_dword v119, off, s[0:3], 0 offset:328
	buffer_load_dword v97, off, s[0:3], 0 offset:320
	buffer_load_dword v120, off, s[0:3], 0 offset:332
	buffer_load_dword v100, off, s[0:3], 0 offset:340
	s_waitcnt vmcnt(22) lgkmcnt(0)
	v_fma_f64 v[89:90], v[101:102], v[93:94], v[89:90]
	s_waitcnt vmcnt(20)
	v_fma_f64 v[101:102], v[103:104], v[95:96], v[89:90]
	ds_read2_b64 v[89:92], v88 offset0:77 offset1:78
	buffer_load_dword v103, off, s[0:3], 0 offset:224
	buffer_load_dword v104, off, s[0:3], 0 offset:228
	ds_read2_b64 v[93:96], v88 offset0:79 offset1:80
	s_waitcnt vmcnt(20) lgkmcnt(1)
	v_fma_f64 v[89:90], v[105:106], v[89:90], v[101:102]
	s_waitcnt vmcnt(18)
	v_fma_f64 v[89:90], v[107:108], v[91:92], v[89:90]
	s_waitcnt vmcnt(16) lgkmcnt(0)
	v_fma_f64 v[89:90], v[109:110], v[93:94], v[89:90]
	s_waitcnt vmcnt(11)
	v_fma_f64 v[101:102], v[111:112], v[95:96], v[89:90]
	ds_read2_b64 v[89:92], v88 offset0:81 offset1:82
	ds_read2_b64 v[93:96], v88 offset0:83 offset1:84
	s_waitcnt vmcnt(10) lgkmcnt(1)
	v_fma_f64 v[89:90], v[117:118], v[89:90], v[101:102]
	s_waitcnt vmcnt(9)
	v_fma_f64 v[89:90], v[115:116], v[91:92], v[89:90]
	s_waitcnt vmcnt(8) lgkmcnt(0)
	v_fma_f64 v[89:90], v[113:114], v[93:94], v[89:90]
	s_waitcnt vmcnt(4)
	v_fma_f64 v[92:93], v[97:98], v[95:96], v[89:90]
	ds_read2_b64 v[88:91], v88 offset0:85 offset1:86
	s_waitcnt vmcnt(3) lgkmcnt(0)
	v_fma_f64 v[88:89], v[119:120], v[88:89], v[92:93]
	s_waitcnt vmcnt(2)
	v_fma_f64 v[88:89], v[99:100], v[90:91], v[88:89]
	s_waitcnt vmcnt(0)
	v_add_f64 v[88:89], v[103:104], -v[88:89]
	buffer_store_dword v89, off, s[0:3], 0 offset:228
	buffer_store_dword v88, off, s[0:3], 0 offset:224
	s_and_saveexec_b64 s[4:5], vcc
	s_cbranch_execz .LBB42_211
; %bb.210:
	buffer_load_dword v88, off, s[0:3], 0 offset:216
	buffer_load_dword v89, off, s[0:3], 0 offset:220
	v_mov_b32_e32 v90, 0
	buffer_store_dword v90, off, s[0:3], 0 offset:216
	buffer_store_dword v90, off, s[0:3], 0 offset:220
	s_waitcnt vmcnt(2)
	ds_write_b64 v87, v[88:89]
.LBB42_211:
	s_or_b64 exec, exec, s[4:5]
	s_waitcnt lgkmcnt(0)
	; wave barrier
	buffer_load_dword v97, off, s[0:3], 0 offset:224
	buffer_load_dword v98, off, s[0:3], 0 offset:228
	;; [unrolled: 1-line block ×22, first 2 shown]
	v_mov_b32_e32 v88, 0
	ds_read_b128 v[89:92], v88 offset:576
	ds_read_b128 v[93:96], v88 offset:592
	v_cmp_lt_u32_e32 vcc, 26, v0
	s_waitcnt vmcnt(20) lgkmcnt(1)
	v_fma_f64 v[89:90], v[97:98], v[89:90], 0
	s_waitcnt vmcnt(18)
	v_fma_f64 v[89:90], v[99:100], v[91:92], v[89:90]
	buffer_load_dword v98, off, s[0:3], 0 offset:316
	buffer_load_dword v99, off, s[0:3], 0 offset:336
	;; [unrolled: 1-line block ×8, first 2 shown]
	s_waitcnt vmcnt(24) lgkmcnt(0)
	v_fma_f64 v[89:90], v[101:102], v[93:94], v[89:90]
	s_waitcnt vmcnt(22)
	v_fma_f64 v[101:102], v[103:104], v[95:96], v[89:90]
	ds_read_b128 v[89:92], v88 offset:608
	ds_read_b128 v[93:96], v88 offset:624
	s_waitcnt vmcnt(20) lgkmcnt(1)
	v_fma_f64 v[89:90], v[105:106], v[89:90], v[101:102]
	buffer_load_dword v101, off, s[0:3], 0 offset:216
	buffer_load_dword v102, off, s[0:3], 0 offset:220
	s_waitcnt vmcnt(20)
	v_fma_f64 v[89:90], v[107:108], v[91:92], v[89:90]
	s_waitcnt vmcnt(18) lgkmcnt(0)
	v_fma_f64 v[89:90], v[109:110], v[93:94], v[89:90]
	s_waitcnt vmcnt(13)
	v_fma_f64 v[103:104], v[111:112], v[95:96], v[89:90]
	ds_read_b128 v[89:92], v88 offset:640
	ds_read_b128 v[93:96], v88 offset:656
	s_waitcnt vmcnt(12) lgkmcnt(1)
	v_fma_f64 v[89:90], v[117:118], v[89:90], v[103:104]
	s_waitcnt vmcnt(11)
	v_fma_f64 v[89:90], v[115:116], v[91:92], v[89:90]
	s_waitcnt vmcnt(10) lgkmcnt(0)
	v_fma_f64 v[89:90], v[113:114], v[93:94], v[89:90]
	s_waitcnt vmcnt(5)
	v_fma_f64 v[93:94], v[97:98], v[95:96], v[89:90]
	ds_read_b128 v[89:92], v88 offset:672
	ds_read_b64 v[95:96], v88 offset:688
	s_waitcnt vmcnt(4) lgkmcnt(1)
	v_fma_f64 v[89:90], v[121:122], v[89:90], v[93:94]
	s_waitcnt vmcnt(3)
	v_fma_f64 v[89:90], v[119:120], v[91:92], v[89:90]
	s_waitcnt vmcnt(2) lgkmcnt(0)
	v_fma_f64 v[89:90], v[99:100], v[95:96], v[89:90]
	s_waitcnt vmcnt(0)
	v_add_f64 v[89:90], v[101:102], -v[89:90]
	buffer_store_dword v90, off, s[0:3], 0 offset:220
	buffer_store_dword v89, off, s[0:3], 0 offset:216
	s_and_saveexec_b64 s[4:5], vcc
	s_cbranch_execz .LBB42_213
; %bb.212:
	buffer_load_dword v89, off, s[0:3], 0 offset:208
	buffer_load_dword v90, off, s[0:3], 0 offset:212
	s_waitcnt vmcnt(0)
	ds_write_b64 v87, v[89:90]
	buffer_store_dword v88, off, s[0:3], 0 offset:208
	buffer_store_dword v88, off, s[0:3], 0 offset:212
.LBB42_213:
	s_or_b64 exec, exec, s[4:5]
	s_waitcnt lgkmcnt(0)
	; wave barrier
	buffer_load_dword v97, off, s[0:3], 0 offset:216
	buffer_load_dword v98, off, s[0:3], 0 offset:220
	;; [unrolled: 1-line block ×22, first 2 shown]
	ds_read2_b64 v[89:92], v88 offset0:71 offset1:72
	ds_read2_b64 v[93:96], v88 offset0:73 offset1:74
	v_cmp_lt_u32_e32 vcc, 25, v0
	s_waitcnt vmcnt(20) lgkmcnt(1)
	v_fma_f64 v[89:90], v[97:98], v[89:90], 0
	s_waitcnt vmcnt(18)
	v_fma_f64 v[89:90], v[99:100], v[91:92], v[89:90]
	buffer_load_dword v98, off, s[0:3], 0 offset:308
	buffer_load_dword v99, off, s[0:3], 0 offset:328
	;; [unrolled: 1-line block ×8, first 2 shown]
	s_waitcnt vmcnt(24) lgkmcnt(0)
	v_fma_f64 v[89:90], v[101:102], v[93:94], v[89:90]
	s_waitcnt vmcnt(22)
	v_fma_f64 v[101:102], v[103:104], v[95:96], v[89:90]
	ds_read2_b64 v[89:92], v88 offset0:75 offset1:76
	ds_read2_b64 v[93:96], v88 offset0:77 offset1:78
	s_waitcnt vmcnt(20) lgkmcnt(1)
	v_fma_f64 v[89:90], v[105:106], v[89:90], v[101:102]
	buffer_load_dword v102, off, s[0:3], 0 offset:340
	buffer_load_dword v101, off, s[0:3], 0 offset:336
	;; [unrolled: 1-line block ×4, first 2 shown]
	s_waitcnt vmcnt(22)
	v_fma_f64 v[89:90], v[107:108], v[91:92], v[89:90]
	s_waitcnt vmcnt(20) lgkmcnt(0)
	v_fma_f64 v[89:90], v[109:110], v[93:94], v[89:90]
	s_waitcnt vmcnt(15)
	v_fma_f64 v[105:106], v[111:112], v[95:96], v[89:90]
	ds_read2_b64 v[89:92], v88 offset0:79 offset1:80
	ds_read2_b64 v[93:96], v88 offset0:81 offset1:82
	s_waitcnt vmcnt(14) lgkmcnt(1)
	v_fma_f64 v[89:90], v[117:118], v[89:90], v[105:106]
	s_waitcnt vmcnt(13)
	v_fma_f64 v[89:90], v[115:116], v[91:92], v[89:90]
	s_waitcnt vmcnt(12) lgkmcnt(0)
	v_fma_f64 v[89:90], v[113:114], v[93:94], v[89:90]
	s_waitcnt vmcnt(7)
	v_fma_f64 v[97:98], v[97:98], v[95:96], v[89:90]
	ds_read2_b64 v[89:92], v88 offset0:83 offset1:84
	ds_read2_b64 v[93:96], v88 offset0:85 offset1:86
	s_waitcnt vmcnt(6) lgkmcnt(1)
	v_fma_f64 v[88:89], v[121:122], v[89:90], v[97:98]
	s_waitcnt vmcnt(5)
	v_fma_f64 v[88:89], v[119:120], v[91:92], v[88:89]
	s_waitcnt vmcnt(4) lgkmcnt(0)
	v_fma_f64 v[88:89], v[99:100], v[93:94], v[88:89]
	s_waitcnt vmcnt(2)
	v_fma_f64 v[88:89], v[101:102], v[95:96], v[88:89]
	s_waitcnt vmcnt(0)
	v_add_f64 v[88:89], v[103:104], -v[88:89]
	buffer_store_dword v89, off, s[0:3], 0 offset:212
	buffer_store_dword v88, off, s[0:3], 0 offset:208
	s_and_saveexec_b64 s[4:5], vcc
	s_cbranch_execz .LBB42_215
; %bb.214:
	buffer_load_dword v88, off, s[0:3], 0 offset:200
	buffer_load_dword v89, off, s[0:3], 0 offset:204
	v_mov_b32_e32 v90, 0
	buffer_store_dword v90, off, s[0:3], 0 offset:200
	buffer_store_dword v90, off, s[0:3], 0 offset:204
	s_waitcnt vmcnt(2)
	ds_write_b64 v87, v[88:89]
.LBB42_215:
	s_or_b64 exec, exec, s[4:5]
	s_waitcnt lgkmcnt(0)
	; wave barrier
	buffer_load_dword v97, off, s[0:3], 0 offset:208
	buffer_load_dword v98, off, s[0:3], 0 offset:212
	;; [unrolled: 1-line block ×22, first 2 shown]
	v_mov_b32_e32 v88, 0
	ds_read_b128 v[89:92], v88 offset:560
	ds_read_b128 v[93:96], v88 offset:576
	v_cmp_lt_u32_e32 vcc, 24, v0
	s_waitcnt vmcnt(20) lgkmcnt(1)
	v_fma_f64 v[89:90], v[97:98], v[89:90], 0
	s_waitcnt vmcnt(18)
	v_fma_f64 v[89:90], v[99:100], v[91:92], v[89:90]
	buffer_load_dword v98, off, s[0:3], 0 offset:300
	buffer_load_dword v99, off, s[0:3], 0 offset:320
	;; [unrolled: 1-line block ×7, first 2 shown]
	s_waitcnt vmcnt(23) lgkmcnt(0)
	v_fma_f64 v[89:90], v[101:102], v[93:94], v[89:90]
	s_waitcnt vmcnt(21)
	v_fma_f64 v[100:101], v[103:104], v[95:96], v[89:90]
	ds_read_b128 v[89:92], v88 offset:592
	ds_read_b128 v[93:96], v88 offset:608
	s_waitcnt vmcnt(19) lgkmcnt(1)
	v_fma_f64 v[89:90], v[105:106], v[89:90], v[100:101]
	buffer_load_dword v100, off, s[0:3], 0 offset:324
	buffer_load_dword v102, off, s[0:3], 0 offset:332
	;; [unrolled: 1-line block ×7, first 2 shown]
	s_waitcnt vmcnt(24)
	v_fma_f64 v[89:90], v[107:108], v[91:92], v[89:90]
	s_waitcnt vmcnt(22) lgkmcnt(0)
	v_fma_f64 v[89:90], v[109:110], v[93:94], v[89:90]
	s_waitcnt vmcnt(17)
	v_fma_f64 v[107:108], v[111:112], v[95:96], v[89:90]
	ds_read_b128 v[89:92], v88 offset:624
	ds_read_b128 v[93:96], v88 offset:640
	s_waitcnt vmcnt(16) lgkmcnt(1)
	v_fma_f64 v[89:90], v[117:118], v[89:90], v[107:108]
	s_waitcnt vmcnt(15)
	v_fma_f64 v[89:90], v[115:116], v[91:92], v[89:90]
	s_waitcnt vmcnt(14) lgkmcnt(0)
	v_fma_f64 v[89:90], v[113:114], v[93:94], v[89:90]
	s_waitcnt vmcnt(9)
	v_fma_f64 v[97:98], v[97:98], v[95:96], v[89:90]
	ds_read_b128 v[89:92], v88 offset:656
	ds_read_b128 v[93:96], v88 offset:672
	s_waitcnt vmcnt(8) lgkmcnt(1)
	v_fma_f64 v[89:90], v[121:122], v[89:90], v[97:98]
	s_waitcnt vmcnt(7)
	v_fma_f64 v[89:90], v[119:120], v[91:92], v[89:90]
	ds_read_b64 v[91:92], v88 offset:688
	s_waitcnt vmcnt(6) lgkmcnt(1)
	v_fma_f64 v[89:90], v[99:100], v[93:94], v[89:90]
	s_waitcnt vmcnt(3)
	v_fma_f64 v[89:90], v[101:102], v[95:96], v[89:90]
	s_waitcnt vmcnt(2) lgkmcnt(0)
	v_fma_f64 v[89:90], v[103:104], v[91:92], v[89:90]
	s_waitcnt vmcnt(0)
	v_add_f64 v[89:90], v[105:106], -v[89:90]
	buffer_store_dword v90, off, s[0:3], 0 offset:204
	buffer_store_dword v89, off, s[0:3], 0 offset:200
	s_and_saveexec_b64 s[4:5], vcc
	s_cbranch_execz .LBB42_217
; %bb.216:
	buffer_load_dword v89, off, s[0:3], 0 offset:192
	buffer_load_dword v90, off, s[0:3], 0 offset:196
	s_waitcnt vmcnt(0)
	ds_write_b64 v87, v[89:90]
	buffer_store_dword v88, off, s[0:3], 0 offset:192
	buffer_store_dword v88, off, s[0:3], 0 offset:196
.LBB42_217:
	s_or_b64 exec, exec, s[4:5]
	s_waitcnt lgkmcnt(0)
	; wave barrier
	buffer_load_dword v97, off, s[0:3], 0 offset:200
	buffer_load_dword v98, off, s[0:3], 0 offset:204
	;; [unrolled: 1-line block ×22, first 2 shown]
	ds_read2_b64 v[89:92], v88 offset0:69 offset1:70
	ds_read2_b64 v[93:96], v88 offset0:71 offset1:72
	v_cmp_lt_u32_e32 vcc, 23, v0
	s_waitcnt vmcnt(20) lgkmcnt(1)
	v_fma_f64 v[89:90], v[97:98], v[89:90], 0
	s_waitcnt vmcnt(18)
	v_fma_f64 v[89:90], v[99:100], v[91:92], v[89:90]
	buffer_load_dword v98, off, s[0:3], 0 offset:292
	buffer_load_dword v99, off, s[0:3], 0 offset:312
	;; [unrolled: 1-line block ×7, first 2 shown]
	s_waitcnt vmcnt(23) lgkmcnt(0)
	v_fma_f64 v[89:90], v[101:102], v[93:94], v[89:90]
	s_waitcnt vmcnt(21)
	v_fma_f64 v[100:101], v[103:104], v[95:96], v[89:90]
	ds_read2_b64 v[89:92], v88 offset0:73 offset1:74
	ds_read2_b64 v[93:96], v88 offset0:75 offset1:76
	s_waitcnt vmcnt(19) lgkmcnt(1)
	v_fma_f64 v[89:90], v[105:106], v[89:90], v[100:101]
	buffer_load_dword v100, off, s[0:3], 0 offset:316
	buffer_load_dword v102, off, s[0:3], 0 offset:324
	buffer_load_dword v103, off, s[0:3], 0 offset:336
	buffer_load_dword v105, off, s[0:3], 0 offset:328
	buffer_load_dword v101, off, s[0:3], 0 offset:320
	buffer_load_dword v106, off, s[0:3], 0 offset:332
	buffer_load_dword v104, off, s[0:3], 0 offset:340
	s_waitcnt vmcnt(24)
	v_fma_f64 v[89:90], v[107:108], v[91:92], v[89:90]
	s_waitcnt vmcnt(22) lgkmcnt(0)
	v_fma_f64 v[89:90], v[109:110], v[93:94], v[89:90]
	s_waitcnt vmcnt(17)
	v_fma_f64 v[107:108], v[111:112], v[95:96], v[89:90]
	ds_read2_b64 v[89:92], v88 offset0:77 offset1:78
	buffer_load_dword v109, off, s[0:3], 0 offset:192
	buffer_load_dword v110, off, s[0:3], 0 offset:196
	ds_read2_b64 v[93:96], v88 offset0:79 offset1:80
	s_waitcnt vmcnt(18) lgkmcnt(1)
	v_fma_f64 v[89:90], v[117:118], v[89:90], v[107:108]
	s_waitcnt vmcnt(17)
	v_fma_f64 v[89:90], v[115:116], v[91:92], v[89:90]
	s_waitcnt vmcnt(16) lgkmcnt(0)
	v_fma_f64 v[89:90], v[113:114], v[93:94], v[89:90]
	s_waitcnt vmcnt(11)
	v_fma_f64 v[97:98], v[97:98], v[95:96], v[89:90]
	ds_read2_b64 v[89:92], v88 offset0:81 offset1:82
	ds_read2_b64 v[93:96], v88 offset0:83 offset1:84
	s_waitcnt vmcnt(10) lgkmcnt(1)
	v_fma_f64 v[89:90], v[121:122], v[89:90], v[97:98]
	s_waitcnt vmcnt(9)
	v_fma_f64 v[89:90], v[119:120], v[91:92], v[89:90]
	s_waitcnt vmcnt(8) lgkmcnt(0)
	v_fma_f64 v[89:90], v[99:100], v[93:94], v[89:90]
	s_waitcnt vmcnt(4)
	v_fma_f64 v[92:93], v[101:102], v[95:96], v[89:90]
	ds_read2_b64 v[88:91], v88 offset0:85 offset1:86
	s_waitcnt vmcnt(3) lgkmcnt(0)
	v_fma_f64 v[88:89], v[105:106], v[88:89], v[92:93]
	s_waitcnt vmcnt(2)
	v_fma_f64 v[88:89], v[103:104], v[90:91], v[88:89]
	s_waitcnt vmcnt(0)
	v_add_f64 v[88:89], v[109:110], -v[88:89]
	buffer_store_dword v89, off, s[0:3], 0 offset:196
	buffer_store_dword v88, off, s[0:3], 0 offset:192
	s_and_saveexec_b64 s[4:5], vcc
	s_cbranch_execz .LBB42_219
; %bb.218:
	buffer_load_dword v88, off, s[0:3], 0 offset:184
	buffer_load_dword v89, off, s[0:3], 0 offset:188
	v_mov_b32_e32 v90, 0
	buffer_store_dword v90, off, s[0:3], 0 offset:184
	buffer_store_dword v90, off, s[0:3], 0 offset:188
	s_waitcnt vmcnt(2)
	ds_write_b64 v87, v[88:89]
.LBB42_219:
	s_or_b64 exec, exec, s[4:5]
	s_waitcnt lgkmcnt(0)
	; wave barrier
	buffer_load_dword v97, off, s[0:3], 0 offset:192
	buffer_load_dword v98, off, s[0:3], 0 offset:196
	;; [unrolled: 1-line block ×22, first 2 shown]
	v_mov_b32_e32 v88, 0
	ds_read_b128 v[89:92], v88 offset:544
	ds_read_b128 v[93:96], v88 offset:560
	v_cmp_lt_u32_e32 vcc, 22, v0
	s_waitcnt vmcnt(20) lgkmcnt(1)
	v_fma_f64 v[89:90], v[97:98], v[89:90], 0
	s_waitcnt vmcnt(18)
	v_fma_f64 v[89:90], v[99:100], v[91:92], v[89:90]
	buffer_load_dword v98, off, s[0:3], 0 offset:284
	buffer_load_dword v99, off, s[0:3], 0 offset:304
	;; [unrolled: 1-line block ×7, first 2 shown]
	s_waitcnt vmcnt(23) lgkmcnt(0)
	v_fma_f64 v[89:90], v[101:102], v[93:94], v[89:90]
	s_waitcnt vmcnt(21)
	v_fma_f64 v[100:101], v[103:104], v[95:96], v[89:90]
	ds_read_b128 v[89:92], v88 offset:576
	ds_read_b128 v[93:96], v88 offset:592
	s_waitcnt vmcnt(19) lgkmcnt(1)
	v_fma_f64 v[89:90], v[105:106], v[89:90], v[100:101]
	buffer_load_dword v100, off, s[0:3], 0 offset:308
	s_waitcnt vmcnt(18)
	v_fma_f64 v[89:90], v[107:108], v[91:92], v[89:90]
	buffer_load_dword v102, off, s[0:3], 0 offset:316
	buffer_load_dword v103, off, s[0:3], 0 offset:336
	;; [unrolled: 1-line block ×8, first 2 shown]
	s_waitcnt vmcnt(24) lgkmcnt(0)
	v_fma_f64 v[89:90], v[109:110], v[93:94], v[89:90]
	s_waitcnt vmcnt(19)
	v_fma_f64 v[109:110], v[111:112], v[95:96], v[89:90]
	ds_read_b128 v[89:92], v88 offset:608
	ds_read_b128 v[93:96], v88 offset:624
	s_waitcnt vmcnt(18) lgkmcnt(1)
	v_fma_f64 v[89:90], v[117:118], v[89:90], v[109:110]
	buffer_load_dword v109, off, s[0:3], 0 offset:184
	buffer_load_dword v110, off, s[0:3], 0 offset:188
	s_waitcnt vmcnt(19)
	v_fma_f64 v[89:90], v[115:116], v[91:92], v[89:90]
	s_waitcnt vmcnt(18) lgkmcnt(0)
	v_fma_f64 v[89:90], v[113:114], v[93:94], v[89:90]
	s_waitcnt vmcnt(13)
	v_fma_f64 v[97:98], v[97:98], v[95:96], v[89:90]
	ds_read_b128 v[89:92], v88 offset:640
	ds_read_b128 v[93:96], v88 offset:656
	s_waitcnt vmcnt(12) lgkmcnt(1)
	v_fma_f64 v[89:90], v[121:122], v[89:90], v[97:98]
	s_waitcnt vmcnt(11)
	v_fma_f64 v[89:90], v[119:120], v[91:92], v[89:90]
	s_waitcnt vmcnt(10) lgkmcnt(0)
	v_fma_f64 v[89:90], v[99:100], v[93:94], v[89:90]
	s_waitcnt vmcnt(5)
	v_fma_f64 v[93:94], v[101:102], v[95:96], v[89:90]
	ds_read_b128 v[89:92], v88 offset:672
	ds_read_b64 v[95:96], v88 offset:688
	s_waitcnt vmcnt(4) lgkmcnt(1)
	v_fma_f64 v[89:90], v[107:108], v[89:90], v[93:94]
	s_waitcnt vmcnt(3)
	v_fma_f64 v[89:90], v[105:106], v[91:92], v[89:90]
	s_waitcnt vmcnt(2) lgkmcnt(0)
	v_fma_f64 v[89:90], v[103:104], v[95:96], v[89:90]
	s_waitcnt vmcnt(0)
	v_add_f64 v[89:90], v[109:110], -v[89:90]
	buffer_store_dword v90, off, s[0:3], 0 offset:188
	buffer_store_dword v89, off, s[0:3], 0 offset:184
	s_and_saveexec_b64 s[4:5], vcc
	s_cbranch_execz .LBB42_221
; %bb.220:
	buffer_load_dword v89, off, s[0:3], 0 offset:176
	buffer_load_dword v90, off, s[0:3], 0 offset:180
	s_waitcnt vmcnt(0)
	ds_write_b64 v87, v[89:90]
	buffer_store_dword v88, off, s[0:3], 0 offset:176
	buffer_store_dword v88, off, s[0:3], 0 offset:180
.LBB42_221:
	s_or_b64 exec, exec, s[4:5]
	s_waitcnt lgkmcnt(0)
	; wave barrier
	buffer_load_dword v97, off, s[0:3], 0 offset:184
	buffer_load_dword v98, off, s[0:3], 0 offset:188
	;; [unrolled: 1-line block ×22, first 2 shown]
	ds_read2_b64 v[89:92], v88 offset0:67 offset1:68
	ds_read2_b64 v[93:96], v88 offset0:69 offset1:70
	v_cmp_lt_u32_e32 vcc, 21, v0
	s_waitcnt vmcnt(20) lgkmcnt(1)
	v_fma_f64 v[89:90], v[97:98], v[89:90], 0
	s_waitcnt vmcnt(18)
	v_fma_f64 v[89:90], v[99:100], v[91:92], v[89:90]
	buffer_load_dword v98, off, s[0:3], 0 offset:276
	buffer_load_dword v99, off, s[0:3], 0 offset:296
	;; [unrolled: 1-line block ×7, first 2 shown]
	s_waitcnt vmcnt(23) lgkmcnt(0)
	v_fma_f64 v[89:90], v[101:102], v[93:94], v[89:90]
	s_waitcnt vmcnt(21)
	v_fma_f64 v[100:101], v[103:104], v[95:96], v[89:90]
	ds_read2_b64 v[89:92], v88 offset0:71 offset1:72
	ds_read2_b64 v[93:96], v88 offset0:73 offset1:74
	s_waitcnt vmcnt(19) lgkmcnt(1)
	v_fma_f64 v[89:90], v[105:106], v[89:90], v[100:101]
	buffer_load_dword v100, off, s[0:3], 0 offset:300
	s_waitcnt vmcnt(18)
	v_fma_f64 v[89:90], v[107:108], v[91:92], v[89:90]
	buffer_load_dword v102, off, s[0:3], 0 offset:308
	buffer_load_dword v103, off, s[0:3], 0 offset:328
	;; [unrolled: 1-line block ×8, first 2 shown]
	s_waitcnt vmcnt(24) lgkmcnt(0)
	v_fma_f64 v[89:90], v[109:110], v[93:94], v[89:90]
	s_waitcnt vmcnt(19)
	v_fma_f64 v[109:110], v[111:112], v[95:96], v[89:90]
	ds_read2_b64 v[89:92], v88 offset0:75 offset1:76
	ds_read2_b64 v[93:96], v88 offset0:77 offset1:78
	s_waitcnt vmcnt(18) lgkmcnt(1)
	v_fma_f64 v[89:90], v[117:118], v[89:90], v[109:110]
	buffer_load_dword v110, off, s[0:3], 0 offset:340
	buffer_load_dword v109, off, s[0:3], 0 offset:336
	;; [unrolled: 1-line block ×4, first 2 shown]
	s_waitcnt vmcnt(21)
	v_fma_f64 v[89:90], v[115:116], v[91:92], v[89:90]
	s_waitcnt vmcnt(20) lgkmcnt(0)
	v_fma_f64 v[89:90], v[113:114], v[93:94], v[89:90]
	s_waitcnt vmcnt(15)
	v_fma_f64 v[97:98], v[97:98], v[95:96], v[89:90]
	ds_read2_b64 v[89:92], v88 offset0:79 offset1:80
	ds_read2_b64 v[93:96], v88 offset0:81 offset1:82
	s_waitcnt vmcnt(14) lgkmcnt(1)
	v_fma_f64 v[89:90], v[121:122], v[89:90], v[97:98]
	s_waitcnt vmcnt(13)
	v_fma_f64 v[89:90], v[119:120], v[91:92], v[89:90]
	s_waitcnt vmcnt(12) lgkmcnt(0)
	v_fma_f64 v[89:90], v[99:100], v[93:94], v[89:90]
	s_waitcnt vmcnt(7)
	v_fma_f64 v[97:98], v[101:102], v[95:96], v[89:90]
	ds_read2_b64 v[89:92], v88 offset0:83 offset1:84
	ds_read2_b64 v[93:96], v88 offset0:85 offset1:86
	s_waitcnt vmcnt(6) lgkmcnt(1)
	v_fma_f64 v[88:89], v[107:108], v[89:90], v[97:98]
	s_waitcnt vmcnt(5)
	v_fma_f64 v[88:89], v[105:106], v[91:92], v[88:89]
	s_waitcnt vmcnt(4) lgkmcnt(0)
	v_fma_f64 v[88:89], v[103:104], v[93:94], v[88:89]
	s_waitcnt vmcnt(2)
	v_fma_f64 v[88:89], v[109:110], v[95:96], v[88:89]
	s_waitcnt vmcnt(0)
	v_add_f64 v[88:89], v[111:112], -v[88:89]
	buffer_store_dword v89, off, s[0:3], 0 offset:180
	buffer_store_dword v88, off, s[0:3], 0 offset:176
	s_and_saveexec_b64 s[4:5], vcc
	s_cbranch_execz .LBB42_223
; %bb.222:
	buffer_load_dword v88, off, s[0:3], 0 offset:168
	buffer_load_dword v89, off, s[0:3], 0 offset:172
	v_mov_b32_e32 v90, 0
	buffer_store_dword v90, off, s[0:3], 0 offset:168
	buffer_store_dword v90, off, s[0:3], 0 offset:172
	s_waitcnt vmcnt(2)
	ds_write_b64 v87, v[88:89]
.LBB42_223:
	s_or_b64 exec, exec, s[4:5]
	s_waitcnt lgkmcnt(0)
	; wave barrier
	buffer_load_dword v97, off, s[0:3], 0 offset:176
	buffer_load_dword v98, off, s[0:3], 0 offset:180
	;; [unrolled: 1-line block ×21, first 2 shown]
	v_mov_b32_e32 v88, 0
	ds_read_b128 v[89:92], v88 offset:528
	ds_read_b128 v[93:96], v88 offset:544
	buffer_load_dword v114, off, s[0:3], 0 offset:260
	v_cmp_lt_u32_e32 vcc, 20, v0
	s_waitcnt vmcnt(20) lgkmcnt(1)
	v_fma_f64 v[89:90], v[97:98], v[89:90], 0
	s_waitcnt vmcnt(18)
	v_fma_f64 v[89:90], v[99:100], v[91:92], v[89:90]
	buffer_load_dword v98, off, s[0:3], 0 offset:268
	buffer_load_dword v99, off, s[0:3], 0 offset:288
	buffer_load_dword v119, off, s[0:3], 0 offset:280
	buffer_load_dword v121, off, s[0:3], 0 offset:272
	buffer_load_dword v97, off, s[0:3], 0 offset:264
	buffer_load_dword v122, off, s[0:3], 0 offset:276
	buffer_load_dword v120, off, s[0:3], 0 offset:284
	s_waitcnt vmcnt(23) lgkmcnt(0)
	v_fma_f64 v[89:90], v[101:102], v[93:94], v[89:90]
	s_waitcnt vmcnt(21)
	v_fma_f64 v[100:101], v[103:104], v[95:96], v[89:90]
	ds_read_b128 v[89:92], v88 offset:560
	ds_read_b128 v[93:96], v88 offset:576
	s_waitcnt vmcnt(19) lgkmcnt(1)
	v_fma_f64 v[89:90], v[105:106], v[89:90], v[100:101]
	buffer_load_dword v100, off, s[0:3], 0 offset:292
	s_waitcnt vmcnt(18)
	v_fma_f64 v[89:90], v[107:108], v[91:92], v[89:90]
	buffer_load_dword v102, off, s[0:3], 0 offset:300
	buffer_load_dword v103, off, s[0:3], 0 offset:320
	;; [unrolled: 1-line block ×7, first 2 shown]
	s_waitcnt vmcnt(23) lgkmcnt(0)
	v_fma_f64 v[89:90], v[109:110], v[93:94], v[89:90]
	s_waitcnt vmcnt(18)
	v_fma_f64 v[109:110], v[111:112], v[95:96], v[89:90]
	ds_read_b128 v[89:92], v88 offset:592
	ds_read_b128 v[93:96], v88 offset:608
	buffer_load_dword v104, off, s[0:3], 0 offset:324
	s_waitcnt vmcnt(18) lgkmcnt(1)
	v_fma_f64 v[89:90], v[117:118], v[89:90], v[109:110]
	buffer_load_dword v110, off, s[0:3], 0 offset:332
	buffer_load_dword v111, off, s[0:3], 0 offset:336
	buffer_load_dword v109, off, s[0:3], 0 offset:328
	buffer_load_dword v112, off, s[0:3], 0 offset:340
	s_waitcnt vmcnt(21)
	v_fma_f64 v[89:90], v[115:116], v[91:92], v[89:90]
	s_waitcnt vmcnt(20) lgkmcnt(0)
	v_fma_f64 v[89:90], v[113:114], v[93:94], v[89:90]
	buffer_load_dword v113, off, s[0:3], 0 offset:168
	buffer_load_dword v114, off, s[0:3], 0 offset:172
	s_waitcnt vmcnt(17)
	v_fma_f64 v[97:98], v[97:98], v[95:96], v[89:90]
	ds_read_b128 v[89:92], v88 offset:624
	ds_read_b128 v[93:96], v88 offset:640
	s_waitcnt vmcnt(16) lgkmcnt(1)
	v_fma_f64 v[89:90], v[121:122], v[89:90], v[97:98]
	s_waitcnt vmcnt(15)
	v_fma_f64 v[89:90], v[119:120], v[91:92], v[89:90]
	s_waitcnt vmcnt(14) lgkmcnt(0)
	v_fma_f64 v[89:90], v[99:100], v[93:94], v[89:90]
	s_waitcnt vmcnt(9)
	v_fma_f64 v[97:98], v[101:102], v[95:96], v[89:90]
	ds_read_b128 v[89:92], v88 offset:656
	ds_read_b128 v[93:96], v88 offset:672
	s_waitcnt vmcnt(8) lgkmcnt(1)
	v_fma_f64 v[89:90], v[107:108], v[89:90], v[97:98]
	s_waitcnt vmcnt(7)
	v_fma_f64 v[89:90], v[105:106], v[91:92], v[89:90]
	ds_read_b64 v[91:92], v88 offset:688
	s_waitcnt vmcnt(6) lgkmcnt(1)
	v_fma_f64 v[89:90], v[103:104], v[93:94], v[89:90]
	s_waitcnt vmcnt(3)
	v_fma_f64 v[89:90], v[109:110], v[95:96], v[89:90]
	s_waitcnt vmcnt(2) lgkmcnt(0)
	v_fma_f64 v[89:90], v[111:112], v[91:92], v[89:90]
	s_waitcnt vmcnt(0)
	v_add_f64 v[89:90], v[113:114], -v[89:90]
	buffer_store_dword v90, off, s[0:3], 0 offset:172
	buffer_store_dword v89, off, s[0:3], 0 offset:168
	s_and_saveexec_b64 s[4:5], vcc
	s_cbranch_execz .LBB42_225
; %bb.224:
	buffer_load_dword v89, off, s[0:3], 0 offset:160
	buffer_load_dword v90, off, s[0:3], 0 offset:164
	s_waitcnt vmcnt(0)
	ds_write_b64 v87, v[89:90]
	buffer_store_dword v88, off, s[0:3], 0 offset:160
	buffer_store_dword v88, off, s[0:3], 0 offset:164
.LBB42_225:
	s_or_b64 exec, exec, s[4:5]
	s_waitcnt lgkmcnt(0)
	; wave barrier
	buffer_load_dword v97, off, s[0:3], 0 offset:168
	buffer_load_dword v98, off, s[0:3], 0 offset:172
	;; [unrolled: 1-line block ×21, first 2 shown]
	ds_read2_b64 v[89:92], v88 offset0:65 offset1:66
	ds_read2_b64 v[93:96], v88 offset0:67 offset1:68
	buffer_load_dword v114, off, s[0:3], 0 offset:252
	v_cmp_lt_u32_e32 vcc, 19, v0
	s_waitcnt vmcnt(20) lgkmcnt(1)
	v_fma_f64 v[89:90], v[97:98], v[89:90], 0
	s_waitcnt vmcnt(18)
	v_fma_f64 v[89:90], v[99:100], v[91:92], v[89:90]
	buffer_load_dword v98, off, s[0:3], 0 offset:260
	buffer_load_dword v99, off, s[0:3], 0 offset:280
	;; [unrolled: 1-line block ×7, first 2 shown]
	s_waitcnt vmcnt(23) lgkmcnt(0)
	v_fma_f64 v[89:90], v[101:102], v[93:94], v[89:90]
	s_waitcnt vmcnt(21)
	v_fma_f64 v[100:101], v[103:104], v[95:96], v[89:90]
	ds_read2_b64 v[89:92], v88 offset0:69 offset1:70
	ds_read2_b64 v[93:96], v88 offset0:71 offset1:72
	s_waitcnt vmcnt(19) lgkmcnt(1)
	v_fma_f64 v[89:90], v[105:106], v[89:90], v[100:101]
	buffer_load_dword v100, off, s[0:3], 0 offset:284
	s_waitcnt vmcnt(18)
	v_fma_f64 v[89:90], v[107:108], v[91:92], v[89:90]
	buffer_load_dword v102, off, s[0:3], 0 offset:292
	buffer_load_dword v103, off, s[0:3], 0 offset:312
	;; [unrolled: 1-line block ×8, first 2 shown]
	s_waitcnt vmcnt(24) lgkmcnt(0)
	v_fma_f64 v[89:90], v[109:110], v[93:94], v[89:90]
	s_waitcnt vmcnt(19)
	v_fma_f64 v[109:110], v[111:112], v[95:96], v[89:90]
	ds_read2_b64 v[89:92], v88 offset0:73 offset1:74
	ds_read2_b64 v[93:96], v88 offset0:75 offset1:76
	s_waitcnt vmcnt(18) lgkmcnt(1)
	v_fma_f64 v[89:90], v[117:118], v[89:90], v[109:110]
	s_waitcnt vmcnt(17)
	v_fma_f64 v[89:90], v[115:116], v[91:92], v[89:90]
	buffer_load_dword v110, off, s[0:3], 0 offset:324
	buffer_load_dword v111, off, s[0:3], 0 offset:336
	;; [unrolled: 1-line block ×6, first 2 shown]
	s_waitcnt vmcnt(22) lgkmcnt(0)
	v_fma_f64 v[89:90], v[113:114], v[93:94], v[89:90]
	s_waitcnt vmcnt(17)
	v_fma_f64 v[97:98], v[97:98], v[95:96], v[89:90]
	ds_read2_b64 v[89:92], v88 offset0:77 offset1:78
	buffer_load_dword v113, off, s[0:3], 0 offset:160
	buffer_load_dword v114, off, s[0:3], 0 offset:164
	ds_read2_b64 v[93:96], v88 offset0:79 offset1:80
	s_waitcnt vmcnt(18) lgkmcnt(1)
	v_fma_f64 v[89:90], v[121:122], v[89:90], v[97:98]
	s_waitcnt vmcnt(17)
	v_fma_f64 v[89:90], v[119:120], v[91:92], v[89:90]
	s_waitcnt vmcnt(16) lgkmcnt(0)
	v_fma_f64 v[89:90], v[99:100], v[93:94], v[89:90]
	s_waitcnt vmcnt(11)
	v_fma_f64 v[97:98], v[101:102], v[95:96], v[89:90]
	ds_read2_b64 v[89:92], v88 offset0:81 offset1:82
	ds_read2_b64 v[93:96], v88 offset0:83 offset1:84
	s_waitcnt vmcnt(10) lgkmcnt(1)
	v_fma_f64 v[89:90], v[107:108], v[89:90], v[97:98]
	s_waitcnt vmcnt(9)
	v_fma_f64 v[89:90], v[105:106], v[91:92], v[89:90]
	s_waitcnt vmcnt(8) lgkmcnt(0)
	v_fma_f64 v[89:90], v[103:104], v[93:94], v[89:90]
	s_waitcnt vmcnt(4)
	v_fma_f64 v[92:93], v[109:110], v[95:96], v[89:90]
	ds_read2_b64 v[88:91], v88 offset0:85 offset1:86
	s_waitcnt vmcnt(3) lgkmcnt(0)
	v_fma_f64 v[88:89], v[115:116], v[88:89], v[92:93]
	s_waitcnt vmcnt(2)
	v_fma_f64 v[88:89], v[111:112], v[90:91], v[88:89]
	s_waitcnt vmcnt(0)
	v_add_f64 v[88:89], v[113:114], -v[88:89]
	buffer_store_dword v89, off, s[0:3], 0 offset:164
	buffer_store_dword v88, off, s[0:3], 0 offset:160
	s_and_saveexec_b64 s[4:5], vcc
	s_cbranch_execz .LBB42_227
; %bb.226:
	buffer_load_dword v88, off, s[0:3], 0 offset:152
	buffer_load_dword v89, off, s[0:3], 0 offset:156
	v_mov_b32_e32 v90, 0
	buffer_store_dword v90, off, s[0:3], 0 offset:152
	buffer_store_dword v90, off, s[0:3], 0 offset:156
	s_waitcnt vmcnt(2)
	ds_write_b64 v87, v[88:89]
.LBB42_227:
	s_or_b64 exec, exec, s[4:5]
	s_waitcnt lgkmcnt(0)
	; wave barrier
	buffer_load_dword v97, off, s[0:3], 0 offset:160
	buffer_load_dword v98, off, s[0:3], 0 offset:164
	;; [unrolled: 1-line block ×21, first 2 shown]
	v_mov_b32_e32 v88, 0
	ds_read_b128 v[89:92], v88 offset:512
	ds_read_b128 v[93:96], v88 offset:528
	buffer_load_dword v114, off, s[0:3], 0 offset:244
	v_cmp_lt_u32_e32 vcc, 18, v0
	s_waitcnt vmcnt(20) lgkmcnt(1)
	v_fma_f64 v[89:90], v[97:98], v[89:90], 0
	s_waitcnt vmcnt(18)
	v_fma_f64 v[89:90], v[99:100], v[91:92], v[89:90]
	buffer_load_dword v98, off, s[0:3], 0 offset:252
	buffer_load_dword v99, off, s[0:3], 0 offset:272
	;; [unrolled: 1-line block ×7, first 2 shown]
	s_waitcnt vmcnt(23) lgkmcnt(0)
	v_fma_f64 v[89:90], v[101:102], v[93:94], v[89:90]
	s_waitcnt vmcnt(21)
	v_fma_f64 v[100:101], v[103:104], v[95:96], v[89:90]
	ds_read_b128 v[89:92], v88 offset:544
	ds_read_b128 v[93:96], v88 offset:560
	s_waitcnt vmcnt(19) lgkmcnt(1)
	v_fma_f64 v[89:90], v[105:106], v[89:90], v[100:101]
	buffer_load_dword v100, off, s[0:3], 0 offset:276
	s_waitcnt vmcnt(18)
	v_fma_f64 v[89:90], v[107:108], v[91:92], v[89:90]
	buffer_load_dword v102, off, s[0:3], 0 offset:284
	buffer_load_dword v103, off, s[0:3], 0 offset:304
	;; [unrolled: 1-line block ×8, first 2 shown]
	s_waitcnt vmcnt(24) lgkmcnt(0)
	v_fma_f64 v[89:90], v[109:110], v[93:94], v[89:90]
	s_waitcnt vmcnt(19)
	v_fma_f64 v[109:110], v[111:112], v[95:96], v[89:90]
	ds_read_b128 v[89:92], v88 offset:576
	ds_read_b128 v[93:96], v88 offset:592
	s_waitcnt vmcnt(18) lgkmcnt(1)
	v_fma_f64 v[89:90], v[117:118], v[89:90], v[109:110]
	s_waitcnt vmcnt(17)
	v_fma_f64 v[89:90], v[115:116], v[91:92], v[89:90]
	buffer_load_dword v110, off, s[0:3], 0 offset:316
	buffer_load_dword v111, off, s[0:3], 0 offset:336
	;; [unrolled: 1-line block ×8, first 2 shown]
	s_waitcnt vmcnt(24) lgkmcnt(0)
	v_fma_f64 v[89:90], v[113:114], v[93:94], v[89:90]
	s_waitcnt vmcnt(19)
	v_fma_f64 v[97:98], v[97:98], v[95:96], v[89:90]
	ds_read_b128 v[89:92], v88 offset:608
	ds_read_b128 v[93:96], v88 offset:624
	s_waitcnt vmcnt(18) lgkmcnt(1)
	v_fma_f64 v[89:90], v[121:122], v[89:90], v[97:98]
	buffer_load_dword v97, off, s[0:3], 0 offset:152
	buffer_load_dword v98, off, s[0:3], 0 offset:156
	s_waitcnt vmcnt(19)
	v_fma_f64 v[89:90], v[119:120], v[91:92], v[89:90]
	s_waitcnt vmcnt(18) lgkmcnt(0)
	v_fma_f64 v[89:90], v[99:100], v[93:94], v[89:90]
	s_waitcnt vmcnt(13)
	v_fma_f64 v[99:100], v[101:102], v[95:96], v[89:90]
	ds_read_b128 v[89:92], v88 offset:640
	ds_read_b128 v[93:96], v88 offset:656
	s_waitcnt vmcnt(12) lgkmcnt(1)
	v_fma_f64 v[89:90], v[107:108], v[89:90], v[99:100]
	s_waitcnt vmcnt(11)
	v_fma_f64 v[89:90], v[105:106], v[91:92], v[89:90]
	s_waitcnt vmcnt(10) lgkmcnt(0)
	v_fma_f64 v[89:90], v[103:104], v[93:94], v[89:90]
	s_waitcnt vmcnt(5)
	v_fma_f64 v[93:94], v[109:110], v[95:96], v[89:90]
	ds_read_b128 v[89:92], v88 offset:672
	ds_read_b64 v[95:96], v88 offset:688
	s_waitcnt vmcnt(4) lgkmcnt(1)
	v_fma_f64 v[89:90], v[117:118], v[89:90], v[93:94]
	s_waitcnt vmcnt(3)
	v_fma_f64 v[89:90], v[115:116], v[91:92], v[89:90]
	s_waitcnt vmcnt(2) lgkmcnt(0)
	v_fma_f64 v[89:90], v[111:112], v[95:96], v[89:90]
	s_waitcnt vmcnt(0)
	v_add_f64 v[89:90], v[97:98], -v[89:90]
	buffer_store_dword v90, off, s[0:3], 0 offset:156
	buffer_store_dword v89, off, s[0:3], 0 offset:152
	s_and_saveexec_b64 s[4:5], vcc
	s_cbranch_execz .LBB42_229
; %bb.228:
	buffer_load_dword v89, off, s[0:3], 0 offset:144
	buffer_load_dword v90, off, s[0:3], 0 offset:148
	s_waitcnt vmcnt(0)
	ds_write_b64 v87, v[89:90]
	buffer_store_dword v88, off, s[0:3], 0 offset:144
	buffer_store_dword v88, off, s[0:3], 0 offset:148
.LBB42_229:
	s_or_b64 exec, exec, s[4:5]
	s_waitcnt lgkmcnt(0)
	; wave barrier
	buffer_load_dword v97, off, s[0:3], 0 offset:152
	buffer_load_dword v98, off, s[0:3], 0 offset:156
	;; [unrolled: 1-line block ×21, first 2 shown]
	ds_read2_b64 v[89:92], v88 offset0:63 offset1:64
	ds_read2_b64 v[93:96], v88 offset0:65 offset1:66
	buffer_load_dword v114, off, s[0:3], 0 offset:236
	v_cmp_lt_u32_e32 vcc, 17, v0
	s_waitcnt vmcnt(20) lgkmcnt(1)
	v_fma_f64 v[89:90], v[97:98], v[89:90], 0
	s_waitcnt vmcnt(18)
	v_fma_f64 v[89:90], v[99:100], v[91:92], v[89:90]
	buffer_load_dword v98, off, s[0:3], 0 offset:244
	buffer_load_dword v99, off, s[0:3], 0 offset:264
	;; [unrolled: 1-line block ×7, first 2 shown]
	s_waitcnt vmcnt(23) lgkmcnt(0)
	v_fma_f64 v[89:90], v[101:102], v[93:94], v[89:90]
	s_waitcnt vmcnt(21)
	v_fma_f64 v[100:101], v[103:104], v[95:96], v[89:90]
	ds_read2_b64 v[89:92], v88 offset0:67 offset1:68
	ds_read2_b64 v[93:96], v88 offset0:69 offset1:70
	s_waitcnt vmcnt(19) lgkmcnt(1)
	v_fma_f64 v[89:90], v[105:106], v[89:90], v[100:101]
	buffer_load_dword v100, off, s[0:3], 0 offset:268
	s_waitcnt vmcnt(18)
	v_fma_f64 v[89:90], v[107:108], v[91:92], v[89:90]
	buffer_load_dword v102, off, s[0:3], 0 offset:276
	buffer_load_dword v103, off, s[0:3], 0 offset:296
	;; [unrolled: 1-line block ×8, first 2 shown]
	s_waitcnt vmcnt(24) lgkmcnt(0)
	v_fma_f64 v[89:90], v[109:110], v[93:94], v[89:90]
	s_waitcnt vmcnt(19)
	v_fma_f64 v[109:110], v[111:112], v[95:96], v[89:90]
	ds_read2_b64 v[89:92], v88 offset0:71 offset1:72
	ds_read2_b64 v[93:96], v88 offset0:73 offset1:74
	s_waitcnt vmcnt(18) lgkmcnt(1)
	v_fma_f64 v[89:90], v[117:118], v[89:90], v[109:110]
	s_waitcnt vmcnt(17)
	v_fma_f64 v[89:90], v[115:116], v[91:92], v[89:90]
	buffer_load_dword v110, off, s[0:3], 0 offset:308
	buffer_load_dword v111, off, s[0:3], 0 offset:328
	;; [unrolled: 1-line block ×8, first 2 shown]
	s_waitcnt vmcnt(24) lgkmcnt(0)
	v_fma_f64 v[89:90], v[113:114], v[93:94], v[89:90]
	s_waitcnt vmcnt(19)
	v_fma_f64 v[97:98], v[97:98], v[95:96], v[89:90]
	ds_read2_b64 v[89:92], v88 offset0:75 offset1:76
	ds_read2_b64 v[93:96], v88 offset0:77 offset1:78
	s_waitcnt vmcnt(18) lgkmcnt(1)
	v_fma_f64 v[89:90], v[121:122], v[89:90], v[97:98]
	buffer_load_dword v98, off, s[0:3], 0 offset:340
	buffer_load_dword v97, off, s[0:3], 0 offset:336
	;; [unrolled: 1-line block ×4, first 2 shown]
	s_waitcnt vmcnt(21)
	v_fma_f64 v[89:90], v[119:120], v[91:92], v[89:90]
	s_waitcnt vmcnt(20) lgkmcnt(0)
	v_fma_f64 v[89:90], v[99:100], v[93:94], v[89:90]
	s_waitcnt vmcnt(15)
	v_fma_f64 v[99:100], v[101:102], v[95:96], v[89:90]
	ds_read2_b64 v[89:92], v88 offset0:79 offset1:80
	ds_read2_b64 v[93:96], v88 offset0:81 offset1:82
	s_waitcnt vmcnt(14) lgkmcnt(1)
	v_fma_f64 v[89:90], v[107:108], v[89:90], v[99:100]
	s_waitcnt vmcnt(13)
	v_fma_f64 v[89:90], v[105:106], v[91:92], v[89:90]
	s_waitcnt vmcnt(12) lgkmcnt(0)
	v_fma_f64 v[89:90], v[103:104], v[93:94], v[89:90]
	s_waitcnt vmcnt(7)
	v_fma_f64 v[99:100], v[109:110], v[95:96], v[89:90]
	ds_read2_b64 v[89:92], v88 offset0:83 offset1:84
	ds_read2_b64 v[93:96], v88 offset0:85 offset1:86
	s_waitcnt vmcnt(6) lgkmcnt(1)
	v_fma_f64 v[88:89], v[117:118], v[89:90], v[99:100]
	s_waitcnt vmcnt(5)
	v_fma_f64 v[88:89], v[115:116], v[91:92], v[88:89]
	s_waitcnt vmcnt(4) lgkmcnt(0)
	v_fma_f64 v[88:89], v[111:112], v[93:94], v[88:89]
	s_waitcnt vmcnt(2)
	v_fma_f64 v[88:89], v[97:98], v[95:96], v[88:89]
	s_waitcnt vmcnt(0)
	v_add_f64 v[88:89], v[113:114], -v[88:89]
	buffer_store_dword v89, off, s[0:3], 0 offset:148
	buffer_store_dword v88, off, s[0:3], 0 offset:144
	s_and_saveexec_b64 s[4:5], vcc
	s_cbranch_execz .LBB42_231
; %bb.230:
	buffer_load_dword v88, off, s[0:3], 0 offset:136
	buffer_load_dword v89, off, s[0:3], 0 offset:140
	v_mov_b32_e32 v90, 0
	buffer_store_dword v90, off, s[0:3], 0 offset:136
	buffer_store_dword v90, off, s[0:3], 0 offset:140
	s_waitcnt vmcnt(2)
	ds_write_b64 v87, v[88:89]
.LBB42_231:
	s_or_b64 exec, exec, s[4:5]
	s_waitcnt lgkmcnt(0)
	; wave barrier
	buffer_load_dword v97, off, s[0:3], 0 offset:144
	buffer_load_dword v98, off, s[0:3], 0 offset:148
	;; [unrolled: 1-line block ×21, first 2 shown]
	v_mov_b32_e32 v88, 0
	ds_read_b128 v[89:92], v88 offset:496
	ds_read_b128 v[93:96], v88 offset:512
	buffer_load_dword v114, off, s[0:3], 0 offset:228
	v_cmp_lt_u32_e32 vcc, 16, v0
	s_waitcnt vmcnt(20) lgkmcnt(1)
	v_fma_f64 v[89:90], v[97:98], v[89:90], 0
	s_waitcnt vmcnt(18)
	v_fma_f64 v[89:90], v[99:100], v[91:92], v[89:90]
	buffer_load_dword v98, off, s[0:3], 0 offset:236
	buffer_load_dword v99, off, s[0:3], 0 offset:256
	;; [unrolled: 1-line block ×7, first 2 shown]
	s_waitcnt vmcnt(23) lgkmcnt(0)
	v_fma_f64 v[89:90], v[101:102], v[93:94], v[89:90]
	s_waitcnt vmcnt(21)
	v_fma_f64 v[100:101], v[103:104], v[95:96], v[89:90]
	ds_read_b128 v[89:92], v88 offset:528
	ds_read_b128 v[93:96], v88 offset:544
	s_waitcnt vmcnt(19) lgkmcnt(1)
	v_fma_f64 v[89:90], v[105:106], v[89:90], v[100:101]
	buffer_load_dword v100, off, s[0:3], 0 offset:260
	s_waitcnt vmcnt(18)
	v_fma_f64 v[89:90], v[107:108], v[91:92], v[89:90]
	buffer_load_dword v102, off, s[0:3], 0 offset:268
	buffer_load_dword v103, off, s[0:3], 0 offset:288
	;; [unrolled: 1-line block ×8, first 2 shown]
	s_waitcnt vmcnt(24) lgkmcnt(0)
	v_fma_f64 v[89:90], v[109:110], v[93:94], v[89:90]
	s_waitcnt vmcnt(19)
	v_fma_f64 v[109:110], v[111:112], v[95:96], v[89:90]
	ds_read_b128 v[89:92], v88 offset:560
	ds_read_b128 v[93:96], v88 offset:576
	s_waitcnt vmcnt(18) lgkmcnt(1)
	v_fma_f64 v[89:90], v[117:118], v[89:90], v[109:110]
	s_waitcnt vmcnt(17)
	v_fma_f64 v[89:90], v[115:116], v[91:92], v[89:90]
	buffer_load_dword v110, off, s[0:3], 0 offset:300
	buffer_load_dword v111, off, s[0:3], 0 offset:320
	;; [unrolled: 1-line block ×7, first 2 shown]
	s_waitcnt vmcnt(23) lgkmcnt(0)
	v_fma_f64 v[89:90], v[113:114], v[93:94], v[89:90]
	s_waitcnt vmcnt(18)
	v_fma_f64 v[97:98], v[97:98], v[95:96], v[89:90]
	ds_read_b128 v[89:92], v88 offset:592
	ds_read_b128 v[93:96], v88 offset:608
	buffer_load_dword v112, off, s[0:3], 0 offset:324
	s_waitcnt vmcnt(18) lgkmcnt(1)
	v_fma_f64 v[89:90], v[121:122], v[89:90], v[97:98]
	buffer_load_dword v98, off, s[0:3], 0 offset:332
	buffer_load_dword v113, off, s[0:3], 0 offset:336
	;; [unrolled: 1-line block ×4, first 2 shown]
	s_waitcnt vmcnt(21)
	v_fma_f64 v[89:90], v[119:120], v[91:92], v[89:90]
	s_waitcnt vmcnt(20) lgkmcnt(0)
	v_fma_f64 v[89:90], v[99:100], v[93:94], v[89:90]
	buffer_load_dword v99, off, s[0:3], 0 offset:136
	buffer_load_dword v100, off, s[0:3], 0 offset:140
	s_waitcnt vmcnt(17)
	v_fma_f64 v[101:102], v[101:102], v[95:96], v[89:90]
	ds_read_b128 v[89:92], v88 offset:624
	ds_read_b128 v[93:96], v88 offset:640
	s_waitcnt vmcnt(16) lgkmcnt(1)
	v_fma_f64 v[89:90], v[107:108], v[89:90], v[101:102]
	s_waitcnt vmcnt(15)
	v_fma_f64 v[89:90], v[105:106], v[91:92], v[89:90]
	s_waitcnt vmcnt(14) lgkmcnt(0)
	v_fma_f64 v[89:90], v[103:104], v[93:94], v[89:90]
	s_waitcnt vmcnt(9)
	v_fma_f64 v[101:102], v[109:110], v[95:96], v[89:90]
	ds_read_b128 v[89:92], v88 offset:656
	ds_read_b128 v[93:96], v88 offset:672
	s_waitcnt vmcnt(8) lgkmcnt(1)
	v_fma_f64 v[89:90], v[117:118], v[89:90], v[101:102]
	s_waitcnt vmcnt(7)
	v_fma_f64 v[89:90], v[115:116], v[91:92], v[89:90]
	ds_read_b64 v[91:92], v88 offset:688
	s_waitcnt vmcnt(6) lgkmcnt(1)
	v_fma_f64 v[89:90], v[111:112], v[93:94], v[89:90]
	s_waitcnt vmcnt(3)
	v_fma_f64 v[89:90], v[97:98], v[95:96], v[89:90]
	s_waitcnt vmcnt(2) lgkmcnt(0)
	v_fma_f64 v[89:90], v[113:114], v[91:92], v[89:90]
	s_waitcnt vmcnt(0)
	v_add_f64 v[89:90], v[99:100], -v[89:90]
	buffer_store_dword v90, off, s[0:3], 0 offset:140
	buffer_store_dword v89, off, s[0:3], 0 offset:136
	s_and_saveexec_b64 s[4:5], vcc
	s_cbranch_execz .LBB42_233
; %bb.232:
	buffer_load_dword v89, off, s[0:3], 0 offset:128
	buffer_load_dword v90, off, s[0:3], 0 offset:132
	s_waitcnt vmcnt(0)
	ds_write_b64 v87, v[89:90]
	buffer_store_dword v88, off, s[0:3], 0 offset:128
	buffer_store_dword v88, off, s[0:3], 0 offset:132
.LBB42_233:
	s_or_b64 exec, exec, s[4:5]
	s_waitcnt lgkmcnt(0)
	; wave barrier
	buffer_load_dword v97, off, s[0:3], 0 offset:136
	buffer_load_dword v98, off, s[0:3], 0 offset:140
	;; [unrolled: 1-line block ×22, first 2 shown]
	ds_read2_b64 v[89:92], v88 offset0:61 offset1:62
	ds_read2_b64 v[93:96], v88 offset0:63 offset1:64
	v_cmp_lt_u32_e32 vcc, 15, v0
	s_waitcnt vmcnt(20) lgkmcnt(1)
	v_fma_f64 v[89:90], v[97:98], v[89:90], 0
	s_waitcnt vmcnt(18)
	v_fma_f64 v[89:90], v[99:100], v[91:92], v[89:90]
	buffer_load_dword v98, off, s[0:3], 0 offset:228
	buffer_load_dword v99, off, s[0:3], 0 offset:248
	;; [unrolled: 1-line block ×7, first 2 shown]
	s_waitcnt vmcnt(23) lgkmcnt(0)
	v_fma_f64 v[89:90], v[101:102], v[93:94], v[89:90]
	s_waitcnt vmcnt(21)
	v_fma_f64 v[100:101], v[103:104], v[95:96], v[89:90]
	ds_read2_b64 v[89:92], v88 offset0:65 offset1:66
	ds_read2_b64 v[93:96], v88 offset0:67 offset1:68
	s_waitcnt vmcnt(19) lgkmcnt(1)
	v_fma_f64 v[89:90], v[105:106], v[89:90], v[100:101]
	buffer_load_dword v100, off, s[0:3], 0 offset:252
	s_waitcnt vmcnt(18)
	v_fma_f64 v[89:90], v[107:108], v[91:92], v[89:90]
	buffer_load_dword v102, off, s[0:3], 0 offset:260
	buffer_load_dword v103, off, s[0:3], 0 offset:280
	;; [unrolled: 1-line block ×8, first 2 shown]
	s_waitcnt vmcnt(24) lgkmcnt(0)
	v_fma_f64 v[89:90], v[109:110], v[93:94], v[89:90]
	s_waitcnt vmcnt(19)
	v_fma_f64 v[109:110], v[111:112], v[95:96], v[89:90]
	ds_read2_b64 v[89:92], v88 offset0:69 offset1:70
	ds_read2_b64 v[93:96], v88 offset0:71 offset1:72
	s_waitcnt vmcnt(18) lgkmcnt(1)
	v_fma_f64 v[89:90], v[117:118], v[89:90], v[109:110]
	s_waitcnt vmcnt(17)
	v_fma_f64 v[89:90], v[115:116], v[91:92], v[89:90]
	buffer_load_dword v110, off, s[0:3], 0 offset:292
	buffer_load_dword v111, off, s[0:3], 0 offset:312
	;; [unrolled: 1-line block ×8, first 2 shown]
	s_waitcnt vmcnt(24) lgkmcnt(0)
	v_fma_f64 v[89:90], v[113:114], v[93:94], v[89:90]
	s_waitcnt vmcnt(19)
	v_fma_f64 v[97:98], v[97:98], v[95:96], v[89:90]
	ds_read2_b64 v[89:92], v88 offset0:73 offset1:74
	ds_read2_b64 v[93:96], v88 offset0:75 offset1:76
	s_waitcnt vmcnt(18) lgkmcnt(1)
	v_fma_f64 v[89:90], v[121:122], v[89:90], v[97:98]
	s_waitcnt vmcnt(17)
	v_fma_f64 v[89:90], v[119:120], v[91:92], v[89:90]
	buffer_load_dword v98, off, s[0:3], 0 offset:324
	buffer_load_dword v113, off, s[0:3], 0 offset:336
	;; [unrolled: 1-line block ×6, first 2 shown]
	s_waitcnt vmcnt(22) lgkmcnt(0)
	v_fma_f64 v[89:90], v[99:100], v[93:94], v[89:90]
	s_waitcnt vmcnt(17)
	v_fma_f64 v[99:100], v[101:102], v[95:96], v[89:90]
	ds_read2_b64 v[89:92], v88 offset0:77 offset1:78
	buffer_load_dword v101, off, s[0:3], 0 offset:128
	buffer_load_dword v102, off, s[0:3], 0 offset:132
	ds_read2_b64 v[93:96], v88 offset0:79 offset1:80
	s_waitcnt vmcnt(18) lgkmcnt(1)
	v_fma_f64 v[89:90], v[107:108], v[89:90], v[99:100]
	s_waitcnt vmcnt(17)
	v_fma_f64 v[89:90], v[105:106], v[91:92], v[89:90]
	s_waitcnt vmcnt(16) lgkmcnt(0)
	v_fma_f64 v[89:90], v[103:104], v[93:94], v[89:90]
	s_waitcnt vmcnt(11)
	v_fma_f64 v[99:100], v[109:110], v[95:96], v[89:90]
	ds_read2_b64 v[89:92], v88 offset0:81 offset1:82
	ds_read2_b64 v[93:96], v88 offset0:83 offset1:84
	s_waitcnt vmcnt(10) lgkmcnt(1)
	v_fma_f64 v[89:90], v[117:118], v[89:90], v[99:100]
	s_waitcnt vmcnt(9)
	v_fma_f64 v[89:90], v[115:116], v[91:92], v[89:90]
	s_waitcnt vmcnt(8) lgkmcnt(0)
	v_fma_f64 v[89:90], v[111:112], v[93:94], v[89:90]
	s_waitcnt vmcnt(4)
	v_fma_f64 v[92:93], v[97:98], v[95:96], v[89:90]
	ds_read2_b64 v[88:91], v88 offset0:85 offset1:86
	s_waitcnt vmcnt(3) lgkmcnt(0)
	v_fma_f64 v[88:89], v[119:120], v[88:89], v[92:93]
	s_waitcnt vmcnt(2)
	v_fma_f64 v[88:89], v[113:114], v[90:91], v[88:89]
	s_waitcnt vmcnt(0)
	v_add_f64 v[88:89], v[101:102], -v[88:89]
	buffer_store_dword v89, off, s[0:3], 0 offset:132
	buffer_store_dword v88, off, s[0:3], 0 offset:128
	s_and_saveexec_b64 s[4:5], vcc
	s_cbranch_execz .LBB42_235
; %bb.234:
	buffer_load_dword v88, off, s[0:3], 0 offset:120
	buffer_load_dword v89, off, s[0:3], 0 offset:124
	v_mov_b32_e32 v90, 0
	buffer_store_dword v90, off, s[0:3], 0 offset:120
	buffer_store_dword v90, off, s[0:3], 0 offset:124
	s_waitcnt vmcnt(2)
	ds_write_b64 v87, v[88:89]
.LBB42_235:
	s_or_b64 exec, exec, s[4:5]
	s_waitcnt lgkmcnt(0)
	; wave barrier
	buffer_load_dword v97, off, s[0:3], 0 offset:128
	buffer_load_dword v98, off, s[0:3], 0 offset:132
	;; [unrolled: 1-line block ×22, first 2 shown]
	v_mov_b32_e32 v88, 0
	ds_read_b128 v[89:92], v88 offset:480
	ds_read_b128 v[93:96], v88 offset:496
	v_cmp_lt_u32_e32 vcc, 14, v0
	s_waitcnt vmcnt(20) lgkmcnt(1)
	v_fma_f64 v[89:90], v[97:98], v[89:90], 0
	s_waitcnt vmcnt(18)
	v_fma_f64 v[89:90], v[99:100], v[91:92], v[89:90]
	buffer_load_dword v98, off, s[0:3], 0 offset:220
	buffer_load_dword v99, off, s[0:3], 0 offset:240
	;; [unrolled: 1-line block ×7, first 2 shown]
	s_waitcnt vmcnt(23) lgkmcnt(0)
	v_fma_f64 v[89:90], v[101:102], v[93:94], v[89:90]
	s_waitcnt vmcnt(21)
	v_fma_f64 v[100:101], v[103:104], v[95:96], v[89:90]
	ds_read_b128 v[89:92], v88 offset:512
	ds_read_b128 v[93:96], v88 offset:528
	s_waitcnt vmcnt(19) lgkmcnt(1)
	v_fma_f64 v[89:90], v[105:106], v[89:90], v[100:101]
	buffer_load_dword v100, off, s[0:3], 0 offset:244
	s_waitcnt vmcnt(18)
	v_fma_f64 v[89:90], v[107:108], v[91:92], v[89:90]
	buffer_load_dword v102, off, s[0:3], 0 offset:252
	buffer_load_dword v103, off, s[0:3], 0 offset:272
	buffer_load_dword v105, off, s[0:3], 0 offset:264
	buffer_load_dword v107, off, s[0:3], 0 offset:256
	buffer_load_dword v101, off, s[0:3], 0 offset:248
	buffer_load_dword v108, off, s[0:3], 0 offset:260
	buffer_load_dword v106, off, s[0:3], 0 offset:268
	buffer_load_dword v104, off, s[0:3], 0 offset:276
	s_waitcnt vmcnt(24) lgkmcnt(0)
	v_fma_f64 v[89:90], v[109:110], v[93:94], v[89:90]
	s_waitcnt vmcnt(19)
	v_fma_f64 v[109:110], v[111:112], v[95:96], v[89:90]
	ds_read_b128 v[89:92], v88 offset:544
	ds_read_b128 v[93:96], v88 offset:560
	s_waitcnt vmcnt(18) lgkmcnt(1)
	v_fma_f64 v[89:90], v[117:118], v[89:90], v[109:110]
	s_waitcnt vmcnt(17)
	v_fma_f64 v[89:90], v[115:116], v[91:92], v[89:90]
	buffer_load_dword v110, off, s[0:3], 0 offset:284
	buffer_load_dword v111, off, s[0:3], 0 offset:304
	buffer_load_dword v115, off, s[0:3], 0 offset:296
	buffer_load_dword v117, off, s[0:3], 0 offset:288
	buffer_load_dword v109, off, s[0:3], 0 offset:280
	buffer_load_dword v118, off, s[0:3], 0 offset:292
	buffer_load_dword v116, off, s[0:3], 0 offset:300
	buffer_load_dword v112, off, s[0:3], 0 offset:308
	s_waitcnt vmcnt(24) lgkmcnt(0)
	v_fma_f64 v[89:90], v[113:114], v[93:94], v[89:90]
	s_waitcnt vmcnt(19)
	v_fma_f64 v[97:98], v[97:98], v[95:96], v[89:90]
	ds_read_b128 v[89:92], v88 offset:576
	ds_read_b128 v[93:96], v88 offset:592
	s_waitcnt vmcnt(18) lgkmcnt(1)
	v_fma_f64 v[89:90], v[121:122], v[89:90], v[97:98]
	;; [unrolled: 18-line block ×3, first 2 shown]
	buffer_load_dword v99, off, s[0:3], 0 offset:120
	buffer_load_dword v100, off, s[0:3], 0 offset:124
	s_waitcnt vmcnt(19)
	v_fma_f64 v[89:90], v[105:106], v[91:92], v[89:90]
	s_waitcnt vmcnt(18) lgkmcnt(0)
	v_fma_f64 v[89:90], v[103:104], v[93:94], v[89:90]
	s_waitcnt vmcnt(13)
	v_fma_f64 v[101:102], v[109:110], v[95:96], v[89:90]
	ds_read_b128 v[89:92], v88 offset:640
	ds_read_b128 v[93:96], v88 offset:656
	s_waitcnt vmcnt(12) lgkmcnt(1)
	v_fma_f64 v[89:90], v[117:118], v[89:90], v[101:102]
	s_waitcnt vmcnt(11)
	v_fma_f64 v[89:90], v[115:116], v[91:92], v[89:90]
	s_waitcnt vmcnt(10) lgkmcnt(0)
	v_fma_f64 v[89:90], v[111:112], v[93:94], v[89:90]
	s_waitcnt vmcnt(5)
	v_fma_f64 v[93:94], v[97:98], v[95:96], v[89:90]
	ds_read_b128 v[89:92], v88 offset:672
	ds_read_b64 v[95:96], v88 offset:688
	s_waitcnt vmcnt(4) lgkmcnt(1)
	v_fma_f64 v[89:90], v[121:122], v[89:90], v[93:94]
	s_waitcnt vmcnt(3)
	v_fma_f64 v[89:90], v[119:120], v[91:92], v[89:90]
	s_waitcnt vmcnt(2) lgkmcnt(0)
	v_fma_f64 v[89:90], v[113:114], v[95:96], v[89:90]
	s_waitcnt vmcnt(0)
	v_add_f64 v[89:90], v[99:100], -v[89:90]
	buffer_store_dword v90, off, s[0:3], 0 offset:124
	buffer_store_dword v89, off, s[0:3], 0 offset:120
	s_and_saveexec_b64 s[4:5], vcc
	s_cbranch_execz .LBB42_237
; %bb.236:
	buffer_load_dword v89, off, s[0:3], 0 offset:112
	buffer_load_dword v90, off, s[0:3], 0 offset:116
	s_waitcnt vmcnt(0)
	ds_write_b64 v87, v[89:90]
	buffer_store_dword v88, off, s[0:3], 0 offset:112
	buffer_store_dword v88, off, s[0:3], 0 offset:116
.LBB42_237:
	s_or_b64 exec, exec, s[4:5]
	s_waitcnt lgkmcnt(0)
	; wave barrier
	buffer_load_dword v97, off, s[0:3], 0 offset:120
	buffer_load_dword v98, off, s[0:3], 0 offset:124
	;; [unrolled: 1-line block ×22, first 2 shown]
	ds_read2_b64 v[89:92], v88 offset0:59 offset1:60
	ds_read2_b64 v[93:96], v88 offset0:61 offset1:62
	v_cmp_lt_u32_e32 vcc, 13, v0
	s_waitcnt vmcnt(20) lgkmcnt(1)
	v_fma_f64 v[89:90], v[97:98], v[89:90], 0
	s_waitcnt vmcnt(18)
	v_fma_f64 v[89:90], v[99:100], v[91:92], v[89:90]
	buffer_load_dword v98, off, s[0:3], 0 offset:212
	buffer_load_dword v99, off, s[0:3], 0 offset:232
	;; [unrolled: 1-line block ×7, first 2 shown]
	s_waitcnt vmcnt(23) lgkmcnt(0)
	v_fma_f64 v[89:90], v[101:102], v[93:94], v[89:90]
	s_waitcnt vmcnt(21)
	v_fma_f64 v[100:101], v[103:104], v[95:96], v[89:90]
	ds_read2_b64 v[89:92], v88 offset0:63 offset1:64
	ds_read2_b64 v[93:96], v88 offset0:65 offset1:66
	s_waitcnt vmcnt(19) lgkmcnt(1)
	v_fma_f64 v[89:90], v[105:106], v[89:90], v[100:101]
	buffer_load_dword v100, off, s[0:3], 0 offset:236
	s_waitcnt vmcnt(18)
	v_fma_f64 v[89:90], v[107:108], v[91:92], v[89:90]
	buffer_load_dword v102, off, s[0:3], 0 offset:244
	buffer_load_dword v103, off, s[0:3], 0 offset:264
	buffer_load_dword v105, off, s[0:3], 0 offset:256
	buffer_load_dword v107, off, s[0:3], 0 offset:248
	buffer_load_dword v101, off, s[0:3], 0 offset:240
	buffer_load_dword v108, off, s[0:3], 0 offset:252
	buffer_load_dword v106, off, s[0:3], 0 offset:260
	buffer_load_dword v104, off, s[0:3], 0 offset:268
	s_waitcnt vmcnt(24) lgkmcnt(0)
	v_fma_f64 v[89:90], v[109:110], v[93:94], v[89:90]
	s_waitcnt vmcnt(19)
	v_fma_f64 v[109:110], v[111:112], v[95:96], v[89:90]
	ds_read2_b64 v[89:92], v88 offset0:67 offset1:68
	ds_read2_b64 v[93:96], v88 offset0:69 offset1:70
	s_waitcnt vmcnt(18) lgkmcnt(1)
	v_fma_f64 v[89:90], v[117:118], v[89:90], v[109:110]
	s_waitcnt vmcnt(17)
	v_fma_f64 v[89:90], v[115:116], v[91:92], v[89:90]
	buffer_load_dword v110, off, s[0:3], 0 offset:276
	buffer_load_dword v111, off, s[0:3], 0 offset:296
	buffer_load_dword v115, off, s[0:3], 0 offset:288
	buffer_load_dword v117, off, s[0:3], 0 offset:280
	buffer_load_dword v109, off, s[0:3], 0 offset:272
	buffer_load_dword v118, off, s[0:3], 0 offset:284
	buffer_load_dword v116, off, s[0:3], 0 offset:292
	buffer_load_dword v112, off, s[0:3], 0 offset:300
	s_waitcnt vmcnt(24) lgkmcnt(0)
	v_fma_f64 v[89:90], v[113:114], v[93:94], v[89:90]
	s_waitcnt vmcnt(19)
	v_fma_f64 v[97:98], v[97:98], v[95:96], v[89:90]
	ds_read2_b64 v[89:92], v88 offset0:71 offset1:72
	ds_read2_b64 v[93:96], v88 offset0:73 offset1:74
	s_waitcnt vmcnt(18) lgkmcnt(1)
	v_fma_f64 v[89:90], v[121:122], v[89:90], v[97:98]
	;; [unrolled: 18-line block ×3, first 2 shown]
	buffer_load_dword v100, off, s[0:3], 0 offset:340
	buffer_load_dword v99, off, s[0:3], 0 offset:336
	buffer_load_dword v101, off, s[0:3], 0 offset:112
	buffer_load_dword v102, off, s[0:3], 0 offset:116
	s_waitcnt vmcnt(21)
	v_fma_f64 v[89:90], v[105:106], v[91:92], v[89:90]
	s_waitcnt vmcnt(20) lgkmcnt(0)
	v_fma_f64 v[89:90], v[103:104], v[93:94], v[89:90]
	s_waitcnt vmcnt(15)
	v_fma_f64 v[103:104], v[109:110], v[95:96], v[89:90]
	ds_read2_b64 v[89:92], v88 offset0:79 offset1:80
	ds_read2_b64 v[93:96], v88 offset0:81 offset1:82
	s_waitcnt vmcnt(14) lgkmcnt(1)
	v_fma_f64 v[89:90], v[117:118], v[89:90], v[103:104]
	s_waitcnt vmcnt(13)
	v_fma_f64 v[89:90], v[115:116], v[91:92], v[89:90]
	s_waitcnt vmcnt(12) lgkmcnt(0)
	v_fma_f64 v[89:90], v[111:112], v[93:94], v[89:90]
	s_waitcnt vmcnt(7)
	v_fma_f64 v[97:98], v[97:98], v[95:96], v[89:90]
	ds_read2_b64 v[89:92], v88 offset0:83 offset1:84
	ds_read2_b64 v[93:96], v88 offset0:85 offset1:86
	s_waitcnt vmcnt(6) lgkmcnt(1)
	v_fma_f64 v[88:89], v[121:122], v[89:90], v[97:98]
	s_waitcnt vmcnt(5)
	v_fma_f64 v[88:89], v[119:120], v[91:92], v[88:89]
	s_waitcnt vmcnt(4) lgkmcnt(0)
	v_fma_f64 v[88:89], v[113:114], v[93:94], v[88:89]
	s_waitcnt vmcnt(2)
	v_fma_f64 v[88:89], v[99:100], v[95:96], v[88:89]
	s_waitcnt vmcnt(0)
	v_add_f64 v[88:89], v[101:102], -v[88:89]
	buffer_store_dword v89, off, s[0:3], 0 offset:116
	buffer_store_dword v88, off, s[0:3], 0 offset:112
	s_and_saveexec_b64 s[4:5], vcc
	s_cbranch_execz .LBB42_239
; %bb.238:
	buffer_load_dword v88, off, s[0:3], 0 offset:104
	buffer_load_dword v89, off, s[0:3], 0 offset:108
	v_mov_b32_e32 v90, 0
	buffer_store_dword v90, off, s[0:3], 0 offset:104
	buffer_store_dword v90, off, s[0:3], 0 offset:108
	s_waitcnt vmcnt(2)
	ds_write_b64 v87, v[88:89]
.LBB42_239:
	s_or_b64 exec, exec, s[4:5]
	s_waitcnt lgkmcnt(0)
	; wave barrier
	buffer_load_dword v97, off, s[0:3], 0 offset:112
	buffer_load_dword v98, off, s[0:3], 0 offset:116
	;; [unrolled: 1-line block ×22, first 2 shown]
	v_mov_b32_e32 v88, 0
	ds_read_b128 v[89:92], v88 offset:464
	ds_read_b128 v[93:96], v88 offset:480
	v_cmp_lt_u32_e32 vcc, 12, v0
	s_waitcnt vmcnt(20) lgkmcnt(1)
	v_fma_f64 v[89:90], v[97:98], v[89:90], 0
	s_waitcnt vmcnt(18)
	v_fma_f64 v[89:90], v[99:100], v[91:92], v[89:90]
	buffer_load_dword v98, off, s[0:3], 0 offset:204
	buffer_load_dword v99, off, s[0:3], 0 offset:224
	;; [unrolled: 1-line block ×7, first 2 shown]
	s_waitcnt vmcnt(23) lgkmcnt(0)
	v_fma_f64 v[89:90], v[101:102], v[93:94], v[89:90]
	s_waitcnt vmcnt(21)
	v_fma_f64 v[100:101], v[103:104], v[95:96], v[89:90]
	ds_read_b128 v[89:92], v88 offset:496
	ds_read_b128 v[93:96], v88 offset:512
	s_waitcnt vmcnt(19) lgkmcnt(1)
	v_fma_f64 v[89:90], v[105:106], v[89:90], v[100:101]
	buffer_load_dword v100, off, s[0:3], 0 offset:228
	s_waitcnt vmcnt(18)
	v_fma_f64 v[89:90], v[107:108], v[91:92], v[89:90]
	buffer_load_dword v102, off, s[0:3], 0 offset:236
	buffer_load_dword v103, off, s[0:3], 0 offset:256
	;; [unrolled: 1-line block ×7, first 2 shown]
	s_waitcnt vmcnt(23) lgkmcnt(0)
	v_fma_f64 v[89:90], v[109:110], v[93:94], v[89:90]
	s_waitcnt vmcnt(18)
	v_fma_f64 v[109:110], v[111:112], v[95:96], v[89:90]
	ds_read_b128 v[89:92], v88 offset:528
	ds_read_b128 v[93:96], v88 offset:544
	buffer_load_dword v104, off, s[0:3], 0 offset:260
	s_waitcnt vmcnt(18) lgkmcnt(1)
	v_fma_f64 v[89:90], v[117:118], v[89:90], v[109:110]
	s_waitcnt vmcnt(17)
	v_fma_f64 v[89:90], v[115:116], v[91:92], v[89:90]
	buffer_load_dword v110, off, s[0:3], 0 offset:268
	buffer_load_dword v111, off, s[0:3], 0 offset:288
	;; [unrolled: 1-line block ×8, first 2 shown]
	s_waitcnt vmcnt(24) lgkmcnt(0)
	v_fma_f64 v[89:90], v[113:114], v[93:94], v[89:90]
	s_waitcnt vmcnt(19)
	v_fma_f64 v[97:98], v[97:98], v[95:96], v[89:90]
	ds_read_b128 v[89:92], v88 offset:560
	ds_read_b128 v[93:96], v88 offset:576
	s_waitcnt vmcnt(18) lgkmcnt(1)
	v_fma_f64 v[89:90], v[121:122], v[89:90], v[97:98]
	s_waitcnt vmcnt(17)
	v_fma_f64 v[89:90], v[119:120], v[91:92], v[89:90]
	buffer_load_dword v98, off, s[0:3], 0 offset:300
	buffer_load_dword v113, off, s[0:3], 0 offset:320
	;; [unrolled: 1-line block ×7, first 2 shown]
	s_waitcnt vmcnt(23) lgkmcnt(0)
	v_fma_f64 v[89:90], v[99:100], v[93:94], v[89:90]
	s_waitcnt vmcnt(18)
	v_fma_f64 v[99:100], v[101:102], v[95:96], v[89:90]
	ds_read_b128 v[89:92], v88 offset:592
	ds_read_b128 v[93:96], v88 offset:608
	buffer_load_dword v114, off, s[0:3], 0 offset:324
	s_waitcnt vmcnt(18) lgkmcnt(1)
	v_fma_f64 v[89:90], v[107:108], v[89:90], v[99:100]
	buffer_load_dword v100, off, s[0:3], 0 offset:332
	buffer_load_dword v101, off, s[0:3], 0 offset:336
	;; [unrolled: 1-line block ×4, first 2 shown]
	s_waitcnt vmcnt(21)
	v_fma_f64 v[89:90], v[105:106], v[91:92], v[89:90]
	s_waitcnt vmcnt(20) lgkmcnt(0)
	v_fma_f64 v[89:90], v[103:104], v[93:94], v[89:90]
	buffer_load_dword v103, off, s[0:3], 0 offset:104
	buffer_load_dword v104, off, s[0:3], 0 offset:108
	s_waitcnt vmcnt(17)
	v_fma_f64 v[105:106], v[109:110], v[95:96], v[89:90]
	ds_read_b128 v[89:92], v88 offset:624
	ds_read_b128 v[93:96], v88 offset:640
	s_waitcnt vmcnt(16) lgkmcnt(1)
	v_fma_f64 v[89:90], v[117:118], v[89:90], v[105:106]
	s_waitcnt vmcnt(15)
	v_fma_f64 v[89:90], v[115:116], v[91:92], v[89:90]
	s_waitcnt vmcnt(14) lgkmcnt(0)
	v_fma_f64 v[89:90], v[111:112], v[93:94], v[89:90]
	s_waitcnt vmcnt(9)
	v_fma_f64 v[97:98], v[97:98], v[95:96], v[89:90]
	ds_read_b128 v[89:92], v88 offset:656
	ds_read_b128 v[93:96], v88 offset:672
	s_waitcnt vmcnt(8) lgkmcnt(1)
	v_fma_f64 v[89:90], v[121:122], v[89:90], v[97:98]
	s_waitcnt vmcnt(7)
	v_fma_f64 v[89:90], v[119:120], v[91:92], v[89:90]
	ds_read_b64 v[91:92], v88 offset:688
	s_waitcnt vmcnt(6) lgkmcnt(1)
	v_fma_f64 v[89:90], v[113:114], v[93:94], v[89:90]
	s_waitcnt vmcnt(3)
	v_fma_f64 v[89:90], v[99:100], v[95:96], v[89:90]
	s_waitcnt vmcnt(2) lgkmcnt(0)
	v_fma_f64 v[89:90], v[101:102], v[91:92], v[89:90]
	s_waitcnt vmcnt(0)
	v_add_f64 v[89:90], v[103:104], -v[89:90]
	buffer_store_dword v90, off, s[0:3], 0 offset:108
	buffer_store_dword v89, off, s[0:3], 0 offset:104
	s_and_saveexec_b64 s[4:5], vcc
	s_cbranch_execz .LBB42_241
; %bb.240:
	buffer_load_dword v89, off, s[0:3], 0 offset:96
	buffer_load_dword v90, off, s[0:3], 0 offset:100
	s_waitcnt vmcnt(0)
	ds_write_b64 v87, v[89:90]
	buffer_store_dword v88, off, s[0:3], 0 offset:96
	buffer_store_dword v88, off, s[0:3], 0 offset:100
.LBB42_241:
	s_or_b64 exec, exec, s[4:5]
	s_waitcnt lgkmcnt(0)
	; wave barrier
	buffer_load_dword v97, off, s[0:3], 0 offset:104
	buffer_load_dword v98, off, s[0:3], 0 offset:108
	buffer_load_dword v99, off, s[0:3], 0 offset:112
	buffer_load_dword v100, off, s[0:3], 0 offset:116
	buffer_load_dword v101, off, s[0:3], 0 offset:120
	buffer_load_dword v102, off, s[0:3], 0 offset:124
	buffer_load_dword v103, off, s[0:3], 0 offset:128
	buffer_load_dword v104, off, s[0:3], 0 offset:132
	buffer_load_dword v105, off, s[0:3], 0 offset:136
	buffer_load_dword v106, off, s[0:3], 0 offset:140
	buffer_load_dword v107, off, s[0:3], 0 offset:144
	buffer_load_dword v108, off, s[0:3], 0 offset:148
	buffer_load_dword v109, off, s[0:3], 0 offset:152
	buffer_load_dword v110, off, s[0:3], 0 offset:156
	buffer_load_dword v112, off, s[0:3], 0 offset:164
	buffer_load_dword v113, off, s[0:3], 0 offset:184
	buffer_load_dword v115, off, s[0:3], 0 offset:176
	buffer_load_dword v117, off, s[0:3], 0 offset:168
	buffer_load_dword v111, off, s[0:3], 0 offset:160
	buffer_load_dword v118, off, s[0:3], 0 offset:172
	buffer_load_dword v116, off, s[0:3], 0 offset:180
	buffer_load_dword v114, off, s[0:3], 0 offset:188
	ds_read2_b64 v[89:92], v88 offset0:57 offset1:58
	ds_read2_b64 v[93:96], v88 offset0:59 offset1:60
	v_cmp_lt_u32_e32 vcc, 11, v0
	s_waitcnt vmcnt(20) lgkmcnt(1)
	v_fma_f64 v[89:90], v[97:98], v[89:90], 0
	s_waitcnt vmcnt(18)
	v_fma_f64 v[89:90], v[99:100], v[91:92], v[89:90]
	buffer_load_dword v98, off, s[0:3], 0 offset:196
	buffer_load_dword v99, off, s[0:3], 0 offset:216
	buffer_load_dword v119, off, s[0:3], 0 offset:208
	buffer_load_dword v121, off, s[0:3], 0 offset:200
	buffer_load_dword v97, off, s[0:3], 0 offset:192
	buffer_load_dword v122, off, s[0:3], 0 offset:204
	buffer_load_dword v120, off, s[0:3], 0 offset:212
	s_waitcnt vmcnt(23) lgkmcnt(0)
	v_fma_f64 v[89:90], v[101:102], v[93:94], v[89:90]
	s_waitcnt vmcnt(21)
	v_fma_f64 v[100:101], v[103:104], v[95:96], v[89:90]
	ds_read2_b64 v[89:92], v88 offset0:61 offset1:62
	ds_read2_b64 v[93:96], v88 offset0:63 offset1:64
	s_waitcnt vmcnt(19) lgkmcnt(1)
	v_fma_f64 v[89:90], v[105:106], v[89:90], v[100:101]
	buffer_load_dword v100, off, s[0:3], 0 offset:220
	s_waitcnt vmcnt(18)
	v_fma_f64 v[89:90], v[107:108], v[91:92], v[89:90]
	buffer_load_dword v102, off, s[0:3], 0 offset:228
	buffer_load_dword v103, off, s[0:3], 0 offset:248
	;; [unrolled: 1-line block ×7, first 2 shown]
	s_waitcnt vmcnt(23) lgkmcnt(0)
	v_fma_f64 v[89:90], v[109:110], v[93:94], v[89:90]
	s_waitcnt vmcnt(18)
	v_fma_f64 v[109:110], v[111:112], v[95:96], v[89:90]
	ds_read2_b64 v[89:92], v88 offset0:65 offset1:66
	ds_read2_b64 v[93:96], v88 offset0:67 offset1:68
	buffer_load_dword v104, off, s[0:3], 0 offset:252
	s_waitcnt vmcnt(18) lgkmcnt(1)
	v_fma_f64 v[89:90], v[117:118], v[89:90], v[109:110]
	s_waitcnt vmcnt(17)
	v_fma_f64 v[89:90], v[115:116], v[91:92], v[89:90]
	buffer_load_dword v110, off, s[0:3], 0 offset:260
	buffer_load_dword v111, off, s[0:3], 0 offset:280
	;; [unrolled: 1-line block ×8, first 2 shown]
	s_waitcnt vmcnt(24) lgkmcnt(0)
	v_fma_f64 v[89:90], v[113:114], v[93:94], v[89:90]
	s_waitcnt vmcnt(19)
	v_fma_f64 v[97:98], v[97:98], v[95:96], v[89:90]
	ds_read2_b64 v[89:92], v88 offset0:69 offset1:70
	ds_read2_b64 v[93:96], v88 offset0:71 offset1:72
	s_waitcnt vmcnt(18) lgkmcnt(1)
	v_fma_f64 v[89:90], v[121:122], v[89:90], v[97:98]
	s_waitcnt vmcnt(17)
	v_fma_f64 v[89:90], v[119:120], v[91:92], v[89:90]
	buffer_load_dword v98, off, s[0:3], 0 offset:292
	buffer_load_dword v113, off, s[0:3], 0 offset:312
	;; [unrolled: 1-line block ×8, first 2 shown]
	s_waitcnt vmcnt(24) lgkmcnt(0)
	v_fma_f64 v[89:90], v[99:100], v[93:94], v[89:90]
	s_waitcnt vmcnt(19)
	v_fma_f64 v[99:100], v[101:102], v[95:96], v[89:90]
	ds_read2_b64 v[89:92], v88 offset0:73 offset1:74
	ds_read2_b64 v[93:96], v88 offset0:75 offset1:76
	s_waitcnt vmcnt(18) lgkmcnt(1)
	v_fma_f64 v[89:90], v[107:108], v[89:90], v[99:100]
	s_waitcnt vmcnt(17)
	v_fma_f64 v[89:90], v[105:106], v[91:92], v[89:90]
	buffer_load_dword v100, off, s[0:3], 0 offset:324
	buffer_load_dword v101, off, s[0:3], 0 offset:336
	;; [unrolled: 1-line block ×6, first 2 shown]
	s_waitcnt vmcnt(22) lgkmcnt(0)
	v_fma_f64 v[89:90], v[103:104], v[93:94], v[89:90]
	s_waitcnt vmcnt(17)
	v_fma_f64 v[103:104], v[109:110], v[95:96], v[89:90]
	ds_read2_b64 v[89:92], v88 offset0:77 offset1:78
	buffer_load_dword v107, off, s[0:3], 0 offset:96
	buffer_load_dword v108, off, s[0:3], 0 offset:100
	ds_read2_b64 v[93:96], v88 offset0:79 offset1:80
	s_waitcnt vmcnt(18) lgkmcnt(1)
	v_fma_f64 v[89:90], v[117:118], v[89:90], v[103:104]
	s_waitcnt vmcnt(17)
	v_fma_f64 v[89:90], v[115:116], v[91:92], v[89:90]
	s_waitcnt vmcnt(16) lgkmcnt(0)
	v_fma_f64 v[89:90], v[111:112], v[93:94], v[89:90]
	s_waitcnt vmcnt(11)
	v_fma_f64 v[97:98], v[97:98], v[95:96], v[89:90]
	ds_read2_b64 v[89:92], v88 offset0:81 offset1:82
	ds_read2_b64 v[93:96], v88 offset0:83 offset1:84
	s_waitcnt vmcnt(10) lgkmcnt(1)
	v_fma_f64 v[89:90], v[121:122], v[89:90], v[97:98]
	s_waitcnt vmcnt(9)
	v_fma_f64 v[89:90], v[119:120], v[91:92], v[89:90]
	s_waitcnt vmcnt(8) lgkmcnt(0)
	v_fma_f64 v[89:90], v[113:114], v[93:94], v[89:90]
	s_waitcnt vmcnt(4)
	v_fma_f64 v[92:93], v[99:100], v[95:96], v[89:90]
	ds_read2_b64 v[88:91], v88 offset0:85 offset1:86
	s_waitcnt vmcnt(3) lgkmcnt(0)
	v_fma_f64 v[88:89], v[105:106], v[88:89], v[92:93]
	s_waitcnt vmcnt(2)
	v_fma_f64 v[88:89], v[101:102], v[90:91], v[88:89]
	s_waitcnt vmcnt(0)
	v_add_f64 v[88:89], v[107:108], -v[88:89]
	buffer_store_dword v89, off, s[0:3], 0 offset:100
	buffer_store_dword v88, off, s[0:3], 0 offset:96
	s_and_saveexec_b64 s[4:5], vcc
	s_cbranch_execz .LBB42_243
; %bb.242:
	buffer_load_dword v88, off, s[0:3], 0 offset:88
	buffer_load_dword v89, off, s[0:3], 0 offset:92
	v_mov_b32_e32 v90, 0
	buffer_store_dword v90, off, s[0:3], 0 offset:88
	buffer_store_dword v90, off, s[0:3], 0 offset:92
	s_waitcnt vmcnt(2)
	ds_write_b64 v87, v[88:89]
.LBB42_243:
	s_or_b64 exec, exec, s[4:5]
	s_waitcnt lgkmcnt(0)
	; wave barrier
	buffer_load_dword v97, off, s[0:3], 0 offset:96
	buffer_load_dword v98, off, s[0:3], 0 offset:100
	;; [unrolled: 1-line block ×22, first 2 shown]
	v_mov_b32_e32 v88, 0
	ds_read_b128 v[89:92], v88 offset:448
	ds_read_b128 v[93:96], v88 offset:464
	v_cmp_lt_u32_e32 vcc, 10, v0
	s_waitcnt vmcnt(20) lgkmcnt(1)
	v_fma_f64 v[89:90], v[97:98], v[89:90], 0
	s_waitcnt vmcnt(18)
	v_fma_f64 v[89:90], v[99:100], v[91:92], v[89:90]
	buffer_load_dword v98, off, s[0:3], 0 offset:188
	buffer_load_dword v99, off, s[0:3], 0 offset:208
	buffer_load_dword v119, off, s[0:3], 0 offset:200
	buffer_load_dword v121, off, s[0:3], 0 offset:192
	buffer_load_dword v97, off, s[0:3], 0 offset:184
	buffer_load_dword v122, off, s[0:3], 0 offset:196
	buffer_load_dword v120, off, s[0:3], 0 offset:204
	s_waitcnt vmcnt(23) lgkmcnt(0)
	v_fma_f64 v[89:90], v[101:102], v[93:94], v[89:90]
	s_waitcnt vmcnt(21)
	v_fma_f64 v[100:101], v[103:104], v[95:96], v[89:90]
	ds_read_b128 v[89:92], v88 offset:480
	ds_read_b128 v[93:96], v88 offset:496
	s_waitcnt vmcnt(19) lgkmcnt(1)
	v_fma_f64 v[89:90], v[105:106], v[89:90], v[100:101]
	buffer_load_dword v100, off, s[0:3], 0 offset:212
	s_waitcnt vmcnt(18)
	v_fma_f64 v[89:90], v[107:108], v[91:92], v[89:90]
	buffer_load_dword v102, off, s[0:3], 0 offset:220
	buffer_load_dword v103, off, s[0:3], 0 offset:240
	buffer_load_dword v105, off, s[0:3], 0 offset:232
	buffer_load_dword v107, off, s[0:3], 0 offset:224
	buffer_load_dword v101, off, s[0:3], 0 offset:216
	buffer_load_dword v108, off, s[0:3], 0 offset:228
	buffer_load_dword v106, off, s[0:3], 0 offset:236
	s_waitcnt vmcnt(23) lgkmcnt(0)
	v_fma_f64 v[89:90], v[109:110], v[93:94], v[89:90]
	s_waitcnt vmcnt(18)
	v_fma_f64 v[109:110], v[111:112], v[95:96], v[89:90]
	ds_read_b128 v[89:92], v88 offset:512
	ds_read_b128 v[93:96], v88 offset:528
	buffer_load_dword v104, off, s[0:3], 0 offset:244
	s_waitcnt vmcnt(18) lgkmcnt(1)
	v_fma_f64 v[89:90], v[117:118], v[89:90], v[109:110]
	s_waitcnt vmcnt(17)
	v_fma_f64 v[89:90], v[115:116], v[91:92], v[89:90]
	buffer_load_dword v110, off, s[0:3], 0 offset:252
	buffer_load_dword v111, off, s[0:3], 0 offset:272
	buffer_load_dword v115, off, s[0:3], 0 offset:264
	buffer_load_dword v117, off, s[0:3], 0 offset:256
	buffer_load_dword v109, off, s[0:3], 0 offset:248
	buffer_load_dword v118, off, s[0:3], 0 offset:260
	buffer_load_dword v116, off, s[0:3], 0 offset:268
	buffer_load_dword v112, off, s[0:3], 0 offset:276
	s_waitcnt vmcnt(24) lgkmcnt(0)
	v_fma_f64 v[89:90], v[113:114], v[93:94], v[89:90]
	s_waitcnt vmcnt(19)
	v_fma_f64 v[97:98], v[97:98], v[95:96], v[89:90]
	ds_read_b128 v[89:92], v88 offset:544
	ds_read_b128 v[93:96], v88 offset:560
	s_waitcnt vmcnt(18) lgkmcnt(1)
	v_fma_f64 v[89:90], v[121:122], v[89:90], v[97:98]
	s_waitcnt vmcnt(17)
	v_fma_f64 v[89:90], v[119:120], v[91:92], v[89:90]
	buffer_load_dword v98, off, s[0:3], 0 offset:284
	buffer_load_dword v113, off, s[0:3], 0 offset:304
	buffer_load_dword v119, off, s[0:3], 0 offset:296
	buffer_load_dword v121, off, s[0:3], 0 offset:288
	buffer_load_dword v97, off, s[0:3], 0 offset:280
	buffer_load_dword v122, off, s[0:3], 0 offset:292
	buffer_load_dword v120, off, s[0:3], 0 offset:300
	buffer_load_dword v114, off, s[0:3], 0 offset:308
	s_waitcnt vmcnt(24) lgkmcnt(0)
	v_fma_f64 v[89:90], v[99:100], v[93:94], v[89:90]
	s_waitcnt vmcnt(19)
	v_fma_f64 v[99:100], v[101:102], v[95:96], v[89:90]
	ds_read_b128 v[89:92], v88 offset:576
	ds_read_b128 v[93:96], v88 offset:592
	;; [unrolled: 18-line block ×3, first 2 shown]
	s_waitcnt vmcnt(18) lgkmcnt(1)
	v_fma_f64 v[89:90], v[117:118], v[89:90], v[103:104]
	buffer_load_dword v103, off, s[0:3], 0 offset:88
	buffer_load_dword v104, off, s[0:3], 0 offset:92
	s_waitcnt vmcnt(19)
	v_fma_f64 v[89:90], v[115:116], v[91:92], v[89:90]
	s_waitcnt vmcnt(18) lgkmcnt(0)
	v_fma_f64 v[89:90], v[111:112], v[93:94], v[89:90]
	s_waitcnt vmcnt(13)
	v_fma_f64 v[97:98], v[97:98], v[95:96], v[89:90]
	ds_read_b128 v[89:92], v88 offset:640
	ds_read_b128 v[93:96], v88 offset:656
	s_waitcnt vmcnt(12) lgkmcnt(1)
	v_fma_f64 v[89:90], v[121:122], v[89:90], v[97:98]
	s_waitcnt vmcnt(11)
	v_fma_f64 v[89:90], v[119:120], v[91:92], v[89:90]
	s_waitcnt vmcnt(10) lgkmcnt(0)
	v_fma_f64 v[89:90], v[113:114], v[93:94], v[89:90]
	s_waitcnt vmcnt(5)
	v_fma_f64 v[93:94], v[99:100], v[95:96], v[89:90]
	ds_read_b128 v[89:92], v88 offset:672
	ds_read_b64 v[95:96], v88 offset:688
	s_waitcnt vmcnt(4) lgkmcnt(1)
	v_fma_f64 v[89:90], v[107:108], v[89:90], v[93:94]
	s_waitcnt vmcnt(3)
	v_fma_f64 v[89:90], v[105:106], v[91:92], v[89:90]
	s_waitcnt vmcnt(2) lgkmcnt(0)
	v_fma_f64 v[89:90], v[101:102], v[95:96], v[89:90]
	s_waitcnt vmcnt(0)
	v_add_f64 v[89:90], v[103:104], -v[89:90]
	buffer_store_dword v90, off, s[0:3], 0 offset:92
	buffer_store_dword v89, off, s[0:3], 0 offset:88
	s_and_saveexec_b64 s[4:5], vcc
	s_cbranch_execz .LBB42_245
; %bb.244:
	buffer_load_dword v89, off, s[0:3], 0 offset:80
	buffer_load_dword v90, off, s[0:3], 0 offset:84
	s_waitcnt vmcnt(0)
	ds_write_b64 v87, v[89:90]
	buffer_store_dword v88, off, s[0:3], 0 offset:80
	buffer_store_dword v88, off, s[0:3], 0 offset:84
.LBB42_245:
	s_or_b64 exec, exec, s[4:5]
	s_waitcnt lgkmcnt(0)
	; wave barrier
	buffer_load_dword v97, off, s[0:3], 0 offset:88
	buffer_load_dword v98, off, s[0:3], 0 offset:92
	;; [unrolled: 1-line block ×22, first 2 shown]
	ds_read2_b64 v[89:92], v88 offset0:55 offset1:56
	ds_read2_b64 v[93:96], v88 offset0:57 offset1:58
	v_cmp_lt_u32_e32 vcc, 9, v0
	s_waitcnt vmcnt(20) lgkmcnt(1)
	v_fma_f64 v[89:90], v[97:98], v[89:90], 0
	s_waitcnt vmcnt(18)
	v_fma_f64 v[89:90], v[99:100], v[91:92], v[89:90]
	buffer_load_dword v98, off, s[0:3], 0 offset:180
	buffer_load_dword v99, off, s[0:3], 0 offset:200
	;; [unrolled: 1-line block ×7, first 2 shown]
	s_waitcnt vmcnt(23) lgkmcnt(0)
	v_fma_f64 v[89:90], v[101:102], v[93:94], v[89:90]
	s_waitcnt vmcnt(21)
	v_fma_f64 v[100:101], v[103:104], v[95:96], v[89:90]
	ds_read2_b64 v[89:92], v88 offset0:59 offset1:60
	ds_read2_b64 v[93:96], v88 offset0:61 offset1:62
	s_waitcnt vmcnt(19) lgkmcnt(1)
	v_fma_f64 v[89:90], v[105:106], v[89:90], v[100:101]
	buffer_load_dword v100, off, s[0:3], 0 offset:204
	s_waitcnt vmcnt(18)
	v_fma_f64 v[89:90], v[107:108], v[91:92], v[89:90]
	buffer_load_dword v102, off, s[0:3], 0 offset:212
	buffer_load_dword v103, off, s[0:3], 0 offset:232
	;; [unrolled: 1-line block ×7, first 2 shown]
	s_waitcnt vmcnt(23) lgkmcnt(0)
	v_fma_f64 v[89:90], v[109:110], v[93:94], v[89:90]
	s_waitcnt vmcnt(18)
	v_fma_f64 v[109:110], v[111:112], v[95:96], v[89:90]
	ds_read2_b64 v[89:92], v88 offset0:63 offset1:64
	ds_read2_b64 v[93:96], v88 offset0:65 offset1:66
	buffer_load_dword v104, off, s[0:3], 0 offset:236
	s_waitcnt vmcnt(18) lgkmcnt(1)
	v_fma_f64 v[89:90], v[117:118], v[89:90], v[109:110]
	s_waitcnt vmcnt(17)
	v_fma_f64 v[89:90], v[115:116], v[91:92], v[89:90]
	buffer_load_dword v110, off, s[0:3], 0 offset:244
	buffer_load_dword v111, off, s[0:3], 0 offset:264
	buffer_load_dword v115, off, s[0:3], 0 offset:256
	buffer_load_dword v117, off, s[0:3], 0 offset:248
	buffer_load_dword v109, off, s[0:3], 0 offset:240
	buffer_load_dword v118, off, s[0:3], 0 offset:252
	buffer_load_dword v116, off, s[0:3], 0 offset:260
	buffer_load_dword v112, off, s[0:3], 0 offset:268
	s_waitcnt vmcnt(24) lgkmcnt(0)
	v_fma_f64 v[89:90], v[113:114], v[93:94], v[89:90]
	s_waitcnt vmcnt(19)
	v_fma_f64 v[97:98], v[97:98], v[95:96], v[89:90]
	ds_read2_b64 v[89:92], v88 offset0:67 offset1:68
	ds_read2_b64 v[93:96], v88 offset0:69 offset1:70
	s_waitcnt vmcnt(18) lgkmcnt(1)
	v_fma_f64 v[89:90], v[121:122], v[89:90], v[97:98]
	s_waitcnt vmcnt(17)
	v_fma_f64 v[89:90], v[119:120], v[91:92], v[89:90]
	buffer_load_dword v98, off, s[0:3], 0 offset:276
	buffer_load_dword v113, off, s[0:3], 0 offset:296
	buffer_load_dword v119, off, s[0:3], 0 offset:288
	buffer_load_dword v121, off, s[0:3], 0 offset:280
	buffer_load_dword v97, off, s[0:3], 0 offset:272
	buffer_load_dword v122, off, s[0:3], 0 offset:284
	buffer_load_dword v120, off, s[0:3], 0 offset:292
	buffer_load_dword v114, off, s[0:3], 0 offset:300
	s_waitcnt vmcnt(24) lgkmcnt(0)
	v_fma_f64 v[89:90], v[99:100], v[93:94], v[89:90]
	s_waitcnt vmcnt(19)
	v_fma_f64 v[99:100], v[101:102], v[95:96], v[89:90]
	ds_read2_b64 v[89:92], v88 offset0:71 offset1:72
	ds_read2_b64 v[93:96], v88 offset0:73 offset1:74
	;; [unrolled: 18-line block ×3, first 2 shown]
	s_waitcnt vmcnt(18) lgkmcnt(1)
	v_fma_f64 v[89:90], v[117:118], v[89:90], v[103:104]
	buffer_load_dword v104, off, s[0:3], 0 offset:340
	buffer_load_dword v103, off, s[0:3], 0 offset:336
	;; [unrolled: 1-line block ×4, first 2 shown]
	s_waitcnt vmcnt(21)
	v_fma_f64 v[89:90], v[115:116], v[91:92], v[89:90]
	s_waitcnt vmcnt(20) lgkmcnt(0)
	v_fma_f64 v[89:90], v[111:112], v[93:94], v[89:90]
	s_waitcnt vmcnt(15)
	v_fma_f64 v[97:98], v[97:98], v[95:96], v[89:90]
	ds_read2_b64 v[89:92], v88 offset0:79 offset1:80
	ds_read2_b64 v[93:96], v88 offset0:81 offset1:82
	s_waitcnt vmcnt(14) lgkmcnt(1)
	v_fma_f64 v[89:90], v[121:122], v[89:90], v[97:98]
	s_waitcnt vmcnt(13)
	v_fma_f64 v[89:90], v[119:120], v[91:92], v[89:90]
	s_waitcnt vmcnt(12) lgkmcnt(0)
	v_fma_f64 v[89:90], v[113:114], v[93:94], v[89:90]
	s_waitcnt vmcnt(7)
	v_fma_f64 v[97:98], v[99:100], v[95:96], v[89:90]
	ds_read2_b64 v[89:92], v88 offset0:83 offset1:84
	ds_read2_b64 v[93:96], v88 offset0:85 offset1:86
	s_waitcnt vmcnt(6) lgkmcnt(1)
	v_fma_f64 v[88:89], v[107:108], v[89:90], v[97:98]
	s_waitcnt vmcnt(5)
	v_fma_f64 v[88:89], v[105:106], v[91:92], v[88:89]
	s_waitcnt vmcnt(4) lgkmcnt(0)
	v_fma_f64 v[88:89], v[101:102], v[93:94], v[88:89]
	s_waitcnt vmcnt(2)
	v_fma_f64 v[88:89], v[103:104], v[95:96], v[88:89]
	s_waitcnt vmcnt(0)
	v_add_f64 v[88:89], v[109:110], -v[88:89]
	buffer_store_dword v89, off, s[0:3], 0 offset:84
	buffer_store_dword v88, off, s[0:3], 0 offset:80
	s_and_saveexec_b64 s[4:5], vcc
	s_cbranch_execz .LBB42_247
; %bb.246:
	buffer_load_dword v88, off, s[0:3], 0 offset:72
	buffer_load_dword v89, off, s[0:3], 0 offset:76
	v_mov_b32_e32 v90, 0
	buffer_store_dword v90, off, s[0:3], 0 offset:72
	buffer_store_dword v90, off, s[0:3], 0 offset:76
	s_waitcnt vmcnt(2)
	ds_write_b64 v87, v[88:89]
.LBB42_247:
	s_or_b64 exec, exec, s[4:5]
	s_waitcnt lgkmcnt(0)
	; wave barrier
	buffer_load_dword v97, off, s[0:3], 0 offset:80
	buffer_load_dword v98, off, s[0:3], 0 offset:84
	;; [unrolled: 1-line block ×21, first 2 shown]
	v_mov_b32_e32 v88, 0
	ds_read_b128 v[89:92], v88 offset:432
	ds_read_b128 v[93:96], v88 offset:448
	buffer_load_dword v114, off, s[0:3], 0 offset:164
	v_cmp_lt_u32_e32 vcc, 8, v0
	s_waitcnt vmcnt(20) lgkmcnt(1)
	v_fma_f64 v[89:90], v[97:98], v[89:90], 0
	s_waitcnt vmcnt(18)
	v_fma_f64 v[89:90], v[99:100], v[91:92], v[89:90]
	buffer_load_dword v98, off, s[0:3], 0 offset:172
	buffer_load_dword v99, off, s[0:3], 0 offset:192
	;; [unrolled: 1-line block ×7, first 2 shown]
	s_waitcnt vmcnt(23) lgkmcnt(0)
	v_fma_f64 v[89:90], v[101:102], v[93:94], v[89:90]
	s_waitcnt vmcnt(21)
	v_fma_f64 v[100:101], v[103:104], v[95:96], v[89:90]
	ds_read_b128 v[89:92], v88 offset:464
	ds_read_b128 v[93:96], v88 offset:480
	s_waitcnt vmcnt(19) lgkmcnt(1)
	v_fma_f64 v[89:90], v[105:106], v[89:90], v[100:101]
	buffer_load_dword v100, off, s[0:3], 0 offset:196
	s_waitcnt vmcnt(18)
	v_fma_f64 v[89:90], v[107:108], v[91:92], v[89:90]
	buffer_load_dword v102, off, s[0:3], 0 offset:204
	buffer_load_dword v103, off, s[0:3], 0 offset:224
	;; [unrolled: 1-line block ×7, first 2 shown]
	s_waitcnt vmcnt(23) lgkmcnt(0)
	v_fma_f64 v[89:90], v[109:110], v[93:94], v[89:90]
	s_waitcnt vmcnt(18)
	v_fma_f64 v[109:110], v[111:112], v[95:96], v[89:90]
	ds_read_b128 v[89:92], v88 offset:496
	ds_read_b128 v[93:96], v88 offset:512
	buffer_load_dword v104, off, s[0:3], 0 offset:228
	s_waitcnt vmcnt(18) lgkmcnt(1)
	v_fma_f64 v[89:90], v[117:118], v[89:90], v[109:110]
	s_waitcnt vmcnt(17)
	v_fma_f64 v[89:90], v[115:116], v[91:92], v[89:90]
	buffer_load_dword v110, off, s[0:3], 0 offset:236
	buffer_load_dword v111, off, s[0:3], 0 offset:256
	;; [unrolled: 1-line block ×7, first 2 shown]
	s_waitcnt vmcnt(23) lgkmcnt(0)
	v_fma_f64 v[89:90], v[113:114], v[93:94], v[89:90]
	s_waitcnt vmcnt(18)
	v_fma_f64 v[97:98], v[97:98], v[95:96], v[89:90]
	ds_read_b128 v[89:92], v88 offset:528
	ds_read_b128 v[93:96], v88 offset:544
	buffer_load_dword v112, off, s[0:3], 0 offset:260
	s_waitcnt vmcnt(18) lgkmcnt(1)
	v_fma_f64 v[89:90], v[121:122], v[89:90], v[97:98]
	s_waitcnt vmcnt(17)
	v_fma_f64 v[89:90], v[119:120], v[91:92], v[89:90]
	buffer_load_dword v98, off, s[0:3], 0 offset:268
	buffer_load_dword v113, off, s[0:3], 0 offset:288
	;; [unrolled: 1-line block ×8, first 2 shown]
	s_waitcnt vmcnt(24) lgkmcnt(0)
	v_fma_f64 v[89:90], v[99:100], v[93:94], v[89:90]
	s_waitcnt vmcnt(19)
	v_fma_f64 v[99:100], v[101:102], v[95:96], v[89:90]
	ds_read_b128 v[89:92], v88 offset:560
	ds_read_b128 v[93:96], v88 offset:576
	s_waitcnt vmcnt(18) lgkmcnt(1)
	v_fma_f64 v[89:90], v[107:108], v[89:90], v[99:100]
	s_waitcnt vmcnt(17)
	v_fma_f64 v[89:90], v[105:106], v[91:92], v[89:90]
	buffer_load_dword v100, off, s[0:3], 0 offset:300
	buffer_load_dword v101, off, s[0:3], 0 offset:320
	;; [unrolled: 1-line block ×7, first 2 shown]
	s_waitcnt vmcnt(23) lgkmcnt(0)
	v_fma_f64 v[89:90], v[103:104], v[93:94], v[89:90]
	s_waitcnt vmcnt(18)
	v_fma_f64 v[102:103], v[109:110], v[95:96], v[89:90]
	ds_read_b128 v[89:92], v88 offset:592
	ds_read_b128 v[93:96], v88 offset:608
	s_waitcnt vmcnt(17) lgkmcnt(1)
	v_fma_f64 v[89:90], v[117:118], v[89:90], v[102:103]
	buffer_load_dword v102, off, s[0:3], 0 offset:324
	buffer_load_dword v104, off, s[0:3], 0 offset:332
	;; [unrolled: 1-line block ×5, first 2 shown]
	s_waitcnt vmcnt(21)
	v_fma_f64 v[89:90], v[115:116], v[91:92], v[89:90]
	s_waitcnt vmcnt(20) lgkmcnt(0)
	v_fma_f64 v[89:90], v[111:112], v[93:94], v[89:90]
	buffer_load_dword v111, off, s[0:3], 0 offset:72
	buffer_load_dword v112, off, s[0:3], 0 offset:76
	s_waitcnt vmcnt(17)
	v_fma_f64 v[97:98], v[97:98], v[95:96], v[89:90]
	ds_read_b128 v[89:92], v88 offset:624
	ds_read_b128 v[93:96], v88 offset:640
	s_waitcnt vmcnt(16) lgkmcnt(1)
	v_fma_f64 v[89:90], v[121:122], v[89:90], v[97:98]
	s_waitcnt vmcnt(15)
	v_fma_f64 v[89:90], v[119:120], v[91:92], v[89:90]
	s_waitcnt vmcnt(14) lgkmcnt(0)
	v_fma_f64 v[89:90], v[113:114], v[93:94], v[89:90]
	s_waitcnt vmcnt(9)
	v_fma_f64 v[97:98], v[99:100], v[95:96], v[89:90]
	ds_read_b128 v[89:92], v88 offset:656
	ds_read_b128 v[93:96], v88 offset:672
	s_waitcnt vmcnt(8) lgkmcnt(1)
	v_fma_f64 v[89:90], v[107:108], v[89:90], v[97:98]
	s_waitcnt vmcnt(7)
	v_fma_f64 v[89:90], v[105:106], v[91:92], v[89:90]
	ds_read_b64 v[91:92], v88 offset:688
	s_waitcnt vmcnt(6) lgkmcnt(1)
	v_fma_f64 v[89:90], v[101:102], v[93:94], v[89:90]
	s_waitcnt vmcnt(3)
	v_fma_f64 v[89:90], v[103:104], v[95:96], v[89:90]
	s_waitcnt vmcnt(2) lgkmcnt(0)
	v_fma_f64 v[89:90], v[109:110], v[91:92], v[89:90]
	s_waitcnt vmcnt(0)
	v_add_f64 v[89:90], v[111:112], -v[89:90]
	buffer_store_dword v90, off, s[0:3], 0 offset:76
	buffer_store_dword v89, off, s[0:3], 0 offset:72
	s_and_saveexec_b64 s[4:5], vcc
	s_cbranch_execz .LBB42_249
; %bb.248:
	buffer_load_dword v89, off, s[0:3], 0 offset:64
	buffer_load_dword v90, off, s[0:3], 0 offset:68
	s_waitcnt vmcnt(0)
	ds_write_b64 v87, v[89:90]
	buffer_store_dword v88, off, s[0:3], 0 offset:64
	buffer_store_dword v88, off, s[0:3], 0 offset:68
.LBB42_249:
	s_or_b64 exec, exec, s[4:5]
	s_waitcnt lgkmcnt(0)
	; wave barrier
	buffer_load_dword v97, off, s[0:3], 0 offset:72
	buffer_load_dword v98, off, s[0:3], 0 offset:76
	;; [unrolled: 1-line block ×21, first 2 shown]
	ds_read2_b64 v[89:92], v88 offset0:53 offset1:54
	ds_read2_b64 v[93:96], v88 offset0:55 offset1:56
	buffer_load_dword v114, off, s[0:3], 0 offset:156
	v_cmp_lt_u32_e32 vcc, 7, v0
	s_waitcnt vmcnt(20) lgkmcnt(1)
	v_fma_f64 v[89:90], v[97:98], v[89:90], 0
	s_waitcnt vmcnt(18)
	v_fma_f64 v[89:90], v[99:100], v[91:92], v[89:90]
	buffer_load_dword v98, off, s[0:3], 0 offset:164
	buffer_load_dword v99, off, s[0:3], 0 offset:184
	;; [unrolled: 1-line block ×7, first 2 shown]
	s_waitcnt vmcnt(23) lgkmcnt(0)
	v_fma_f64 v[89:90], v[101:102], v[93:94], v[89:90]
	s_waitcnt vmcnt(21)
	v_fma_f64 v[100:101], v[103:104], v[95:96], v[89:90]
	ds_read2_b64 v[89:92], v88 offset0:57 offset1:58
	ds_read2_b64 v[93:96], v88 offset0:59 offset1:60
	s_waitcnt vmcnt(19) lgkmcnt(1)
	v_fma_f64 v[89:90], v[105:106], v[89:90], v[100:101]
	buffer_load_dword v100, off, s[0:3], 0 offset:188
	s_waitcnt vmcnt(18)
	v_fma_f64 v[89:90], v[107:108], v[91:92], v[89:90]
	buffer_load_dword v102, off, s[0:3], 0 offset:196
	buffer_load_dword v103, off, s[0:3], 0 offset:216
	;; [unrolled: 1-line block ×8, first 2 shown]
	s_waitcnt vmcnt(24) lgkmcnt(0)
	v_fma_f64 v[89:90], v[109:110], v[93:94], v[89:90]
	s_waitcnt vmcnt(19)
	v_fma_f64 v[109:110], v[111:112], v[95:96], v[89:90]
	ds_read2_b64 v[89:92], v88 offset0:61 offset1:62
	ds_read2_b64 v[93:96], v88 offset0:63 offset1:64
	s_waitcnt vmcnt(18) lgkmcnt(1)
	v_fma_f64 v[89:90], v[117:118], v[89:90], v[109:110]
	s_waitcnt vmcnt(17)
	v_fma_f64 v[89:90], v[115:116], v[91:92], v[89:90]
	buffer_load_dword v110, off, s[0:3], 0 offset:228
	buffer_load_dword v111, off, s[0:3], 0 offset:248
	;; [unrolled: 1-line block ×7, first 2 shown]
	s_waitcnt vmcnt(23) lgkmcnt(0)
	v_fma_f64 v[89:90], v[113:114], v[93:94], v[89:90]
	s_waitcnt vmcnt(18)
	v_fma_f64 v[97:98], v[97:98], v[95:96], v[89:90]
	ds_read2_b64 v[89:92], v88 offset0:65 offset1:66
	ds_read2_b64 v[93:96], v88 offset0:67 offset1:68
	buffer_load_dword v112, off, s[0:3], 0 offset:252
	s_waitcnt vmcnt(18) lgkmcnt(1)
	v_fma_f64 v[89:90], v[121:122], v[89:90], v[97:98]
	s_waitcnt vmcnt(17)
	v_fma_f64 v[89:90], v[119:120], v[91:92], v[89:90]
	buffer_load_dword v98, off, s[0:3], 0 offset:260
	buffer_load_dword v113, off, s[0:3], 0 offset:280
	;; [unrolled: 1-line block ×8, first 2 shown]
	s_waitcnt vmcnt(24) lgkmcnt(0)
	v_fma_f64 v[89:90], v[99:100], v[93:94], v[89:90]
	s_waitcnt vmcnt(19)
	v_fma_f64 v[99:100], v[101:102], v[95:96], v[89:90]
	ds_read2_b64 v[89:92], v88 offset0:69 offset1:70
	ds_read2_b64 v[93:96], v88 offset0:71 offset1:72
	s_waitcnt vmcnt(18) lgkmcnt(1)
	v_fma_f64 v[89:90], v[107:108], v[89:90], v[99:100]
	s_waitcnt vmcnt(17)
	v_fma_f64 v[89:90], v[105:106], v[91:92], v[89:90]
	buffer_load_dword v100, off, s[0:3], 0 offset:292
	buffer_load_dword v101, off, s[0:3], 0 offset:312
	;; [unrolled: 1-line block ×7, first 2 shown]
	s_waitcnt vmcnt(23) lgkmcnt(0)
	v_fma_f64 v[89:90], v[103:104], v[93:94], v[89:90]
	s_waitcnt vmcnt(18)
	v_fma_f64 v[102:103], v[109:110], v[95:96], v[89:90]
	ds_read2_b64 v[89:92], v88 offset0:73 offset1:74
	ds_read2_b64 v[93:96], v88 offset0:75 offset1:76
	s_waitcnt vmcnt(17) lgkmcnt(1)
	v_fma_f64 v[89:90], v[117:118], v[89:90], v[102:103]
	buffer_load_dword v102, off, s[0:3], 0 offset:316
	s_waitcnt vmcnt(17)
	v_fma_f64 v[89:90], v[115:116], v[91:92], v[89:90]
	buffer_load_dword v104, off, s[0:3], 0 offset:324
	buffer_load_dword v109, off, s[0:3], 0 offset:336
	;; [unrolled: 1-line block ×6, first 2 shown]
	s_waitcnt vmcnt(22) lgkmcnt(0)
	v_fma_f64 v[89:90], v[111:112], v[93:94], v[89:90]
	s_waitcnt vmcnt(17)
	v_fma_f64 v[97:98], v[97:98], v[95:96], v[89:90]
	ds_read2_b64 v[89:92], v88 offset0:77 offset1:78
	buffer_load_dword v111, off, s[0:3], 0 offset:64
	buffer_load_dword v112, off, s[0:3], 0 offset:68
	ds_read2_b64 v[93:96], v88 offset0:79 offset1:80
	s_waitcnt vmcnt(18) lgkmcnt(1)
	v_fma_f64 v[89:90], v[121:122], v[89:90], v[97:98]
	s_waitcnt vmcnt(17)
	v_fma_f64 v[89:90], v[119:120], v[91:92], v[89:90]
	s_waitcnt vmcnt(16) lgkmcnt(0)
	v_fma_f64 v[89:90], v[113:114], v[93:94], v[89:90]
	s_waitcnt vmcnt(11)
	v_fma_f64 v[97:98], v[99:100], v[95:96], v[89:90]
	ds_read2_b64 v[89:92], v88 offset0:81 offset1:82
	ds_read2_b64 v[93:96], v88 offset0:83 offset1:84
	s_waitcnt vmcnt(10) lgkmcnt(1)
	v_fma_f64 v[89:90], v[107:108], v[89:90], v[97:98]
	s_waitcnt vmcnt(9)
	v_fma_f64 v[89:90], v[105:106], v[91:92], v[89:90]
	s_waitcnt vmcnt(8) lgkmcnt(0)
	v_fma_f64 v[89:90], v[101:102], v[93:94], v[89:90]
	s_waitcnt vmcnt(4)
	v_fma_f64 v[92:93], v[103:104], v[95:96], v[89:90]
	ds_read2_b64 v[88:91], v88 offset0:85 offset1:86
	s_waitcnt vmcnt(3) lgkmcnt(0)
	v_fma_f64 v[88:89], v[115:116], v[88:89], v[92:93]
	s_waitcnt vmcnt(2)
	v_fma_f64 v[88:89], v[109:110], v[90:91], v[88:89]
	s_waitcnt vmcnt(0)
	v_add_f64 v[88:89], v[111:112], -v[88:89]
	buffer_store_dword v89, off, s[0:3], 0 offset:68
	buffer_store_dword v88, off, s[0:3], 0 offset:64
	s_and_saveexec_b64 s[4:5], vcc
	s_cbranch_execz .LBB42_251
; %bb.250:
	buffer_load_dword v88, off, s[0:3], 0 offset:56
	buffer_load_dword v89, off, s[0:3], 0 offset:60
	v_mov_b32_e32 v90, 0
	buffer_store_dword v90, off, s[0:3], 0 offset:56
	buffer_store_dword v90, off, s[0:3], 0 offset:60
	s_waitcnt vmcnt(2)
	ds_write_b64 v87, v[88:89]
.LBB42_251:
	s_or_b64 exec, exec, s[4:5]
	s_waitcnt lgkmcnt(0)
	; wave barrier
	buffer_load_dword v97, off, s[0:3], 0 offset:64
	buffer_load_dword v98, off, s[0:3], 0 offset:68
	buffer_load_dword v99, off, s[0:3], 0 offset:72
	buffer_load_dword v100, off, s[0:3], 0 offset:76
	buffer_load_dword v101, off, s[0:3], 0 offset:80
	buffer_load_dword v102, off, s[0:3], 0 offset:84
	buffer_load_dword v103, off, s[0:3], 0 offset:88
	buffer_load_dword v104, off, s[0:3], 0 offset:92
	buffer_load_dword v105, off, s[0:3], 0 offset:96
	buffer_load_dword v106, off, s[0:3], 0 offset:100
	buffer_load_dword v107, off, s[0:3], 0 offset:104
	buffer_load_dword v108, off, s[0:3], 0 offset:108
	buffer_load_dword v109, off, s[0:3], 0 offset:112
	buffer_load_dword v110, off, s[0:3], 0 offset:116
	buffer_load_dword v112, off, s[0:3], 0 offset:124
	buffer_load_dword v113, off, s[0:3], 0 offset:144
	buffer_load_dword v115, off, s[0:3], 0 offset:136
	buffer_load_dword v117, off, s[0:3], 0 offset:128
	buffer_load_dword v111, off, s[0:3], 0 offset:120
	buffer_load_dword v118, off, s[0:3], 0 offset:132
	buffer_load_dword v116, off, s[0:3], 0 offset:140
	v_mov_b32_e32 v88, 0
	ds_read_b128 v[89:92], v88 offset:416
	ds_read_b128 v[93:96], v88 offset:432
	buffer_load_dword v114, off, s[0:3], 0 offset:148
	v_cmp_lt_u32_e32 vcc, 6, v0
	s_waitcnt vmcnt(20) lgkmcnt(1)
	v_fma_f64 v[89:90], v[97:98], v[89:90], 0
	s_waitcnt vmcnt(18)
	v_fma_f64 v[89:90], v[99:100], v[91:92], v[89:90]
	buffer_load_dword v98, off, s[0:3], 0 offset:156
	buffer_load_dword v99, off, s[0:3], 0 offset:176
	;; [unrolled: 1-line block ×7, first 2 shown]
	s_waitcnt vmcnt(23) lgkmcnt(0)
	v_fma_f64 v[89:90], v[101:102], v[93:94], v[89:90]
	s_waitcnt vmcnt(21)
	v_fma_f64 v[100:101], v[103:104], v[95:96], v[89:90]
	ds_read_b128 v[89:92], v88 offset:448
	ds_read_b128 v[93:96], v88 offset:464
	s_waitcnt vmcnt(19) lgkmcnt(1)
	v_fma_f64 v[89:90], v[105:106], v[89:90], v[100:101]
	buffer_load_dword v100, off, s[0:3], 0 offset:180
	s_waitcnt vmcnt(18)
	v_fma_f64 v[89:90], v[107:108], v[91:92], v[89:90]
	buffer_load_dword v102, off, s[0:3], 0 offset:188
	buffer_load_dword v103, off, s[0:3], 0 offset:208
	buffer_load_dword v105, off, s[0:3], 0 offset:200
	buffer_load_dword v107, off, s[0:3], 0 offset:192
	buffer_load_dword v101, off, s[0:3], 0 offset:184
	buffer_load_dword v108, off, s[0:3], 0 offset:196
	buffer_load_dword v106, off, s[0:3], 0 offset:204
	buffer_load_dword v104, off, s[0:3], 0 offset:212
	s_waitcnt vmcnt(24) lgkmcnt(0)
	v_fma_f64 v[89:90], v[109:110], v[93:94], v[89:90]
	s_waitcnt vmcnt(19)
	v_fma_f64 v[109:110], v[111:112], v[95:96], v[89:90]
	ds_read_b128 v[89:92], v88 offset:480
	ds_read_b128 v[93:96], v88 offset:496
	s_waitcnt vmcnt(18) lgkmcnt(1)
	v_fma_f64 v[89:90], v[117:118], v[89:90], v[109:110]
	s_waitcnt vmcnt(17)
	v_fma_f64 v[89:90], v[115:116], v[91:92], v[89:90]
	buffer_load_dword v110, off, s[0:3], 0 offset:220
	buffer_load_dword v111, off, s[0:3], 0 offset:240
	;; [unrolled: 1-line block ×7, first 2 shown]
	s_waitcnt vmcnt(23) lgkmcnt(0)
	v_fma_f64 v[89:90], v[113:114], v[93:94], v[89:90]
	s_waitcnt vmcnt(18)
	v_fma_f64 v[97:98], v[97:98], v[95:96], v[89:90]
	ds_read_b128 v[89:92], v88 offset:512
	ds_read_b128 v[93:96], v88 offset:528
	buffer_load_dword v112, off, s[0:3], 0 offset:244
	s_waitcnt vmcnt(18) lgkmcnt(1)
	v_fma_f64 v[89:90], v[121:122], v[89:90], v[97:98]
	s_waitcnt vmcnt(17)
	v_fma_f64 v[89:90], v[119:120], v[91:92], v[89:90]
	buffer_load_dword v98, off, s[0:3], 0 offset:252
	buffer_load_dword v113, off, s[0:3], 0 offset:272
	;; [unrolled: 1-line block ×8, first 2 shown]
	s_waitcnt vmcnt(24) lgkmcnt(0)
	v_fma_f64 v[89:90], v[99:100], v[93:94], v[89:90]
	s_waitcnt vmcnt(19)
	v_fma_f64 v[99:100], v[101:102], v[95:96], v[89:90]
	ds_read_b128 v[89:92], v88 offset:544
	ds_read_b128 v[93:96], v88 offset:560
	s_waitcnt vmcnt(18) lgkmcnt(1)
	v_fma_f64 v[89:90], v[107:108], v[89:90], v[99:100]
	s_waitcnt vmcnt(17)
	v_fma_f64 v[89:90], v[105:106], v[91:92], v[89:90]
	buffer_load_dword v100, off, s[0:3], 0 offset:284
	buffer_load_dword v101, off, s[0:3], 0 offset:304
	;; [unrolled: 1-line block ×7, first 2 shown]
	s_waitcnt vmcnt(23) lgkmcnt(0)
	v_fma_f64 v[89:90], v[103:104], v[93:94], v[89:90]
	s_waitcnt vmcnt(18)
	v_fma_f64 v[102:103], v[109:110], v[95:96], v[89:90]
	ds_read_b128 v[89:92], v88 offset:576
	ds_read_b128 v[93:96], v88 offset:592
	s_waitcnt vmcnt(17) lgkmcnt(1)
	v_fma_f64 v[89:90], v[117:118], v[89:90], v[102:103]
	buffer_load_dword v102, off, s[0:3], 0 offset:308
	s_waitcnt vmcnt(17)
	v_fma_f64 v[89:90], v[115:116], v[91:92], v[89:90]
	buffer_load_dword v104, off, s[0:3], 0 offset:316
	buffer_load_dword v109, off, s[0:3], 0 offset:336
	;; [unrolled: 1-line block ×8, first 2 shown]
	s_waitcnt vmcnt(24) lgkmcnt(0)
	v_fma_f64 v[89:90], v[111:112], v[93:94], v[89:90]
	s_waitcnt vmcnt(19)
	v_fma_f64 v[97:98], v[97:98], v[95:96], v[89:90]
	ds_read_b128 v[89:92], v88 offset:608
	ds_read_b128 v[93:96], v88 offset:624
	s_waitcnt vmcnt(18) lgkmcnt(1)
	v_fma_f64 v[89:90], v[121:122], v[89:90], v[97:98]
	buffer_load_dword v97, off, s[0:3], 0 offset:56
	buffer_load_dword v98, off, s[0:3], 0 offset:60
	s_waitcnt vmcnt(19)
	v_fma_f64 v[89:90], v[119:120], v[91:92], v[89:90]
	s_waitcnt vmcnt(18) lgkmcnt(0)
	v_fma_f64 v[89:90], v[113:114], v[93:94], v[89:90]
	s_waitcnt vmcnt(13)
	v_fma_f64 v[99:100], v[99:100], v[95:96], v[89:90]
	ds_read_b128 v[89:92], v88 offset:640
	ds_read_b128 v[93:96], v88 offset:656
	s_waitcnt vmcnt(12) lgkmcnt(1)
	v_fma_f64 v[89:90], v[107:108], v[89:90], v[99:100]
	s_waitcnt vmcnt(11)
	v_fma_f64 v[89:90], v[105:106], v[91:92], v[89:90]
	s_waitcnt vmcnt(10) lgkmcnt(0)
	v_fma_f64 v[89:90], v[101:102], v[93:94], v[89:90]
	s_waitcnt vmcnt(5)
	v_fma_f64 v[93:94], v[103:104], v[95:96], v[89:90]
	ds_read_b128 v[89:92], v88 offset:672
	ds_read_b64 v[95:96], v88 offset:688
	s_waitcnt vmcnt(4) lgkmcnt(1)
	v_fma_f64 v[89:90], v[117:118], v[89:90], v[93:94]
	s_waitcnt vmcnt(3)
	v_fma_f64 v[89:90], v[115:116], v[91:92], v[89:90]
	s_waitcnt vmcnt(2) lgkmcnt(0)
	v_fma_f64 v[89:90], v[109:110], v[95:96], v[89:90]
	s_waitcnt vmcnt(0)
	v_add_f64 v[89:90], v[97:98], -v[89:90]
	buffer_store_dword v90, off, s[0:3], 0 offset:60
	buffer_store_dword v89, off, s[0:3], 0 offset:56
	s_and_saveexec_b64 s[4:5], vcc
	s_cbranch_execz .LBB42_253
; %bb.252:
	buffer_load_dword v89, off, s[0:3], 0 offset:48
	buffer_load_dword v90, off, s[0:3], 0 offset:52
	s_waitcnt vmcnt(0)
	ds_write_b64 v87, v[89:90]
	buffer_store_dword v88, off, s[0:3], 0 offset:48
	buffer_store_dword v88, off, s[0:3], 0 offset:52
.LBB42_253:
	s_or_b64 exec, exec, s[4:5]
	s_waitcnt lgkmcnt(0)
	; wave barrier
	buffer_load_dword v97, off, s[0:3], 0 offset:56
	buffer_load_dword v98, off, s[0:3], 0 offset:60
	;; [unrolled: 1-line block ×21, first 2 shown]
	ds_read2_b64 v[89:92], v88 offset0:51 offset1:52
	ds_read2_b64 v[93:96], v88 offset0:53 offset1:54
	buffer_load_dword v114, off, s[0:3], 0 offset:140
	v_cmp_lt_u32_e32 vcc, 5, v0
	s_waitcnt vmcnt(20) lgkmcnt(1)
	v_fma_f64 v[89:90], v[97:98], v[89:90], 0
	s_waitcnt vmcnt(18)
	v_fma_f64 v[89:90], v[99:100], v[91:92], v[89:90]
	buffer_load_dword v98, off, s[0:3], 0 offset:148
	buffer_load_dword v99, off, s[0:3], 0 offset:168
	;; [unrolled: 1-line block ×7, first 2 shown]
	s_waitcnt vmcnt(23) lgkmcnt(0)
	v_fma_f64 v[89:90], v[101:102], v[93:94], v[89:90]
	s_waitcnt vmcnt(21)
	v_fma_f64 v[100:101], v[103:104], v[95:96], v[89:90]
	ds_read2_b64 v[89:92], v88 offset0:55 offset1:56
	ds_read2_b64 v[93:96], v88 offset0:57 offset1:58
	s_waitcnt vmcnt(19) lgkmcnt(1)
	v_fma_f64 v[89:90], v[105:106], v[89:90], v[100:101]
	buffer_load_dword v100, off, s[0:3], 0 offset:172
	s_waitcnt vmcnt(18)
	v_fma_f64 v[89:90], v[107:108], v[91:92], v[89:90]
	buffer_load_dword v102, off, s[0:3], 0 offset:180
	buffer_load_dword v103, off, s[0:3], 0 offset:200
	buffer_load_dword v105, off, s[0:3], 0 offset:192
	buffer_load_dword v107, off, s[0:3], 0 offset:184
	buffer_load_dword v101, off, s[0:3], 0 offset:176
	buffer_load_dword v108, off, s[0:3], 0 offset:188
	buffer_load_dword v106, off, s[0:3], 0 offset:196
	buffer_load_dword v104, off, s[0:3], 0 offset:204
	s_waitcnt vmcnt(24) lgkmcnt(0)
	v_fma_f64 v[89:90], v[109:110], v[93:94], v[89:90]
	s_waitcnt vmcnt(19)
	v_fma_f64 v[109:110], v[111:112], v[95:96], v[89:90]
	ds_read2_b64 v[89:92], v88 offset0:59 offset1:60
	ds_read2_b64 v[93:96], v88 offset0:61 offset1:62
	s_waitcnt vmcnt(18) lgkmcnt(1)
	v_fma_f64 v[89:90], v[117:118], v[89:90], v[109:110]
	s_waitcnt vmcnt(17)
	v_fma_f64 v[89:90], v[115:116], v[91:92], v[89:90]
	buffer_load_dword v110, off, s[0:3], 0 offset:212
	buffer_load_dword v111, off, s[0:3], 0 offset:232
	;; [unrolled: 1-line block ×7, first 2 shown]
	s_waitcnt vmcnt(23) lgkmcnt(0)
	v_fma_f64 v[89:90], v[113:114], v[93:94], v[89:90]
	s_waitcnt vmcnt(18)
	v_fma_f64 v[97:98], v[97:98], v[95:96], v[89:90]
	ds_read2_b64 v[89:92], v88 offset0:63 offset1:64
	ds_read2_b64 v[93:96], v88 offset0:65 offset1:66
	buffer_load_dword v112, off, s[0:3], 0 offset:236
	s_waitcnt vmcnt(18) lgkmcnt(1)
	v_fma_f64 v[89:90], v[121:122], v[89:90], v[97:98]
	s_waitcnt vmcnt(17)
	v_fma_f64 v[89:90], v[119:120], v[91:92], v[89:90]
	buffer_load_dword v98, off, s[0:3], 0 offset:244
	buffer_load_dword v113, off, s[0:3], 0 offset:264
	;; [unrolled: 1-line block ×8, first 2 shown]
	s_waitcnt vmcnt(24) lgkmcnt(0)
	v_fma_f64 v[89:90], v[99:100], v[93:94], v[89:90]
	s_waitcnt vmcnt(19)
	v_fma_f64 v[99:100], v[101:102], v[95:96], v[89:90]
	ds_read2_b64 v[89:92], v88 offset0:67 offset1:68
	ds_read2_b64 v[93:96], v88 offset0:69 offset1:70
	s_waitcnt vmcnt(18) lgkmcnt(1)
	v_fma_f64 v[89:90], v[107:108], v[89:90], v[99:100]
	s_waitcnt vmcnt(17)
	v_fma_f64 v[89:90], v[105:106], v[91:92], v[89:90]
	buffer_load_dword v100, off, s[0:3], 0 offset:276
	buffer_load_dword v101, off, s[0:3], 0 offset:296
	;; [unrolled: 1-line block ×7, first 2 shown]
	s_waitcnt vmcnt(23) lgkmcnt(0)
	v_fma_f64 v[89:90], v[103:104], v[93:94], v[89:90]
	s_waitcnt vmcnt(18)
	v_fma_f64 v[102:103], v[109:110], v[95:96], v[89:90]
	ds_read2_b64 v[89:92], v88 offset0:71 offset1:72
	ds_read2_b64 v[93:96], v88 offset0:73 offset1:74
	s_waitcnt vmcnt(17) lgkmcnt(1)
	v_fma_f64 v[89:90], v[117:118], v[89:90], v[102:103]
	buffer_load_dword v102, off, s[0:3], 0 offset:300
	s_waitcnt vmcnt(17)
	v_fma_f64 v[89:90], v[115:116], v[91:92], v[89:90]
	buffer_load_dword v104, off, s[0:3], 0 offset:308
	buffer_load_dword v109, off, s[0:3], 0 offset:328
	buffer_load_dword v115, off, s[0:3], 0 offset:320
	buffer_load_dword v117, off, s[0:3], 0 offset:312
	buffer_load_dword v103, off, s[0:3], 0 offset:304
	buffer_load_dword v118, off, s[0:3], 0 offset:316
	buffer_load_dword v116, off, s[0:3], 0 offset:324
	buffer_load_dword v110, off, s[0:3], 0 offset:332
	s_waitcnt vmcnt(24) lgkmcnt(0)
	v_fma_f64 v[89:90], v[111:112], v[93:94], v[89:90]
	s_waitcnt vmcnt(19)
	v_fma_f64 v[97:98], v[97:98], v[95:96], v[89:90]
	ds_read2_b64 v[89:92], v88 offset0:75 offset1:76
	ds_read2_b64 v[93:96], v88 offset0:77 offset1:78
	s_waitcnt vmcnt(18) lgkmcnt(1)
	v_fma_f64 v[89:90], v[121:122], v[89:90], v[97:98]
	buffer_load_dword v98, off, s[0:3], 0 offset:340
	buffer_load_dword v97, off, s[0:3], 0 offset:336
	;; [unrolled: 1-line block ×4, first 2 shown]
	s_waitcnt vmcnt(21)
	v_fma_f64 v[89:90], v[119:120], v[91:92], v[89:90]
	s_waitcnt vmcnt(20) lgkmcnt(0)
	v_fma_f64 v[89:90], v[113:114], v[93:94], v[89:90]
	s_waitcnt vmcnt(15)
	v_fma_f64 v[99:100], v[99:100], v[95:96], v[89:90]
	ds_read2_b64 v[89:92], v88 offset0:79 offset1:80
	ds_read2_b64 v[93:96], v88 offset0:81 offset1:82
	s_waitcnt vmcnt(14) lgkmcnt(1)
	v_fma_f64 v[89:90], v[107:108], v[89:90], v[99:100]
	s_waitcnt vmcnt(13)
	v_fma_f64 v[89:90], v[105:106], v[91:92], v[89:90]
	s_waitcnt vmcnt(12) lgkmcnt(0)
	v_fma_f64 v[89:90], v[101:102], v[93:94], v[89:90]
	s_waitcnt vmcnt(7)
	v_fma_f64 v[99:100], v[103:104], v[95:96], v[89:90]
	ds_read2_b64 v[89:92], v88 offset0:83 offset1:84
	ds_read2_b64 v[93:96], v88 offset0:85 offset1:86
	s_waitcnt vmcnt(6) lgkmcnt(1)
	v_fma_f64 v[88:89], v[117:118], v[89:90], v[99:100]
	s_waitcnt vmcnt(5)
	v_fma_f64 v[88:89], v[115:116], v[91:92], v[88:89]
	s_waitcnt vmcnt(4) lgkmcnt(0)
	v_fma_f64 v[88:89], v[109:110], v[93:94], v[88:89]
	s_waitcnt vmcnt(2)
	v_fma_f64 v[88:89], v[97:98], v[95:96], v[88:89]
	s_waitcnt vmcnt(0)
	v_add_f64 v[88:89], v[111:112], -v[88:89]
	buffer_store_dword v89, off, s[0:3], 0 offset:52
	buffer_store_dword v88, off, s[0:3], 0 offset:48
	s_and_saveexec_b64 s[4:5], vcc
	s_cbranch_execz .LBB42_255
; %bb.254:
	buffer_load_dword v88, off, s[0:3], 0 offset:40
	buffer_load_dword v89, off, s[0:3], 0 offset:44
	v_mov_b32_e32 v90, 0
	buffer_store_dword v90, off, s[0:3], 0 offset:40
	buffer_store_dword v90, off, s[0:3], 0 offset:44
	s_waitcnt vmcnt(2)
	ds_write_b64 v87, v[88:89]
.LBB42_255:
	s_or_b64 exec, exec, s[4:5]
	s_waitcnt lgkmcnt(0)
	; wave barrier
	buffer_load_dword v97, off, s[0:3], 0 offset:48
	buffer_load_dword v98, off, s[0:3], 0 offset:52
	;; [unrolled: 1-line block ×21, first 2 shown]
	v_mov_b32_e32 v88, 0
	ds_read_b128 v[89:92], v88 offset:400
	ds_read_b128 v[93:96], v88 offset:416
	buffer_load_dword v114, off, s[0:3], 0 offset:132
	v_cmp_lt_u32_e32 vcc, 4, v0
	s_waitcnt vmcnt(20) lgkmcnt(1)
	v_fma_f64 v[89:90], v[97:98], v[89:90], 0
	s_waitcnt vmcnt(18)
	v_fma_f64 v[89:90], v[99:100], v[91:92], v[89:90]
	buffer_load_dword v98, off, s[0:3], 0 offset:140
	buffer_load_dword v99, off, s[0:3], 0 offset:160
	;; [unrolled: 1-line block ×7, first 2 shown]
	s_waitcnt vmcnt(23) lgkmcnt(0)
	v_fma_f64 v[89:90], v[101:102], v[93:94], v[89:90]
	s_waitcnt vmcnt(21)
	v_fma_f64 v[100:101], v[103:104], v[95:96], v[89:90]
	ds_read_b128 v[89:92], v88 offset:432
	ds_read_b128 v[93:96], v88 offset:448
	s_waitcnt vmcnt(19) lgkmcnt(1)
	v_fma_f64 v[89:90], v[105:106], v[89:90], v[100:101]
	buffer_load_dword v100, off, s[0:3], 0 offset:164
	s_waitcnt vmcnt(18)
	v_fma_f64 v[89:90], v[107:108], v[91:92], v[89:90]
	buffer_load_dword v102, off, s[0:3], 0 offset:172
	buffer_load_dword v103, off, s[0:3], 0 offset:192
	;; [unrolled: 1-line block ×8, first 2 shown]
	s_waitcnt vmcnt(24) lgkmcnt(0)
	v_fma_f64 v[89:90], v[109:110], v[93:94], v[89:90]
	s_waitcnt vmcnt(19)
	v_fma_f64 v[109:110], v[111:112], v[95:96], v[89:90]
	ds_read_b128 v[89:92], v88 offset:464
	ds_read_b128 v[93:96], v88 offset:480
	s_waitcnt vmcnt(18) lgkmcnt(1)
	v_fma_f64 v[89:90], v[117:118], v[89:90], v[109:110]
	s_waitcnt vmcnt(17)
	v_fma_f64 v[89:90], v[115:116], v[91:92], v[89:90]
	buffer_load_dword v110, off, s[0:3], 0 offset:204
	buffer_load_dword v111, off, s[0:3], 0 offset:224
	;; [unrolled: 1-line block ×7, first 2 shown]
	s_waitcnt vmcnt(23) lgkmcnt(0)
	v_fma_f64 v[89:90], v[113:114], v[93:94], v[89:90]
	s_waitcnt vmcnt(18)
	v_fma_f64 v[97:98], v[97:98], v[95:96], v[89:90]
	ds_read_b128 v[89:92], v88 offset:496
	ds_read_b128 v[93:96], v88 offset:512
	buffer_load_dword v112, off, s[0:3], 0 offset:228
	s_waitcnt vmcnt(18) lgkmcnt(1)
	v_fma_f64 v[89:90], v[121:122], v[89:90], v[97:98]
	s_waitcnt vmcnt(17)
	v_fma_f64 v[89:90], v[119:120], v[91:92], v[89:90]
	buffer_load_dword v98, off, s[0:3], 0 offset:236
	buffer_load_dword v113, off, s[0:3], 0 offset:256
	;; [unrolled: 1-line block ×7, first 2 shown]
	s_waitcnt vmcnt(23) lgkmcnt(0)
	v_fma_f64 v[89:90], v[99:100], v[93:94], v[89:90]
	s_waitcnt vmcnt(18)
	v_fma_f64 v[99:100], v[101:102], v[95:96], v[89:90]
	ds_read_b128 v[89:92], v88 offset:528
	ds_read_b128 v[93:96], v88 offset:544
	buffer_load_dword v114, off, s[0:3], 0 offset:260
	s_waitcnt vmcnt(18) lgkmcnt(1)
	v_fma_f64 v[89:90], v[107:108], v[89:90], v[99:100]
	s_waitcnt vmcnt(17)
	v_fma_f64 v[89:90], v[105:106], v[91:92], v[89:90]
	buffer_load_dword v100, off, s[0:3], 0 offset:268
	buffer_load_dword v101, off, s[0:3], 0 offset:288
	;; [unrolled: 1-line block ×7, first 2 shown]
	s_waitcnt vmcnt(23) lgkmcnt(0)
	v_fma_f64 v[89:90], v[103:104], v[93:94], v[89:90]
	s_waitcnt vmcnt(18)
	v_fma_f64 v[102:103], v[109:110], v[95:96], v[89:90]
	ds_read_b128 v[89:92], v88 offset:560
	ds_read_b128 v[93:96], v88 offset:576
	s_waitcnt vmcnt(17) lgkmcnt(1)
	v_fma_f64 v[89:90], v[117:118], v[89:90], v[102:103]
	buffer_load_dword v102, off, s[0:3], 0 offset:292
	s_waitcnt vmcnt(17)
	v_fma_f64 v[89:90], v[115:116], v[91:92], v[89:90]
	buffer_load_dword v104, off, s[0:3], 0 offset:300
	buffer_load_dword v109, off, s[0:3], 0 offset:320
	;; [unrolled: 1-line block ×7, first 2 shown]
	s_waitcnt vmcnt(23) lgkmcnt(0)
	v_fma_f64 v[89:90], v[111:112], v[93:94], v[89:90]
	s_waitcnt vmcnt(18)
	v_fma_f64 v[97:98], v[97:98], v[95:96], v[89:90]
	ds_read_b128 v[89:92], v88 offset:592
	ds_read_b128 v[93:96], v88 offset:608
	buffer_load_dword v110, off, s[0:3], 0 offset:324
	s_waitcnt vmcnt(18) lgkmcnt(1)
	v_fma_f64 v[89:90], v[121:122], v[89:90], v[97:98]
	buffer_load_dword v98, off, s[0:3], 0 offset:332
	buffer_load_dword v111, off, s[0:3], 0 offset:336
	buffer_load_dword v97, off, s[0:3], 0 offset:328
	buffer_load_dword v112, off, s[0:3], 0 offset:340
	s_waitcnt vmcnt(21)
	v_fma_f64 v[89:90], v[119:120], v[91:92], v[89:90]
	s_waitcnt vmcnt(20) lgkmcnt(0)
	v_fma_f64 v[89:90], v[113:114], v[93:94], v[89:90]
	buffer_load_dword v113, off, s[0:3], 0 offset:40
	buffer_load_dword v114, off, s[0:3], 0 offset:44
	s_waitcnt vmcnt(17)
	v_fma_f64 v[99:100], v[99:100], v[95:96], v[89:90]
	ds_read_b128 v[89:92], v88 offset:624
	ds_read_b128 v[93:96], v88 offset:640
	s_waitcnt vmcnt(16) lgkmcnt(1)
	v_fma_f64 v[89:90], v[107:108], v[89:90], v[99:100]
	s_waitcnt vmcnt(15)
	v_fma_f64 v[89:90], v[105:106], v[91:92], v[89:90]
	s_waitcnt vmcnt(14) lgkmcnt(0)
	v_fma_f64 v[89:90], v[101:102], v[93:94], v[89:90]
	s_waitcnt vmcnt(9)
	v_fma_f64 v[99:100], v[103:104], v[95:96], v[89:90]
	ds_read_b128 v[89:92], v88 offset:656
	ds_read_b128 v[93:96], v88 offset:672
	s_waitcnt vmcnt(8) lgkmcnt(1)
	v_fma_f64 v[89:90], v[117:118], v[89:90], v[99:100]
	s_waitcnt vmcnt(7)
	v_fma_f64 v[89:90], v[115:116], v[91:92], v[89:90]
	ds_read_b64 v[91:92], v88 offset:688
	s_waitcnt vmcnt(6) lgkmcnt(1)
	v_fma_f64 v[89:90], v[109:110], v[93:94], v[89:90]
	s_waitcnt vmcnt(3)
	v_fma_f64 v[89:90], v[97:98], v[95:96], v[89:90]
	s_waitcnt vmcnt(2) lgkmcnt(0)
	v_fma_f64 v[89:90], v[111:112], v[91:92], v[89:90]
	s_waitcnt vmcnt(0)
	v_add_f64 v[89:90], v[113:114], -v[89:90]
	buffer_store_dword v90, off, s[0:3], 0 offset:44
	buffer_store_dword v89, off, s[0:3], 0 offset:40
	s_and_saveexec_b64 s[4:5], vcc
	s_cbranch_execz .LBB42_257
; %bb.256:
	buffer_load_dword v89, off, s[0:3], 0 offset:32
	buffer_load_dword v90, off, s[0:3], 0 offset:36
	s_waitcnt vmcnt(0)
	ds_write_b64 v87, v[89:90]
	buffer_store_dword v88, off, s[0:3], 0 offset:32
	buffer_store_dword v88, off, s[0:3], 0 offset:36
.LBB42_257:
	s_or_b64 exec, exec, s[4:5]
	s_waitcnt lgkmcnt(0)
	; wave barrier
	buffer_load_dword v97, off, s[0:3], 0 offset:40
	buffer_load_dword v98, off, s[0:3], 0 offset:44
	;; [unrolled: 1-line block ×22, first 2 shown]
	ds_read2_b64 v[89:92], v88 offset0:49 offset1:50
	ds_read2_b64 v[93:96], v88 offset0:51 offset1:52
	v_cmp_lt_u32_e32 vcc, 3, v0
	s_waitcnt vmcnt(20) lgkmcnt(1)
	v_fma_f64 v[89:90], v[97:98], v[89:90], 0
	s_waitcnt vmcnt(18)
	v_fma_f64 v[89:90], v[99:100], v[91:92], v[89:90]
	buffer_load_dword v98, off, s[0:3], 0 offset:132
	buffer_load_dword v99, off, s[0:3], 0 offset:152
	;; [unrolled: 1-line block ×7, first 2 shown]
	s_waitcnt vmcnt(23) lgkmcnt(0)
	v_fma_f64 v[89:90], v[101:102], v[93:94], v[89:90]
	s_waitcnt vmcnt(21)
	v_fma_f64 v[100:101], v[103:104], v[95:96], v[89:90]
	ds_read2_b64 v[89:92], v88 offset0:53 offset1:54
	ds_read2_b64 v[93:96], v88 offset0:55 offset1:56
	s_waitcnt vmcnt(19) lgkmcnt(1)
	v_fma_f64 v[89:90], v[105:106], v[89:90], v[100:101]
	buffer_load_dword v100, off, s[0:3], 0 offset:156
	s_waitcnt vmcnt(18)
	v_fma_f64 v[89:90], v[107:108], v[91:92], v[89:90]
	buffer_load_dword v102, off, s[0:3], 0 offset:164
	buffer_load_dword v103, off, s[0:3], 0 offset:184
	;; [unrolled: 1-line block ×8, first 2 shown]
	s_waitcnt vmcnt(24) lgkmcnt(0)
	v_fma_f64 v[89:90], v[109:110], v[93:94], v[89:90]
	s_waitcnt vmcnt(19)
	v_fma_f64 v[109:110], v[111:112], v[95:96], v[89:90]
	ds_read2_b64 v[89:92], v88 offset0:57 offset1:58
	ds_read2_b64 v[93:96], v88 offset0:59 offset1:60
	s_waitcnt vmcnt(18) lgkmcnt(1)
	v_fma_f64 v[89:90], v[117:118], v[89:90], v[109:110]
	s_waitcnt vmcnt(17)
	v_fma_f64 v[89:90], v[115:116], v[91:92], v[89:90]
	buffer_load_dword v110, off, s[0:3], 0 offset:196
	buffer_load_dword v111, off, s[0:3], 0 offset:216
	;; [unrolled: 1-line block ×8, first 2 shown]
	s_waitcnt vmcnt(24) lgkmcnt(0)
	v_fma_f64 v[89:90], v[113:114], v[93:94], v[89:90]
	s_waitcnt vmcnt(19)
	v_fma_f64 v[97:98], v[97:98], v[95:96], v[89:90]
	ds_read2_b64 v[89:92], v88 offset0:61 offset1:62
	ds_read2_b64 v[93:96], v88 offset0:63 offset1:64
	s_waitcnt vmcnt(18) lgkmcnt(1)
	v_fma_f64 v[89:90], v[121:122], v[89:90], v[97:98]
	s_waitcnt vmcnt(17)
	v_fma_f64 v[89:90], v[119:120], v[91:92], v[89:90]
	buffer_load_dword v98, off, s[0:3], 0 offset:228
	buffer_load_dword v113, off, s[0:3], 0 offset:248
	;; [unrolled: 1-line block ×7, first 2 shown]
	s_waitcnt vmcnt(23) lgkmcnt(0)
	v_fma_f64 v[89:90], v[99:100], v[93:94], v[89:90]
	s_waitcnt vmcnt(18)
	v_fma_f64 v[99:100], v[101:102], v[95:96], v[89:90]
	ds_read2_b64 v[89:92], v88 offset0:65 offset1:66
	ds_read2_b64 v[93:96], v88 offset0:67 offset1:68
	buffer_load_dword v114, off, s[0:3], 0 offset:252
	s_waitcnt vmcnt(18) lgkmcnt(1)
	v_fma_f64 v[89:90], v[107:108], v[89:90], v[99:100]
	s_waitcnt vmcnt(17)
	v_fma_f64 v[89:90], v[105:106], v[91:92], v[89:90]
	buffer_load_dword v100, off, s[0:3], 0 offset:260
	buffer_load_dword v101, off, s[0:3], 0 offset:280
	;; [unrolled: 1-line block ×7, first 2 shown]
	s_waitcnt vmcnt(23) lgkmcnt(0)
	v_fma_f64 v[89:90], v[103:104], v[93:94], v[89:90]
	s_waitcnt vmcnt(18)
	v_fma_f64 v[102:103], v[109:110], v[95:96], v[89:90]
	ds_read2_b64 v[89:92], v88 offset0:69 offset1:70
	ds_read2_b64 v[93:96], v88 offset0:71 offset1:72
	s_waitcnt vmcnt(17) lgkmcnt(1)
	v_fma_f64 v[89:90], v[117:118], v[89:90], v[102:103]
	buffer_load_dword v102, off, s[0:3], 0 offset:284
	s_waitcnt vmcnt(17)
	v_fma_f64 v[89:90], v[115:116], v[91:92], v[89:90]
	buffer_load_dword v104, off, s[0:3], 0 offset:292
	buffer_load_dword v109, off, s[0:3], 0 offset:312
	;; [unrolled: 1-line block ×8, first 2 shown]
	s_waitcnt vmcnt(24) lgkmcnt(0)
	v_fma_f64 v[89:90], v[111:112], v[93:94], v[89:90]
	s_waitcnt vmcnt(19)
	v_fma_f64 v[97:98], v[97:98], v[95:96], v[89:90]
	ds_read2_b64 v[89:92], v88 offset0:73 offset1:74
	ds_read2_b64 v[93:96], v88 offset0:75 offset1:76
	s_waitcnt vmcnt(18) lgkmcnt(1)
	v_fma_f64 v[89:90], v[121:122], v[89:90], v[97:98]
	s_waitcnt vmcnt(17)
	v_fma_f64 v[89:90], v[119:120], v[91:92], v[89:90]
	buffer_load_dword v98, off, s[0:3], 0 offset:324
	buffer_load_dword v111, off, s[0:3], 0 offset:336
	;; [unrolled: 1-line block ×6, first 2 shown]
	s_waitcnt vmcnt(22) lgkmcnt(0)
	v_fma_f64 v[89:90], v[113:114], v[93:94], v[89:90]
	s_waitcnt vmcnt(17)
	v_fma_f64 v[99:100], v[99:100], v[95:96], v[89:90]
	ds_read2_b64 v[89:92], v88 offset0:77 offset1:78
	buffer_load_dword v113, off, s[0:3], 0 offset:32
	buffer_load_dword v114, off, s[0:3], 0 offset:36
	ds_read2_b64 v[93:96], v88 offset0:79 offset1:80
	s_waitcnt vmcnt(18) lgkmcnt(1)
	v_fma_f64 v[89:90], v[107:108], v[89:90], v[99:100]
	s_waitcnt vmcnt(17)
	v_fma_f64 v[89:90], v[105:106], v[91:92], v[89:90]
	s_waitcnt vmcnt(16) lgkmcnt(0)
	v_fma_f64 v[89:90], v[101:102], v[93:94], v[89:90]
	s_waitcnt vmcnt(11)
	v_fma_f64 v[99:100], v[103:104], v[95:96], v[89:90]
	ds_read2_b64 v[89:92], v88 offset0:81 offset1:82
	ds_read2_b64 v[93:96], v88 offset0:83 offset1:84
	s_waitcnt vmcnt(10) lgkmcnt(1)
	v_fma_f64 v[89:90], v[117:118], v[89:90], v[99:100]
	s_waitcnt vmcnt(9)
	v_fma_f64 v[89:90], v[115:116], v[91:92], v[89:90]
	s_waitcnt vmcnt(8) lgkmcnt(0)
	v_fma_f64 v[89:90], v[109:110], v[93:94], v[89:90]
	s_waitcnt vmcnt(4)
	v_fma_f64 v[92:93], v[97:98], v[95:96], v[89:90]
	ds_read2_b64 v[88:91], v88 offset0:85 offset1:86
	s_waitcnt vmcnt(3) lgkmcnt(0)
	v_fma_f64 v[88:89], v[119:120], v[88:89], v[92:93]
	s_waitcnt vmcnt(2)
	v_fma_f64 v[88:89], v[111:112], v[90:91], v[88:89]
	s_waitcnt vmcnt(0)
	v_add_f64 v[88:89], v[113:114], -v[88:89]
	buffer_store_dword v89, off, s[0:3], 0 offset:36
	buffer_store_dword v88, off, s[0:3], 0 offset:32
	s_and_saveexec_b64 s[4:5], vcc
	s_cbranch_execz .LBB42_259
; %bb.258:
	buffer_load_dword v88, off, s[0:3], 0 offset:24
	buffer_load_dword v89, off, s[0:3], 0 offset:28
	v_mov_b32_e32 v90, 0
	buffer_store_dword v90, off, s[0:3], 0 offset:24
	buffer_store_dword v90, off, s[0:3], 0 offset:28
	s_waitcnt vmcnt(2)
	ds_write_b64 v87, v[88:89]
.LBB42_259:
	s_or_b64 exec, exec, s[4:5]
	s_waitcnt lgkmcnt(0)
	; wave barrier
	buffer_load_dword v97, off, s[0:3], 0 offset:32
	buffer_load_dword v98, off, s[0:3], 0 offset:36
	;; [unrolled: 1-line block ×22, first 2 shown]
	v_mov_b32_e32 v88, 0
	ds_read_b128 v[89:92], v88 offset:384
	ds_read_b128 v[93:96], v88 offset:400
	v_cmp_lt_u32_e32 vcc, 2, v0
	s_waitcnt vmcnt(20) lgkmcnt(1)
	v_fma_f64 v[89:90], v[97:98], v[89:90], 0
	s_waitcnt vmcnt(18)
	v_fma_f64 v[89:90], v[99:100], v[91:92], v[89:90]
	buffer_load_dword v98, off, s[0:3], 0 offset:124
	buffer_load_dword v99, off, s[0:3], 0 offset:144
	;; [unrolled: 1-line block ×7, first 2 shown]
	s_waitcnt vmcnt(23) lgkmcnt(0)
	v_fma_f64 v[89:90], v[101:102], v[93:94], v[89:90]
	s_waitcnt vmcnt(21)
	v_fma_f64 v[100:101], v[103:104], v[95:96], v[89:90]
	ds_read_b128 v[89:92], v88 offset:416
	ds_read_b128 v[93:96], v88 offset:432
	s_waitcnt vmcnt(19) lgkmcnt(1)
	v_fma_f64 v[89:90], v[105:106], v[89:90], v[100:101]
	buffer_load_dword v100, off, s[0:3], 0 offset:148
	s_waitcnt vmcnt(18)
	v_fma_f64 v[89:90], v[107:108], v[91:92], v[89:90]
	buffer_load_dword v102, off, s[0:3], 0 offset:156
	buffer_load_dword v103, off, s[0:3], 0 offset:176
	;; [unrolled: 1-line block ×8, first 2 shown]
	s_waitcnt vmcnt(24) lgkmcnt(0)
	v_fma_f64 v[89:90], v[109:110], v[93:94], v[89:90]
	s_waitcnt vmcnt(19)
	v_fma_f64 v[109:110], v[111:112], v[95:96], v[89:90]
	ds_read_b128 v[89:92], v88 offset:448
	ds_read_b128 v[93:96], v88 offset:464
	s_waitcnt vmcnt(18) lgkmcnt(1)
	v_fma_f64 v[89:90], v[117:118], v[89:90], v[109:110]
	s_waitcnt vmcnt(17)
	v_fma_f64 v[89:90], v[115:116], v[91:92], v[89:90]
	buffer_load_dword v110, off, s[0:3], 0 offset:188
	buffer_load_dword v111, off, s[0:3], 0 offset:208
	buffer_load_dword v115, off, s[0:3], 0 offset:200
	buffer_load_dword v117, off, s[0:3], 0 offset:192
	buffer_load_dword v109, off, s[0:3], 0 offset:184
	buffer_load_dword v118, off, s[0:3], 0 offset:196
	buffer_load_dword v116, off, s[0:3], 0 offset:204
	buffer_load_dword v112, off, s[0:3], 0 offset:212
	s_waitcnt vmcnt(24) lgkmcnt(0)
	v_fma_f64 v[89:90], v[113:114], v[93:94], v[89:90]
	s_waitcnt vmcnt(19)
	v_fma_f64 v[97:98], v[97:98], v[95:96], v[89:90]
	ds_read_b128 v[89:92], v88 offset:480
	ds_read_b128 v[93:96], v88 offset:496
	s_waitcnt vmcnt(18) lgkmcnt(1)
	v_fma_f64 v[89:90], v[121:122], v[89:90], v[97:98]
	s_waitcnt vmcnt(17)
	v_fma_f64 v[89:90], v[119:120], v[91:92], v[89:90]
	buffer_load_dword v98, off, s[0:3], 0 offset:220
	buffer_load_dword v113, off, s[0:3], 0 offset:240
	;; [unrolled: 1-line block ×7, first 2 shown]
	s_waitcnt vmcnt(23) lgkmcnt(0)
	v_fma_f64 v[89:90], v[99:100], v[93:94], v[89:90]
	s_waitcnt vmcnt(18)
	v_fma_f64 v[99:100], v[101:102], v[95:96], v[89:90]
	ds_read_b128 v[89:92], v88 offset:512
	ds_read_b128 v[93:96], v88 offset:528
	buffer_load_dword v114, off, s[0:3], 0 offset:244
	s_waitcnt vmcnt(18) lgkmcnt(1)
	v_fma_f64 v[89:90], v[107:108], v[89:90], v[99:100]
	s_waitcnt vmcnt(17)
	v_fma_f64 v[89:90], v[105:106], v[91:92], v[89:90]
	buffer_load_dword v100, off, s[0:3], 0 offset:252
	buffer_load_dword v101, off, s[0:3], 0 offset:272
	buffer_load_dword v105, off, s[0:3], 0 offset:264
	buffer_load_dword v107, off, s[0:3], 0 offset:256
	buffer_load_dword v99, off, s[0:3], 0 offset:248
	buffer_load_dword v108, off, s[0:3], 0 offset:260
	buffer_load_dword v106, off, s[0:3], 0 offset:268
	s_waitcnt vmcnt(23) lgkmcnt(0)
	v_fma_f64 v[89:90], v[103:104], v[93:94], v[89:90]
	s_waitcnt vmcnt(18)
	v_fma_f64 v[102:103], v[109:110], v[95:96], v[89:90]
	ds_read_b128 v[89:92], v88 offset:544
	ds_read_b128 v[93:96], v88 offset:560
	s_waitcnt vmcnt(17) lgkmcnt(1)
	v_fma_f64 v[89:90], v[117:118], v[89:90], v[102:103]
	buffer_load_dword v102, off, s[0:3], 0 offset:276
	s_waitcnt vmcnt(17)
	v_fma_f64 v[89:90], v[115:116], v[91:92], v[89:90]
	buffer_load_dword v104, off, s[0:3], 0 offset:284
	buffer_load_dword v109, off, s[0:3], 0 offset:304
	;; [unrolled: 1-line block ×8, first 2 shown]
	s_waitcnt vmcnt(24) lgkmcnt(0)
	v_fma_f64 v[89:90], v[111:112], v[93:94], v[89:90]
	s_waitcnt vmcnt(19)
	v_fma_f64 v[97:98], v[97:98], v[95:96], v[89:90]
	ds_read_b128 v[89:92], v88 offset:576
	ds_read_b128 v[93:96], v88 offset:592
	s_waitcnt vmcnt(18) lgkmcnt(1)
	v_fma_f64 v[89:90], v[121:122], v[89:90], v[97:98]
	s_waitcnt vmcnt(17)
	v_fma_f64 v[89:90], v[119:120], v[91:92], v[89:90]
	buffer_load_dword v98, off, s[0:3], 0 offset:316
	buffer_load_dword v111, off, s[0:3], 0 offset:336
	;; [unrolled: 1-line block ×8, first 2 shown]
	s_waitcnt vmcnt(24) lgkmcnt(0)
	v_fma_f64 v[89:90], v[113:114], v[93:94], v[89:90]
	s_waitcnt vmcnt(19)
	v_fma_f64 v[99:100], v[99:100], v[95:96], v[89:90]
	ds_read_b128 v[89:92], v88 offset:608
	ds_read_b128 v[93:96], v88 offset:624
	s_waitcnt vmcnt(18) lgkmcnt(1)
	v_fma_f64 v[89:90], v[107:108], v[89:90], v[99:100]
	buffer_load_dword v99, off, s[0:3], 0 offset:24
	buffer_load_dword v100, off, s[0:3], 0 offset:28
	s_waitcnt vmcnt(19)
	v_fma_f64 v[89:90], v[105:106], v[91:92], v[89:90]
	s_waitcnt vmcnt(18) lgkmcnt(0)
	v_fma_f64 v[89:90], v[101:102], v[93:94], v[89:90]
	s_waitcnt vmcnt(13)
	v_fma_f64 v[101:102], v[103:104], v[95:96], v[89:90]
	ds_read_b128 v[89:92], v88 offset:640
	ds_read_b128 v[93:96], v88 offset:656
	s_waitcnt vmcnt(12) lgkmcnt(1)
	v_fma_f64 v[89:90], v[117:118], v[89:90], v[101:102]
	s_waitcnt vmcnt(11)
	v_fma_f64 v[89:90], v[115:116], v[91:92], v[89:90]
	s_waitcnt vmcnt(10) lgkmcnt(0)
	v_fma_f64 v[89:90], v[109:110], v[93:94], v[89:90]
	s_waitcnt vmcnt(5)
	v_fma_f64 v[93:94], v[97:98], v[95:96], v[89:90]
	ds_read_b128 v[89:92], v88 offset:672
	ds_read_b64 v[95:96], v88 offset:688
	s_waitcnt vmcnt(4) lgkmcnt(1)
	v_fma_f64 v[89:90], v[121:122], v[89:90], v[93:94]
	s_waitcnt vmcnt(3)
	v_fma_f64 v[89:90], v[119:120], v[91:92], v[89:90]
	s_waitcnt vmcnt(2) lgkmcnt(0)
	v_fma_f64 v[89:90], v[111:112], v[95:96], v[89:90]
	s_waitcnt vmcnt(0)
	v_add_f64 v[89:90], v[99:100], -v[89:90]
	buffer_store_dword v90, off, s[0:3], 0 offset:28
	buffer_store_dword v89, off, s[0:3], 0 offset:24
	s_and_saveexec_b64 s[4:5], vcc
	s_cbranch_execz .LBB42_261
; %bb.260:
	buffer_load_dword v89, off, s[0:3], 0 offset:16
	buffer_load_dword v90, off, s[0:3], 0 offset:20
	s_waitcnt vmcnt(0)
	ds_write_b64 v87, v[89:90]
	buffer_store_dword v88, off, s[0:3], 0 offset:16
	buffer_store_dword v88, off, s[0:3], 0 offset:20
.LBB42_261:
	s_or_b64 exec, exec, s[4:5]
	s_waitcnt lgkmcnt(0)
	; wave barrier
	buffer_load_dword v97, off, s[0:3], 0 offset:24
	buffer_load_dword v98, off, s[0:3], 0 offset:28
	;; [unrolled: 1-line block ×22, first 2 shown]
	ds_read2_b64 v[89:92], v88 offset0:47 offset1:48
	ds_read2_b64 v[93:96], v88 offset0:49 offset1:50
	v_cmp_lt_u32_e32 vcc, 1, v0
	s_waitcnt vmcnt(20) lgkmcnt(1)
	v_fma_f64 v[89:90], v[97:98], v[89:90], 0
	s_waitcnt vmcnt(18)
	v_fma_f64 v[89:90], v[99:100], v[91:92], v[89:90]
	buffer_load_dword v98, off, s[0:3], 0 offset:116
	buffer_load_dword v99, off, s[0:3], 0 offset:136
	buffer_load_dword v119, off, s[0:3], 0 offset:128
	buffer_load_dword v121, off, s[0:3], 0 offset:120
	buffer_load_dword v97, off, s[0:3], 0 offset:112
	buffer_load_dword v122, off, s[0:3], 0 offset:124
	buffer_load_dword v120, off, s[0:3], 0 offset:132
	s_waitcnt vmcnt(23) lgkmcnt(0)
	v_fma_f64 v[89:90], v[101:102], v[93:94], v[89:90]
	s_waitcnt vmcnt(21)
	v_fma_f64 v[100:101], v[103:104], v[95:96], v[89:90]
	ds_read2_b64 v[89:92], v88 offset0:51 offset1:52
	ds_read2_b64 v[93:96], v88 offset0:53 offset1:54
	s_waitcnt vmcnt(19) lgkmcnt(1)
	v_fma_f64 v[89:90], v[105:106], v[89:90], v[100:101]
	buffer_load_dword v100, off, s[0:3], 0 offset:140
	s_waitcnt vmcnt(18)
	v_fma_f64 v[89:90], v[107:108], v[91:92], v[89:90]
	buffer_load_dword v102, off, s[0:3], 0 offset:148
	buffer_load_dword v103, off, s[0:3], 0 offset:168
	;; [unrolled: 1-line block ×8, first 2 shown]
	s_waitcnt vmcnt(24) lgkmcnt(0)
	v_fma_f64 v[89:90], v[109:110], v[93:94], v[89:90]
	s_waitcnt vmcnt(19)
	v_fma_f64 v[109:110], v[111:112], v[95:96], v[89:90]
	ds_read2_b64 v[89:92], v88 offset0:55 offset1:56
	ds_read2_b64 v[93:96], v88 offset0:57 offset1:58
	s_waitcnt vmcnt(18) lgkmcnt(1)
	v_fma_f64 v[89:90], v[117:118], v[89:90], v[109:110]
	s_waitcnt vmcnt(17)
	v_fma_f64 v[89:90], v[115:116], v[91:92], v[89:90]
	buffer_load_dword v110, off, s[0:3], 0 offset:180
	buffer_load_dword v111, off, s[0:3], 0 offset:200
	;; [unrolled: 1-line block ×8, first 2 shown]
	s_waitcnt vmcnt(24) lgkmcnt(0)
	v_fma_f64 v[89:90], v[113:114], v[93:94], v[89:90]
	s_waitcnt vmcnt(19)
	v_fma_f64 v[97:98], v[97:98], v[95:96], v[89:90]
	ds_read2_b64 v[89:92], v88 offset0:59 offset1:60
	ds_read2_b64 v[93:96], v88 offset0:61 offset1:62
	s_waitcnt vmcnt(18) lgkmcnt(1)
	v_fma_f64 v[89:90], v[121:122], v[89:90], v[97:98]
	s_waitcnt vmcnt(17)
	v_fma_f64 v[89:90], v[119:120], v[91:92], v[89:90]
	buffer_load_dword v98, off, s[0:3], 0 offset:212
	buffer_load_dword v113, off, s[0:3], 0 offset:232
	;; [unrolled: 1-line block ×7, first 2 shown]
	s_waitcnt vmcnt(23) lgkmcnt(0)
	v_fma_f64 v[89:90], v[99:100], v[93:94], v[89:90]
	s_waitcnt vmcnt(18)
	v_fma_f64 v[99:100], v[101:102], v[95:96], v[89:90]
	ds_read2_b64 v[89:92], v88 offset0:63 offset1:64
	ds_read2_b64 v[93:96], v88 offset0:65 offset1:66
	buffer_load_dword v114, off, s[0:3], 0 offset:236
	s_waitcnt vmcnt(18) lgkmcnt(1)
	v_fma_f64 v[89:90], v[107:108], v[89:90], v[99:100]
	s_waitcnt vmcnt(17)
	v_fma_f64 v[89:90], v[105:106], v[91:92], v[89:90]
	buffer_load_dword v100, off, s[0:3], 0 offset:244
	buffer_load_dword v101, off, s[0:3], 0 offset:264
	;; [unrolled: 1-line block ×7, first 2 shown]
	s_waitcnt vmcnt(23) lgkmcnt(0)
	v_fma_f64 v[89:90], v[103:104], v[93:94], v[89:90]
	s_waitcnt vmcnt(18)
	v_fma_f64 v[102:103], v[109:110], v[95:96], v[89:90]
	ds_read2_b64 v[89:92], v88 offset0:67 offset1:68
	ds_read2_b64 v[93:96], v88 offset0:69 offset1:70
	s_waitcnt vmcnt(17) lgkmcnt(1)
	v_fma_f64 v[89:90], v[117:118], v[89:90], v[102:103]
	buffer_load_dword v102, off, s[0:3], 0 offset:268
	s_waitcnt vmcnt(17)
	v_fma_f64 v[89:90], v[115:116], v[91:92], v[89:90]
	buffer_load_dword v104, off, s[0:3], 0 offset:276
	buffer_load_dword v109, off, s[0:3], 0 offset:296
	;; [unrolled: 1-line block ×8, first 2 shown]
	s_waitcnt vmcnt(24) lgkmcnt(0)
	v_fma_f64 v[89:90], v[111:112], v[93:94], v[89:90]
	s_waitcnt vmcnt(19)
	v_fma_f64 v[97:98], v[97:98], v[95:96], v[89:90]
	ds_read2_b64 v[89:92], v88 offset0:71 offset1:72
	ds_read2_b64 v[93:96], v88 offset0:73 offset1:74
	s_waitcnt vmcnt(18) lgkmcnt(1)
	v_fma_f64 v[89:90], v[121:122], v[89:90], v[97:98]
	s_waitcnt vmcnt(17)
	v_fma_f64 v[89:90], v[119:120], v[91:92], v[89:90]
	buffer_load_dword v98, off, s[0:3], 0 offset:308
	buffer_load_dword v111, off, s[0:3], 0 offset:328
	buffer_load_dword v119, off, s[0:3], 0 offset:320
	buffer_load_dword v121, off, s[0:3], 0 offset:312
	buffer_load_dword v97, off, s[0:3], 0 offset:304
	buffer_load_dword v122, off, s[0:3], 0 offset:316
	buffer_load_dword v120, off, s[0:3], 0 offset:324
	buffer_load_dword v112, off, s[0:3], 0 offset:332
	s_waitcnt vmcnt(24) lgkmcnt(0)
	v_fma_f64 v[89:90], v[113:114], v[93:94], v[89:90]
	s_waitcnt vmcnt(19)
	v_fma_f64 v[99:100], v[99:100], v[95:96], v[89:90]
	ds_read2_b64 v[89:92], v88 offset0:75 offset1:76
	ds_read2_b64 v[93:96], v88 offset0:77 offset1:78
	s_waitcnt vmcnt(18) lgkmcnt(1)
	v_fma_f64 v[89:90], v[107:108], v[89:90], v[99:100]
	buffer_load_dword v100, off, s[0:3], 0 offset:340
	buffer_load_dword v99, off, s[0:3], 0 offset:336
	s_waitcnt vmcnt(19)
	v_fma_f64 v[89:90], v[105:106], v[91:92], v[89:90]
	buffer_load_dword v105, off, s[0:3], 0 offset:16
	buffer_load_dword v106, off, s[0:3], 0 offset:20
	s_waitcnt vmcnt(20) lgkmcnt(0)
	v_fma_f64 v[89:90], v[101:102], v[93:94], v[89:90]
	s_waitcnt vmcnt(15)
	v_fma_f64 v[101:102], v[103:104], v[95:96], v[89:90]
	ds_read2_b64 v[89:92], v88 offset0:79 offset1:80
	ds_read2_b64 v[93:96], v88 offset0:81 offset1:82
	s_waitcnt vmcnt(14) lgkmcnt(1)
	v_fma_f64 v[89:90], v[117:118], v[89:90], v[101:102]
	s_waitcnt vmcnt(13)
	v_fma_f64 v[89:90], v[115:116], v[91:92], v[89:90]
	s_waitcnt vmcnt(12) lgkmcnt(0)
	v_fma_f64 v[89:90], v[109:110], v[93:94], v[89:90]
	s_waitcnt vmcnt(7)
	v_fma_f64 v[97:98], v[97:98], v[95:96], v[89:90]
	ds_read2_b64 v[89:92], v88 offset0:83 offset1:84
	ds_read2_b64 v[93:96], v88 offset0:85 offset1:86
	s_waitcnt vmcnt(6) lgkmcnt(1)
	v_fma_f64 v[88:89], v[121:122], v[89:90], v[97:98]
	s_waitcnt vmcnt(5)
	v_fma_f64 v[88:89], v[119:120], v[91:92], v[88:89]
	s_waitcnt vmcnt(4) lgkmcnt(0)
	v_fma_f64 v[88:89], v[111:112], v[93:94], v[88:89]
	s_waitcnt vmcnt(2)
	v_fma_f64 v[88:89], v[99:100], v[95:96], v[88:89]
	s_waitcnt vmcnt(0)
	v_add_f64 v[88:89], v[105:106], -v[88:89]
	buffer_store_dword v89, off, s[0:3], 0 offset:20
	buffer_store_dword v88, off, s[0:3], 0 offset:16
	s_and_saveexec_b64 s[4:5], vcc
	s_cbranch_execz .LBB42_263
; %bb.262:
	buffer_load_dword v88, off, s[0:3], 0 offset:8
	buffer_load_dword v89, off, s[0:3], 0 offset:12
	v_mov_b32_e32 v90, 0
	buffer_store_dword v90, off, s[0:3], 0 offset:8
	buffer_store_dword v90, off, s[0:3], 0 offset:12
	s_waitcnt vmcnt(2)
	ds_write_b64 v87, v[88:89]
.LBB42_263:
	s_or_b64 exec, exec, s[4:5]
	s_waitcnt lgkmcnt(0)
	; wave barrier
	buffer_load_dword v97, off, s[0:3], 0 offset:16
	buffer_load_dword v98, off, s[0:3], 0 offset:20
	;; [unrolled: 1-line block ×22, first 2 shown]
	v_mov_b32_e32 v88, 0
	ds_read_b128 v[89:92], v88 offset:368
	ds_read_b128 v[93:96], v88 offset:384
	v_cmp_ne_u32_e32 vcc, 0, v0
	s_waitcnt vmcnt(20) lgkmcnt(1)
	v_fma_f64 v[89:90], v[97:98], v[89:90], 0
	s_waitcnt vmcnt(18)
	v_fma_f64 v[89:90], v[99:100], v[91:92], v[89:90]
	buffer_load_dword v98, off, s[0:3], 0 offset:108
	buffer_load_dword v99, off, s[0:3], 0 offset:128
	;; [unrolled: 1-line block ×7, first 2 shown]
	s_waitcnt vmcnt(23) lgkmcnt(0)
	v_fma_f64 v[89:90], v[101:102], v[93:94], v[89:90]
	s_waitcnt vmcnt(21)
	v_fma_f64 v[100:101], v[103:104], v[95:96], v[89:90]
	ds_read_b128 v[89:92], v88 offset:400
	ds_read_b128 v[93:96], v88 offset:416
	s_waitcnt vmcnt(19) lgkmcnt(1)
	v_fma_f64 v[89:90], v[105:106], v[89:90], v[100:101]
	buffer_load_dword v100, off, s[0:3], 0 offset:132
	s_waitcnt vmcnt(18)
	v_fma_f64 v[89:90], v[107:108], v[91:92], v[89:90]
	buffer_load_dword v102, off, s[0:3], 0 offset:140
	buffer_load_dword v103, off, s[0:3], 0 offset:160
	;; [unrolled: 1-line block ×7, first 2 shown]
	s_waitcnt vmcnt(23) lgkmcnt(0)
	v_fma_f64 v[89:90], v[109:110], v[93:94], v[89:90]
	s_waitcnt vmcnt(18)
	v_fma_f64 v[109:110], v[111:112], v[95:96], v[89:90]
	ds_read_b128 v[89:92], v88 offset:432
	ds_read_b128 v[93:96], v88 offset:448
	buffer_load_dword v104, off, s[0:3], 0 offset:164
	s_waitcnt vmcnt(18) lgkmcnt(1)
	v_fma_f64 v[89:90], v[117:118], v[89:90], v[109:110]
	s_waitcnt vmcnt(17)
	v_fma_f64 v[89:90], v[115:116], v[91:92], v[89:90]
	buffer_load_dword v110, off, s[0:3], 0 offset:172
	buffer_load_dword v111, off, s[0:3], 0 offset:192
	;; [unrolled: 1-line block ×8, first 2 shown]
	s_waitcnt vmcnt(24) lgkmcnt(0)
	v_fma_f64 v[89:90], v[113:114], v[93:94], v[89:90]
	s_waitcnt vmcnt(19)
	v_fma_f64 v[97:98], v[97:98], v[95:96], v[89:90]
	ds_read_b128 v[89:92], v88 offset:464
	ds_read_b128 v[93:96], v88 offset:480
	s_waitcnt vmcnt(18) lgkmcnt(1)
	v_fma_f64 v[89:90], v[121:122], v[89:90], v[97:98]
	s_waitcnt vmcnt(17)
	v_fma_f64 v[89:90], v[119:120], v[91:92], v[89:90]
	buffer_load_dword v98, off, s[0:3], 0 offset:204
	buffer_load_dword v113, off, s[0:3], 0 offset:224
	;; [unrolled: 1-line block ×7, first 2 shown]
	s_waitcnt vmcnt(23) lgkmcnt(0)
	v_fma_f64 v[89:90], v[99:100], v[93:94], v[89:90]
	s_waitcnt vmcnt(18)
	v_fma_f64 v[99:100], v[101:102], v[95:96], v[89:90]
	ds_read_b128 v[89:92], v88 offset:496
	ds_read_b128 v[93:96], v88 offset:512
	buffer_load_dword v114, off, s[0:3], 0 offset:228
	s_waitcnt vmcnt(18) lgkmcnt(1)
	v_fma_f64 v[89:90], v[107:108], v[89:90], v[99:100]
	s_waitcnt vmcnt(17)
	v_fma_f64 v[89:90], v[105:106], v[91:92], v[89:90]
	buffer_load_dword v100, off, s[0:3], 0 offset:236
	buffer_load_dword v101, off, s[0:3], 0 offset:256
	;; [unrolled: 1-line block ×7, first 2 shown]
	s_waitcnt vmcnt(23) lgkmcnt(0)
	v_fma_f64 v[89:90], v[103:104], v[93:94], v[89:90]
	s_waitcnt vmcnt(18)
	v_fma_f64 v[102:103], v[109:110], v[95:96], v[89:90]
	ds_read_b128 v[89:92], v88 offset:528
	ds_read_b128 v[93:96], v88 offset:544
	s_waitcnt vmcnt(17) lgkmcnt(1)
	v_fma_f64 v[89:90], v[117:118], v[89:90], v[102:103]
	buffer_load_dword v102, off, s[0:3], 0 offset:260
	s_waitcnt vmcnt(17)
	v_fma_f64 v[89:90], v[115:116], v[91:92], v[89:90]
	buffer_load_dword v104, off, s[0:3], 0 offset:268
	buffer_load_dword v109, off, s[0:3], 0 offset:288
	;; [unrolled: 1-line block ×8, first 2 shown]
	s_waitcnt vmcnt(24) lgkmcnt(0)
	v_fma_f64 v[89:90], v[111:112], v[93:94], v[89:90]
	s_waitcnt vmcnt(19)
	v_fma_f64 v[97:98], v[97:98], v[95:96], v[89:90]
	ds_read_b128 v[89:92], v88 offset:560
	ds_read_b128 v[93:96], v88 offset:576
	s_waitcnt vmcnt(18) lgkmcnt(1)
	v_fma_f64 v[89:90], v[121:122], v[89:90], v[97:98]
	s_waitcnt vmcnt(17)
	v_fma_f64 v[89:90], v[119:120], v[91:92], v[89:90]
	buffer_load_dword v98, off, s[0:3], 0 offset:300
	buffer_load_dword v111, off, s[0:3], 0 offset:320
	;; [unrolled: 1-line block ×7, first 2 shown]
	s_waitcnt vmcnt(23) lgkmcnt(0)
	v_fma_f64 v[89:90], v[113:114], v[93:94], v[89:90]
	s_waitcnt vmcnt(18)
	v_fma_f64 v[99:100], v[99:100], v[95:96], v[89:90]
	ds_read_b128 v[89:92], v88 offset:592
	ds_read_b128 v[93:96], v88 offset:608
	buffer_load_dword v112, off, s[0:3], 0 offset:324
	s_waitcnt vmcnt(18) lgkmcnt(1)
	v_fma_f64 v[89:90], v[107:108], v[89:90], v[99:100]
	s_waitcnt vmcnt(17)
	v_fma_f64 v[89:90], v[105:106], v[91:92], v[89:90]
	buffer_load_dword v100, off, s[0:3], 0 offset:332
	buffer_load_dword v105, off, s[0:3], 0 offset:336
	;; [unrolled: 1-line block ×4, first 2 shown]
	s_waitcnt vmcnt(20) lgkmcnt(0)
	v_fma_f64 v[89:90], v[101:102], v[93:94], v[89:90]
	buffer_load_dword v101, off, s[0:3], 0 offset:8
	buffer_load_dword v102, off, s[0:3], 0 offset:12
	s_waitcnt vmcnt(17)
	v_fma_f64 v[103:104], v[103:104], v[95:96], v[89:90]
	ds_read_b128 v[89:92], v88 offset:624
	ds_read_b128 v[93:96], v88 offset:640
	s_waitcnt vmcnt(16) lgkmcnt(1)
	v_fma_f64 v[89:90], v[117:118], v[89:90], v[103:104]
	s_waitcnt vmcnt(15)
	v_fma_f64 v[89:90], v[115:116], v[91:92], v[89:90]
	s_waitcnt vmcnt(14) lgkmcnt(0)
	v_fma_f64 v[89:90], v[109:110], v[93:94], v[89:90]
	s_waitcnt vmcnt(9)
	v_fma_f64 v[97:98], v[97:98], v[95:96], v[89:90]
	ds_read_b128 v[89:92], v88 offset:656
	ds_read_b128 v[93:96], v88 offset:672
	s_waitcnt vmcnt(8) lgkmcnt(1)
	v_fma_f64 v[89:90], v[121:122], v[89:90], v[97:98]
	s_waitcnt vmcnt(7)
	v_fma_f64 v[89:90], v[119:120], v[91:92], v[89:90]
	ds_read_b64 v[91:92], v88 offset:688
	s_waitcnt vmcnt(6) lgkmcnt(1)
	v_fma_f64 v[89:90], v[111:112], v[93:94], v[89:90]
	s_waitcnt vmcnt(3)
	v_fma_f64 v[89:90], v[99:100], v[95:96], v[89:90]
	s_waitcnt vmcnt(2) lgkmcnt(0)
	v_fma_f64 v[89:90], v[105:106], v[91:92], v[89:90]
	s_waitcnt vmcnt(0)
	v_add_f64 v[89:90], v[101:102], -v[89:90]
	buffer_store_dword v90, off, s[0:3], 0 offset:12
	buffer_store_dword v89, off, s[0:3], 0 offset:8
	s_and_saveexec_b64 s[4:5], vcc
	s_cbranch_execz .LBB42_265
; %bb.264:
	buffer_load_dword v89, off, s[0:3], 0
	buffer_load_dword v90, off, s[0:3], 0 offset:4
	s_waitcnt vmcnt(0)
	ds_write_b64 v87, v[89:90]
	buffer_store_dword v88, off, s[0:3], 0
	buffer_store_dword v88, off, s[0:3], 0 offset:4
.LBB42_265:
	s_or_b64 exec, exec, s[4:5]
	s_waitcnt lgkmcnt(0)
	; wave barrier
	buffer_load_dword v97, off, s[0:3], 0 offset:8
	buffer_load_dword v98, off, s[0:3], 0 offset:12
	;; [unrolled: 1-line block ×22, first 2 shown]
	ds_read2_b64 v[89:92], v88 offset0:45 offset1:46
	ds_read2_b64 v[93:96], v88 offset0:47 offset1:48
	s_and_b64 vcc, exec, s[22:23]
	s_waitcnt vmcnt(20) lgkmcnt(1)
	v_fma_f64 v[89:90], v[97:98], v[89:90], 0
	s_waitcnt vmcnt(18)
	v_fma_f64 v[89:90], v[99:100], v[91:92], v[89:90]
	buffer_load_dword v98, off, s[0:3], 0 offset:100
	buffer_load_dword v99, off, s[0:3], 0 offset:120
	;; [unrolled: 1-line block ×7, first 2 shown]
	s_waitcnt vmcnt(23) lgkmcnt(0)
	v_fma_f64 v[89:90], v[101:102], v[93:94], v[89:90]
	s_waitcnt vmcnt(21)
	v_fma_f64 v[100:101], v[103:104], v[95:96], v[89:90]
	ds_read2_b64 v[89:92], v88 offset0:49 offset1:50
	ds_read2_b64 v[93:96], v88 offset0:51 offset1:52
	s_waitcnt vmcnt(19) lgkmcnt(1)
	v_fma_f64 v[89:90], v[105:106], v[89:90], v[100:101]
	buffer_load_dword v100, off, s[0:3], 0 offset:124
	s_waitcnt vmcnt(18)
	v_fma_f64 v[89:90], v[107:108], v[91:92], v[89:90]
	buffer_load_dword v102, off, s[0:3], 0 offset:132
	buffer_load_dword v103, off, s[0:3], 0 offset:152
	;; [unrolled: 1-line block ×7, first 2 shown]
	s_waitcnt vmcnt(23) lgkmcnt(0)
	v_fma_f64 v[89:90], v[109:110], v[93:94], v[89:90]
	s_waitcnt vmcnt(18)
	v_fma_f64 v[109:110], v[111:112], v[95:96], v[89:90]
	ds_read2_b64 v[89:92], v88 offset0:53 offset1:54
	ds_read2_b64 v[93:96], v88 offset0:55 offset1:56
	buffer_load_dword v104, off, s[0:3], 0 offset:156
	s_waitcnt vmcnt(18) lgkmcnt(1)
	v_fma_f64 v[89:90], v[117:118], v[89:90], v[109:110]
	s_waitcnt vmcnt(17)
	v_fma_f64 v[89:90], v[115:116], v[91:92], v[89:90]
	buffer_load_dword v110, off, s[0:3], 0 offset:164
	buffer_load_dword v111, off, s[0:3], 0 offset:184
	;; [unrolled: 1-line block ×8, first 2 shown]
	s_waitcnt vmcnt(24) lgkmcnt(0)
	v_fma_f64 v[89:90], v[113:114], v[93:94], v[89:90]
	s_waitcnt vmcnt(19)
	v_fma_f64 v[97:98], v[97:98], v[95:96], v[89:90]
	ds_read2_b64 v[89:92], v88 offset0:57 offset1:58
	ds_read2_b64 v[93:96], v88 offset0:59 offset1:60
	s_waitcnt vmcnt(18) lgkmcnt(1)
	v_fma_f64 v[89:90], v[121:122], v[89:90], v[97:98]
	s_waitcnt vmcnt(17)
	v_fma_f64 v[89:90], v[119:120], v[91:92], v[89:90]
	buffer_load_dword v98, off, s[0:3], 0 offset:196
	buffer_load_dword v113, off, s[0:3], 0 offset:216
	;; [unrolled: 1-line block ×8, first 2 shown]
	s_waitcnt vmcnt(24) lgkmcnt(0)
	v_fma_f64 v[89:90], v[99:100], v[93:94], v[89:90]
	s_waitcnt vmcnt(19)
	v_fma_f64 v[99:100], v[101:102], v[95:96], v[89:90]
	ds_read2_b64 v[89:92], v88 offset0:61 offset1:62
	ds_read2_b64 v[93:96], v88 offset0:63 offset1:64
	s_waitcnt vmcnt(18) lgkmcnt(1)
	v_fma_f64 v[89:90], v[107:108], v[89:90], v[99:100]
	s_waitcnt vmcnt(17)
	v_fma_f64 v[89:90], v[105:106], v[91:92], v[89:90]
	buffer_load_dword v100, off, s[0:3], 0 offset:228
	buffer_load_dword v101, off, s[0:3], 0 offset:248
	;; [unrolled: 1-line block ×7, first 2 shown]
	s_waitcnt vmcnt(23) lgkmcnt(0)
	v_fma_f64 v[89:90], v[103:104], v[93:94], v[89:90]
	s_waitcnt vmcnt(18)
	v_fma_f64 v[102:103], v[109:110], v[95:96], v[89:90]
	ds_read2_b64 v[89:92], v88 offset0:65 offset1:66
	ds_read2_b64 v[93:96], v88 offset0:67 offset1:68
	s_waitcnt vmcnt(17) lgkmcnt(1)
	v_fma_f64 v[89:90], v[117:118], v[89:90], v[102:103]
	buffer_load_dword v102, off, s[0:3], 0 offset:252
	s_waitcnt vmcnt(17)
	v_fma_f64 v[89:90], v[115:116], v[91:92], v[89:90]
	buffer_load_dword v104, off, s[0:3], 0 offset:260
	buffer_load_dword v109, off, s[0:3], 0 offset:280
	;; [unrolled: 1-line block ×8, first 2 shown]
	s_waitcnt vmcnt(24) lgkmcnt(0)
	v_fma_f64 v[89:90], v[111:112], v[93:94], v[89:90]
	s_waitcnt vmcnt(19)
	v_fma_f64 v[97:98], v[97:98], v[95:96], v[89:90]
	ds_read2_b64 v[89:92], v88 offset0:69 offset1:70
	ds_read2_b64 v[93:96], v88 offset0:71 offset1:72
	s_waitcnt vmcnt(18) lgkmcnt(1)
	v_fma_f64 v[89:90], v[121:122], v[89:90], v[97:98]
	s_waitcnt vmcnt(17)
	v_fma_f64 v[89:90], v[119:120], v[91:92], v[89:90]
	buffer_load_dword v112, off, s[0:3], 0 offset:292
	buffer_load_dword v119, off, s[0:3], 0 offset:312
	;; [unrolled: 1-line block ×8, first 2 shown]
	s_waitcnt vmcnt(24) lgkmcnt(0)
	v_fma_f64 v[89:90], v[113:114], v[93:94], v[89:90]
	s_waitcnt vmcnt(19)
	v_fma_f64 v[97:98], v[99:100], v[95:96], v[89:90]
	ds_read2_b64 v[89:92], v88 offset0:73 offset1:74
	ds_read2_b64 v[93:96], v88 offset0:75 offset1:76
	s_waitcnt vmcnt(18) lgkmcnt(1)
	v_fma_f64 v[89:90], v[107:108], v[89:90], v[97:98]
	s_waitcnt vmcnt(17)
	v_fma_f64 v[90:91], v[105:106], v[91:92], v[89:90]
	buffer_load_dword v100, off, s[0:3], 0 offset:324
	buffer_load_dword v105, off, s[0:3], 0 offset:336
	;; [unrolled: 1-line block ×4, first 2 shown]
	s_waitcnt vmcnt(20) lgkmcnt(0)
	v_fma_f64 v[91:92], v[101:102], v[93:94], v[90:91]
	buffer_load_dword v90, off, s[0:3], 0 offset:332
	buffer_load_dword v106, off, s[0:3], 0 offset:340
	s_waitcnt vmcnt(17)
	v_fma_f64 v[101:102], v[103:104], v[95:96], v[91:92]
	ds_read2_b64 v[91:94], v88 offset0:77 offset1:78
	buffer_load_dword v103, off, s[0:3], 0
	buffer_load_dword v104, off, s[0:3], 0 offset:4
	ds_read2_b64 v[95:98], v88 offset0:79 offset1:80
	s_waitcnt vmcnt(18) lgkmcnt(1)
	v_fma_f64 v[91:92], v[117:118], v[91:92], v[101:102]
	s_waitcnt vmcnt(17)
	v_fma_f64 v[91:92], v[115:116], v[93:94], v[91:92]
	s_waitcnt vmcnt(16) lgkmcnt(0)
	v_fma_f64 v[91:92], v[109:110], v[95:96], v[91:92]
	s_waitcnt vmcnt(11)
	v_fma_f64 v[101:102], v[111:112], v[97:98], v[91:92]
	ds_read2_b64 v[91:94], v88 offset0:81 offset1:82
	ds_read2_b64 v[95:98], v88 offset0:83 offset1:84
	s_waitcnt vmcnt(10) lgkmcnt(1)
	v_fma_f64 v[91:92], v[123:124], v[91:92], v[101:102]
	s_waitcnt vmcnt(9)
	v_fma_f64 v[91:92], v[121:122], v[93:94], v[91:92]
	s_waitcnt vmcnt(8) lgkmcnt(0)
	v_fma_f64 v[91:92], v[119:120], v[95:96], v[91:92]
	s_waitcnt vmcnt(4)
	v_fma_f64 v[95:96], v[99:100], v[97:98], v[91:92]
	ds_read2_b64 v[91:94], v88 offset0:85 offset1:86
	s_waitcnt vmcnt(3) lgkmcnt(0)
	v_fma_f64 v[87:88], v[89:90], v[91:92], v[95:96]
	s_waitcnt vmcnt(2)
	v_fma_f64 v[87:88], v[105:106], v[93:94], v[87:88]
	s_waitcnt vmcnt(0)
	v_add_f64 v[87:88], v[103:104], -v[87:88]
	buffer_store_dword v88, off, s[0:3], 0 offset:4
	buffer_store_dword v87, off, s[0:3], 0
	s_cbranch_vccz .LBB42_350
; %bb.266:
	v_mov_b32_e32 v0, 0
	global_load_dword v87, v0, s[20:21] offset:164
	s_waitcnt vmcnt(0)
	v_add_u32_e32 v87, -1, v87
	v_cmp_ne_u32_e32 vcc, 41, v87
	s_cbranch_vccz .LBB42_268
; %bb.267:
	v_lshlrev_b32_e32 v87, 3, v87
	buffer_load_dword v88, v87, s[0:3], 0 offen
	buffer_load_dword v91, v87, s[0:3], 0 offen offset:4
	s_waitcnt vmcnt(1)
	buffer_store_dword v88, off, s[0:3], 0 offset:328
	s_waitcnt vmcnt(1)
	buffer_store_dword v91, off, s[0:3], 0 offset:332
	buffer_store_dword v89, v87, s[0:3], 0 offen
	buffer_store_dword v90, v87, s[0:3], 0 offen offset:4
.LBB42_268:
	global_load_dword v0, v0, s[20:21] offset:160
	s_waitcnt vmcnt(0)
	v_add_u32_e32 v0, -1, v0
	v_cmp_eq_u32_e32 vcc, 40, v0
	s_cbranch_vccnz .LBB42_270
; %bb.269:
	v_lshlrev_b32_e32 v0, 3, v0
	buffer_load_dword v87, v0, s[0:3], 0 offen
	buffer_load_dword v88, v0, s[0:3], 0 offen offset:4
	buffer_load_dword v89, off, s[0:3], 0 offset:324
	buffer_load_dword v90, off, s[0:3], 0 offset:320
	s_waitcnt vmcnt(3)
	buffer_store_dword v87, off, s[0:3], 0 offset:320
	s_waitcnt vmcnt(3)
	buffer_store_dword v88, off, s[0:3], 0 offset:324
	s_waitcnt vmcnt(3)
	buffer_store_dword v89, v0, s[0:3], 0 offen offset:4
	s_waitcnt vmcnt(3)
	buffer_store_dword v90, v0, s[0:3], 0 offen
.LBB42_270:
	v_mov_b32_e32 v0, 0
	global_load_dword v87, v0, s[20:21] offset:156
	s_waitcnt vmcnt(0)
	v_add_u32_e32 v87, -1, v87
	v_cmp_eq_u32_e32 vcc, 39, v87
	s_cbranch_vccnz .LBB42_272
; %bb.271:
	v_lshlrev_b32_e32 v87, 3, v87
	buffer_load_dword v88, v87, s[0:3], 0 offen
	buffer_load_dword v89, v87, s[0:3], 0 offen offset:4
	buffer_load_dword v90, off, s[0:3], 0 offset:312
	buffer_load_dword v91, off, s[0:3], 0 offset:316
	s_waitcnt vmcnt(3)
	buffer_store_dword v88, off, s[0:3], 0 offset:312
	s_waitcnt vmcnt(3)
	buffer_store_dword v89, off, s[0:3], 0 offset:316
	s_waitcnt vmcnt(3)
	buffer_store_dword v90, v87, s[0:3], 0 offen
	s_waitcnt vmcnt(3)
	buffer_store_dword v91, v87, s[0:3], 0 offen offset:4
.LBB42_272:
	global_load_dword v0, v0, s[20:21] offset:152
	s_waitcnt vmcnt(0)
	v_add_u32_e32 v0, -1, v0
	v_cmp_eq_u32_e32 vcc, 38, v0
	s_cbranch_vccnz .LBB42_274
; %bb.273:
	v_lshlrev_b32_e32 v0, 3, v0
	buffer_load_dword v87, v0, s[0:3], 0 offen
	buffer_load_dword v88, v0, s[0:3], 0 offen offset:4
	buffer_load_dword v89, off, s[0:3], 0 offset:308
	buffer_load_dword v90, off, s[0:3], 0 offset:304
	s_waitcnt vmcnt(3)
	buffer_store_dword v87, off, s[0:3], 0 offset:304
	s_waitcnt vmcnt(3)
	buffer_store_dword v88, off, s[0:3], 0 offset:308
	s_waitcnt vmcnt(3)
	buffer_store_dword v89, v0, s[0:3], 0 offen offset:4
	s_waitcnt vmcnt(3)
	buffer_store_dword v90, v0, s[0:3], 0 offen
.LBB42_274:
	v_mov_b32_e32 v0, 0
	global_load_dword v87, v0, s[20:21] offset:148
	s_waitcnt vmcnt(0)
	v_add_u32_e32 v87, -1, v87
	v_cmp_eq_u32_e32 vcc, 37, v87
	s_cbranch_vccnz .LBB42_276
; %bb.275:
	v_lshlrev_b32_e32 v87, 3, v87
	buffer_load_dword v88, v87, s[0:3], 0 offen
	buffer_load_dword v89, v87, s[0:3], 0 offen offset:4
	buffer_load_dword v90, off, s[0:3], 0 offset:296
	buffer_load_dword v91, off, s[0:3], 0 offset:300
	s_waitcnt vmcnt(3)
	buffer_store_dword v88, off, s[0:3], 0 offset:296
	s_waitcnt vmcnt(3)
	buffer_store_dword v89, off, s[0:3], 0 offset:300
	s_waitcnt vmcnt(3)
	buffer_store_dword v90, v87, s[0:3], 0 offen
	s_waitcnt vmcnt(3)
	buffer_store_dword v91, v87, s[0:3], 0 offen offset:4
.LBB42_276:
	;; [unrolled: 41-line block ×20, first 2 shown]
	global_load_dword v0, v0, s[20:21]
	s_nop 0
	buffer_load_dword v87, off, s[0:3], 0
	buffer_load_dword v88, off, s[0:3], 0 offset:4
	s_waitcnt vmcnt(2)
	v_add_u32_e32 v0, -1, v0
	v_cmp_eq_u32_e32 vcc, 0, v0
	s_cbranch_vccnz .LBB42_350
; %bb.349:
	v_lshlrev_b32_e32 v0, 3, v0
	buffer_load_dword v89, v0, s[0:3], 0 offen offset:4
	buffer_load_dword v90, v0, s[0:3], 0 offen
	s_waitcnt vmcnt(1)
	buffer_store_dword v89, off, s[0:3], 0 offset:4
	s_waitcnt vmcnt(1)
	buffer_store_dword v90, off, s[0:3], 0
	buffer_store_dword v88, v0, s[0:3], 0 offen offset:4
	buffer_store_dword v87, v0, s[0:3], 0 offen
	buffer_load_dword v87, off, s[0:3], 0
	s_nop 0
	buffer_load_dword v88, off, s[0:3], 0 offset:4
.LBB42_350:
	buffer_load_dword v89, off, s[0:3], 0 offset:8
	buffer_load_dword v90, off, s[0:3], 0 offset:12
	;; [unrolled: 1-line block ×22, first 2 shown]
	s_waitcnt vmcnt(22)
	global_store_dwordx2 v[85:86], v[87:88], off
	buffer_load_dword v85, off, s[0:3], 0 offset:96
	s_nop 0
	buffer_load_dword v86, off, s[0:3], 0 offset:100
	buffer_load_dword v87, off, s[0:3], 0 offset:104
	;; [unrolled: 1-line block ×17, first 2 shown]
	s_waitcnt vmcnt(39)
	global_store_dwordx2 v[83:84], v[89:90], off
	s_waitcnt vmcnt(38)
	global_store_dwordx2 v[5:6], v[91:92], off
	buffer_load_dword v5, off, s[0:3], 0 offset:168
	s_nop 0
	buffer_load_dword v6, off, s[0:3], 0 offset:172
	buffer_load_dword v83, off, s[0:3], 0 offset:176
	;; [unrolled: 1-line block ×7, first 2 shown]
	s_waitcnt vmcnt(45)
	global_store_dwordx2 v[1:2], v[93:94], off
	s_waitcnt vmcnt(44)
	global_store_dwordx2 v[9:10], v[95:96], off
	buffer_load_dword v0, off, s[0:3], 0 offset:200
	buffer_load_dword v1, off, s[0:3], 0 offset:204
	s_nop 0
	buffer_load_dword v9, off, s[0:3], 0 offset:208
	buffer_load_dword v10, off, s[0:3], 0 offset:212
	;; [unrolled: 1-line block ×6, first 2 shown]
	s_waitcnt vmcnt(51)
	global_store_dwordx2 v[3:4], v[97:98], off
	s_waitcnt vmcnt(50)
	global_store_dwordx2 v[11:12], v[99:100], off
	buffer_load_dword v2, off, s[0:3], 0 offset:232
	buffer_load_dword v3, off, s[0:3], 0 offset:236
	s_nop 0
	buffer_load_dword v11, off, s[0:3], 0 offset:240
	buffer_load_dword v12, off, s[0:3], 0 offset:244
	;; [unrolled: 1-line block ×6, first 2 shown]
	s_waitcnt vmcnt(57)
	global_store_dwordx2 v[7:8], v[101:102], off
	s_waitcnt vmcnt(56)
	global_store_dwordx2 v[13:14], v[103:104], off
	s_waitcnt vmcnt(55)
	global_store_dwordx2 v[17:18], v[105:106], off
	s_waitcnt vmcnt(54)
	global_store_dwordx2 v[21:22], v[107:108], off
	s_waitcnt vmcnt(53)
	global_store_dwordx2 v[25:26], v[109:110], off
	buffer_load_dword v7, off, s[0:3], 0 offset:264
	buffer_load_dword v8, off, s[0:3], 0 offset:268
	;; [unrolled: 1-line block ×20, first 2 shown]
	s_waitcnt vmcnt(62)
	global_store_dwordx2 v[15:16], v[85:86], off
	global_store_dwordx2 v[19:20], v[87:88], off
	;; [unrolled: 1-line block ×5, first 2 shown]
	s_waitcnt vmcnt(62)
	global_store_dwordx2 v[31:32], v[117:118], off
	global_store_dwordx2 v[33:34], v[119:120], off
	;; [unrolled: 1-line block ×3, first 2 shown]
	s_waitcnt vmcnt(62)
	global_store_dwordx2 v[37:38], v[123:124], off
	s_waitcnt vmcnt(60)
	global_store_dwordx2 v[39:40], v[5:6], off
	s_waitcnt vmcnt(59)
	global_store_dwordx2 v[41:42], v[83:84], off
	s_waitcnt vmcnt(58)
	global_store_dwordx2 v[43:44], v[89:90], off
	s_waitcnt vmcnt(57)
	global_store_dwordx2 v[45:46], v[91:92], off
	s_waitcnt vmcnt(54)
	global_store_dwordx2 v[47:48], v[0:1], off
	s_waitcnt vmcnt(53)
	global_store_dwordx2 v[49:50], v[9:10], off
	s_waitcnt vmcnt(52)
	global_store_dwordx2 v[51:52], v[93:94], off
	s_waitcnt vmcnt(51)
	global_store_dwordx2 v[53:54], v[95:96], off
	s_waitcnt vmcnt(48)
	global_store_dwordx2 v[55:56], v[2:3], off
	s_waitcnt vmcnt(47)
	global_store_dwordx2 v[57:58], v[11:12], off
	s_waitcnt vmcnt(46)
	global_store_dwordx2 v[59:60], v[97:98], off
	s_waitcnt vmcnt(45)
	global_store_dwordx2 v[61:62], v[99:100], off
	s_waitcnt vmcnt(39)
	global_store_dwordx2 v[63:64], v[7:8], off
	s_waitcnt vmcnt(38)
	global_store_dwordx2 v[65:66], v[13:14], off
	s_waitcnt vmcnt(37)
	global_store_dwordx2 v[67:68], v[17:18], off
	s_waitcnt vmcnt(36)
	global_store_dwordx2 v[69:70], v[21:22], off
	s_waitcnt vmcnt(35)
	global_store_dwordx2 v[71:72], v[25:26], off
	s_waitcnt vmcnt(34)
	global_store_dwordx2 v[73:74], v[101:102], off
	s_waitcnt vmcnt(33)
	global_store_dwordx2 v[75:76], v[103:104], off
	s_waitcnt vmcnt(32)
	global_store_dwordx2 v[77:78], v[105:106], off
	s_waitcnt vmcnt(31)
	global_store_dwordx2 v[79:80], v[107:108], off
	s_waitcnt vmcnt(30)
	global_store_dwordx2 v[81:82], v[109:110], off
	s_endpgm
	.section	.rodata,"a",@progbits
	.p2align	6, 0x0
	.amdhsa_kernel _ZN9rocsolver6v33100L18getri_kernel_smallILi43EdPdEEvT1_iilPiilS4_bb
		.amdhsa_group_segment_fixed_size 696
		.amdhsa_private_segment_fixed_size 352
		.amdhsa_kernarg_size 60
		.amdhsa_user_sgpr_count 6
		.amdhsa_user_sgpr_private_segment_buffer 1
		.amdhsa_user_sgpr_dispatch_ptr 0
		.amdhsa_user_sgpr_queue_ptr 0
		.amdhsa_user_sgpr_kernarg_segment_ptr 1
		.amdhsa_user_sgpr_dispatch_id 0
		.amdhsa_user_sgpr_flat_scratch_init 0
		.amdhsa_user_sgpr_private_segment_size 0
		.amdhsa_uses_dynamic_stack 0
		.amdhsa_system_sgpr_private_segment_wavefront_offset 1
		.amdhsa_system_sgpr_workgroup_id_x 1
		.amdhsa_system_sgpr_workgroup_id_y 0
		.amdhsa_system_sgpr_workgroup_id_z 0
		.amdhsa_system_sgpr_workgroup_info 0
		.amdhsa_system_vgpr_workitem_id 0
		.amdhsa_next_free_vgpr 125
		.amdhsa_next_free_sgpr 24
		.amdhsa_reserve_vcc 1
		.amdhsa_reserve_flat_scratch 0
		.amdhsa_float_round_mode_32 0
		.amdhsa_float_round_mode_16_64 0
		.amdhsa_float_denorm_mode_32 3
		.amdhsa_float_denorm_mode_16_64 3
		.amdhsa_dx10_clamp 1
		.amdhsa_ieee_mode 1
		.amdhsa_fp16_overflow 0
		.amdhsa_exception_fp_ieee_invalid_op 0
		.amdhsa_exception_fp_denorm_src 0
		.amdhsa_exception_fp_ieee_div_zero 0
		.amdhsa_exception_fp_ieee_overflow 0
		.amdhsa_exception_fp_ieee_underflow 0
		.amdhsa_exception_fp_ieee_inexact 0
		.amdhsa_exception_int_div_zero 0
	.end_amdhsa_kernel
	.section	.text._ZN9rocsolver6v33100L18getri_kernel_smallILi43EdPdEEvT1_iilPiilS4_bb,"axG",@progbits,_ZN9rocsolver6v33100L18getri_kernel_smallILi43EdPdEEvT1_iilPiilS4_bb,comdat
.Lfunc_end42:
	.size	_ZN9rocsolver6v33100L18getri_kernel_smallILi43EdPdEEvT1_iilPiilS4_bb, .Lfunc_end42-_ZN9rocsolver6v33100L18getri_kernel_smallILi43EdPdEEvT1_iilPiilS4_bb
                                        ; -- End function
	.set _ZN9rocsolver6v33100L18getri_kernel_smallILi43EdPdEEvT1_iilPiilS4_bb.num_vgpr, 125
	.set _ZN9rocsolver6v33100L18getri_kernel_smallILi43EdPdEEvT1_iilPiilS4_bb.num_agpr, 0
	.set _ZN9rocsolver6v33100L18getri_kernel_smallILi43EdPdEEvT1_iilPiilS4_bb.numbered_sgpr, 24
	.set _ZN9rocsolver6v33100L18getri_kernel_smallILi43EdPdEEvT1_iilPiilS4_bb.num_named_barrier, 0
	.set _ZN9rocsolver6v33100L18getri_kernel_smallILi43EdPdEEvT1_iilPiilS4_bb.private_seg_size, 352
	.set _ZN9rocsolver6v33100L18getri_kernel_smallILi43EdPdEEvT1_iilPiilS4_bb.uses_vcc, 1
	.set _ZN9rocsolver6v33100L18getri_kernel_smallILi43EdPdEEvT1_iilPiilS4_bb.uses_flat_scratch, 0
	.set _ZN9rocsolver6v33100L18getri_kernel_smallILi43EdPdEEvT1_iilPiilS4_bb.has_dyn_sized_stack, 0
	.set _ZN9rocsolver6v33100L18getri_kernel_smallILi43EdPdEEvT1_iilPiilS4_bb.has_recursion, 0
	.set _ZN9rocsolver6v33100L18getri_kernel_smallILi43EdPdEEvT1_iilPiilS4_bb.has_indirect_call, 0
	.section	.AMDGPU.csdata,"",@progbits
; Kernel info:
; codeLenInByte = 50188
; TotalNumSgprs: 28
; NumVgprs: 125
; ScratchSize: 352
; MemoryBound: 1
; FloatMode: 240
; IeeeMode: 1
; LDSByteSize: 696 bytes/workgroup (compile time only)
; SGPRBlocks: 3
; VGPRBlocks: 31
; NumSGPRsForWavesPerEU: 28
; NumVGPRsForWavesPerEU: 125
; Occupancy: 2
; WaveLimiterHint : 1
; COMPUTE_PGM_RSRC2:SCRATCH_EN: 1
; COMPUTE_PGM_RSRC2:USER_SGPR: 6
; COMPUTE_PGM_RSRC2:TRAP_HANDLER: 0
; COMPUTE_PGM_RSRC2:TGID_X_EN: 1
; COMPUTE_PGM_RSRC2:TGID_Y_EN: 0
; COMPUTE_PGM_RSRC2:TGID_Z_EN: 0
; COMPUTE_PGM_RSRC2:TIDIG_COMP_CNT: 0
	.section	.text._ZN9rocsolver6v33100L18getri_kernel_smallILi44EdPdEEvT1_iilPiilS4_bb,"axG",@progbits,_ZN9rocsolver6v33100L18getri_kernel_smallILi44EdPdEEvT1_iilPiilS4_bb,comdat
	.globl	_ZN9rocsolver6v33100L18getri_kernel_smallILi44EdPdEEvT1_iilPiilS4_bb ; -- Begin function _ZN9rocsolver6v33100L18getri_kernel_smallILi44EdPdEEvT1_iilPiilS4_bb
	.p2align	8
	.type	_ZN9rocsolver6v33100L18getri_kernel_smallILi44EdPdEEvT1_iilPiilS4_bb,@function
_ZN9rocsolver6v33100L18getri_kernel_smallILi44EdPdEEvT1_iilPiilS4_bb: ; @_ZN9rocsolver6v33100L18getri_kernel_smallILi44EdPdEEvT1_iilPiilS4_bb
; %bb.0:
	s_add_u32 s0, s0, s7
	s_addc_u32 s1, s1, 0
	v_cmp_gt_u32_e32 vcc, 44, v0
	s_and_saveexec_b64 s[8:9], vcc
	s_cbranch_execz .LBB43_184
; %bb.1:
	s_load_dword s12, s[4:5], 0x38
	s_load_dwordx4 s[16:19], s[4:5], 0x10
	s_load_dwordx4 s[8:11], s[4:5], 0x28
                                        ; implicit-def: $sgpr20_sgpr21
	s_waitcnt lgkmcnt(0)
	s_bitcmp1_b32 s12, 8
	s_cselect_b64 s[22:23], -1, 0
	s_ashr_i32 s7, s6, 31
	s_bfe_u32 s12, s12, 0x10008
	s_cmp_eq_u32 s12, 0
	s_cbranch_scc1 .LBB43_3
; %bb.2:
	s_load_dword s12, s[4:5], 0x20
	s_mul_i32 s13, s8, s7
	s_mul_hi_u32 s14, s8, s6
	s_mul_i32 s9, s9, s6
	s_add_i32 s14, s14, s13
	s_add_i32 s9, s14, s9
	s_mul_i32 s8, s8, s6
	s_waitcnt lgkmcnt(0)
	s_ashr_i32 s13, s12, 31
	s_lshl_b64 s[8:9], s[8:9], 2
	s_add_u32 s14, s18, s8
	s_addc_u32 s15, s19, s9
	s_lshl_b64 s[8:9], s[12:13], 2
	s_add_u32 s20, s14, s8
	s_addc_u32 s21, s15, s9
.LBB43_3:
	s_load_dwordx4 s[12:15], s[4:5], 0x0
	s_load_dword s8, s[4:5], 0x38
	s_mul_i32 s9, s16, s7
	s_mul_hi_u32 s18, s16, s6
	s_add_i32 s9, s18, s9
	s_waitcnt lgkmcnt(0)
	s_ashr_i32 s5, s14, 31
	s_mov_b32 s4, s14
	s_mul_i32 s14, s17, s6
	s_add_i32 s17, s9, s14
	s_mul_i32 s16, s16, s6
	s_lshl_b64 s[16:17], s[16:17], 3
	s_add_u32 s9, s12, s16
	s_addc_u32 s12, s13, s17
	s_lshl_b64 s[4:5], s[4:5], 3
	s_add_u32 s4, s9, s4
	s_addc_u32 s5, s12, s5
	s_add_i32 s9, s15, s15
	v_add_u32_e32 v3, s9, v0
	v_ashrrev_i32_e32 v4, 31, v3
	v_lshlrev_b64 v[1:2], 3, v[3:4]
	v_mov_b32_e32 v4, s5
	v_add_co_u32_e32 v1, vcc, s4, v1
	v_add_u32_e32 v3, s15, v3
	v_addc_co_u32_e32 v2, vcc, v4, v2, vcc
	v_ashrrev_i32_e32 v4, 31, v3
	v_lshlrev_b64 v[4:5], 3, v[3:4]
	v_mov_b32_e32 v6, s5
	v_add_co_u32_e32 v7, vcc, s4, v4
	v_addc_co_u32_e32 v8, vcc, v6, v5, vcc
	v_add_u32_e32 v5, s15, v3
	v_ashrrev_i32_e32 v6, 31, v5
	v_lshlrev_b64 v[3:4], 3, v[5:6]
	v_mov_b32_e32 v6, s5
	v_add_co_u32_e32 v3, vcc, s4, v3
	v_add_u32_e32 v5, s15, v5
	v_addc_co_u32_e32 v4, vcc, v6, v4, vcc
	v_ashrrev_i32_e32 v6, 31, v5
	v_lshlrev_b64 v[9:10], 3, v[5:6]
	v_mov_b32_e32 v6, s5
	v_add_co_u32_e32 v11, vcc, s4, v9
	v_add_u32_e32 v9, s15, v5
	v_addc_co_u32_e32 v12, vcc, v6, v10, vcc
	v_ashrrev_i32_e32 v10, 31, v9
	v_lshlrev_b64 v[5:6], 3, v[9:10]
	v_mov_b32_e32 v10, s5
	v_add_co_u32_e32 v5, vcc, s4, v5
	v_add_u32_e32 v9, s15, v9
	v_addc_co_u32_e32 v6, vcc, v10, v6, vcc
	v_ashrrev_i32_e32 v10, 31, v9
	v_lshlrev_b64 v[13:14], 3, v[9:10]
	v_add_u32_e32 v15, s15, v9
	v_mov_b32_e32 v10, s5
	v_add_co_u32_e32 v13, vcc, s4, v13
	v_ashrrev_i32_e32 v16, 31, v15
	v_addc_co_u32_e32 v14, vcc, v10, v14, vcc
	v_lshlrev_b64 v[9:10], 3, v[15:16]
	v_add_u32_e32 v17, s15, v15
	v_mov_b32_e32 v16, s5
	v_add_co_u32_e32 v9, vcc, s4, v9
	v_ashrrev_i32_e32 v18, 31, v17
	v_addc_co_u32_e32 v10, vcc, v16, v10, vcc
	v_lshlrev_b64 v[15:16], 3, v[17:18]
	v_mov_b32_e32 v18, s5
	v_add_co_u32_e32 v15, vcc, s4, v15
	v_add_u32_e32 v17, s15, v17
	v_addc_co_u32_e32 v16, vcc, v18, v16, vcc
	v_ashrrev_i32_e32 v18, 31, v17
	v_lshlrev_b64 v[19:20], 3, v[17:18]
	v_add_u32_e32 v17, s15, v17
	v_mov_b32_e32 v21, s5
	v_add_co_u32_e32 v19, vcc, s4, v19
	v_ashrrev_i32_e32 v18, 31, v17
	v_addc_co_u32_e32 v20, vcc, v21, v20, vcc
	v_lshlrev_b64 v[21:22], 3, v[17:18]
	v_add_u32_e32 v17, s15, v17
	v_mov_b32_e32 v24, s5
	v_add_co_u32_e32 v23, vcc, s4, v21
	v_ashrrev_i32_e32 v18, 31, v17
	v_addc_co_u32_e32 v24, vcc, v24, v22, vcc
	v_lshlrev_b64 v[21:22], 3, v[17:18]
	v_mov_b32_e32 v25, s5
	v_add_co_u32_e32 v27, vcc, s4, v21
	v_add_u32_e32 v21, s15, v17
	v_addc_co_u32_e32 v28, vcc, v25, v22, vcc
	v_ashrrev_i32_e32 v22, 31, v21
	v_lshlrev_b64 v[17:18], 3, v[21:22]
	v_mov_b32_e32 v29, s5
	v_add_co_u32_e32 v17, vcc, s4, v17
	v_addc_co_u32_e32 v18, vcc, v25, v18, vcc
	v_add_u32_e32 v25, s15, v21
	v_ashrrev_i32_e32 v26, 31, v25
	v_lshlrev_b64 v[21:22], 3, v[25:26]
	v_mov_b32_e32 v31, s5
	v_add_co_u32_e32 v21, vcc, s4, v21
	v_addc_co_u32_e32 v22, vcc, v29, v22, vcc
	v_add_u32_e32 v29, s15, v25
	;; [unrolled: 6-line block ×22, first 2 shown]
	v_ashrrev_i32_e32 v70, 31, v69
	v_lshlrev_b64 v[67:68], 3, v[69:70]
	v_lshlrev_b32_e32 v91, 3, v0
	v_add_co_u32_e32 v67, vcc, s4, v67
	v_addc_co_u32_e32 v68, vcc, v71, v68, vcc
	v_add_u32_e32 v71, s15, v69
	v_mov_b32_e32 v69, s5
	v_add_co_u32_e32 v87, vcc, s4, v91
	s_ashr_i32 s13, s15, 31
	s_mov_b32 s12, s15
	v_addc_co_u32_e32 v88, vcc, 0, v69, vcc
	s_lshl_b64 s[12:13], s[12:13], 3
	v_mov_b32_e32 v69, s13
	v_add_co_u32_e32 v85, vcc, s12, v87
	v_addc_co_u32_e32 v86, vcc, v88, v69, vcc
	global_load_dwordx2 v[89:90], v91, s[4:5]
	global_load_dwordx2 v[94:95], v[1:2], off
	global_load_dwordx2 v[98:99], v[3:4], off
	;; [unrolled: 1-line block ×9, first 2 shown]
	v_ashrrev_i32_e32 v72, 31, v71
	v_lshlrev_b64 v[69:70], 3, v[71:72]
	v_mov_b32_e32 v73, s5
	v_add_co_u32_e32 v69, vcc, s4, v69
	v_addc_co_u32_e32 v70, vcc, v73, v70, vcc
	v_add_u32_e32 v73, s15, v71
	v_ashrrev_i32_e32 v74, 31, v73
	v_lshlrev_b64 v[71:72], 3, v[73:74]
	v_mov_b32_e32 v75, s5
	v_add_co_u32_e32 v71, vcc, s4, v71
	v_addc_co_u32_e32 v72, vcc, v75, v72, vcc
	v_add_u32_e32 v75, s15, v73
	;; [unrolled: 6-line block ×6, first 2 shown]
	v_ashrrev_i32_e32 v84, 31, v83
	v_lshlrev_b64 v[81:82], 3, v[83:84]
	v_mov_b32_e32 v110, s5
	v_add_co_u32_e32 v81, vcc, s4, v81
	v_add_u32_e32 v83, s15, v83
	v_addc_co_u32_e32 v82, vcc, v110, v82, vcc
	v_ashrrev_i32_e32 v84, 31, v83
	global_load_dwordx2 v[110:111], v[19:20], off
	global_load_dwordx2 v[112:113], v[23:24], off
	;; [unrolled: 1-line block ×4, first 2 shown]
	v_lshlrev_b64 v[83:84], 3, v[83:84]
	v_mov_b32_e32 v118, s5
	v_add_co_u32_e32 v83, vcc, s4, v83
	v_addc_co_u32_e32 v84, vcc, v118, v84, vcc
	global_load_dwordx2 v[118:119], v[21:22], off
	global_load_dwordx2 v[120:121], v[25:26], off
	;; [unrolled: 1-line block ×3, first 2 shown]
	s_bitcmp0_b32 s8, 0
	s_mov_b64 s[8:9], -1
	s_waitcnt vmcnt(16)
	buffer_store_dword v90, off, s[0:3], 0 offset:4
	buffer_store_dword v89, off, s[0:3], 0
	global_load_dwordx2 v[89:90], v[29:30], off
	s_waitcnt vmcnt(15)
	buffer_store_dword v93, off, s[0:3], 0 offset:12
	buffer_store_dword v92, off, s[0:3], 0 offset:8
	global_load_dwordx2 v[92:93], v[33:34], off
	s_nop 0
	buffer_store_dword v95, off, s[0:3], 0 offset:20
	buffer_store_dword v94, off, s[0:3], 0 offset:16
	global_load_dwordx2 v[94:95], v[35:36], off
	s_waitcnt vmcnt(20)
	buffer_store_dword v97, off, s[0:3], 0 offset:28
	buffer_store_dword v96, off, s[0:3], 0 offset:24
	global_load_dwordx2 v[96:97], v[37:38], off
	s_nop 0
	buffer_store_dword v99, off, s[0:3], 0 offset:36
	buffer_store_dword v98, off, s[0:3], 0 offset:32
	;; [unrolled: 8-line block ×3, first 2 shown]
	global_load_dwordx2 v[102:103], v[43:44], off
	s_waitcnt vmcnt(30)
	buffer_store_dword v105, off, s[0:3], 0 offset:60
	buffer_store_dword v104, off, s[0:3], 0 offset:56
	global_load_dwordx2 v[104:105], v[45:46], off
	s_waitcnt vmcnt(32)
	buffer_store_dword v107, off, s[0:3], 0 offset:68
	buffer_store_dword v106, off, s[0:3], 0 offset:64
	global_load_dwordx2 v[106:107], v[47:48], off
	s_waitcnt vmcnt(34)
	buffer_store_dword v108, off, s[0:3], 0 offset:72
	buffer_store_dword v109, off, s[0:3], 0 offset:76
	global_load_dwordx2 v[108:109], v[49:50], off
	s_waitcnt vmcnt(36)
	buffer_store_dword v110, off, s[0:3], 0 offset:80
	buffer_store_dword v111, off, s[0:3], 0 offset:84
	s_waitcnt vmcnt(37)
	buffer_store_dword v112, off, s[0:3], 0 offset:88
	buffer_store_dword v113, off, s[0:3], 0 offset:92
	s_waitcnt vmcnt(38)
	buffer_store_dword v114, off, s[0:3], 0 offset:96
	buffer_store_dword v115, off, s[0:3], 0 offset:100
	;; [unrolled: 3-line block ×6, first 2 shown]
	buffer_store_dword v122, off, s[0:3], 0 offset:136
	buffer_store_dword v123, off, s[0:3], 0 offset:140
	s_waitcnt vmcnt(40)
	buffer_store_dword v92, off, s[0:3], 0 offset:144
	buffer_store_dword v93, off, s[0:3], 0 offset:148
	global_load_dwordx2 v[89:90], v[51:52], off
	s_nop 0
	global_load_dwordx2 v[92:93], v[53:54], off
	global_load_dwordx2 v[110:111], v[57:58], off
	;; [unrolled: 1-line block ×8, first 2 shown]
	s_waitcnt vmcnt(48)
	buffer_store_dword v95, off, s[0:3], 0 offset:156
	buffer_store_dword v94, off, s[0:3], 0 offset:152
	global_load_dwordx2 v[94:95], v[55:56], off
	s_waitcnt vmcnt(48)
	buffer_store_dword v97, off, s[0:3], 0 offset:164
	buffer_store_dword v96, off, s[0:3], 0 offset:160
	global_load_dwordx2 v[96:97], v[59:60], off
	;; [unrolled: 4-line block ×8, first 2 shown]
	s_waitcnt vmcnt(32)
	buffer_store_dword v89, off, s[0:3], 0 offset:216
	buffer_store_dword v90, off, s[0:3], 0 offset:220
	s_waitcnt vmcnt(33)
	buffer_store_dword v92, off, s[0:3], 0 offset:224
	buffer_store_dword v93, off, s[0:3], 0 offset:228
	;; [unrolled: 3-line block ×3, first 2 shown]
	buffer_store_dword v110, off, s[0:3], 0 offset:240
	buffer_store_dword v111, off, s[0:3], 0 offset:244
	s_waitcnt vmcnt(26)
	buffer_store_dword v97, off, s[0:3], 0 offset:252
	buffer_store_dword v96, off, s[0:3], 0 offset:248
	buffer_store_dword v113, off, s[0:3], 0 offset:260
	buffer_store_dword v112, off, s[0:3], 0 offset:256
	s_waitcnt vmcnt(27)
	buffer_store_dword v98, off, s[0:3], 0 offset:264
	buffer_store_dword v99, off, s[0:3], 0 offset:268
	;; [unrolled: 5-line block ×7, first 2 shown]
	s_cbranch_scc1 .LBB43_182
; %bb.4:
	v_cmp_eq_u32_e64 s[4:5], 0, v0
	s_and_saveexec_b64 s[8:9], s[4:5]
; %bb.5:
	v_mov_b32_e32 v89, 0
	ds_write_b32 v89, v89 offset:704
; %bb.6:
	s_or_b64 exec, exec, s[8:9]
	v_mov_b32_e32 v89, 0
	v_lshl_add_u32 v89, v0, 3, v89
	s_waitcnt lgkmcnt(0)
	; wave barrier
	buffer_load_dword v92, v89, s[0:3], 0 offen
	buffer_load_dword v93, v89, s[0:3], 0 offen offset:4
	s_waitcnt vmcnt(0)
	v_cmp_eq_f64_e32 vcc, 0, v[92:93]
	s_and_saveexec_b64 s[12:13], vcc
	s_cbranch_execz .LBB43_10
; %bb.7:
	v_mov_b32_e32 v90, 0
	ds_read_b32 v93, v90 offset:704
	v_add_u32_e32 v92, 1, v0
	s_waitcnt lgkmcnt(0)
	v_readfirstlane_b32 s8, v93
	s_cmp_eq_u32 s8, 0
	s_cselect_b64 s[14:15], -1, 0
	v_cmp_gt_i32_e32 vcc, s8, v92
	s_or_b64 s[14:15], s[14:15], vcc
	s_and_b64 exec, exec, s[14:15]
	s_cbranch_execz .LBB43_10
; %bb.8:
	s_mov_b64 s[14:15], 0
	v_mov_b32_e32 v93, s8
.LBB43_9:                               ; =>This Inner Loop Header: Depth=1
	ds_cmpst_rtn_b32 v93, v90, v93, v92 offset:704
	s_waitcnt lgkmcnt(0)
	v_cmp_ne_u32_e32 vcc, 0, v93
	v_cmp_le_i32_e64 s[8:9], v93, v92
	s_and_b64 s[8:9], vcc, s[8:9]
	s_and_b64 s[8:9], exec, s[8:9]
	s_or_b64 s[14:15], s[8:9], s[14:15]
	s_andn2_b64 exec, exec, s[14:15]
	s_cbranch_execnz .LBB43_9
.LBB43_10:
	s_or_b64 exec, exec, s[12:13]
	v_mov_b32_e32 v92, 0
	; wave barrier
	ds_read_b32 v90, v92 offset:704
	s_and_saveexec_b64 s[8:9], s[4:5]
	s_cbranch_execz .LBB43_12
; %bb.11:
	s_lshl_b64 s[12:13], s[6:7], 2
	s_add_u32 s12, s10, s12
	s_addc_u32 s13, s11, s13
	s_waitcnt lgkmcnt(0)
	global_store_dword v92, v90, s[12:13]
.LBB43_12:
	s_or_b64 exec, exec, s[8:9]
	s_waitcnt lgkmcnt(0)
	v_cmp_ne_u32_e32 vcc, 0, v90
	s_mov_b64 s[8:9], 0
	s_cbranch_vccnz .LBB43_182
; %bb.13:
	buffer_load_dword v92, v89, s[0:3], 0 offen
	buffer_load_dword v93, v89, s[0:3], 0 offen offset:4
	s_waitcnt vmcnt(0)
	v_div_scale_f64 v[94:95], s[8:9], v[92:93], v[92:93], 1.0
	v_rcp_f64_e32 v[96:97], v[94:95]
	v_fma_f64 v[98:99], -v[94:95], v[96:97], 1.0
	v_fma_f64 v[96:97], v[96:97], v[98:99], v[96:97]
	v_div_scale_f64 v[98:99], vcc, 1.0, v[92:93], 1.0
	v_fma_f64 v[100:101], -v[94:95], v[96:97], 1.0
	v_fma_f64 v[96:97], v[96:97], v[100:101], v[96:97]
	v_mul_f64 v[100:101], v[98:99], v[96:97]
	v_fma_f64 v[94:95], -v[94:95], v[100:101], v[98:99]
	v_div_fmas_f64 v[94:95], v[94:95], v[96:97], v[100:101]
	v_div_fixup_f64 v[93:94], v[94:95], v[92:93], 1.0
	v_add_u32_e32 v92, 0x160, v91
	buffer_store_dword v94, v89, s[0:3], 0 offen offset:4
	buffer_store_dword v93, v89, s[0:3], 0 offen
	buffer_load_dword v96, off, s[0:3], 0 offset:12
	buffer_load_dword v95, off, s[0:3], 0 offset:8
	v_xor_b32_e32 v94, 0x80000000, v94
	s_waitcnt vmcnt(0)
	ds_write2_b64 v91, v[93:94], v[95:96] offset1:44
	s_waitcnt lgkmcnt(0)
	; wave barrier
	s_and_saveexec_b64 s[8:9], s[4:5]
	s_cbranch_execz .LBB43_15
; %bb.14:
	buffer_load_dword v93, v89, s[0:3], 0 offen
	buffer_load_dword v94, v89, s[0:3], 0 offen offset:4
	ds_read_b64 v[95:96], v92
	v_mov_b32_e32 v90, 0
	ds_read_b64 v[97:98], v90 offset:8
	s_waitcnt vmcnt(0) lgkmcnt(1)
	v_fma_f64 v[93:94], v[93:94], v[95:96], 0
	s_waitcnt lgkmcnt(0)
	v_mul_f64 v[93:94], v[93:94], v[97:98]
	buffer_store_dword v93, off, s[0:3], 0 offset:8
	buffer_store_dword v94, off, s[0:3], 0 offset:12
.LBB43_15:
	s_or_b64 exec, exec, s[8:9]
	; wave barrier
	buffer_load_dword v93, off, s[0:3], 0 offset:16
	buffer_load_dword v94, off, s[0:3], 0 offset:20
	v_cmp_gt_u32_e32 vcc, 2, v0
	s_waitcnt vmcnt(0)
	ds_write_b64 v92, v[93:94]
	s_waitcnt lgkmcnt(0)
	; wave barrier
	s_and_saveexec_b64 s[8:9], vcc
	s_cbranch_execz .LBB43_17
; %bb.16:
	buffer_load_dword v93, v89, s[0:3], 0 offen
	buffer_load_dword v94, v89, s[0:3], 0 offen offset:4
                                        ; kill: killed $vgpr89
	s_nop 0
	buffer_load_dword v89, off, s[0:3], 0 offset:8
	buffer_load_dword v90, off, s[0:3], 0 offset:12
	ds_read_b64 v[95:96], v92
	s_waitcnt vmcnt(2) lgkmcnt(0)
	v_fma_f64 v[97:98], v[93:94], v[95:96], 0
	v_mov_b32_e32 v93, 0
	ds_read2_b64 v[93:96], v93 offset0:2 offset1:45
	s_waitcnt vmcnt(0) lgkmcnt(0)
	v_fma_f64 v[89:90], v[89:90], v[95:96], v[97:98]
	v_cndmask_b32_e64 v90, v98, v90, s[4:5]
	v_cndmask_b32_e64 v89, v97, v89, s[4:5]
	v_mul_f64 v[89:90], v[89:90], v[93:94]
	buffer_store_dword v90, off, s[0:3], 0 offset:20
	buffer_store_dword v89, off, s[0:3], 0 offset:16
.LBB43_17:
	s_or_b64 exec, exec, s[8:9]
	; wave barrier
	buffer_load_dword v89, off, s[0:3], 0 offset:24
	buffer_load_dword v90, off, s[0:3], 0 offset:28
	v_cmp_gt_u32_e32 vcc, 3, v0
	v_add_u32_e32 v93, -1, v0
	s_waitcnt vmcnt(0)
	ds_write_b64 v92, v[89:90]
	s_waitcnt lgkmcnt(0)
	; wave barrier
	s_and_saveexec_b64 s[4:5], vcc
	s_cbranch_execz .LBB43_21
; %bb.18:
	v_mov_b32_e32 v89, 0
	v_add_u32_e32 v94, -1, v0
	v_add_u32_e32 v95, 0x160, v91
	v_mov_b32_e32 v96, v91
	v_mov_b32_e32 v90, 0
	s_mov_b64 s[8:9], 0
.LBB43_19:                              ; =>This Inner Loop Header: Depth=1
	buffer_load_dword v97, v96, s[0:3], 0 offen
	buffer_load_dword v98, v96, s[0:3], 0 offen offset:4
	ds_read_b64 v[99:100], v95
	v_add_u32_e32 v94, 1, v94
	v_cmp_lt_u32_e32 vcc, 1, v94
	v_add_u32_e32 v95, 8, v95
	s_or_b64 s[8:9], vcc, s[8:9]
	v_add_u32_e32 v96, 8, v96
	s_waitcnt vmcnt(0) lgkmcnt(0)
	v_fma_f64 v[89:90], v[97:98], v[99:100], v[89:90]
	s_andn2_b64 exec, exec, s[8:9]
	s_cbranch_execnz .LBB43_19
; %bb.20:
	s_or_b64 exec, exec, s[8:9]
	v_mov_b32_e32 v94, 0
	ds_read_b64 v[94:95], v94 offset:24
	s_waitcnt lgkmcnt(0)
	v_mul_f64 v[89:90], v[89:90], v[94:95]
	buffer_store_dword v90, off, s[0:3], 0 offset:28
	buffer_store_dword v89, off, s[0:3], 0 offset:24
.LBB43_21:
	s_or_b64 exec, exec, s[4:5]
	; wave barrier
	buffer_load_dword v89, off, s[0:3], 0 offset:32
	buffer_load_dword v90, off, s[0:3], 0 offset:36
	v_cmp_gt_u32_e32 vcc, 4, v0
	s_waitcnt vmcnt(0)
	ds_write_b64 v92, v[89:90]
	s_waitcnt lgkmcnt(0)
	; wave barrier
	s_and_saveexec_b64 s[4:5], vcc
	s_cbranch_execz .LBB43_25
; %bb.22:
	v_mov_b32_e32 v89, 0
	v_add_u32_e32 v94, -1, v0
	v_add_u32_e32 v95, 0x160, v91
	v_mov_b32_e32 v96, v91
	v_mov_b32_e32 v90, 0
	s_mov_b64 s[8:9], 0
.LBB43_23:                              ; =>This Inner Loop Header: Depth=1
	buffer_load_dword v97, v96, s[0:3], 0 offen
	buffer_load_dword v98, v96, s[0:3], 0 offen offset:4
	ds_read_b64 v[99:100], v95
	v_add_u32_e32 v94, 1, v94
	v_cmp_lt_u32_e32 vcc, 2, v94
	v_add_u32_e32 v95, 8, v95
	s_or_b64 s[8:9], vcc, s[8:9]
	v_add_u32_e32 v96, 8, v96
	s_waitcnt vmcnt(0) lgkmcnt(0)
	v_fma_f64 v[89:90], v[97:98], v[99:100], v[89:90]
	s_andn2_b64 exec, exec, s[8:9]
	s_cbranch_execnz .LBB43_23
; %bb.24:
	s_or_b64 exec, exec, s[8:9]
	v_mov_b32_e32 v94, 0
	ds_read_b64 v[94:95], v94 offset:32
	s_waitcnt lgkmcnt(0)
	v_mul_f64 v[89:90], v[89:90], v[94:95]
	buffer_store_dword v90, off, s[0:3], 0 offset:36
	buffer_store_dword v89, off, s[0:3], 0 offset:32
.LBB43_25:
	s_or_b64 exec, exec, s[4:5]
	; wave barrier
	buffer_load_dword v89, off, s[0:3], 0 offset:40
	buffer_load_dword v90, off, s[0:3], 0 offset:44
	v_cmp_gt_u32_e32 vcc, 5, v0
	;; [unrolled: 40-line block ×21, first 2 shown]
	s_waitcnt vmcnt(0)
	ds_write_b64 v92, v[89:90]
	s_waitcnt lgkmcnt(0)
	; wave barrier
	s_and_saveexec_b64 s[4:5], vcc
	s_cbranch_execz .LBB43_105
; %bb.102:
	v_mov_b32_e32 v89, 0
	v_add_u32_e32 v94, -1, v0
	v_add_u32_e32 v95, 0x160, v91
	v_mov_b32_e32 v96, v91
	v_mov_b32_e32 v90, 0
	s_mov_b64 s[8:9], 0
.LBB43_103:                             ; =>This Inner Loop Header: Depth=1
	buffer_load_dword v97, v96, s[0:3], 0 offen
	buffer_load_dword v98, v96, s[0:3], 0 offen offset:4
	ds_read_b64 v[99:100], v95
	v_add_u32_e32 v94, 1, v94
	v_cmp_lt_u32_e32 vcc, 22, v94
	v_add_u32_e32 v95, 8, v95
	s_or_b64 s[8:9], vcc, s[8:9]
	v_add_u32_e32 v96, 8, v96
	s_waitcnt vmcnt(0) lgkmcnt(0)
	v_fma_f64 v[89:90], v[97:98], v[99:100], v[89:90]
	s_andn2_b64 exec, exec, s[8:9]
	s_cbranch_execnz .LBB43_103
; %bb.104:
	s_or_b64 exec, exec, s[8:9]
	v_mov_b32_e32 v94, 0
	ds_read_b64 v[94:95], v94 offset:192
	s_waitcnt lgkmcnt(0)
	v_mul_f64 v[89:90], v[89:90], v[94:95]
	buffer_store_dword v90, off, s[0:3], 0 offset:196
	buffer_store_dword v89, off, s[0:3], 0 offset:192
.LBB43_105:
	s_or_b64 exec, exec, s[4:5]
	; wave barrier
	buffer_load_dword v89, off, s[0:3], 0 offset:200
	buffer_load_dword v90, off, s[0:3], 0 offset:204
	v_cmp_gt_u32_e32 vcc, 25, v0
	s_waitcnt vmcnt(0)
	ds_write_b64 v92, v[89:90]
	s_waitcnt lgkmcnt(0)
	; wave barrier
	s_and_saveexec_b64 s[4:5], vcc
	s_cbranch_execz .LBB43_109
; %bb.106:
	v_mov_b32_e32 v89, 0
	v_add_u32_e32 v94, -1, v0
	v_add_u32_e32 v95, 0x160, v91
	v_mov_b32_e32 v96, v91
	v_mov_b32_e32 v90, 0
	s_mov_b64 s[8:9], 0
.LBB43_107:                             ; =>This Inner Loop Header: Depth=1
	buffer_load_dword v97, v96, s[0:3], 0 offen
	buffer_load_dword v98, v96, s[0:3], 0 offen offset:4
	ds_read_b64 v[99:100], v95
	v_add_u32_e32 v94, 1, v94
	v_cmp_lt_u32_e32 vcc, 23, v94
	v_add_u32_e32 v95, 8, v95
	s_or_b64 s[8:9], vcc, s[8:9]
	v_add_u32_e32 v96, 8, v96
	s_waitcnt vmcnt(0) lgkmcnt(0)
	v_fma_f64 v[89:90], v[97:98], v[99:100], v[89:90]
	s_andn2_b64 exec, exec, s[8:9]
	s_cbranch_execnz .LBB43_107
; %bb.108:
	s_or_b64 exec, exec, s[8:9]
	v_mov_b32_e32 v94, 0
	ds_read_b64 v[94:95], v94 offset:200
	s_waitcnt lgkmcnt(0)
	v_mul_f64 v[89:90], v[89:90], v[94:95]
	buffer_store_dword v90, off, s[0:3], 0 offset:204
	buffer_store_dword v89, off, s[0:3], 0 offset:200
.LBB43_109:
	s_or_b64 exec, exec, s[4:5]
	; wave barrier
	buffer_load_dword v89, off, s[0:3], 0 offset:208
	buffer_load_dword v90, off, s[0:3], 0 offset:212
	v_cmp_gt_u32_e32 vcc, 26, v0
	;; [unrolled: 40-line block ×18, first 2 shown]
	s_waitcnt vmcnt(0)
	ds_write_b64 v92, v[89:90]
	s_waitcnt lgkmcnt(0)
	; wave barrier
	s_and_saveexec_b64 s[4:5], vcc
	s_cbranch_execz .LBB43_177
; %bb.174:
	v_mov_b32_e32 v89, 0
	v_add_u32_e32 v94, -1, v0
	v_add_u32_e32 v95, 0x160, v91
	v_mov_b32_e32 v96, v91
	v_mov_b32_e32 v90, 0
	s_mov_b64 s[8:9], 0
.LBB43_175:                             ; =>This Inner Loop Header: Depth=1
	buffer_load_dword v97, v96, s[0:3], 0 offen
	buffer_load_dword v98, v96, s[0:3], 0 offen offset:4
	ds_read_b64 v[99:100], v95
	v_add_u32_e32 v94, 1, v94
	v_cmp_lt_u32_e32 vcc, 40, v94
	v_add_u32_e32 v95, 8, v95
	s_or_b64 s[8:9], vcc, s[8:9]
	v_add_u32_e32 v96, 8, v96
	s_waitcnt vmcnt(0) lgkmcnt(0)
	v_fma_f64 v[89:90], v[97:98], v[99:100], v[89:90]
	s_andn2_b64 exec, exec, s[8:9]
	s_cbranch_execnz .LBB43_175
; %bb.176:
	s_or_b64 exec, exec, s[8:9]
	v_mov_b32_e32 v94, 0
	ds_read_b64 v[94:95], v94 offset:336
	s_waitcnt lgkmcnt(0)
	v_mul_f64 v[89:90], v[89:90], v[94:95]
	buffer_store_dword v90, off, s[0:3], 0 offset:340
	buffer_store_dword v89, off, s[0:3], 0 offset:336
.LBB43_177:
	s_or_b64 exec, exec, s[4:5]
	; wave barrier
	buffer_load_dword v89, off, s[0:3], 0 offset:344
	buffer_load_dword v90, off, s[0:3], 0 offset:348
	v_cmp_ne_u32_e32 vcc, 43, v0
	s_waitcnt vmcnt(0)
	ds_write_b64 v92, v[89:90]
	s_waitcnt lgkmcnt(0)
	; wave barrier
	s_and_saveexec_b64 s[4:5], vcc
	s_cbranch_execz .LBB43_181
; %bb.178:
	v_mov_b32_e32 v89, 0
	v_add_u32_e32 v92, 0x160, v91
	v_mov_b32_e32 v90, 0
	s_mov_b64 s[8:9], 0
.LBB43_179:                             ; =>This Inner Loop Header: Depth=1
	buffer_load_dword v94, v91, s[0:3], 0 offen
	buffer_load_dword v95, v91, s[0:3], 0 offen offset:4
	ds_read_b64 v[96:97], v92
	v_add_u32_e32 v93, 1, v93
	v_cmp_lt_u32_e32 vcc, 41, v93
	v_add_u32_e32 v92, 8, v92
	s_or_b64 s[8:9], vcc, s[8:9]
	v_add_u32_e32 v91, 8, v91
	s_waitcnt vmcnt(0) lgkmcnt(0)
	v_fma_f64 v[89:90], v[94:95], v[96:97], v[89:90]
	s_andn2_b64 exec, exec, s[8:9]
	s_cbranch_execnz .LBB43_179
; %bb.180:
	s_or_b64 exec, exec, s[8:9]
	v_mov_b32_e32 v91, 0
	ds_read_b64 v[91:92], v91 offset:344
	s_waitcnt lgkmcnt(0)
	v_mul_f64 v[89:90], v[89:90], v[91:92]
	buffer_store_dword v90, off, s[0:3], 0 offset:348
	buffer_store_dword v89, off, s[0:3], 0 offset:344
.LBB43_181:
	s_or_b64 exec, exec, s[4:5]
	s_mov_b64 s[8:9], -1
	; wave barrier
.LBB43_182:
	s_and_b64 vcc, exec, s[8:9]
	s_cbranch_vccz .LBB43_184
; %bb.183:
	s_lshl_b64 s[4:5], s[6:7], 2
	s_add_u32 s4, s10, s4
	s_addc_u32 s5, s11, s5
	v_mov_b32_e32 v89, 0
	global_load_dword v89, v89, s[4:5]
	s_waitcnt vmcnt(0)
	v_cmp_ne_u32_e32 vcc, 0, v89
	s_cbranch_vccz .LBB43_185
.LBB43_184:
	s_endpgm
.LBB43_185:
	v_mov_b32_e32 v89, 0x160
	v_lshl_add_u32 v89, v0, 3, v89
	v_cmp_eq_u32_e32 vcc, 43, v0
	s_and_saveexec_b64 s[4:5], vcc
	s_cbranch_execz .LBB43_187
; %bb.186:
	buffer_load_dword v90, off, s[0:3], 0 offset:336
	buffer_load_dword v91, off, s[0:3], 0 offset:340
	v_mov_b32_e32 v92, 0
	buffer_store_dword v92, off, s[0:3], 0 offset:336
	buffer_store_dword v92, off, s[0:3], 0 offset:340
	s_waitcnt vmcnt(2)
	ds_write_b64 v89, v[90:91]
.LBB43_187:
	s_or_b64 exec, exec, s[4:5]
	s_waitcnt lgkmcnt(0)
	; wave barrier
	buffer_load_dword v91, off, s[0:3], 0 offset:344
	buffer_load_dword v92, off, s[0:3], 0 offset:348
	;; [unrolled: 1-line block ×4, first 2 shown]
	v_mov_b32_e32 v90, 0
	ds_read_b64 v[95:96], v90 offset:696
	v_cmp_lt_u32_e32 vcc, 41, v0
	s_waitcnt vmcnt(2) lgkmcnt(0)
	v_fma_f64 v[91:92], v[91:92], v[95:96], 0
	s_waitcnt vmcnt(0)
	v_add_f64 v[91:92], v[93:94], -v[91:92]
	buffer_store_dword v91, off, s[0:3], 0 offset:336
	buffer_store_dword v92, off, s[0:3], 0 offset:340
	s_and_saveexec_b64 s[4:5], vcc
	s_cbranch_execz .LBB43_189
; %bb.188:
	buffer_load_dword v91, off, s[0:3], 0 offset:328
	buffer_load_dword v92, off, s[0:3], 0 offset:332
	s_waitcnt vmcnt(0)
	ds_write_b64 v89, v[91:92]
	buffer_store_dword v90, off, s[0:3], 0 offset:328
	buffer_store_dword v90, off, s[0:3], 0 offset:332
.LBB43_189:
	s_or_b64 exec, exec, s[4:5]
	s_waitcnt lgkmcnt(0)
	; wave barrier
	buffer_load_dword v94, off, s[0:3], 0 offset:336
	buffer_load_dword v95, off, s[0:3], 0 offset:340
	;; [unrolled: 1-line block ×6, first 2 shown]
	ds_read_b128 v[90:93], v90 offset:688
	v_cmp_lt_u32_e32 vcc, 40, v0
	s_waitcnt vmcnt(4) lgkmcnt(0)
	v_fma_f64 v[90:91], v[94:95], v[90:91], 0
	s_waitcnt vmcnt(2)
	v_fma_f64 v[90:91], v[96:97], v[92:93], v[90:91]
	s_waitcnt vmcnt(0)
	v_add_f64 v[90:91], v[98:99], -v[90:91]
	buffer_store_dword v90, off, s[0:3], 0 offset:328
	buffer_store_dword v91, off, s[0:3], 0 offset:332
	s_and_saveexec_b64 s[4:5], vcc
	s_cbranch_execz .LBB43_191
; %bb.190:
	buffer_load_dword v90, off, s[0:3], 0 offset:320
	buffer_load_dword v91, off, s[0:3], 0 offset:324
	v_mov_b32_e32 v92, 0
	buffer_store_dword v92, off, s[0:3], 0 offset:320
	buffer_store_dword v92, off, s[0:3], 0 offset:324
	s_waitcnt vmcnt(2)
	ds_write_b64 v89, v[90:91]
.LBB43_191:
	s_or_b64 exec, exec, s[4:5]
	s_waitcnt lgkmcnt(0)
	; wave barrier
	buffer_load_dword v95, off, s[0:3], 0 offset:328
	buffer_load_dword v96, off, s[0:3], 0 offset:332
	;; [unrolled: 1-line block ×8, first 2 shown]
	v_mov_b32_e32 v90, 0
	ds_read2_b64 v[91:94], v90 offset0:85 offset1:86
	ds_read_b64 v[103:104], v90 offset:696
	v_cmp_lt_u32_e32 vcc, 39, v0
	s_waitcnt vmcnt(6) lgkmcnt(1)
	v_fma_f64 v[91:92], v[95:96], v[91:92], 0
	s_waitcnt vmcnt(4)
	v_fma_f64 v[91:92], v[97:98], v[93:94], v[91:92]
	s_waitcnt vmcnt(2) lgkmcnt(0)
	v_fma_f64 v[91:92], v[99:100], v[103:104], v[91:92]
	s_waitcnt vmcnt(0)
	v_add_f64 v[91:92], v[101:102], -v[91:92]
	buffer_store_dword v91, off, s[0:3], 0 offset:320
	buffer_store_dword v92, off, s[0:3], 0 offset:324
	s_and_saveexec_b64 s[4:5], vcc
	s_cbranch_execz .LBB43_193
; %bb.192:
	buffer_load_dword v91, off, s[0:3], 0 offset:312
	buffer_load_dword v92, off, s[0:3], 0 offset:316
	s_waitcnt vmcnt(0)
	ds_write_b64 v89, v[91:92]
	buffer_store_dword v90, off, s[0:3], 0 offset:312
	buffer_store_dword v90, off, s[0:3], 0 offset:316
.LBB43_193:
	s_or_b64 exec, exec, s[4:5]
	s_waitcnt lgkmcnt(0)
	; wave barrier
	buffer_load_dword v99, off, s[0:3], 0 offset:320
	buffer_load_dword v100, off, s[0:3], 0 offset:324
	buffer_load_dword v101, off, s[0:3], 0 offset:328
	buffer_load_dword v102, off, s[0:3], 0 offset:332
	buffer_load_dword v103, off, s[0:3], 0 offset:336
	buffer_load_dword v104, off, s[0:3], 0 offset:340
	buffer_load_dword v105, off, s[0:3], 0 offset:344
	buffer_load_dword v106, off, s[0:3], 0 offset:348
	buffer_load_dword v107, off, s[0:3], 0 offset:312
	buffer_load_dword v108, off, s[0:3], 0 offset:316
	ds_read_b128 v[91:94], v90 offset:672
	ds_read_b128 v[95:98], v90 offset:688
	v_cmp_lt_u32_e32 vcc, 38, v0
	s_waitcnt vmcnt(8) lgkmcnt(1)
	v_fma_f64 v[90:91], v[99:100], v[91:92], 0
	s_waitcnt vmcnt(6)
	v_fma_f64 v[90:91], v[101:102], v[93:94], v[90:91]
	s_waitcnt vmcnt(4) lgkmcnt(0)
	v_fma_f64 v[90:91], v[103:104], v[95:96], v[90:91]
	s_waitcnt vmcnt(2)
	v_fma_f64 v[90:91], v[105:106], v[97:98], v[90:91]
	s_waitcnt vmcnt(0)
	v_add_f64 v[90:91], v[107:108], -v[90:91]
	buffer_store_dword v90, off, s[0:3], 0 offset:312
	buffer_store_dword v91, off, s[0:3], 0 offset:316
	s_and_saveexec_b64 s[4:5], vcc
	s_cbranch_execz .LBB43_195
; %bb.194:
	buffer_load_dword v90, off, s[0:3], 0 offset:304
	buffer_load_dword v91, off, s[0:3], 0 offset:308
	v_mov_b32_e32 v92, 0
	buffer_store_dword v92, off, s[0:3], 0 offset:304
	buffer_store_dword v92, off, s[0:3], 0 offset:308
	s_waitcnt vmcnt(2)
	ds_write_b64 v89, v[90:91]
.LBB43_195:
	s_or_b64 exec, exec, s[4:5]
	s_waitcnt lgkmcnt(0)
	; wave barrier
	buffer_load_dword v99, off, s[0:3], 0 offset:312
	buffer_load_dword v100, off, s[0:3], 0 offset:316
	;; [unrolled: 1-line block ×12, first 2 shown]
	v_mov_b32_e32 v90, 0
	ds_read2_b64 v[91:94], v90 offset0:83 offset1:84
	ds_read2_b64 v[95:98], v90 offset0:85 offset1:86
	v_cmp_lt_u32_e32 vcc, 37, v0
	s_waitcnt vmcnt(10) lgkmcnt(1)
	v_fma_f64 v[91:92], v[99:100], v[91:92], 0
	s_waitcnt vmcnt(8)
	v_fma_f64 v[91:92], v[101:102], v[93:94], v[91:92]
	ds_read_b64 v[93:94], v90 offset:696
	s_waitcnt vmcnt(6) lgkmcnt(1)
	v_fma_f64 v[91:92], v[103:104], v[95:96], v[91:92]
	s_waitcnt vmcnt(4)
	v_fma_f64 v[91:92], v[105:106], v[97:98], v[91:92]
	s_waitcnt vmcnt(2) lgkmcnt(0)
	v_fma_f64 v[91:92], v[107:108], v[93:94], v[91:92]
	s_waitcnt vmcnt(0)
	v_add_f64 v[91:92], v[109:110], -v[91:92]
	buffer_store_dword v91, off, s[0:3], 0 offset:304
	buffer_store_dword v92, off, s[0:3], 0 offset:308
	s_and_saveexec_b64 s[4:5], vcc
	s_cbranch_execz .LBB43_197
; %bb.196:
	buffer_load_dword v91, off, s[0:3], 0 offset:296
	buffer_load_dword v92, off, s[0:3], 0 offset:300
	s_waitcnt vmcnt(0)
	ds_write_b64 v89, v[91:92]
	buffer_store_dword v90, off, s[0:3], 0 offset:296
	buffer_store_dword v90, off, s[0:3], 0 offset:300
.LBB43_197:
	s_or_b64 exec, exec, s[4:5]
	s_waitcnt lgkmcnt(0)
	; wave barrier
	buffer_load_dword v99, off, s[0:3], 0 offset:304
	buffer_load_dword v100, off, s[0:3], 0 offset:308
	;; [unrolled: 1-line block ×14, first 2 shown]
	ds_read_b128 v[91:94], v90 offset:656
	ds_read_b128 v[95:98], v90 offset:672
	v_cmp_lt_u32_e32 vcc, 36, v0
	s_waitcnt vmcnt(12) lgkmcnt(1)
	v_fma_f64 v[91:92], v[99:100], v[91:92], 0
	s_waitcnt vmcnt(10)
	v_fma_f64 v[91:92], v[101:102], v[93:94], v[91:92]
	s_waitcnt vmcnt(8) lgkmcnt(0)
	v_fma_f64 v[91:92], v[103:104], v[95:96], v[91:92]
	s_waitcnt vmcnt(6)
	v_fma_f64 v[94:95], v[105:106], v[97:98], v[91:92]
	ds_read_b128 v[90:93], v90 offset:688
	s_waitcnt vmcnt(4) lgkmcnt(0)
	v_fma_f64 v[90:91], v[107:108], v[90:91], v[94:95]
	s_waitcnt vmcnt(2)
	v_fma_f64 v[90:91], v[109:110], v[92:93], v[90:91]
	s_waitcnt vmcnt(0)
	v_add_f64 v[90:91], v[111:112], -v[90:91]
	buffer_store_dword v90, off, s[0:3], 0 offset:296
	buffer_store_dword v91, off, s[0:3], 0 offset:300
	s_and_saveexec_b64 s[4:5], vcc
	s_cbranch_execz .LBB43_199
; %bb.198:
	buffer_load_dword v90, off, s[0:3], 0 offset:288
	buffer_load_dword v91, off, s[0:3], 0 offset:292
	v_mov_b32_e32 v92, 0
	buffer_store_dword v92, off, s[0:3], 0 offset:288
	buffer_store_dword v92, off, s[0:3], 0 offset:292
	s_waitcnt vmcnt(2)
	ds_write_b64 v89, v[90:91]
.LBB43_199:
	s_or_b64 exec, exec, s[4:5]
	s_waitcnt lgkmcnt(0)
	; wave barrier
	buffer_load_dword v99, off, s[0:3], 0 offset:296
	buffer_load_dword v100, off, s[0:3], 0 offset:300
	;; [unrolled: 1-line block ×16, first 2 shown]
	v_mov_b32_e32 v90, 0
	ds_read2_b64 v[91:94], v90 offset0:81 offset1:82
	ds_read2_b64 v[95:98], v90 offset0:83 offset1:84
	v_cmp_lt_u32_e32 vcc, 35, v0
	s_waitcnt vmcnt(14) lgkmcnt(1)
	v_fma_f64 v[91:92], v[99:100], v[91:92], 0
	s_waitcnt vmcnt(12)
	v_fma_f64 v[91:92], v[101:102], v[93:94], v[91:92]
	s_waitcnt vmcnt(10) lgkmcnt(0)
	v_fma_f64 v[91:92], v[103:104], v[95:96], v[91:92]
	s_waitcnt vmcnt(8)
	v_fma_f64 v[95:96], v[105:106], v[97:98], v[91:92]
	ds_read2_b64 v[91:94], v90 offset0:85 offset1:86
	ds_read_b64 v[97:98], v90 offset:696
	s_waitcnt vmcnt(6) lgkmcnt(1)
	v_fma_f64 v[91:92], v[107:108], v[91:92], v[95:96]
	s_waitcnt vmcnt(4)
	v_fma_f64 v[91:92], v[109:110], v[93:94], v[91:92]
	s_waitcnt vmcnt(2) lgkmcnt(0)
	v_fma_f64 v[91:92], v[111:112], v[97:98], v[91:92]
	s_waitcnt vmcnt(0)
	v_add_f64 v[91:92], v[113:114], -v[91:92]
	buffer_store_dword v91, off, s[0:3], 0 offset:288
	buffer_store_dword v92, off, s[0:3], 0 offset:292
	s_and_saveexec_b64 s[4:5], vcc
	s_cbranch_execz .LBB43_201
; %bb.200:
	buffer_load_dword v91, off, s[0:3], 0 offset:280
	buffer_load_dword v92, off, s[0:3], 0 offset:284
	s_waitcnt vmcnt(0)
	ds_write_b64 v89, v[91:92]
	buffer_store_dword v90, off, s[0:3], 0 offset:280
	buffer_store_dword v90, off, s[0:3], 0 offset:284
.LBB43_201:
	s_or_b64 exec, exec, s[4:5]
	s_waitcnt lgkmcnt(0)
	; wave barrier
	buffer_load_dword v99, off, s[0:3], 0 offset:288
	buffer_load_dword v100, off, s[0:3], 0 offset:292
	;; [unrolled: 1-line block ×18, first 2 shown]
	ds_read_b128 v[91:94], v90 offset:640
	ds_read_b128 v[95:98], v90 offset:656
	v_cmp_lt_u32_e32 vcc, 34, v0
	s_waitcnt vmcnt(16) lgkmcnt(1)
	v_fma_f64 v[91:92], v[99:100], v[91:92], 0
	s_waitcnt vmcnt(14)
	v_fma_f64 v[91:92], v[101:102], v[93:94], v[91:92]
	s_waitcnt vmcnt(12) lgkmcnt(0)
	v_fma_f64 v[91:92], v[103:104], v[95:96], v[91:92]
	s_waitcnt vmcnt(10)
	v_fma_f64 v[99:100], v[105:106], v[97:98], v[91:92]
	ds_read_b128 v[91:94], v90 offset:672
	ds_read_b128 v[95:98], v90 offset:688
	s_waitcnt vmcnt(8) lgkmcnt(1)
	v_fma_f64 v[90:91], v[107:108], v[91:92], v[99:100]
	s_waitcnt vmcnt(6)
	v_fma_f64 v[90:91], v[109:110], v[93:94], v[90:91]
	s_waitcnt vmcnt(4) lgkmcnt(0)
	v_fma_f64 v[90:91], v[111:112], v[95:96], v[90:91]
	s_waitcnt vmcnt(2)
	v_fma_f64 v[90:91], v[113:114], v[97:98], v[90:91]
	s_waitcnt vmcnt(0)
	v_add_f64 v[90:91], v[115:116], -v[90:91]
	buffer_store_dword v90, off, s[0:3], 0 offset:280
	buffer_store_dword v91, off, s[0:3], 0 offset:284
	s_and_saveexec_b64 s[4:5], vcc
	s_cbranch_execz .LBB43_203
; %bb.202:
	buffer_load_dword v90, off, s[0:3], 0 offset:272
	buffer_load_dword v91, off, s[0:3], 0 offset:276
	v_mov_b32_e32 v92, 0
	buffer_store_dword v92, off, s[0:3], 0 offset:272
	buffer_store_dword v92, off, s[0:3], 0 offset:276
	s_waitcnt vmcnt(2)
	ds_write_b64 v89, v[90:91]
.LBB43_203:
	s_or_b64 exec, exec, s[4:5]
	s_waitcnt lgkmcnt(0)
	; wave barrier
	buffer_load_dword v99, off, s[0:3], 0 offset:280
	buffer_load_dword v100, off, s[0:3], 0 offset:284
	;; [unrolled: 1-line block ×20, first 2 shown]
	v_mov_b32_e32 v90, 0
	ds_read2_b64 v[91:94], v90 offset0:79 offset1:80
	ds_read2_b64 v[95:98], v90 offset0:81 offset1:82
	v_cmp_lt_u32_e32 vcc, 33, v0
	s_waitcnt vmcnt(18) lgkmcnt(1)
	v_fma_f64 v[91:92], v[99:100], v[91:92], 0
	s_waitcnt vmcnt(16)
	v_fma_f64 v[91:92], v[101:102], v[93:94], v[91:92]
	s_waitcnt vmcnt(14) lgkmcnt(0)
	v_fma_f64 v[91:92], v[103:104], v[95:96], v[91:92]
	s_waitcnt vmcnt(12)
	v_fma_f64 v[99:100], v[105:106], v[97:98], v[91:92]
	ds_read2_b64 v[91:94], v90 offset0:83 offset1:84
	ds_read2_b64 v[95:98], v90 offset0:85 offset1:86
	s_waitcnt vmcnt(10) lgkmcnt(1)
	v_fma_f64 v[91:92], v[107:108], v[91:92], v[99:100]
	s_waitcnt vmcnt(8)
	v_fma_f64 v[91:92], v[109:110], v[93:94], v[91:92]
	ds_read_b64 v[93:94], v90 offset:696
	s_waitcnt vmcnt(6) lgkmcnt(1)
	v_fma_f64 v[91:92], v[111:112], v[95:96], v[91:92]
	s_waitcnt vmcnt(3)
	v_fma_f64 v[91:92], v[113:114], v[97:98], v[91:92]
	s_waitcnt vmcnt(2) lgkmcnt(0)
	v_fma_f64 v[91:92], v[115:116], v[93:94], v[91:92]
	s_waitcnt vmcnt(0)
	v_add_f64 v[91:92], v[117:118], -v[91:92]
	buffer_store_dword v91, off, s[0:3], 0 offset:272
	buffer_store_dword v92, off, s[0:3], 0 offset:276
	s_and_saveexec_b64 s[4:5], vcc
	s_cbranch_execz .LBB43_205
; %bb.204:
	buffer_load_dword v91, off, s[0:3], 0 offset:264
	buffer_load_dword v92, off, s[0:3], 0 offset:268
	s_waitcnt vmcnt(0)
	ds_write_b64 v89, v[91:92]
	buffer_store_dword v90, off, s[0:3], 0 offset:264
	buffer_store_dword v90, off, s[0:3], 0 offset:268
.LBB43_205:
	s_or_b64 exec, exec, s[4:5]
	s_waitcnt lgkmcnt(0)
	; wave barrier
	buffer_load_dword v99, off, s[0:3], 0 offset:272
	buffer_load_dword v100, off, s[0:3], 0 offset:276
	;; [unrolled: 1-line block ×20, first 2 shown]
	ds_read_b128 v[91:94], v90 offset:624
	buffer_load_dword v119, off, s[0:3], 0 offset:264
	buffer_load_dword v120, off, s[0:3], 0 offset:268
	ds_read_b128 v[95:98], v90 offset:640
	v_cmp_lt_u32_e32 vcc, 32, v0
	s_waitcnt vmcnt(20) lgkmcnt(1)
	v_fma_f64 v[91:92], v[99:100], v[91:92], 0
	s_waitcnt vmcnt(18)
	v_fma_f64 v[91:92], v[101:102], v[93:94], v[91:92]
	s_waitcnt vmcnt(16) lgkmcnt(0)
	v_fma_f64 v[91:92], v[103:104], v[95:96], v[91:92]
	s_waitcnt vmcnt(14)
	v_fma_f64 v[99:100], v[105:106], v[97:98], v[91:92]
	ds_read_b128 v[91:94], v90 offset:656
	ds_read_b128 v[95:98], v90 offset:672
	s_waitcnt vmcnt(12) lgkmcnt(1)
	v_fma_f64 v[91:92], v[107:108], v[91:92], v[99:100]
	s_waitcnt vmcnt(10)
	v_fma_f64 v[91:92], v[109:110], v[93:94], v[91:92]
	s_waitcnt vmcnt(8) lgkmcnt(0)
	v_fma_f64 v[91:92], v[111:112], v[95:96], v[91:92]
	s_waitcnt vmcnt(4)
	v_fma_f64 v[94:95], v[113:114], v[97:98], v[91:92]
	ds_read_b128 v[90:93], v90 offset:688
	s_waitcnt vmcnt(3) lgkmcnt(0)
	v_fma_f64 v[90:91], v[117:118], v[90:91], v[94:95]
	s_waitcnt vmcnt(2)
	v_fma_f64 v[90:91], v[115:116], v[92:93], v[90:91]
	s_waitcnt vmcnt(0)
	v_add_f64 v[90:91], v[119:120], -v[90:91]
	buffer_store_dword v90, off, s[0:3], 0 offset:264
	buffer_store_dword v91, off, s[0:3], 0 offset:268
	s_and_saveexec_b64 s[4:5], vcc
	s_cbranch_execz .LBB43_207
; %bb.206:
	buffer_load_dword v90, off, s[0:3], 0 offset:256
	buffer_load_dword v91, off, s[0:3], 0 offset:260
	v_mov_b32_e32 v92, 0
	buffer_store_dword v92, off, s[0:3], 0 offset:256
	buffer_store_dword v92, off, s[0:3], 0 offset:260
	s_waitcnt vmcnt(2)
	ds_write_b64 v89, v[90:91]
.LBB43_207:
	s_or_b64 exec, exec, s[4:5]
	s_waitcnt lgkmcnt(0)
	; wave barrier
	buffer_load_dword v99, off, s[0:3], 0 offset:264
	buffer_load_dword v100, off, s[0:3], 0 offset:268
	;; [unrolled: 1-line block ×21, first 2 shown]
	v_mov_b32_e32 v90, 0
	ds_read2_b64 v[91:94], v90 offset0:77 offset1:78
	ds_read2_b64 v[95:98], v90 offset0:79 offset1:80
	buffer_load_dword v116, off, s[0:3], 0 offset:348
	v_cmp_lt_u32_e32 vcc, 31, v0
	s_waitcnt vmcnt(20) lgkmcnt(1)
	v_fma_f64 v[91:92], v[99:100], v[91:92], 0
	buffer_load_dword v99, off, s[0:3], 0 offset:256
	buffer_load_dword v100, off, s[0:3], 0 offset:260
	s_waitcnt vmcnt(20)
	v_fma_f64 v[91:92], v[101:102], v[93:94], v[91:92]
	s_waitcnt vmcnt(18) lgkmcnt(0)
	v_fma_f64 v[91:92], v[103:104], v[95:96], v[91:92]
	s_waitcnt vmcnt(16)
	v_fma_f64 v[101:102], v[105:106], v[97:98], v[91:92]
	ds_read2_b64 v[91:94], v90 offset0:81 offset1:82
	ds_read2_b64 v[95:98], v90 offset0:83 offset1:84
	s_waitcnt vmcnt(14) lgkmcnt(1)
	v_fma_f64 v[91:92], v[107:108], v[91:92], v[101:102]
	s_waitcnt vmcnt(12)
	v_fma_f64 v[91:92], v[109:110], v[93:94], v[91:92]
	s_waitcnt vmcnt(10) lgkmcnt(0)
	v_fma_f64 v[91:92], v[111:112], v[95:96], v[91:92]
	s_waitcnt vmcnt(5)
	v_fma_f64 v[95:96], v[113:114], v[97:98], v[91:92]
	ds_read2_b64 v[91:94], v90 offset0:85 offset1:86
	ds_read_b64 v[97:98], v90 offset:696
	s_waitcnt vmcnt(4) lgkmcnt(1)
	v_fma_f64 v[91:92], v[119:120], v[91:92], v[95:96]
	s_waitcnt vmcnt(3)
	v_fma_f64 v[91:92], v[117:118], v[93:94], v[91:92]
	s_waitcnt vmcnt(2) lgkmcnt(0)
	v_fma_f64 v[91:92], v[115:116], v[97:98], v[91:92]
	s_waitcnt vmcnt(0)
	v_add_f64 v[91:92], v[99:100], -v[91:92]
	buffer_store_dword v92, off, s[0:3], 0 offset:260
	buffer_store_dword v91, off, s[0:3], 0 offset:256
	s_and_saveexec_b64 s[4:5], vcc
	s_cbranch_execz .LBB43_209
; %bb.208:
	buffer_load_dword v91, off, s[0:3], 0 offset:248
	buffer_load_dword v92, off, s[0:3], 0 offset:252
	s_waitcnt vmcnt(0)
	ds_write_b64 v89, v[91:92]
	buffer_store_dword v90, off, s[0:3], 0 offset:248
	buffer_store_dword v90, off, s[0:3], 0 offset:252
.LBB43_209:
	s_or_b64 exec, exec, s[4:5]
	s_waitcnt lgkmcnt(0)
	; wave barrier
	buffer_load_dword v99, off, s[0:3], 0 offset:256
	buffer_load_dword v100, off, s[0:3], 0 offset:260
	;; [unrolled: 1-line block ×21, first 2 shown]
	ds_read_b128 v[91:94], v90 offset:608
	ds_read_b128 v[95:98], v90 offset:624
	buffer_load_dword v116, off, s[0:3], 0 offset:340
	v_cmp_lt_u32_e32 vcc, 30, v0
	s_waitcnt vmcnt(20) lgkmcnt(1)
	v_fma_f64 v[91:92], v[99:100], v[91:92], 0
	buffer_load_dword v100, off, s[0:3], 0 offset:348
	buffer_load_dword v99, off, s[0:3], 0 offset:344
	s_waitcnt vmcnt(20)
	v_fma_f64 v[91:92], v[101:102], v[93:94], v[91:92]
	buffer_load_dword v101, off, s[0:3], 0 offset:248
	buffer_load_dword v102, off, s[0:3], 0 offset:252
	s_waitcnt vmcnt(20) lgkmcnt(0)
	v_fma_f64 v[91:92], v[103:104], v[95:96], v[91:92]
	s_waitcnt vmcnt(18)
	v_fma_f64 v[103:104], v[105:106], v[97:98], v[91:92]
	ds_read_b128 v[91:94], v90 offset:640
	ds_read_b128 v[95:98], v90 offset:656
	s_waitcnt vmcnt(16) lgkmcnt(1)
	v_fma_f64 v[91:92], v[107:108], v[91:92], v[103:104]
	s_waitcnt vmcnt(14)
	v_fma_f64 v[91:92], v[109:110], v[93:94], v[91:92]
	s_waitcnt vmcnt(12) lgkmcnt(0)
	v_fma_f64 v[91:92], v[111:112], v[95:96], v[91:92]
	s_waitcnt vmcnt(7)
	v_fma_f64 v[103:104], v[113:114], v[97:98], v[91:92]
	ds_read_b128 v[91:94], v90 offset:672
	ds_read_b128 v[95:98], v90 offset:688
	s_waitcnt vmcnt(6) lgkmcnt(1)
	v_fma_f64 v[90:91], v[119:120], v[91:92], v[103:104]
	s_waitcnt vmcnt(5)
	v_fma_f64 v[90:91], v[117:118], v[93:94], v[90:91]
	s_waitcnt vmcnt(4) lgkmcnt(0)
	v_fma_f64 v[90:91], v[115:116], v[95:96], v[90:91]
	s_waitcnt vmcnt(2)
	v_fma_f64 v[90:91], v[99:100], v[97:98], v[90:91]
	s_waitcnt vmcnt(0)
	v_add_f64 v[90:91], v[101:102], -v[90:91]
	buffer_store_dword v91, off, s[0:3], 0 offset:252
	buffer_store_dword v90, off, s[0:3], 0 offset:248
	s_and_saveexec_b64 s[4:5], vcc
	s_cbranch_execz .LBB43_211
; %bb.210:
	buffer_load_dword v90, off, s[0:3], 0 offset:240
	buffer_load_dword v91, off, s[0:3], 0 offset:244
	v_mov_b32_e32 v92, 0
	buffer_store_dword v92, off, s[0:3], 0 offset:240
	buffer_store_dword v92, off, s[0:3], 0 offset:244
	s_waitcnt vmcnt(2)
	ds_write_b64 v89, v[90:91]
.LBB43_211:
	s_or_b64 exec, exec, s[4:5]
	s_waitcnt lgkmcnt(0)
	; wave barrier
	buffer_load_dword v99, off, s[0:3], 0 offset:248
	buffer_load_dword v100, off, s[0:3], 0 offset:252
	;; [unrolled: 1-line block ×21, first 2 shown]
	v_mov_b32_e32 v90, 0
	ds_read2_b64 v[91:94], v90 offset0:75 offset1:76
	ds_read2_b64 v[95:98], v90 offset0:77 offset1:78
	buffer_load_dword v116, off, s[0:3], 0 offset:332
	v_cmp_lt_u32_e32 vcc, 29, v0
	s_waitcnt vmcnt(20) lgkmcnt(1)
	v_fma_f64 v[91:92], v[99:100], v[91:92], 0
	s_waitcnt vmcnt(18)
	v_fma_f64 v[91:92], v[101:102], v[93:94], v[91:92]
	buffer_load_dword v100, off, s[0:3], 0 offset:340
	buffer_load_dword v101, off, s[0:3], 0 offset:344
	;; [unrolled: 1-line block ×4, first 2 shown]
	s_waitcnt vmcnt(20) lgkmcnt(0)
	v_fma_f64 v[91:92], v[103:104], v[95:96], v[91:92]
	buffer_load_dword v103, off, s[0:3], 0 offset:240
	buffer_load_dword v104, off, s[0:3], 0 offset:244
	s_waitcnt vmcnt(20)
	v_fma_f64 v[105:106], v[105:106], v[97:98], v[91:92]
	ds_read2_b64 v[91:94], v90 offset0:79 offset1:80
	ds_read2_b64 v[95:98], v90 offset0:81 offset1:82
	s_waitcnt vmcnt(18) lgkmcnt(1)
	v_fma_f64 v[91:92], v[107:108], v[91:92], v[105:106]
	s_waitcnt vmcnt(16)
	v_fma_f64 v[91:92], v[109:110], v[93:94], v[91:92]
	s_waitcnt vmcnt(14) lgkmcnt(0)
	v_fma_f64 v[91:92], v[111:112], v[95:96], v[91:92]
	s_waitcnt vmcnt(9)
	v_fma_f64 v[105:106], v[113:114], v[97:98], v[91:92]
	ds_read2_b64 v[91:94], v90 offset0:83 offset1:84
	ds_read2_b64 v[95:98], v90 offset0:85 offset1:86
	s_waitcnt vmcnt(8) lgkmcnt(1)
	v_fma_f64 v[91:92], v[119:120], v[91:92], v[105:106]
	s_waitcnt vmcnt(7)
	v_fma_f64 v[91:92], v[117:118], v[93:94], v[91:92]
	ds_read_b64 v[93:94], v90 offset:696
	s_waitcnt vmcnt(6) lgkmcnt(1)
	v_fma_f64 v[91:92], v[115:116], v[95:96], v[91:92]
	s_waitcnt vmcnt(3)
	v_fma_f64 v[91:92], v[99:100], v[97:98], v[91:92]
	s_waitcnt vmcnt(2) lgkmcnt(0)
	v_fma_f64 v[91:92], v[101:102], v[93:94], v[91:92]
	s_waitcnt vmcnt(0)
	v_add_f64 v[91:92], v[103:104], -v[91:92]
	buffer_store_dword v92, off, s[0:3], 0 offset:244
	buffer_store_dword v91, off, s[0:3], 0 offset:240
	s_and_saveexec_b64 s[4:5], vcc
	s_cbranch_execz .LBB43_213
; %bb.212:
	buffer_load_dword v91, off, s[0:3], 0 offset:232
	buffer_load_dword v92, off, s[0:3], 0 offset:236
	s_waitcnt vmcnt(0)
	ds_write_b64 v89, v[91:92]
	buffer_store_dword v90, off, s[0:3], 0 offset:232
	buffer_store_dword v90, off, s[0:3], 0 offset:236
.LBB43_213:
	s_or_b64 exec, exec, s[4:5]
	s_waitcnt lgkmcnt(0)
	; wave barrier
	buffer_load_dword v99, off, s[0:3], 0 offset:240
	buffer_load_dword v100, off, s[0:3], 0 offset:244
	;; [unrolled: 1-line block ×22, first 2 shown]
	ds_read_b128 v[91:94], v90 offset:592
	ds_read_b128 v[95:98], v90 offset:608
	v_cmp_lt_u32_e32 vcc, 28, v0
	s_waitcnt vmcnt(20) lgkmcnt(1)
	v_fma_f64 v[91:92], v[99:100], v[91:92], 0
	s_waitcnt vmcnt(18)
	v_fma_f64 v[91:92], v[101:102], v[93:94], v[91:92]
	buffer_load_dword v100, off, s[0:3], 0 offset:332
	buffer_load_dword v101, off, s[0:3], 0 offset:344
	;; [unrolled: 1-line block ×6, first 2 shown]
	s_waitcnt vmcnt(22) lgkmcnt(0)
	v_fma_f64 v[91:92], v[103:104], v[95:96], v[91:92]
	s_waitcnt vmcnt(20)
	v_fma_f64 v[103:104], v[105:106], v[97:98], v[91:92]
	ds_read_b128 v[91:94], v90 offset:624
	buffer_load_dword v105, off, s[0:3], 0 offset:232
	buffer_load_dword v106, off, s[0:3], 0 offset:236
	ds_read_b128 v[95:98], v90 offset:640
	s_waitcnt vmcnt(20) lgkmcnt(1)
	v_fma_f64 v[91:92], v[107:108], v[91:92], v[103:104]
	s_waitcnt vmcnt(18)
	v_fma_f64 v[91:92], v[109:110], v[93:94], v[91:92]
	s_waitcnt vmcnt(16) lgkmcnt(0)
	v_fma_f64 v[91:92], v[111:112], v[95:96], v[91:92]
	s_waitcnt vmcnt(11)
	v_fma_f64 v[103:104], v[113:114], v[97:98], v[91:92]
	ds_read_b128 v[91:94], v90 offset:656
	ds_read_b128 v[95:98], v90 offset:672
	s_waitcnt vmcnt(10) lgkmcnt(1)
	v_fma_f64 v[91:92], v[119:120], v[91:92], v[103:104]
	s_waitcnt vmcnt(9)
	v_fma_f64 v[91:92], v[117:118], v[93:94], v[91:92]
	s_waitcnt vmcnt(8) lgkmcnt(0)
	v_fma_f64 v[91:92], v[115:116], v[95:96], v[91:92]
	s_waitcnt vmcnt(4)
	v_fma_f64 v[94:95], v[99:100], v[97:98], v[91:92]
	ds_read_b128 v[90:93], v90 offset:688
	s_waitcnt vmcnt(3) lgkmcnt(0)
	v_fma_f64 v[90:91], v[121:122], v[90:91], v[94:95]
	s_waitcnt vmcnt(2)
	v_fma_f64 v[90:91], v[101:102], v[92:93], v[90:91]
	s_waitcnt vmcnt(0)
	v_add_f64 v[90:91], v[105:106], -v[90:91]
	buffer_store_dword v91, off, s[0:3], 0 offset:236
	buffer_store_dword v90, off, s[0:3], 0 offset:232
	s_and_saveexec_b64 s[4:5], vcc
	s_cbranch_execz .LBB43_215
; %bb.214:
	buffer_load_dword v90, off, s[0:3], 0 offset:224
	buffer_load_dword v91, off, s[0:3], 0 offset:228
	v_mov_b32_e32 v92, 0
	buffer_store_dword v92, off, s[0:3], 0 offset:224
	buffer_store_dword v92, off, s[0:3], 0 offset:228
	s_waitcnt vmcnt(2)
	ds_write_b64 v89, v[90:91]
.LBB43_215:
	s_or_b64 exec, exec, s[4:5]
	s_waitcnt lgkmcnt(0)
	; wave barrier
	buffer_load_dword v99, off, s[0:3], 0 offset:232
	buffer_load_dword v100, off, s[0:3], 0 offset:236
	;; [unrolled: 1-line block ×22, first 2 shown]
	v_mov_b32_e32 v90, 0
	ds_read2_b64 v[91:94], v90 offset0:73 offset1:74
	ds_read2_b64 v[95:98], v90 offset0:75 offset1:76
	v_cmp_lt_u32_e32 vcc, 27, v0
	s_waitcnt vmcnt(20) lgkmcnt(1)
	v_fma_f64 v[91:92], v[99:100], v[91:92], 0
	s_waitcnt vmcnt(18)
	v_fma_f64 v[91:92], v[101:102], v[93:94], v[91:92]
	buffer_load_dword v100, off, s[0:3], 0 offset:324
	buffer_load_dword v101, off, s[0:3], 0 offset:344
	;; [unrolled: 1-line block ×8, first 2 shown]
	s_waitcnt vmcnt(24) lgkmcnt(0)
	v_fma_f64 v[91:92], v[103:104], v[95:96], v[91:92]
	s_waitcnt vmcnt(22)
	v_fma_f64 v[103:104], v[105:106], v[97:98], v[91:92]
	ds_read2_b64 v[91:94], v90 offset0:77 offset1:78
	ds_read2_b64 v[95:98], v90 offset0:79 offset1:80
	s_waitcnt vmcnt(20) lgkmcnt(1)
	v_fma_f64 v[91:92], v[107:108], v[91:92], v[103:104]
	buffer_load_dword v103, off, s[0:3], 0 offset:224
	buffer_load_dword v104, off, s[0:3], 0 offset:228
	s_waitcnt vmcnt(20)
	v_fma_f64 v[91:92], v[109:110], v[93:94], v[91:92]
	s_waitcnt vmcnt(18) lgkmcnt(0)
	v_fma_f64 v[91:92], v[111:112], v[95:96], v[91:92]
	s_waitcnt vmcnt(13)
	v_fma_f64 v[105:106], v[113:114], v[97:98], v[91:92]
	ds_read2_b64 v[91:94], v90 offset0:81 offset1:82
	ds_read2_b64 v[95:98], v90 offset0:83 offset1:84
	s_waitcnt vmcnt(12) lgkmcnt(1)
	v_fma_f64 v[91:92], v[119:120], v[91:92], v[105:106]
	s_waitcnt vmcnt(11)
	v_fma_f64 v[91:92], v[117:118], v[93:94], v[91:92]
	s_waitcnt vmcnt(10) lgkmcnt(0)
	v_fma_f64 v[91:92], v[115:116], v[95:96], v[91:92]
	s_waitcnt vmcnt(5)
	v_fma_f64 v[95:96], v[99:100], v[97:98], v[91:92]
	ds_read2_b64 v[91:94], v90 offset0:85 offset1:86
	ds_read_b64 v[97:98], v90 offset:696
	s_waitcnt vmcnt(4) lgkmcnt(1)
	v_fma_f64 v[91:92], v[123:124], v[91:92], v[95:96]
	s_waitcnt vmcnt(3)
	v_fma_f64 v[91:92], v[121:122], v[93:94], v[91:92]
	s_waitcnt vmcnt(2) lgkmcnt(0)
	v_fma_f64 v[91:92], v[101:102], v[97:98], v[91:92]
	s_waitcnt vmcnt(0)
	v_add_f64 v[91:92], v[103:104], -v[91:92]
	buffer_store_dword v92, off, s[0:3], 0 offset:228
	buffer_store_dword v91, off, s[0:3], 0 offset:224
	s_and_saveexec_b64 s[4:5], vcc
	s_cbranch_execz .LBB43_217
; %bb.216:
	buffer_load_dword v91, off, s[0:3], 0 offset:216
	buffer_load_dword v92, off, s[0:3], 0 offset:220
	s_waitcnt vmcnt(0)
	ds_write_b64 v89, v[91:92]
	buffer_store_dword v90, off, s[0:3], 0 offset:216
	buffer_store_dword v90, off, s[0:3], 0 offset:220
.LBB43_217:
	s_or_b64 exec, exec, s[4:5]
	s_waitcnt lgkmcnt(0)
	; wave barrier
	buffer_load_dword v99, off, s[0:3], 0 offset:224
	buffer_load_dword v100, off, s[0:3], 0 offset:228
	;; [unrolled: 1-line block ×22, first 2 shown]
	ds_read_b128 v[91:94], v90 offset:576
	ds_read_b128 v[95:98], v90 offset:592
	v_cmp_lt_u32_e32 vcc, 26, v0
	s_waitcnt vmcnt(20) lgkmcnt(1)
	v_fma_f64 v[91:92], v[99:100], v[91:92], 0
	s_waitcnt vmcnt(18)
	v_fma_f64 v[91:92], v[101:102], v[93:94], v[91:92]
	buffer_load_dword v100, off, s[0:3], 0 offset:316
	buffer_load_dword v101, off, s[0:3], 0 offset:336
	;; [unrolled: 1-line block ×8, first 2 shown]
	s_waitcnt vmcnt(24) lgkmcnt(0)
	v_fma_f64 v[91:92], v[103:104], v[95:96], v[91:92]
	s_waitcnt vmcnt(22)
	v_fma_f64 v[103:104], v[105:106], v[97:98], v[91:92]
	ds_read_b128 v[91:94], v90 offset:608
	ds_read_b128 v[95:98], v90 offset:624
	s_waitcnt vmcnt(20) lgkmcnt(1)
	v_fma_f64 v[91:92], v[107:108], v[91:92], v[103:104]
	buffer_load_dword v104, off, s[0:3], 0 offset:348
	buffer_load_dword v103, off, s[0:3], 0 offset:344
	;; [unrolled: 1-line block ×4, first 2 shown]
	s_waitcnt vmcnt(22)
	v_fma_f64 v[91:92], v[109:110], v[93:94], v[91:92]
	s_waitcnt vmcnt(20) lgkmcnt(0)
	v_fma_f64 v[91:92], v[111:112], v[95:96], v[91:92]
	s_waitcnt vmcnt(15)
	v_fma_f64 v[107:108], v[113:114], v[97:98], v[91:92]
	ds_read_b128 v[91:94], v90 offset:640
	ds_read_b128 v[95:98], v90 offset:656
	s_waitcnt vmcnt(14) lgkmcnt(1)
	v_fma_f64 v[91:92], v[119:120], v[91:92], v[107:108]
	s_waitcnt vmcnt(13)
	v_fma_f64 v[91:92], v[117:118], v[93:94], v[91:92]
	s_waitcnt vmcnt(12) lgkmcnt(0)
	v_fma_f64 v[91:92], v[115:116], v[95:96], v[91:92]
	s_waitcnt vmcnt(7)
	v_fma_f64 v[99:100], v[99:100], v[97:98], v[91:92]
	ds_read_b128 v[91:94], v90 offset:672
	ds_read_b128 v[95:98], v90 offset:688
	s_waitcnt vmcnt(6) lgkmcnt(1)
	v_fma_f64 v[90:91], v[123:124], v[91:92], v[99:100]
	s_waitcnt vmcnt(5)
	v_fma_f64 v[90:91], v[121:122], v[93:94], v[90:91]
	s_waitcnt vmcnt(4) lgkmcnt(0)
	v_fma_f64 v[90:91], v[101:102], v[95:96], v[90:91]
	s_waitcnt vmcnt(2)
	v_fma_f64 v[90:91], v[103:104], v[97:98], v[90:91]
	s_waitcnt vmcnt(0)
	v_add_f64 v[90:91], v[105:106], -v[90:91]
	buffer_store_dword v91, off, s[0:3], 0 offset:220
	buffer_store_dword v90, off, s[0:3], 0 offset:216
	s_and_saveexec_b64 s[4:5], vcc
	s_cbranch_execz .LBB43_219
; %bb.218:
	buffer_load_dword v90, off, s[0:3], 0 offset:208
	buffer_load_dword v91, off, s[0:3], 0 offset:212
	v_mov_b32_e32 v92, 0
	buffer_store_dword v92, off, s[0:3], 0 offset:208
	buffer_store_dword v92, off, s[0:3], 0 offset:212
	s_waitcnt vmcnt(2)
	ds_write_b64 v89, v[90:91]
.LBB43_219:
	s_or_b64 exec, exec, s[4:5]
	s_waitcnt lgkmcnt(0)
	; wave barrier
	buffer_load_dword v99, off, s[0:3], 0 offset:216
	buffer_load_dword v100, off, s[0:3], 0 offset:220
	;; [unrolled: 1-line block ×22, first 2 shown]
	v_mov_b32_e32 v90, 0
	ds_read2_b64 v[91:94], v90 offset0:71 offset1:72
	ds_read2_b64 v[95:98], v90 offset0:73 offset1:74
	v_cmp_lt_u32_e32 vcc, 25, v0
	s_waitcnt vmcnt(20) lgkmcnt(1)
	v_fma_f64 v[91:92], v[99:100], v[91:92], 0
	s_waitcnt vmcnt(18)
	v_fma_f64 v[91:92], v[101:102], v[93:94], v[91:92]
	buffer_load_dword v100, off, s[0:3], 0 offset:308
	buffer_load_dword v101, off, s[0:3], 0 offset:328
	;; [unrolled: 1-line block ×7, first 2 shown]
	s_waitcnt vmcnt(23) lgkmcnt(0)
	v_fma_f64 v[91:92], v[103:104], v[95:96], v[91:92]
	s_waitcnt vmcnt(21)
	v_fma_f64 v[102:103], v[105:106], v[97:98], v[91:92]
	ds_read2_b64 v[91:94], v90 offset0:75 offset1:76
	ds_read2_b64 v[95:98], v90 offset0:77 offset1:78
	s_waitcnt vmcnt(19) lgkmcnt(1)
	v_fma_f64 v[91:92], v[107:108], v[91:92], v[102:103]
	buffer_load_dword v102, off, s[0:3], 0 offset:332
	buffer_load_dword v104, off, s[0:3], 0 offset:340
	;; [unrolled: 1-line block ×7, first 2 shown]
	s_waitcnt vmcnt(24)
	v_fma_f64 v[91:92], v[109:110], v[93:94], v[91:92]
	s_waitcnt vmcnt(22) lgkmcnt(0)
	v_fma_f64 v[91:92], v[111:112], v[95:96], v[91:92]
	s_waitcnt vmcnt(17)
	v_fma_f64 v[109:110], v[113:114], v[97:98], v[91:92]
	ds_read2_b64 v[91:94], v90 offset0:79 offset1:80
	ds_read2_b64 v[95:98], v90 offset0:81 offset1:82
	s_waitcnt vmcnt(16) lgkmcnt(1)
	v_fma_f64 v[91:92], v[119:120], v[91:92], v[109:110]
	s_waitcnt vmcnt(15)
	v_fma_f64 v[91:92], v[117:118], v[93:94], v[91:92]
	s_waitcnt vmcnt(14) lgkmcnt(0)
	v_fma_f64 v[91:92], v[115:116], v[95:96], v[91:92]
	s_waitcnt vmcnt(9)
	v_fma_f64 v[99:100], v[99:100], v[97:98], v[91:92]
	ds_read2_b64 v[91:94], v90 offset0:83 offset1:84
	ds_read2_b64 v[95:98], v90 offset0:85 offset1:86
	s_waitcnt vmcnt(8) lgkmcnt(1)
	v_fma_f64 v[91:92], v[123:124], v[91:92], v[99:100]
	s_waitcnt vmcnt(7)
	v_fma_f64 v[91:92], v[121:122], v[93:94], v[91:92]
	ds_read_b64 v[93:94], v90 offset:696
	s_waitcnt vmcnt(6) lgkmcnt(1)
	v_fma_f64 v[91:92], v[101:102], v[95:96], v[91:92]
	s_waitcnt vmcnt(3)
	v_fma_f64 v[91:92], v[103:104], v[97:98], v[91:92]
	s_waitcnt vmcnt(2) lgkmcnt(0)
	v_fma_f64 v[91:92], v[105:106], v[93:94], v[91:92]
	s_waitcnt vmcnt(0)
	v_add_f64 v[91:92], v[107:108], -v[91:92]
	buffer_store_dword v92, off, s[0:3], 0 offset:212
	buffer_store_dword v91, off, s[0:3], 0 offset:208
	s_and_saveexec_b64 s[4:5], vcc
	s_cbranch_execz .LBB43_221
; %bb.220:
	buffer_load_dword v91, off, s[0:3], 0 offset:200
	buffer_load_dword v92, off, s[0:3], 0 offset:204
	s_waitcnt vmcnt(0)
	ds_write_b64 v89, v[91:92]
	buffer_store_dword v90, off, s[0:3], 0 offset:200
	buffer_store_dword v90, off, s[0:3], 0 offset:204
.LBB43_221:
	s_or_b64 exec, exec, s[4:5]
	s_waitcnt lgkmcnt(0)
	; wave barrier
	buffer_load_dword v99, off, s[0:3], 0 offset:208
	buffer_load_dword v100, off, s[0:3], 0 offset:212
	;; [unrolled: 1-line block ×22, first 2 shown]
	ds_read_b128 v[91:94], v90 offset:560
	ds_read_b128 v[95:98], v90 offset:576
	v_cmp_lt_u32_e32 vcc, 24, v0
	s_waitcnt vmcnt(20) lgkmcnt(1)
	v_fma_f64 v[91:92], v[99:100], v[91:92], 0
	s_waitcnt vmcnt(18)
	v_fma_f64 v[91:92], v[101:102], v[93:94], v[91:92]
	buffer_load_dword v100, off, s[0:3], 0 offset:300
	buffer_load_dword v101, off, s[0:3], 0 offset:320
	;; [unrolled: 1-line block ×7, first 2 shown]
	s_waitcnt vmcnt(23) lgkmcnt(0)
	v_fma_f64 v[91:92], v[103:104], v[95:96], v[91:92]
	s_waitcnt vmcnt(21)
	v_fma_f64 v[102:103], v[105:106], v[97:98], v[91:92]
	ds_read_b128 v[91:94], v90 offset:592
	ds_read_b128 v[95:98], v90 offset:608
	s_waitcnt vmcnt(19) lgkmcnt(1)
	v_fma_f64 v[91:92], v[107:108], v[91:92], v[102:103]
	buffer_load_dword v102, off, s[0:3], 0 offset:324
	buffer_load_dword v104, off, s[0:3], 0 offset:332
	;; [unrolled: 1-line block ×7, first 2 shown]
	s_waitcnt vmcnt(24)
	v_fma_f64 v[91:92], v[109:110], v[93:94], v[91:92]
	s_waitcnt vmcnt(22) lgkmcnt(0)
	v_fma_f64 v[91:92], v[111:112], v[95:96], v[91:92]
	s_waitcnt vmcnt(17)
	v_fma_f64 v[109:110], v[113:114], v[97:98], v[91:92]
	ds_read_b128 v[91:94], v90 offset:624
	buffer_load_dword v111, off, s[0:3], 0 offset:200
	buffer_load_dword v112, off, s[0:3], 0 offset:204
	ds_read_b128 v[95:98], v90 offset:640
	s_waitcnt vmcnt(18) lgkmcnt(1)
	v_fma_f64 v[91:92], v[119:120], v[91:92], v[109:110]
	s_waitcnt vmcnt(17)
	v_fma_f64 v[91:92], v[117:118], v[93:94], v[91:92]
	s_waitcnt vmcnt(16) lgkmcnt(0)
	v_fma_f64 v[91:92], v[115:116], v[95:96], v[91:92]
	s_waitcnt vmcnt(11)
	v_fma_f64 v[99:100], v[99:100], v[97:98], v[91:92]
	ds_read_b128 v[91:94], v90 offset:656
	ds_read_b128 v[95:98], v90 offset:672
	s_waitcnt vmcnt(10) lgkmcnt(1)
	v_fma_f64 v[91:92], v[123:124], v[91:92], v[99:100]
	s_waitcnt vmcnt(9)
	v_fma_f64 v[91:92], v[121:122], v[93:94], v[91:92]
	s_waitcnt vmcnt(8) lgkmcnt(0)
	v_fma_f64 v[91:92], v[101:102], v[95:96], v[91:92]
	s_waitcnt vmcnt(4)
	v_fma_f64 v[94:95], v[103:104], v[97:98], v[91:92]
	ds_read_b128 v[90:93], v90 offset:688
	s_waitcnt vmcnt(3) lgkmcnt(0)
	v_fma_f64 v[90:91], v[107:108], v[90:91], v[94:95]
	s_waitcnt vmcnt(2)
	v_fma_f64 v[90:91], v[105:106], v[92:93], v[90:91]
	s_waitcnt vmcnt(0)
	v_add_f64 v[90:91], v[111:112], -v[90:91]
	buffer_store_dword v91, off, s[0:3], 0 offset:204
	buffer_store_dword v90, off, s[0:3], 0 offset:200
	s_and_saveexec_b64 s[4:5], vcc
	s_cbranch_execz .LBB43_223
; %bb.222:
	buffer_load_dword v90, off, s[0:3], 0 offset:192
	buffer_load_dword v91, off, s[0:3], 0 offset:196
	v_mov_b32_e32 v92, 0
	buffer_store_dword v92, off, s[0:3], 0 offset:192
	buffer_store_dword v92, off, s[0:3], 0 offset:196
	s_waitcnt vmcnt(2)
	ds_write_b64 v89, v[90:91]
.LBB43_223:
	s_or_b64 exec, exec, s[4:5]
	s_waitcnt lgkmcnt(0)
	; wave barrier
	buffer_load_dword v99, off, s[0:3], 0 offset:200
	buffer_load_dword v100, off, s[0:3], 0 offset:204
	;; [unrolled: 1-line block ×22, first 2 shown]
	v_mov_b32_e32 v90, 0
	ds_read2_b64 v[91:94], v90 offset0:69 offset1:70
	ds_read2_b64 v[95:98], v90 offset0:71 offset1:72
	v_cmp_lt_u32_e32 vcc, 23, v0
	s_waitcnt vmcnt(20) lgkmcnt(1)
	v_fma_f64 v[91:92], v[99:100], v[91:92], 0
	s_waitcnt vmcnt(18)
	v_fma_f64 v[91:92], v[101:102], v[93:94], v[91:92]
	buffer_load_dword v100, off, s[0:3], 0 offset:292
	buffer_load_dword v101, off, s[0:3], 0 offset:312
	;; [unrolled: 1-line block ×7, first 2 shown]
	s_waitcnt vmcnt(23) lgkmcnt(0)
	v_fma_f64 v[91:92], v[103:104], v[95:96], v[91:92]
	s_waitcnt vmcnt(21)
	v_fma_f64 v[102:103], v[105:106], v[97:98], v[91:92]
	ds_read2_b64 v[91:94], v90 offset0:73 offset1:74
	ds_read2_b64 v[95:98], v90 offset0:75 offset1:76
	s_waitcnt vmcnt(19) lgkmcnt(1)
	v_fma_f64 v[91:92], v[107:108], v[91:92], v[102:103]
	buffer_load_dword v102, off, s[0:3], 0 offset:316
	s_waitcnt vmcnt(18)
	v_fma_f64 v[91:92], v[109:110], v[93:94], v[91:92]
	buffer_load_dword v104, off, s[0:3], 0 offset:324
	buffer_load_dword v105, off, s[0:3], 0 offset:344
	;; [unrolled: 1-line block ×8, first 2 shown]
	s_waitcnt vmcnt(24) lgkmcnt(0)
	v_fma_f64 v[91:92], v[111:112], v[95:96], v[91:92]
	s_waitcnt vmcnt(19)
	v_fma_f64 v[111:112], v[113:114], v[97:98], v[91:92]
	ds_read2_b64 v[91:94], v90 offset0:77 offset1:78
	ds_read2_b64 v[95:98], v90 offset0:79 offset1:80
	s_waitcnt vmcnt(18) lgkmcnt(1)
	v_fma_f64 v[91:92], v[119:120], v[91:92], v[111:112]
	buffer_load_dword v111, off, s[0:3], 0 offset:192
	buffer_load_dword v112, off, s[0:3], 0 offset:196
	s_waitcnt vmcnt(19)
	v_fma_f64 v[91:92], v[117:118], v[93:94], v[91:92]
	s_waitcnt vmcnt(18) lgkmcnt(0)
	v_fma_f64 v[91:92], v[115:116], v[95:96], v[91:92]
	s_waitcnt vmcnt(13)
	v_fma_f64 v[99:100], v[99:100], v[97:98], v[91:92]
	ds_read2_b64 v[91:94], v90 offset0:81 offset1:82
	ds_read2_b64 v[95:98], v90 offset0:83 offset1:84
	s_waitcnt vmcnt(12) lgkmcnt(1)
	v_fma_f64 v[91:92], v[123:124], v[91:92], v[99:100]
	s_waitcnt vmcnt(11)
	v_fma_f64 v[91:92], v[121:122], v[93:94], v[91:92]
	s_waitcnt vmcnt(10) lgkmcnt(0)
	v_fma_f64 v[91:92], v[101:102], v[95:96], v[91:92]
	s_waitcnt vmcnt(5)
	v_fma_f64 v[95:96], v[103:104], v[97:98], v[91:92]
	ds_read2_b64 v[91:94], v90 offset0:85 offset1:86
	ds_read_b64 v[97:98], v90 offset:696
	s_waitcnt vmcnt(4) lgkmcnt(1)
	v_fma_f64 v[91:92], v[109:110], v[91:92], v[95:96]
	s_waitcnt vmcnt(3)
	v_fma_f64 v[91:92], v[107:108], v[93:94], v[91:92]
	s_waitcnt vmcnt(2) lgkmcnt(0)
	v_fma_f64 v[91:92], v[105:106], v[97:98], v[91:92]
	s_waitcnt vmcnt(0)
	v_add_f64 v[91:92], v[111:112], -v[91:92]
	buffer_store_dword v92, off, s[0:3], 0 offset:196
	buffer_store_dword v91, off, s[0:3], 0 offset:192
	s_and_saveexec_b64 s[4:5], vcc
	s_cbranch_execz .LBB43_225
; %bb.224:
	buffer_load_dword v91, off, s[0:3], 0 offset:184
	buffer_load_dword v92, off, s[0:3], 0 offset:188
	s_waitcnt vmcnt(0)
	ds_write_b64 v89, v[91:92]
	buffer_store_dword v90, off, s[0:3], 0 offset:184
	buffer_store_dword v90, off, s[0:3], 0 offset:188
.LBB43_225:
	s_or_b64 exec, exec, s[4:5]
	s_waitcnt lgkmcnt(0)
	; wave barrier
	buffer_load_dword v99, off, s[0:3], 0 offset:192
	buffer_load_dword v100, off, s[0:3], 0 offset:196
	;; [unrolled: 1-line block ×22, first 2 shown]
	ds_read_b128 v[91:94], v90 offset:544
	ds_read_b128 v[95:98], v90 offset:560
	v_cmp_lt_u32_e32 vcc, 22, v0
	s_waitcnt vmcnt(20) lgkmcnt(1)
	v_fma_f64 v[91:92], v[99:100], v[91:92], 0
	s_waitcnt vmcnt(18)
	v_fma_f64 v[91:92], v[101:102], v[93:94], v[91:92]
	buffer_load_dword v100, off, s[0:3], 0 offset:284
	buffer_load_dword v101, off, s[0:3], 0 offset:304
	;; [unrolled: 1-line block ×7, first 2 shown]
	s_waitcnt vmcnt(23) lgkmcnt(0)
	v_fma_f64 v[91:92], v[103:104], v[95:96], v[91:92]
	s_waitcnt vmcnt(21)
	v_fma_f64 v[102:103], v[105:106], v[97:98], v[91:92]
	ds_read_b128 v[91:94], v90 offset:576
	ds_read_b128 v[95:98], v90 offset:592
	s_waitcnt vmcnt(19) lgkmcnt(1)
	v_fma_f64 v[91:92], v[107:108], v[91:92], v[102:103]
	buffer_load_dword v102, off, s[0:3], 0 offset:308
	s_waitcnt vmcnt(18)
	v_fma_f64 v[91:92], v[109:110], v[93:94], v[91:92]
	buffer_load_dword v104, off, s[0:3], 0 offset:316
	buffer_load_dword v105, off, s[0:3], 0 offset:336
	;; [unrolled: 1-line block ×8, first 2 shown]
	s_waitcnt vmcnt(24) lgkmcnt(0)
	v_fma_f64 v[91:92], v[111:112], v[95:96], v[91:92]
	s_waitcnt vmcnt(19)
	v_fma_f64 v[111:112], v[113:114], v[97:98], v[91:92]
	ds_read_b128 v[91:94], v90 offset:608
	ds_read_b128 v[95:98], v90 offset:624
	s_waitcnt vmcnt(18) lgkmcnt(1)
	v_fma_f64 v[91:92], v[119:120], v[91:92], v[111:112]
	buffer_load_dword v112, off, s[0:3], 0 offset:348
	buffer_load_dword v111, off, s[0:3], 0 offset:344
	buffer_load_dword v113, off, s[0:3], 0 offset:184
	buffer_load_dword v114, off, s[0:3], 0 offset:188
	s_waitcnt vmcnt(21)
	v_fma_f64 v[91:92], v[117:118], v[93:94], v[91:92]
	s_waitcnt vmcnt(20) lgkmcnt(0)
	v_fma_f64 v[91:92], v[115:116], v[95:96], v[91:92]
	s_waitcnt vmcnt(15)
	v_fma_f64 v[99:100], v[99:100], v[97:98], v[91:92]
	ds_read_b128 v[91:94], v90 offset:640
	ds_read_b128 v[95:98], v90 offset:656
	s_waitcnt vmcnt(14) lgkmcnt(1)
	v_fma_f64 v[91:92], v[123:124], v[91:92], v[99:100]
	s_waitcnt vmcnt(13)
	v_fma_f64 v[91:92], v[121:122], v[93:94], v[91:92]
	s_waitcnt vmcnt(12) lgkmcnt(0)
	v_fma_f64 v[91:92], v[101:102], v[95:96], v[91:92]
	s_waitcnt vmcnt(7)
	v_fma_f64 v[99:100], v[103:104], v[97:98], v[91:92]
	ds_read_b128 v[91:94], v90 offset:672
	ds_read_b128 v[95:98], v90 offset:688
	s_waitcnt vmcnt(6) lgkmcnt(1)
	v_fma_f64 v[90:91], v[109:110], v[91:92], v[99:100]
	s_waitcnt vmcnt(5)
	v_fma_f64 v[90:91], v[107:108], v[93:94], v[90:91]
	s_waitcnt vmcnt(4) lgkmcnt(0)
	v_fma_f64 v[90:91], v[105:106], v[95:96], v[90:91]
	s_waitcnt vmcnt(2)
	v_fma_f64 v[90:91], v[111:112], v[97:98], v[90:91]
	s_waitcnt vmcnt(0)
	v_add_f64 v[90:91], v[113:114], -v[90:91]
	buffer_store_dword v91, off, s[0:3], 0 offset:188
	buffer_store_dword v90, off, s[0:3], 0 offset:184
	s_and_saveexec_b64 s[4:5], vcc
	s_cbranch_execz .LBB43_227
; %bb.226:
	buffer_load_dword v90, off, s[0:3], 0 offset:176
	buffer_load_dword v91, off, s[0:3], 0 offset:180
	v_mov_b32_e32 v92, 0
	buffer_store_dword v92, off, s[0:3], 0 offset:176
	buffer_store_dword v92, off, s[0:3], 0 offset:180
	s_waitcnt vmcnt(2)
	ds_write_b64 v89, v[90:91]
.LBB43_227:
	s_or_b64 exec, exec, s[4:5]
	s_waitcnt lgkmcnt(0)
	; wave barrier
	buffer_load_dword v99, off, s[0:3], 0 offset:184
	buffer_load_dword v100, off, s[0:3], 0 offset:188
	;; [unrolled: 1-line block ×21, first 2 shown]
	v_mov_b32_e32 v90, 0
	ds_read2_b64 v[91:94], v90 offset0:67 offset1:68
	ds_read2_b64 v[95:98], v90 offset0:69 offset1:70
	buffer_load_dword v116, off, s[0:3], 0 offset:268
	v_cmp_lt_u32_e32 vcc, 21, v0
	s_waitcnt vmcnt(20) lgkmcnt(1)
	v_fma_f64 v[91:92], v[99:100], v[91:92], 0
	s_waitcnt vmcnt(18)
	v_fma_f64 v[91:92], v[101:102], v[93:94], v[91:92]
	buffer_load_dword v100, off, s[0:3], 0 offset:276
	buffer_load_dword v101, off, s[0:3], 0 offset:296
	;; [unrolled: 1-line block ×7, first 2 shown]
	s_waitcnt vmcnt(23) lgkmcnt(0)
	v_fma_f64 v[91:92], v[103:104], v[95:96], v[91:92]
	s_waitcnt vmcnt(21)
	v_fma_f64 v[102:103], v[105:106], v[97:98], v[91:92]
	ds_read2_b64 v[91:94], v90 offset0:71 offset1:72
	ds_read2_b64 v[95:98], v90 offset0:73 offset1:74
	s_waitcnt vmcnt(19) lgkmcnt(1)
	v_fma_f64 v[91:92], v[107:108], v[91:92], v[102:103]
	buffer_load_dword v102, off, s[0:3], 0 offset:300
	s_waitcnt vmcnt(18)
	v_fma_f64 v[91:92], v[109:110], v[93:94], v[91:92]
	buffer_load_dword v104, off, s[0:3], 0 offset:308
	buffer_load_dword v105, off, s[0:3], 0 offset:328
	;; [unrolled: 1-line block ×7, first 2 shown]
	s_waitcnt vmcnt(23) lgkmcnt(0)
	v_fma_f64 v[91:92], v[111:112], v[95:96], v[91:92]
	s_waitcnt vmcnt(18)
	v_fma_f64 v[111:112], v[113:114], v[97:98], v[91:92]
	ds_read2_b64 v[91:94], v90 offset0:75 offset1:76
	ds_read2_b64 v[95:98], v90 offset0:77 offset1:78
	buffer_load_dword v106, off, s[0:3], 0 offset:332
	s_waitcnt vmcnt(18) lgkmcnt(1)
	v_fma_f64 v[91:92], v[119:120], v[91:92], v[111:112]
	buffer_load_dword v112, off, s[0:3], 0 offset:340
	buffer_load_dword v113, off, s[0:3], 0 offset:344
	;; [unrolled: 1-line block ×4, first 2 shown]
	s_waitcnt vmcnt(21)
	v_fma_f64 v[91:92], v[117:118], v[93:94], v[91:92]
	s_waitcnt vmcnt(20) lgkmcnt(0)
	v_fma_f64 v[91:92], v[115:116], v[95:96], v[91:92]
	buffer_load_dword v115, off, s[0:3], 0 offset:176
	buffer_load_dword v116, off, s[0:3], 0 offset:180
	s_waitcnt vmcnt(17)
	v_fma_f64 v[99:100], v[99:100], v[97:98], v[91:92]
	ds_read2_b64 v[91:94], v90 offset0:79 offset1:80
	ds_read2_b64 v[95:98], v90 offset0:81 offset1:82
	s_waitcnt vmcnt(16) lgkmcnt(1)
	v_fma_f64 v[91:92], v[123:124], v[91:92], v[99:100]
	s_waitcnt vmcnt(15)
	v_fma_f64 v[91:92], v[121:122], v[93:94], v[91:92]
	s_waitcnt vmcnt(14) lgkmcnt(0)
	v_fma_f64 v[91:92], v[101:102], v[95:96], v[91:92]
	s_waitcnt vmcnt(9)
	v_fma_f64 v[99:100], v[103:104], v[97:98], v[91:92]
	ds_read2_b64 v[91:94], v90 offset0:83 offset1:84
	ds_read2_b64 v[95:98], v90 offset0:85 offset1:86
	s_waitcnt vmcnt(8) lgkmcnt(1)
	v_fma_f64 v[91:92], v[109:110], v[91:92], v[99:100]
	s_waitcnt vmcnt(7)
	v_fma_f64 v[91:92], v[107:108], v[93:94], v[91:92]
	ds_read_b64 v[93:94], v90 offset:696
	s_waitcnt vmcnt(6) lgkmcnt(1)
	v_fma_f64 v[91:92], v[105:106], v[95:96], v[91:92]
	s_waitcnt vmcnt(3)
	v_fma_f64 v[91:92], v[111:112], v[97:98], v[91:92]
	s_waitcnt vmcnt(2) lgkmcnt(0)
	v_fma_f64 v[91:92], v[113:114], v[93:94], v[91:92]
	s_waitcnt vmcnt(0)
	v_add_f64 v[91:92], v[115:116], -v[91:92]
	buffer_store_dword v92, off, s[0:3], 0 offset:180
	buffer_store_dword v91, off, s[0:3], 0 offset:176
	s_and_saveexec_b64 s[4:5], vcc
	s_cbranch_execz .LBB43_229
; %bb.228:
	buffer_load_dword v91, off, s[0:3], 0 offset:168
	buffer_load_dword v92, off, s[0:3], 0 offset:172
	s_waitcnt vmcnt(0)
	ds_write_b64 v89, v[91:92]
	buffer_store_dword v90, off, s[0:3], 0 offset:168
	buffer_store_dword v90, off, s[0:3], 0 offset:172
.LBB43_229:
	s_or_b64 exec, exec, s[4:5]
	s_waitcnt lgkmcnt(0)
	; wave barrier
	buffer_load_dword v99, off, s[0:3], 0 offset:176
	buffer_load_dword v100, off, s[0:3], 0 offset:180
	;; [unrolled: 1-line block ×21, first 2 shown]
	ds_read_b128 v[91:94], v90 offset:528
	ds_read_b128 v[95:98], v90 offset:544
	buffer_load_dword v116, off, s[0:3], 0 offset:260
	v_cmp_lt_u32_e32 vcc, 20, v0
	s_waitcnt vmcnt(20) lgkmcnt(1)
	v_fma_f64 v[91:92], v[99:100], v[91:92], 0
	s_waitcnt vmcnt(18)
	v_fma_f64 v[91:92], v[101:102], v[93:94], v[91:92]
	buffer_load_dword v100, off, s[0:3], 0 offset:268
	buffer_load_dword v101, off, s[0:3], 0 offset:288
	;; [unrolled: 1-line block ×7, first 2 shown]
	s_waitcnt vmcnt(23) lgkmcnt(0)
	v_fma_f64 v[91:92], v[103:104], v[95:96], v[91:92]
	s_waitcnt vmcnt(21)
	v_fma_f64 v[102:103], v[105:106], v[97:98], v[91:92]
	ds_read_b128 v[91:94], v90 offset:560
	ds_read_b128 v[95:98], v90 offset:576
	s_waitcnt vmcnt(19) lgkmcnt(1)
	v_fma_f64 v[91:92], v[107:108], v[91:92], v[102:103]
	buffer_load_dword v102, off, s[0:3], 0 offset:292
	s_waitcnt vmcnt(18)
	v_fma_f64 v[91:92], v[109:110], v[93:94], v[91:92]
	buffer_load_dword v104, off, s[0:3], 0 offset:300
	buffer_load_dword v105, off, s[0:3], 0 offset:320
	;; [unrolled: 1-line block ×8, first 2 shown]
	s_waitcnt vmcnt(24) lgkmcnt(0)
	v_fma_f64 v[91:92], v[111:112], v[95:96], v[91:92]
	s_waitcnt vmcnt(19)
	v_fma_f64 v[111:112], v[113:114], v[97:98], v[91:92]
	ds_read_b128 v[91:94], v90 offset:592
	ds_read_b128 v[95:98], v90 offset:608
	s_waitcnt vmcnt(18) lgkmcnt(1)
	v_fma_f64 v[91:92], v[119:120], v[91:92], v[111:112]
	s_waitcnt vmcnt(17)
	v_fma_f64 v[91:92], v[117:118], v[93:94], v[91:92]
	buffer_load_dword v112, off, s[0:3], 0 offset:332
	buffer_load_dword v113, off, s[0:3], 0 offset:344
	;; [unrolled: 1-line block ×6, first 2 shown]
	s_waitcnt vmcnt(22) lgkmcnt(0)
	v_fma_f64 v[91:92], v[115:116], v[95:96], v[91:92]
	s_waitcnt vmcnt(17)
	v_fma_f64 v[99:100], v[99:100], v[97:98], v[91:92]
	ds_read_b128 v[91:94], v90 offset:624
	buffer_load_dword v115, off, s[0:3], 0 offset:168
	buffer_load_dword v116, off, s[0:3], 0 offset:172
	ds_read_b128 v[95:98], v90 offset:640
	s_waitcnt vmcnt(18) lgkmcnt(1)
	v_fma_f64 v[91:92], v[123:124], v[91:92], v[99:100]
	s_waitcnt vmcnt(17)
	v_fma_f64 v[91:92], v[121:122], v[93:94], v[91:92]
	s_waitcnt vmcnt(16) lgkmcnt(0)
	v_fma_f64 v[91:92], v[101:102], v[95:96], v[91:92]
	s_waitcnt vmcnt(11)
	v_fma_f64 v[99:100], v[103:104], v[97:98], v[91:92]
	ds_read_b128 v[91:94], v90 offset:656
	ds_read_b128 v[95:98], v90 offset:672
	s_waitcnt vmcnt(10) lgkmcnt(1)
	v_fma_f64 v[91:92], v[109:110], v[91:92], v[99:100]
	s_waitcnt vmcnt(9)
	v_fma_f64 v[91:92], v[107:108], v[93:94], v[91:92]
	s_waitcnt vmcnt(8) lgkmcnt(0)
	v_fma_f64 v[91:92], v[105:106], v[95:96], v[91:92]
	s_waitcnt vmcnt(4)
	v_fma_f64 v[94:95], v[111:112], v[97:98], v[91:92]
	ds_read_b128 v[90:93], v90 offset:688
	s_waitcnt vmcnt(3) lgkmcnt(0)
	v_fma_f64 v[90:91], v[117:118], v[90:91], v[94:95]
	s_waitcnt vmcnt(2)
	v_fma_f64 v[90:91], v[113:114], v[92:93], v[90:91]
	s_waitcnt vmcnt(0)
	v_add_f64 v[90:91], v[115:116], -v[90:91]
	buffer_store_dword v91, off, s[0:3], 0 offset:172
	buffer_store_dword v90, off, s[0:3], 0 offset:168
	s_and_saveexec_b64 s[4:5], vcc
	s_cbranch_execz .LBB43_231
; %bb.230:
	buffer_load_dword v90, off, s[0:3], 0 offset:160
	buffer_load_dword v91, off, s[0:3], 0 offset:164
	v_mov_b32_e32 v92, 0
	buffer_store_dword v92, off, s[0:3], 0 offset:160
	buffer_store_dword v92, off, s[0:3], 0 offset:164
	s_waitcnt vmcnt(2)
	ds_write_b64 v89, v[90:91]
.LBB43_231:
	s_or_b64 exec, exec, s[4:5]
	s_waitcnt lgkmcnt(0)
	; wave barrier
	buffer_load_dword v99, off, s[0:3], 0 offset:168
	buffer_load_dword v100, off, s[0:3], 0 offset:172
	;; [unrolled: 1-line block ×21, first 2 shown]
	v_mov_b32_e32 v90, 0
	ds_read2_b64 v[91:94], v90 offset0:65 offset1:66
	ds_read2_b64 v[95:98], v90 offset0:67 offset1:68
	buffer_load_dword v116, off, s[0:3], 0 offset:252
	v_cmp_lt_u32_e32 vcc, 19, v0
	s_waitcnt vmcnt(20) lgkmcnt(1)
	v_fma_f64 v[91:92], v[99:100], v[91:92], 0
	s_waitcnt vmcnt(18)
	v_fma_f64 v[91:92], v[101:102], v[93:94], v[91:92]
	buffer_load_dword v100, off, s[0:3], 0 offset:260
	buffer_load_dword v101, off, s[0:3], 0 offset:280
	;; [unrolled: 1-line block ×7, first 2 shown]
	s_waitcnt vmcnt(23) lgkmcnt(0)
	v_fma_f64 v[91:92], v[103:104], v[95:96], v[91:92]
	s_waitcnt vmcnt(21)
	v_fma_f64 v[102:103], v[105:106], v[97:98], v[91:92]
	ds_read2_b64 v[91:94], v90 offset0:69 offset1:70
	ds_read2_b64 v[95:98], v90 offset0:71 offset1:72
	s_waitcnt vmcnt(19) lgkmcnt(1)
	v_fma_f64 v[91:92], v[107:108], v[91:92], v[102:103]
	buffer_load_dword v102, off, s[0:3], 0 offset:284
	s_waitcnt vmcnt(18)
	v_fma_f64 v[91:92], v[109:110], v[93:94], v[91:92]
	buffer_load_dword v104, off, s[0:3], 0 offset:292
	buffer_load_dword v105, off, s[0:3], 0 offset:312
	;; [unrolled: 1-line block ×8, first 2 shown]
	s_waitcnt vmcnt(24) lgkmcnt(0)
	v_fma_f64 v[91:92], v[111:112], v[95:96], v[91:92]
	s_waitcnt vmcnt(19)
	v_fma_f64 v[111:112], v[113:114], v[97:98], v[91:92]
	ds_read2_b64 v[91:94], v90 offset0:73 offset1:74
	ds_read2_b64 v[95:98], v90 offset0:75 offset1:76
	s_waitcnt vmcnt(18) lgkmcnt(1)
	v_fma_f64 v[91:92], v[119:120], v[91:92], v[111:112]
	s_waitcnt vmcnt(17)
	v_fma_f64 v[91:92], v[117:118], v[93:94], v[91:92]
	buffer_load_dword v112, off, s[0:3], 0 offset:324
	buffer_load_dword v113, off, s[0:3], 0 offset:344
	;; [unrolled: 1-line block ×8, first 2 shown]
	s_waitcnt vmcnt(24) lgkmcnt(0)
	v_fma_f64 v[91:92], v[115:116], v[95:96], v[91:92]
	s_waitcnt vmcnt(19)
	v_fma_f64 v[99:100], v[99:100], v[97:98], v[91:92]
	ds_read2_b64 v[91:94], v90 offset0:77 offset1:78
	ds_read2_b64 v[95:98], v90 offset0:79 offset1:80
	s_waitcnt vmcnt(18) lgkmcnt(1)
	v_fma_f64 v[91:92], v[123:124], v[91:92], v[99:100]
	buffer_load_dword v99, off, s[0:3], 0 offset:160
	buffer_load_dword v100, off, s[0:3], 0 offset:164
	s_waitcnt vmcnt(19)
	v_fma_f64 v[91:92], v[121:122], v[93:94], v[91:92]
	s_waitcnt vmcnt(18) lgkmcnt(0)
	v_fma_f64 v[91:92], v[101:102], v[95:96], v[91:92]
	s_waitcnt vmcnt(13)
	v_fma_f64 v[101:102], v[103:104], v[97:98], v[91:92]
	ds_read2_b64 v[91:94], v90 offset0:81 offset1:82
	ds_read2_b64 v[95:98], v90 offset0:83 offset1:84
	s_waitcnt vmcnt(12) lgkmcnt(1)
	v_fma_f64 v[91:92], v[109:110], v[91:92], v[101:102]
	s_waitcnt vmcnt(11)
	v_fma_f64 v[91:92], v[107:108], v[93:94], v[91:92]
	s_waitcnt vmcnt(10) lgkmcnt(0)
	v_fma_f64 v[91:92], v[105:106], v[95:96], v[91:92]
	s_waitcnt vmcnt(5)
	v_fma_f64 v[95:96], v[111:112], v[97:98], v[91:92]
	ds_read2_b64 v[91:94], v90 offset0:85 offset1:86
	ds_read_b64 v[97:98], v90 offset:696
	s_waitcnt vmcnt(4) lgkmcnt(1)
	v_fma_f64 v[91:92], v[119:120], v[91:92], v[95:96]
	s_waitcnt vmcnt(3)
	v_fma_f64 v[91:92], v[117:118], v[93:94], v[91:92]
	s_waitcnt vmcnt(2) lgkmcnt(0)
	v_fma_f64 v[91:92], v[113:114], v[97:98], v[91:92]
	s_waitcnt vmcnt(0)
	v_add_f64 v[91:92], v[99:100], -v[91:92]
	buffer_store_dword v92, off, s[0:3], 0 offset:164
	buffer_store_dword v91, off, s[0:3], 0 offset:160
	s_and_saveexec_b64 s[4:5], vcc
	s_cbranch_execz .LBB43_233
; %bb.232:
	buffer_load_dword v91, off, s[0:3], 0 offset:152
	buffer_load_dword v92, off, s[0:3], 0 offset:156
	s_waitcnt vmcnt(0)
	ds_write_b64 v89, v[91:92]
	buffer_store_dword v90, off, s[0:3], 0 offset:152
	buffer_store_dword v90, off, s[0:3], 0 offset:156
.LBB43_233:
	s_or_b64 exec, exec, s[4:5]
	s_waitcnt lgkmcnt(0)
	; wave barrier
	buffer_load_dword v99, off, s[0:3], 0 offset:160
	buffer_load_dword v100, off, s[0:3], 0 offset:164
	;; [unrolled: 1-line block ×21, first 2 shown]
	ds_read_b128 v[91:94], v90 offset:512
	ds_read_b128 v[95:98], v90 offset:528
	buffer_load_dword v116, off, s[0:3], 0 offset:244
	v_cmp_lt_u32_e32 vcc, 18, v0
	s_waitcnt vmcnt(20) lgkmcnt(1)
	v_fma_f64 v[91:92], v[99:100], v[91:92], 0
	s_waitcnt vmcnt(18)
	v_fma_f64 v[91:92], v[101:102], v[93:94], v[91:92]
	buffer_load_dword v100, off, s[0:3], 0 offset:252
	buffer_load_dword v101, off, s[0:3], 0 offset:272
	;; [unrolled: 1-line block ×7, first 2 shown]
	s_waitcnt vmcnt(23) lgkmcnt(0)
	v_fma_f64 v[91:92], v[103:104], v[95:96], v[91:92]
	s_waitcnt vmcnt(21)
	v_fma_f64 v[102:103], v[105:106], v[97:98], v[91:92]
	ds_read_b128 v[91:94], v90 offset:544
	ds_read_b128 v[95:98], v90 offset:560
	s_waitcnt vmcnt(19) lgkmcnt(1)
	v_fma_f64 v[91:92], v[107:108], v[91:92], v[102:103]
	buffer_load_dword v102, off, s[0:3], 0 offset:276
	s_waitcnt vmcnt(18)
	v_fma_f64 v[91:92], v[109:110], v[93:94], v[91:92]
	buffer_load_dword v104, off, s[0:3], 0 offset:284
	buffer_load_dword v105, off, s[0:3], 0 offset:304
	;; [unrolled: 1-line block ×8, first 2 shown]
	s_waitcnt vmcnt(24) lgkmcnt(0)
	v_fma_f64 v[91:92], v[111:112], v[95:96], v[91:92]
	s_waitcnt vmcnt(19)
	v_fma_f64 v[111:112], v[113:114], v[97:98], v[91:92]
	ds_read_b128 v[91:94], v90 offset:576
	ds_read_b128 v[95:98], v90 offset:592
	s_waitcnt vmcnt(18) lgkmcnt(1)
	v_fma_f64 v[91:92], v[119:120], v[91:92], v[111:112]
	s_waitcnt vmcnt(17)
	v_fma_f64 v[91:92], v[117:118], v[93:94], v[91:92]
	buffer_load_dword v112, off, s[0:3], 0 offset:316
	buffer_load_dword v113, off, s[0:3], 0 offset:336
	;; [unrolled: 1-line block ×8, first 2 shown]
	s_waitcnt vmcnt(24) lgkmcnt(0)
	v_fma_f64 v[91:92], v[115:116], v[95:96], v[91:92]
	s_waitcnt vmcnt(19)
	v_fma_f64 v[99:100], v[99:100], v[97:98], v[91:92]
	ds_read_b128 v[91:94], v90 offset:608
	ds_read_b128 v[95:98], v90 offset:624
	s_waitcnt vmcnt(18) lgkmcnt(1)
	v_fma_f64 v[91:92], v[123:124], v[91:92], v[99:100]
	buffer_load_dword v100, off, s[0:3], 0 offset:348
	buffer_load_dword v99, off, s[0:3], 0 offset:344
	;; [unrolled: 1-line block ×4, first 2 shown]
	s_waitcnt vmcnt(21)
	v_fma_f64 v[91:92], v[121:122], v[93:94], v[91:92]
	s_waitcnt vmcnt(20) lgkmcnt(0)
	v_fma_f64 v[91:92], v[101:102], v[95:96], v[91:92]
	s_waitcnt vmcnt(15)
	v_fma_f64 v[101:102], v[103:104], v[97:98], v[91:92]
	ds_read_b128 v[91:94], v90 offset:640
	ds_read_b128 v[95:98], v90 offset:656
	s_waitcnt vmcnt(14) lgkmcnt(1)
	v_fma_f64 v[91:92], v[109:110], v[91:92], v[101:102]
	s_waitcnt vmcnt(13)
	v_fma_f64 v[91:92], v[107:108], v[93:94], v[91:92]
	s_waitcnt vmcnt(12) lgkmcnt(0)
	v_fma_f64 v[91:92], v[105:106], v[95:96], v[91:92]
	s_waitcnt vmcnt(7)
	v_fma_f64 v[101:102], v[111:112], v[97:98], v[91:92]
	ds_read_b128 v[91:94], v90 offset:672
	ds_read_b128 v[95:98], v90 offset:688
	s_waitcnt vmcnt(6) lgkmcnt(1)
	v_fma_f64 v[90:91], v[119:120], v[91:92], v[101:102]
	s_waitcnt vmcnt(5)
	v_fma_f64 v[90:91], v[117:118], v[93:94], v[90:91]
	s_waitcnt vmcnt(4) lgkmcnt(0)
	v_fma_f64 v[90:91], v[113:114], v[95:96], v[90:91]
	s_waitcnt vmcnt(2)
	v_fma_f64 v[90:91], v[99:100], v[97:98], v[90:91]
	s_waitcnt vmcnt(0)
	v_add_f64 v[90:91], v[115:116], -v[90:91]
	buffer_store_dword v91, off, s[0:3], 0 offset:156
	buffer_store_dword v90, off, s[0:3], 0 offset:152
	s_and_saveexec_b64 s[4:5], vcc
	s_cbranch_execz .LBB43_235
; %bb.234:
	buffer_load_dword v90, off, s[0:3], 0 offset:144
	buffer_load_dword v91, off, s[0:3], 0 offset:148
	v_mov_b32_e32 v92, 0
	buffer_store_dword v92, off, s[0:3], 0 offset:144
	buffer_store_dword v92, off, s[0:3], 0 offset:148
	s_waitcnt vmcnt(2)
	ds_write_b64 v89, v[90:91]
.LBB43_235:
	s_or_b64 exec, exec, s[4:5]
	s_waitcnt lgkmcnt(0)
	; wave barrier
	buffer_load_dword v99, off, s[0:3], 0 offset:152
	buffer_load_dword v100, off, s[0:3], 0 offset:156
	buffer_load_dword v101, off, s[0:3], 0 offset:160
	buffer_load_dword v102, off, s[0:3], 0 offset:164
	buffer_load_dword v103, off, s[0:3], 0 offset:168
	buffer_load_dword v104, off, s[0:3], 0 offset:172
	buffer_load_dword v105, off, s[0:3], 0 offset:176
	buffer_load_dword v106, off, s[0:3], 0 offset:180
	buffer_load_dword v107, off, s[0:3], 0 offset:184
	buffer_load_dword v108, off, s[0:3], 0 offset:188
	buffer_load_dword v109, off, s[0:3], 0 offset:192
	buffer_load_dword v110, off, s[0:3], 0 offset:196
	buffer_load_dword v111, off, s[0:3], 0 offset:200
	buffer_load_dword v112, off, s[0:3], 0 offset:204
	buffer_load_dword v114, off, s[0:3], 0 offset:212
	buffer_load_dword v115, off, s[0:3], 0 offset:232
	buffer_load_dword v117, off, s[0:3], 0 offset:224
	buffer_load_dword v119, off, s[0:3], 0 offset:216
	buffer_load_dword v113, off, s[0:3], 0 offset:208
	buffer_load_dword v120, off, s[0:3], 0 offset:220
	buffer_load_dword v118, off, s[0:3], 0 offset:228
	v_mov_b32_e32 v90, 0
	ds_read2_b64 v[91:94], v90 offset0:63 offset1:64
	ds_read2_b64 v[95:98], v90 offset0:65 offset1:66
	buffer_load_dword v116, off, s[0:3], 0 offset:236
	v_cmp_lt_u32_e32 vcc, 17, v0
	s_waitcnt vmcnt(20) lgkmcnt(1)
	v_fma_f64 v[91:92], v[99:100], v[91:92], 0
	s_waitcnt vmcnt(18)
	v_fma_f64 v[91:92], v[101:102], v[93:94], v[91:92]
	buffer_load_dword v100, off, s[0:3], 0 offset:244
	buffer_load_dword v101, off, s[0:3], 0 offset:264
	;; [unrolled: 1-line block ×7, first 2 shown]
	s_waitcnt vmcnt(23) lgkmcnt(0)
	v_fma_f64 v[91:92], v[103:104], v[95:96], v[91:92]
	s_waitcnt vmcnt(21)
	v_fma_f64 v[102:103], v[105:106], v[97:98], v[91:92]
	ds_read2_b64 v[91:94], v90 offset0:67 offset1:68
	ds_read2_b64 v[95:98], v90 offset0:69 offset1:70
	s_waitcnt vmcnt(19) lgkmcnt(1)
	v_fma_f64 v[91:92], v[107:108], v[91:92], v[102:103]
	buffer_load_dword v102, off, s[0:3], 0 offset:268
	s_waitcnt vmcnt(18)
	v_fma_f64 v[91:92], v[109:110], v[93:94], v[91:92]
	buffer_load_dword v104, off, s[0:3], 0 offset:276
	buffer_load_dword v105, off, s[0:3], 0 offset:296
	;; [unrolled: 1-line block ×8, first 2 shown]
	s_waitcnt vmcnt(24) lgkmcnt(0)
	v_fma_f64 v[91:92], v[111:112], v[95:96], v[91:92]
	s_waitcnt vmcnt(19)
	v_fma_f64 v[111:112], v[113:114], v[97:98], v[91:92]
	ds_read2_b64 v[91:94], v90 offset0:71 offset1:72
	ds_read2_b64 v[95:98], v90 offset0:73 offset1:74
	s_waitcnt vmcnt(18) lgkmcnt(1)
	v_fma_f64 v[91:92], v[119:120], v[91:92], v[111:112]
	s_waitcnt vmcnt(17)
	v_fma_f64 v[91:92], v[117:118], v[93:94], v[91:92]
	buffer_load_dword v112, off, s[0:3], 0 offset:308
	buffer_load_dword v113, off, s[0:3], 0 offset:328
	;; [unrolled: 1-line block ×7, first 2 shown]
	s_waitcnt vmcnt(23) lgkmcnt(0)
	v_fma_f64 v[91:92], v[115:116], v[95:96], v[91:92]
	s_waitcnt vmcnt(18)
	v_fma_f64 v[99:100], v[99:100], v[97:98], v[91:92]
	ds_read2_b64 v[91:94], v90 offset0:75 offset1:76
	ds_read2_b64 v[95:98], v90 offset0:77 offset1:78
	buffer_load_dword v114, off, s[0:3], 0 offset:332
	s_waitcnt vmcnt(18) lgkmcnt(1)
	v_fma_f64 v[91:92], v[123:124], v[91:92], v[99:100]
	buffer_load_dword v100, off, s[0:3], 0 offset:340
	buffer_load_dword v115, off, s[0:3], 0 offset:344
	;; [unrolled: 1-line block ×4, first 2 shown]
	s_waitcnt vmcnt(21)
	v_fma_f64 v[91:92], v[121:122], v[93:94], v[91:92]
	s_waitcnt vmcnt(20) lgkmcnt(0)
	v_fma_f64 v[91:92], v[101:102], v[95:96], v[91:92]
	buffer_load_dword v101, off, s[0:3], 0 offset:144
	buffer_load_dword v102, off, s[0:3], 0 offset:148
	s_waitcnt vmcnt(17)
	v_fma_f64 v[103:104], v[103:104], v[97:98], v[91:92]
	ds_read2_b64 v[91:94], v90 offset0:79 offset1:80
	ds_read2_b64 v[95:98], v90 offset0:81 offset1:82
	s_waitcnt vmcnt(16) lgkmcnt(1)
	v_fma_f64 v[91:92], v[109:110], v[91:92], v[103:104]
	s_waitcnt vmcnt(15)
	v_fma_f64 v[91:92], v[107:108], v[93:94], v[91:92]
	s_waitcnt vmcnt(14) lgkmcnt(0)
	v_fma_f64 v[91:92], v[105:106], v[95:96], v[91:92]
	s_waitcnt vmcnt(9)
	v_fma_f64 v[103:104], v[111:112], v[97:98], v[91:92]
	ds_read2_b64 v[91:94], v90 offset0:83 offset1:84
	ds_read2_b64 v[95:98], v90 offset0:85 offset1:86
	s_waitcnt vmcnt(8) lgkmcnt(1)
	v_fma_f64 v[91:92], v[119:120], v[91:92], v[103:104]
	s_waitcnt vmcnt(7)
	v_fma_f64 v[91:92], v[117:118], v[93:94], v[91:92]
	ds_read_b64 v[93:94], v90 offset:696
	s_waitcnt vmcnt(6) lgkmcnt(1)
	v_fma_f64 v[91:92], v[113:114], v[95:96], v[91:92]
	s_waitcnt vmcnt(3)
	v_fma_f64 v[91:92], v[99:100], v[97:98], v[91:92]
	s_waitcnt vmcnt(2) lgkmcnt(0)
	v_fma_f64 v[91:92], v[115:116], v[93:94], v[91:92]
	s_waitcnt vmcnt(0)
	v_add_f64 v[91:92], v[101:102], -v[91:92]
	buffer_store_dword v92, off, s[0:3], 0 offset:148
	buffer_store_dword v91, off, s[0:3], 0 offset:144
	s_and_saveexec_b64 s[4:5], vcc
	s_cbranch_execz .LBB43_237
; %bb.236:
	buffer_load_dword v91, off, s[0:3], 0 offset:136
	buffer_load_dword v92, off, s[0:3], 0 offset:140
	s_waitcnt vmcnt(0)
	ds_write_b64 v89, v[91:92]
	buffer_store_dword v90, off, s[0:3], 0 offset:136
	buffer_store_dword v90, off, s[0:3], 0 offset:140
.LBB43_237:
	s_or_b64 exec, exec, s[4:5]
	s_waitcnt lgkmcnt(0)
	; wave barrier
	buffer_load_dword v99, off, s[0:3], 0 offset:144
	buffer_load_dword v100, off, s[0:3], 0 offset:148
	;; [unrolled: 1-line block ×22, first 2 shown]
	ds_read_b128 v[91:94], v90 offset:496
	ds_read_b128 v[95:98], v90 offset:512
	v_cmp_lt_u32_e32 vcc, 16, v0
	s_waitcnt vmcnt(20) lgkmcnt(1)
	v_fma_f64 v[91:92], v[99:100], v[91:92], 0
	s_waitcnt vmcnt(18)
	v_fma_f64 v[91:92], v[101:102], v[93:94], v[91:92]
	buffer_load_dword v100, off, s[0:3], 0 offset:236
	buffer_load_dword v101, off, s[0:3], 0 offset:256
	;; [unrolled: 1-line block ×7, first 2 shown]
	s_waitcnt vmcnt(23) lgkmcnt(0)
	v_fma_f64 v[91:92], v[103:104], v[95:96], v[91:92]
	s_waitcnt vmcnt(21)
	v_fma_f64 v[102:103], v[105:106], v[97:98], v[91:92]
	ds_read_b128 v[91:94], v90 offset:528
	ds_read_b128 v[95:98], v90 offset:544
	s_waitcnt vmcnt(19) lgkmcnt(1)
	v_fma_f64 v[91:92], v[107:108], v[91:92], v[102:103]
	buffer_load_dword v102, off, s[0:3], 0 offset:260
	s_waitcnt vmcnt(18)
	v_fma_f64 v[91:92], v[109:110], v[93:94], v[91:92]
	buffer_load_dword v104, off, s[0:3], 0 offset:268
	buffer_load_dword v105, off, s[0:3], 0 offset:288
	buffer_load_dword v107, off, s[0:3], 0 offset:280
	buffer_load_dword v109, off, s[0:3], 0 offset:272
	buffer_load_dword v103, off, s[0:3], 0 offset:264
	buffer_load_dword v110, off, s[0:3], 0 offset:276
	buffer_load_dword v108, off, s[0:3], 0 offset:284
	buffer_load_dword v106, off, s[0:3], 0 offset:292
	s_waitcnt vmcnt(24) lgkmcnt(0)
	v_fma_f64 v[91:92], v[111:112], v[95:96], v[91:92]
	s_waitcnt vmcnt(19)
	v_fma_f64 v[111:112], v[113:114], v[97:98], v[91:92]
	ds_read_b128 v[91:94], v90 offset:560
	ds_read_b128 v[95:98], v90 offset:576
	s_waitcnt vmcnt(18) lgkmcnt(1)
	v_fma_f64 v[91:92], v[119:120], v[91:92], v[111:112]
	s_waitcnt vmcnt(17)
	v_fma_f64 v[91:92], v[117:118], v[93:94], v[91:92]
	buffer_load_dword v112, off, s[0:3], 0 offset:300
	buffer_load_dword v113, off, s[0:3], 0 offset:320
	buffer_load_dword v117, off, s[0:3], 0 offset:312
	buffer_load_dword v119, off, s[0:3], 0 offset:304
	buffer_load_dword v111, off, s[0:3], 0 offset:296
	buffer_load_dword v120, off, s[0:3], 0 offset:308
	buffer_load_dword v118, off, s[0:3], 0 offset:316
	buffer_load_dword v114, off, s[0:3], 0 offset:324
	s_waitcnt vmcnt(24) lgkmcnt(0)
	v_fma_f64 v[91:92], v[115:116], v[95:96], v[91:92]
	s_waitcnt vmcnt(19)
	v_fma_f64 v[99:100], v[99:100], v[97:98], v[91:92]
	ds_read_b128 v[91:94], v90 offset:592
	ds_read_b128 v[95:98], v90 offset:608
	s_waitcnt vmcnt(18) lgkmcnt(1)
	v_fma_f64 v[91:92], v[123:124], v[91:92], v[99:100]
	s_waitcnt vmcnt(17)
	v_fma_f64 v[91:92], v[121:122], v[93:94], v[91:92]
	buffer_load_dword v100, off, s[0:3], 0 offset:332
	buffer_load_dword v115, off, s[0:3], 0 offset:344
	;; [unrolled: 1-line block ×6, first 2 shown]
	s_waitcnt vmcnt(22) lgkmcnt(0)
	v_fma_f64 v[91:92], v[101:102], v[95:96], v[91:92]
	s_waitcnt vmcnt(17)
	v_fma_f64 v[101:102], v[103:104], v[97:98], v[91:92]
	ds_read_b128 v[91:94], v90 offset:624
	buffer_load_dword v103, off, s[0:3], 0 offset:136
	buffer_load_dword v104, off, s[0:3], 0 offset:140
	ds_read_b128 v[95:98], v90 offset:640
	s_waitcnt vmcnt(18) lgkmcnt(1)
	v_fma_f64 v[91:92], v[109:110], v[91:92], v[101:102]
	s_waitcnt vmcnt(17)
	v_fma_f64 v[91:92], v[107:108], v[93:94], v[91:92]
	s_waitcnt vmcnt(16) lgkmcnt(0)
	v_fma_f64 v[91:92], v[105:106], v[95:96], v[91:92]
	s_waitcnt vmcnt(11)
	v_fma_f64 v[101:102], v[111:112], v[97:98], v[91:92]
	ds_read_b128 v[91:94], v90 offset:656
	ds_read_b128 v[95:98], v90 offset:672
	s_waitcnt vmcnt(10) lgkmcnt(1)
	v_fma_f64 v[91:92], v[119:120], v[91:92], v[101:102]
	s_waitcnt vmcnt(9)
	v_fma_f64 v[91:92], v[117:118], v[93:94], v[91:92]
	s_waitcnt vmcnt(8) lgkmcnt(0)
	v_fma_f64 v[91:92], v[113:114], v[95:96], v[91:92]
	s_waitcnt vmcnt(4)
	v_fma_f64 v[94:95], v[99:100], v[97:98], v[91:92]
	ds_read_b128 v[90:93], v90 offset:688
	s_waitcnt vmcnt(3) lgkmcnt(0)
	v_fma_f64 v[90:91], v[121:122], v[90:91], v[94:95]
	s_waitcnt vmcnt(2)
	v_fma_f64 v[90:91], v[115:116], v[92:93], v[90:91]
	s_waitcnt vmcnt(0)
	v_add_f64 v[90:91], v[103:104], -v[90:91]
	buffer_store_dword v91, off, s[0:3], 0 offset:140
	buffer_store_dword v90, off, s[0:3], 0 offset:136
	s_and_saveexec_b64 s[4:5], vcc
	s_cbranch_execz .LBB43_239
; %bb.238:
	buffer_load_dword v90, off, s[0:3], 0 offset:128
	buffer_load_dword v91, off, s[0:3], 0 offset:132
	v_mov_b32_e32 v92, 0
	buffer_store_dword v92, off, s[0:3], 0 offset:128
	buffer_store_dword v92, off, s[0:3], 0 offset:132
	s_waitcnt vmcnt(2)
	ds_write_b64 v89, v[90:91]
.LBB43_239:
	s_or_b64 exec, exec, s[4:5]
	s_waitcnt lgkmcnt(0)
	; wave barrier
	buffer_load_dword v99, off, s[0:3], 0 offset:136
	buffer_load_dword v100, off, s[0:3], 0 offset:140
	;; [unrolled: 1-line block ×22, first 2 shown]
	v_mov_b32_e32 v90, 0
	ds_read2_b64 v[91:94], v90 offset0:61 offset1:62
	ds_read2_b64 v[95:98], v90 offset0:63 offset1:64
	v_cmp_lt_u32_e32 vcc, 15, v0
	s_waitcnt vmcnt(20) lgkmcnt(1)
	v_fma_f64 v[91:92], v[99:100], v[91:92], 0
	s_waitcnt vmcnt(18)
	v_fma_f64 v[91:92], v[101:102], v[93:94], v[91:92]
	buffer_load_dword v100, off, s[0:3], 0 offset:228
	buffer_load_dword v101, off, s[0:3], 0 offset:248
	;; [unrolled: 1-line block ×7, first 2 shown]
	s_waitcnt vmcnt(23) lgkmcnt(0)
	v_fma_f64 v[91:92], v[103:104], v[95:96], v[91:92]
	s_waitcnt vmcnt(21)
	v_fma_f64 v[102:103], v[105:106], v[97:98], v[91:92]
	ds_read2_b64 v[91:94], v90 offset0:65 offset1:66
	ds_read2_b64 v[95:98], v90 offset0:67 offset1:68
	s_waitcnt vmcnt(19) lgkmcnt(1)
	v_fma_f64 v[91:92], v[107:108], v[91:92], v[102:103]
	buffer_load_dword v102, off, s[0:3], 0 offset:252
	s_waitcnt vmcnt(18)
	v_fma_f64 v[91:92], v[109:110], v[93:94], v[91:92]
	buffer_load_dword v104, off, s[0:3], 0 offset:260
	buffer_load_dword v105, off, s[0:3], 0 offset:280
	buffer_load_dword v107, off, s[0:3], 0 offset:272
	buffer_load_dword v109, off, s[0:3], 0 offset:264
	buffer_load_dword v103, off, s[0:3], 0 offset:256
	buffer_load_dword v110, off, s[0:3], 0 offset:268
	buffer_load_dword v108, off, s[0:3], 0 offset:276
	buffer_load_dword v106, off, s[0:3], 0 offset:284
	s_waitcnt vmcnt(24) lgkmcnt(0)
	v_fma_f64 v[91:92], v[111:112], v[95:96], v[91:92]
	s_waitcnt vmcnt(19)
	v_fma_f64 v[111:112], v[113:114], v[97:98], v[91:92]
	ds_read2_b64 v[91:94], v90 offset0:69 offset1:70
	ds_read2_b64 v[95:98], v90 offset0:71 offset1:72
	s_waitcnt vmcnt(18) lgkmcnt(1)
	v_fma_f64 v[91:92], v[119:120], v[91:92], v[111:112]
	s_waitcnt vmcnt(17)
	v_fma_f64 v[91:92], v[117:118], v[93:94], v[91:92]
	buffer_load_dword v112, off, s[0:3], 0 offset:292
	buffer_load_dword v113, off, s[0:3], 0 offset:312
	buffer_load_dword v117, off, s[0:3], 0 offset:304
	buffer_load_dword v119, off, s[0:3], 0 offset:296
	buffer_load_dword v111, off, s[0:3], 0 offset:288
	buffer_load_dword v120, off, s[0:3], 0 offset:300
	buffer_load_dword v118, off, s[0:3], 0 offset:308
	buffer_load_dword v114, off, s[0:3], 0 offset:316
	s_waitcnt vmcnt(24) lgkmcnt(0)
	v_fma_f64 v[91:92], v[115:116], v[95:96], v[91:92]
	s_waitcnt vmcnt(19)
	v_fma_f64 v[99:100], v[99:100], v[97:98], v[91:92]
	ds_read2_b64 v[91:94], v90 offset0:73 offset1:74
	ds_read2_b64 v[95:98], v90 offset0:75 offset1:76
	s_waitcnt vmcnt(18) lgkmcnt(1)
	v_fma_f64 v[91:92], v[123:124], v[91:92], v[99:100]
	;; [unrolled: 18-line block ×3, first 2 shown]
	buffer_load_dword v101, off, s[0:3], 0 offset:128
	buffer_load_dword v102, off, s[0:3], 0 offset:132
	s_waitcnt vmcnt(19)
	v_fma_f64 v[91:92], v[107:108], v[93:94], v[91:92]
	s_waitcnt vmcnt(18) lgkmcnt(0)
	v_fma_f64 v[91:92], v[105:106], v[95:96], v[91:92]
	s_waitcnt vmcnt(13)
	v_fma_f64 v[103:104], v[111:112], v[97:98], v[91:92]
	ds_read2_b64 v[91:94], v90 offset0:81 offset1:82
	ds_read2_b64 v[95:98], v90 offset0:83 offset1:84
	s_waitcnt vmcnt(12) lgkmcnt(1)
	v_fma_f64 v[91:92], v[119:120], v[91:92], v[103:104]
	s_waitcnt vmcnt(11)
	v_fma_f64 v[91:92], v[117:118], v[93:94], v[91:92]
	s_waitcnt vmcnt(10) lgkmcnt(0)
	v_fma_f64 v[91:92], v[113:114], v[95:96], v[91:92]
	s_waitcnt vmcnt(5)
	v_fma_f64 v[95:96], v[99:100], v[97:98], v[91:92]
	ds_read2_b64 v[91:94], v90 offset0:85 offset1:86
	ds_read_b64 v[97:98], v90 offset:696
	s_waitcnt vmcnt(4) lgkmcnt(1)
	v_fma_f64 v[91:92], v[123:124], v[91:92], v[95:96]
	s_waitcnt vmcnt(3)
	v_fma_f64 v[91:92], v[121:122], v[93:94], v[91:92]
	s_waitcnt vmcnt(2) lgkmcnt(0)
	v_fma_f64 v[91:92], v[115:116], v[97:98], v[91:92]
	s_waitcnt vmcnt(0)
	v_add_f64 v[91:92], v[101:102], -v[91:92]
	buffer_store_dword v92, off, s[0:3], 0 offset:132
	buffer_store_dword v91, off, s[0:3], 0 offset:128
	s_and_saveexec_b64 s[4:5], vcc
	s_cbranch_execz .LBB43_241
; %bb.240:
	buffer_load_dword v91, off, s[0:3], 0 offset:120
	buffer_load_dword v92, off, s[0:3], 0 offset:124
	s_waitcnt vmcnt(0)
	ds_write_b64 v89, v[91:92]
	buffer_store_dword v90, off, s[0:3], 0 offset:120
	buffer_store_dword v90, off, s[0:3], 0 offset:124
.LBB43_241:
	s_or_b64 exec, exec, s[4:5]
	s_waitcnt lgkmcnt(0)
	; wave barrier
	buffer_load_dword v99, off, s[0:3], 0 offset:128
	buffer_load_dword v100, off, s[0:3], 0 offset:132
	;; [unrolled: 1-line block ×22, first 2 shown]
	ds_read_b128 v[91:94], v90 offset:480
	ds_read_b128 v[95:98], v90 offset:496
	v_cmp_lt_u32_e32 vcc, 14, v0
	s_waitcnt vmcnt(20) lgkmcnt(1)
	v_fma_f64 v[91:92], v[99:100], v[91:92], 0
	s_waitcnt vmcnt(18)
	v_fma_f64 v[91:92], v[101:102], v[93:94], v[91:92]
	buffer_load_dword v100, off, s[0:3], 0 offset:220
	buffer_load_dword v101, off, s[0:3], 0 offset:240
	;; [unrolled: 1-line block ×7, first 2 shown]
	s_waitcnt vmcnt(23) lgkmcnt(0)
	v_fma_f64 v[91:92], v[103:104], v[95:96], v[91:92]
	s_waitcnt vmcnt(21)
	v_fma_f64 v[102:103], v[105:106], v[97:98], v[91:92]
	ds_read_b128 v[91:94], v90 offset:512
	ds_read_b128 v[95:98], v90 offset:528
	s_waitcnt vmcnt(19) lgkmcnt(1)
	v_fma_f64 v[91:92], v[107:108], v[91:92], v[102:103]
	buffer_load_dword v102, off, s[0:3], 0 offset:244
	s_waitcnt vmcnt(18)
	v_fma_f64 v[91:92], v[109:110], v[93:94], v[91:92]
	buffer_load_dword v104, off, s[0:3], 0 offset:252
	buffer_load_dword v105, off, s[0:3], 0 offset:272
	buffer_load_dword v107, off, s[0:3], 0 offset:264
	buffer_load_dword v109, off, s[0:3], 0 offset:256
	buffer_load_dword v103, off, s[0:3], 0 offset:248
	buffer_load_dword v110, off, s[0:3], 0 offset:260
	buffer_load_dword v108, off, s[0:3], 0 offset:268
	buffer_load_dword v106, off, s[0:3], 0 offset:276
	s_waitcnt vmcnt(24) lgkmcnt(0)
	v_fma_f64 v[91:92], v[111:112], v[95:96], v[91:92]
	s_waitcnt vmcnt(19)
	v_fma_f64 v[111:112], v[113:114], v[97:98], v[91:92]
	ds_read_b128 v[91:94], v90 offset:544
	ds_read_b128 v[95:98], v90 offset:560
	s_waitcnt vmcnt(18) lgkmcnt(1)
	v_fma_f64 v[91:92], v[119:120], v[91:92], v[111:112]
	s_waitcnt vmcnt(17)
	v_fma_f64 v[91:92], v[117:118], v[93:94], v[91:92]
	buffer_load_dword v112, off, s[0:3], 0 offset:284
	buffer_load_dword v113, off, s[0:3], 0 offset:304
	buffer_load_dword v117, off, s[0:3], 0 offset:296
	buffer_load_dword v119, off, s[0:3], 0 offset:288
	buffer_load_dword v111, off, s[0:3], 0 offset:280
	buffer_load_dword v120, off, s[0:3], 0 offset:292
	buffer_load_dword v118, off, s[0:3], 0 offset:300
	buffer_load_dword v114, off, s[0:3], 0 offset:308
	s_waitcnt vmcnt(24) lgkmcnt(0)
	v_fma_f64 v[91:92], v[115:116], v[95:96], v[91:92]
	s_waitcnt vmcnt(19)
	v_fma_f64 v[99:100], v[99:100], v[97:98], v[91:92]
	ds_read_b128 v[91:94], v90 offset:576
	ds_read_b128 v[95:98], v90 offset:592
	s_waitcnt vmcnt(18) lgkmcnt(1)
	v_fma_f64 v[91:92], v[123:124], v[91:92], v[99:100]
	s_waitcnt vmcnt(17)
	v_fma_f64 v[91:92], v[121:122], v[93:94], v[91:92]
	buffer_load_dword v100, off, s[0:3], 0 offset:316
	buffer_load_dword v115, off, s[0:3], 0 offset:336
	buffer_load_dword v121, off, s[0:3], 0 offset:328
	buffer_load_dword v123, off, s[0:3], 0 offset:320
	buffer_load_dword v99, off, s[0:3], 0 offset:312
	buffer_load_dword v124, off, s[0:3], 0 offset:324
	buffer_load_dword v122, off, s[0:3], 0 offset:332
	buffer_load_dword v116, off, s[0:3], 0 offset:340
	s_waitcnt vmcnt(24) lgkmcnt(0)
	v_fma_f64 v[91:92], v[101:102], v[95:96], v[91:92]
	s_waitcnt vmcnt(19)
	v_fma_f64 v[101:102], v[103:104], v[97:98], v[91:92]
	ds_read_b128 v[91:94], v90 offset:608
	ds_read_b128 v[95:98], v90 offset:624
	s_waitcnt vmcnt(18) lgkmcnt(1)
	v_fma_f64 v[91:92], v[109:110], v[91:92], v[101:102]
	buffer_load_dword v102, off, s[0:3], 0 offset:348
	buffer_load_dword v101, off, s[0:3], 0 offset:344
	;; [unrolled: 1-line block ×4, first 2 shown]
	s_waitcnt vmcnt(21)
	v_fma_f64 v[91:92], v[107:108], v[93:94], v[91:92]
	s_waitcnt vmcnt(20) lgkmcnt(0)
	v_fma_f64 v[91:92], v[105:106], v[95:96], v[91:92]
	s_waitcnt vmcnt(15)
	v_fma_f64 v[105:106], v[111:112], v[97:98], v[91:92]
	ds_read_b128 v[91:94], v90 offset:640
	ds_read_b128 v[95:98], v90 offset:656
	s_waitcnt vmcnt(14) lgkmcnt(1)
	v_fma_f64 v[91:92], v[119:120], v[91:92], v[105:106]
	s_waitcnt vmcnt(13)
	v_fma_f64 v[91:92], v[117:118], v[93:94], v[91:92]
	s_waitcnt vmcnt(12) lgkmcnt(0)
	v_fma_f64 v[91:92], v[113:114], v[95:96], v[91:92]
	s_waitcnt vmcnt(7)
	v_fma_f64 v[99:100], v[99:100], v[97:98], v[91:92]
	ds_read_b128 v[91:94], v90 offset:672
	ds_read_b128 v[95:98], v90 offset:688
	s_waitcnt vmcnt(6) lgkmcnt(1)
	v_fma_f64 v[90:91], v[123:124], v[91:92], v[99:100]
	s_waitcnt vmcnt(5)
	v_fma_f64 v[90:91], v[121:122], v[93:94], v[90:91]
	s_waitcnt vmcnt(4) lgkmcnt(0)
	v_fma_f64 v[90:91], v[115:116], v[95:96], v[90:91]
	s_waitcnt vmcnt(2)
	v_fma_f64 v[90:91], v[101:102], v[97:98], v[90:91]
	s_waitcnt vmcnt(0)
	v_add_f64 v[90:91], v[103:104], -v[90:91]
	buffer_store_dword v91, off, s[0:3], 0 offset:124
	buffer_store_dword v90, off, s[0:3], 0 offset:120
	s_and_saveexec_b64 s[4:5], vcc
	s_cbranch_execz .LBB43_243
; %bb.242:
	buffer_load_dword v90, off, s[0:3], 0 offset:112
	buffer_load_dword v91, off, s[0:3], 0 offset:116
	v_mov_b32_e32 v92, 0
	buffer_store_dword v92, off, s[0:3], 0 offset:112
	buffer_store_dword v92, off, s[0:3], 0 offset:116
	s_waitcnt vmcnt(2)
	ds_write_b64 v89, v[90:91]
.LBB43_243:
	s_or_b64 exec, exec, s[4:5]
	s_waitcnt lgkmcnt(0)
	; wave barrier
	buffer_load_dword v99, off, s[0:3], 0 offset:120
	buffer_load_dword v100, off, s[0:3], 0 offset:124
	;; [unrolled: 1-line block ×22, first 2 shown]
	v_mov_b32_e32 v90, 0
	ds_read2_b64 v[91:94], v90 offset0:59 offset1:60
	ds_read2_b64 v[95:98], v90 offset0:61 offset1:62
	v_cmp_lt_u32_e32 vcc, 13, v0
	s_waitcnt vmcnt(20) lgkmcnt(1)
	v_fma_f64 v[91:92], v[99:100], v[91:92], 0
	s_waitcnt vmcnt(18)
	v_fma_f64 v[91:92], v[101:102], v[93:94], v[91:92]
	buffer_load_dword v100, off, s[0:3], 0 offset:212
	buffer_load_dword v101, off, s[0:3], 0 offset:232
	;; [unrolled: 1-line block ×7, first 2 shown]
	s_waitcnt vmcnt(23) lgkmcnt(0)
	v_fma_f64 v[91:92], v[103:104], v[95:96], v[91:92]
	s_waitcnt vmcnt(21)
	v_fma_f64 v[102:103], v[105:106], v[97:98], v[91:92]
	ds_read2_b64 v[91:94], v90 offset0:63 offset1:64
	ds_read2_b64 v[95:98], v90 offset0:65 offset1:66
	s_waitcnt vmcnt(19) lgkmcnt(1)
	v_fma_f64 v[91:92], v[107:108], v[91:92], v[102:103]
	buffer_load_dword v102, off, s[0:3], 0 offset:236
	s_waitcnt vmcnt(18)
	v_fma_f64 v[91:92], v[109:110], v[93:94], v[91:92]
	buffer_load_dword v104, off, s[0:3], 0 offset:244
	buffer_load_dword v105, off, s[0:3], 0 offset:264
	;; [unrolled: 1-line block ×7, first 2 shown]
	s_waitcnt vmcnt(23) lgkmcnt(0)
	v_fma_f64 v[91:92], v[111:112], v[95:96], v[91:92]
	s_waitcnt vmcnt(18)
	v_fma_f64 v[111:112], v[113:114], v[97:98], v[91:92]
	ds_read2_b64 v[91:94], v90 offset0:67 offset1:68
	ds_read2_b64 v[95:98], v90 offset0:69 offset1:70
	buffer_load_dword v106, off, s[0:3], 0 offset:268
	s_waitcnt vmcnt(18) lgkmcnt(1)
	v_fma_f64 v[91:92], v[119:120], v[91:92], v[111:112]
	s_waitcnt vmcnt(17)
	v_fma_f64 v[91:92], v[117:118], v[93:94], v[91:92]
	buffer_load_dword v112, off, s[0:3], 0 offset:276
	buffer_load_dword v113, off, s[0:3], 0 offset:296
	;; [unrolled: 1-line block ×8, first 2 shown]
	s_waitcnt vmcnt(24) lgkmcnt(0)
	v_fma_f64 v[91:92], v[115:116], v[95:96], v[91:92]
	s_waitcnt vmcnt(19)
	v_fma_f64 v[99:100], v[99:100], v[97:98], v[91:92]
	ds_read2_b64 v[91:94], v90 offset0:71 offset1:72
	ds_read2_b64 v[95:98], v90 offset0:73 offset1:74
	s_waitcnt vmcnt(18) lgkmcnt(1)
	v_fma_f64 v[91:92], v[123:124], v[91:92], v[99:100]
	s_waitcnt vmcnt(17)
	v_fma_f64 v[91:92], v[121:122], v[93:94], v[91:92]
	buffer_load_dword v100, off, s[0:3], 0 offset:308
	buffer_load_dword v115, off, s[0:3], 0 offset:328
	;; [unrolled: 1-line block ×7, first 2 shown]
	s_waitcnt vmcnt(23) lgkmcnt(0)
	v_fma_f64 v[91:92], v[101:102], v[95:96], v[91:92]
	s_waitcnt vmcnt(18)
	v_fma_f64 v[101:102], v[103:104], v[97:98], v[91:92]
	ds_read2_b64 v[91:94], v90 offset0:75 offset1:76
	ds_read2_b64 v[95:98], v90 offset0:77 offset1:78
	buffer_load_dword v116, off, s[0:3], 0 offset:332
	s_waitcnt vmcnt(18) lgkmcnt(1)
	v_fma_f64 v[91:92], v[109:110], v[91:92], v[101:102]
	buffer_load_dword v102, off, s[0:3], 0 offset:340
	buffer_load_dword v103, off, s[0:3], 0 offset:344
	;; [unrolled: 1-line block ×4, first 2 shown]
	s_waitcnt vmcnt(21)
	v_fma_f64 v[91:92], v[107:108], v[93:94], v[91:92]
	s_waitcnt vmcnt(20) lgkmcnt(0)
	v_fma_f64 v[91:92], v[105:106], v[95:96], v[91:92]
	buffer_load_dword v105, off, s[0:3], 0 offset:112
	buffer_load_dword v106, off, s[0:3], 0 offset:116
	s_waitcnt vmcnt(17)
	v_fma_f64 v[107:108], v[111:112], v[97:98], v[91:92]
	ds_read2_b64 v[91:94], v90 offset0:79 offset1:80
	ds_read2_b64 v[95:98], v90 offset0:81 offset1:82
	s_waitcnt vmcnt(16) lgkmcnt(1)
	v_fma_f64 v[91:92], v[119:120], v[91:92], v[107:108]
	s_waitcnt vmcnt(15)
	v_fma_f64 v[91:92], v[117:118], v[93:94], v[91:92]
	s_waitcnt vmcnt(14) lgkmcnt(0)
	v_fma_f64 v[91:92], v[113:114], v[95:96], v[91:92]
	s_waitcnt vmcnt(9)
	v_fma_f64 v[99:100], v[99:100], v[97:98], v[91:92]
	ds_read2_b64 v[91:94], v90 offset0:83 offset1:84
	ds_read2_b64 v[95:98], v90 offset0:85 offset1:86
	s_waitcnt vmcnt(8) lgkmcnt(1)
	v_fma_f64 v[91:92], v[123:124], v[91:92], v[99:100]
	s_waitcnt vmcnt(7)
	v_fma_f64 v[91:92], v[121:122], v[93:94], v[91:92]
	ds_read_b64 v[93:94], v90 offset:696
	s_waitcnt vmcnt(6) lgkmcnt(1)
	v_fma_f64 v[91:92], v[115:116], v[95:96], v[91:92]
	s_waitcnt vmcnt(3)
	v_fma_f64 v[91:92], v[101:102], v[97:98], v[91:92]
	s_waitcnt vmcnt(2) lgkmcnt(0)
	v_fma_f64 v[91:92], v[103:104], v[93:94], v[91:92]
	s_waitcnt vmcnt(0)
	v_add_f64 v[91:92], v[105:106], -v[91:92]
	buffer_store_dword v92, off, s[0:3], 0 offset:116
	buffer_store_dword v91, off, s[0:3], 0 offset:112
	s_and_saveexec_b64 s[4:5], vcc
	s_cbranch_execz .LBB43_245
; %bb.244:
	buffer_load_dword v91, off, s[0:3], 0 offset:104
	buffer_load_dword v92, off, s[0:3], 0 offset:108
	s_waitcnt vmcnt(0)
	ds_write_b64 v89, v[91:92]
	buffer_store_dword v90, off, s[0:3], 0 offset:104
	buffer_store_dword v90, off, s[0:3], 0 offset:108
.LBB43_245:
	s_or_b64 exec, exec, s[4:5]
	s_waitcnt lgkmcnt(0)
	; wave barrier
	buffer_load_dword v99, off, s[0:3], 0 offset:112
	buffer_load_dword v100, off, s[0:3], 0 offset:116
	;; [unrolled: 1-line block ×22, first 2 shown]
	ds_read_b128 v[91:94], v90 offset:464
	ds_read_b128 v[95:98], v90 offset:480
	v_cmp_lt_u32_e32 vcc, 12, v0
	s_waitcnt vmcnt(20) lgkmcnt(1)
	v_fma_f64 v[91:92], v[99:100], v[91:92], 0
	s_waitcnt vmcnt(18)
	v_fma_f64 v[91:92], v[101:102], v[93:94], v[91:92]
	buffer_load_dword v100, off, s[0:3], 0 offset:204
	buffer_load_dword v101, off, s[0:3], 0 offset:224
	;; [unrolled: 1-line block ×7, first 2 shown]
	s_waitcnt vmcnt(23) lgkmcnt(0)
	v_fma_f64 v[91:92], v[103:104], v[95:96], v[91:92]
	s_waitcnt vmcnt(21)
	v_fma_f64 v[102:103], v[105:106], v[97:98], v[91:92]
	ds_read_b128 v[91:94], v90 offset:496
	ds_read_b128 v[95:98], v90 offset:512
	s_waitcnt vmcnt(19) lgkmcnt(1)
	v_fma_f64 v[91:92], v[107:108], v[91:92], v[102:103]
	buffer_load_dword v102, off, s[0:3], 0 offset:228
	s_waitcnt vmcnt(18)
	v_fma_f64 v[91:92], v[109:110], v[93:94], v[91:92]
	buffer_load_dword v104, off, s[0:3], 0 offset:236
	buffer_load_dword v105, off, s[0:3], 0 offset:256
	;; [unrolled: 1-line block ×7, first 2 shown]
	s_waitcnt vmcnt(23) lgkmcnt(0)
	v_fma_f64 v[91:92], v[111:112], v[95:96], v[91:92]
	s_waitcnt vmcnt(18)
	v_fma_f64 v[111:112], v[113:114], v[97:98], v[91:92]
	ds_read_b128 v[91:94], v90 offset:528
	ds_read_b128 v[95:98], v90 offset:544
	buffer_load_dword v106, off, s[0:3], 0 offset:260
	s_waitcnt vmcnt(18) lgkmcnt(1)
	v_fma_f64 v[91:92], v[119:120], v[91:92], v[111:112]
	s_waitcnt vmcnt(17)
	v_fma_f64 v[91:92], v[117:118], v[93:94], v[91:92]
	buffer_load_dword v112, off, s[0:3], 0 offset:268
	buffer_load_dword v113, off, s[0:3], 0 offset:288
	buffer_load_dword v117, off, s[0:3], 0 offset:280
	buffer_load_dword v119, off, s[0:3], 0 offset:272
	buffer_load_dword v111, off, s[0:3], 0 offset:264
	buffer_load_dword v120, off, s[0:3], 0 offset:276
	buffer_load_dword v118, off, s[0:3], 0 offset:284
	buffer_load_dword v114, off, s[0:3], 0 offset:292
	s_waitcnt vmcnt(24) lgkmcnt(0)
	v_fma_f64 v[91:92], v[115:116], v[95:96], v[91:92]
	s_waitcnt vmcnt(19)
	v_fma_f64 v[99:100], v[99:100], v[97:98], v[91:92]
	ds_read_b128 v[91:94], v90 offset:560
	ds_read_b128 v[95:98], v90 offset:576
	s_waitcnt vmcnt(18) lgkmcnt(1)
	v_fma_f64 v[91:92], v[123:124], v[91:92], v[99:100]
	s_waitcnt vmcnt(17)
	v_fma_f64 v[91:92], v[121:122], v[93:94], v[91:92]
	buffer_load_dword v100, off, s[0:3], 0 offset:300
	buffer_load_dword v115, off, s[0:3], 0 offset:320
	;; [unrolled: 1-line block ×8, first 2 shown]
	s_waitcnt vmcnt(24) lgkmcnt(0)
	v_fma_f64 v[91:92], v[101:102], v[95:96], v[91:92]
	s_waitcnt vmcnt(19)
	v_fma_f64 v[101:102], v[103:104], v[97:98], v[91:92]
	ds_read_b128 v[91:94], v90 offset:592
	ds_read_b128 v[95:98], v90 offset:608
	s_waitcnt vmcnt(18) lgkmcnt(1)
	v_fma_f64 v[91:92], v[109:110], v[91:92], v[101:102]
	s_waitcnt vmcnt(17)
	v_fma_f64 v[91:92], v[107:108], v[93:94], v[91:92]
	buffer_load_dword v102, off, s[0:3], 0 offset:332
	buffer_load_dword v103, off, s[0:3], 0 offset:344
	;; [unrolled: 1-line block ×6, first 2 shown]
	s_waitcnt vmcnt(22) lgkmcnt(0)
	v_fma_f64 v[91:92], v[105:106], v[95:96], v[91:92]
	s_waitcnt vmcnt(17)
	v_fma_f64 v[105:106], v[111:112], v[97:98], v[91:92]
	ds_read_b128 v[91:94], v90 offset:624
	buffer_load_dword v109, off, s[0:3], 0 offset:104
	buffer_load_dword v110, off, s[0:3], 0 offset:108
	ds_read_b128 v[95:98], v90 offset:640
	s_waitcnt vmcnt(18) lgkmcnt(1)
	v_fma_f64 v[91:92], v[119:120], v[91:92], v[105:106]
	s_waitcnt vmcnt(17)
	v_fma_f64 v[91:92], v[117:118], v[93:94], v[91:92]
	s_waitcnt vmcnt(16) lgkmcnt(0)
	v_fma_f64 v[91:92], v[113:114], v[95:96], v[91:92]
	s_waitcnt vmcnt(11)
	v_fma_f64 v[99:100], v[99:100], v[97:98], v[91:92]
	ds_read_b128 v[91:94], v90 offset:656
	ds_read_b128 v[95:98], v90 offset:672
	s_waitcnt vmcnt(10) lgkmcnt(1)
	v_fma_f64 v[91:92], v[123:124], v[91:92], v[99:100]
	s_waitcnt vmcnt(9)
	v_fma_f64 v[91:92], v[121:122], v[93:94], v[91:92]
	s_waitcnt vmcnt(8) lgkmcnt(0)
	v_fma_f64 v[91:92], v[115:116], v[95:96], v[91:92]
	s_waitcnt vmcnt(4)
	v_fma_f64 v[94:95], v[101:102], v[97:98], v[91:92]
	ds_read_b128 v[90:93], v90 offset:688
	s_waitcnt vmcnt(3) lgkmcnt(0)
	v_fma_f64 v[90:91], v[107:108], v[90:91], v[94:95]
	s_waitcnt vmcnt(2)
	v_fma_f64 v[90:91], v[103:104], v[92:93], v[90:91]
	s_waitcnt vmcnt(0)
	v_add_f64 v[90:91], v[109:110], -v[90:91]
	buffer_store_dword v91, off, s[0:3], 0 offset:108
	buffer_store_dword v90, off, s[0:3], 0 offset:104
	s_and_saveexec_b64 s[4:5], vcc
	s_cbranch_execz .LBB43_247
; %bb.246:
	buffer_load_dword v90, off, s[0:3], 0 offset:96
	buffer_load_dword v91, off, s[0:3], 0 offset:100
	v_mov_b32_e32 v92, 0
	buffer_store_dword v92, off, s[0:3], 0 offset:96
	buffer_store_dword v92, off, s[0:3], 0 offset:100
	s_waitcnt vmcnt(2)
	ds_write_b64 v89, v[90:91]
.LBB43_247:
	s_or_b64 exec, exec, s[4:5]
	s_waitcnt lgkmcnt(0)
	; wave barrier
	buffer_load_dword v99, off, s[0:3], 0 offset:104
	buffer_load_dword v100, off, s[0:3], 0 offset:108
	;; [unrolled: 1-line block ×22, first 2 shown]
	v_mov_b32_e32 v90, 0
	ds_read2_b64 v[91:94], v90 offset0:57 offset1:58
	ds_read2_b64 v[95:98], v90 offset0:59 offset1:60
	v_cmp_lt_u32_e32 vcc, 11, v0
	s_waitcnt vmcnt(20) lgkmcnt(1)
	v_fma_f64 v[91:92], v[99:100], v[91:92], 0
	s_waitcnt vmcnt(18)
	v_fma_f64 v[91:92], v[101:102], v[93:94], v[91:92]
	buffer_load_dword v100, off, s[0:3], 0 offset:196
	buffer_load_dword v101, off, s[0:3], 0 offset:216
	;; [unrolled: 1-line block ×7, first 2 shown]
	s_waitcnt vmcnt(23) lgkmcnt(0)
	v_fma_f64 v[91:92], v[103:104], v[95:96], v[91:92]
	s_waitcnt vmcnt(21)
	v_fma_f64 v[102:103], v[105:106], v[97:98], v[91:92]
	ds_read2_b64 v[91:94], v90 offset0:61 offset1:62
	ds_read2_b64 v[95:98], v90 offset0:63 offset1:64
	s_waitcnt vmcnt(19) lgkmcnt(1)
	v_fma_f64 v[91:92], v[107:108], v[91:92], v[102:103]
	buffer_load_dword v102, off, s[0:3], 0 offset:220
	s_waitcnt vmcnt(18)
	v_fma_f64 v[91:92], v[109:110], v[93:94], v[91:92]
	buffer_load_dword v104, off, s[0:3], 0 offset:228
	buffer_load_dword v105, off, s[0:3], 0 offset:248
	buffer_load_dword v107, off, s[0:3], 0 offset:240
	buffer_load_dword v109, off, s[0:3], 0 offset:232
	buffer_load_dword v103, off, s[0:3], 0 offset:224
	buffer_load_dword v110, off, s[0:3], 0 offset:236
	buffer_load_dword v108, off, s[0:3], 0 offset:244
	s_waitcnt vmcnt(23) lgkmcnt(0)
	v_fma_f64 v[91:92], v[111:112], v[95:96], v[91:92]
	s_waitcnt vmcnt(18)
	v_fma_f64 v[111:112], v[113:114], v[97:98], v[91:92]
	ds_read2_b64 v[91:94], v90 offset0:65 offset1:66
	ds_read2_b64 v[95:98], v90 offset0:67 offset1:68
	buffer_load_dword v106, off, s[0:3], 0 offset:252
	s_waitcnt vmcnt(18) lgkmcnt(1)
	v_fma_f64 v[91:92], v[119:120], v[91:92], v[111:112]
	s_waitcnt vmcnt(17)
	v_fma_f64 v[91:92], v[117:118], v[93:94], v[91:92]
	buffer_load_dword v112, off, s[0:3], 0 offset:260
	buffer_load_dword v113, off, s[0:3], 0 offset:280
	buffer_load_dword v117, off, s[0:3], 0 offset:272
	buffer_load_dword v119, off, s[0:3], 0 offset:264
	buffer_load_dword v111, off, s[0:3], 0 offset:256
	buffer_load_dword v120, off, s[0:3], 0 offset:268
	buffer_load_dword v118, off, s[0:3], 0 offset:276
	buffer_load_dword v114, off, s[0:3], 0 offset:284
	s_waitcnt vmcnt(24) lgkmcnt(0)
	v_fma_f64 v[91:92], v[115:116], v[95:96], v[91:92]
	s_waitcnt vmcnt(19)
	v_fma_f64 v[99:100], v[99:100], v[97:98], v[91:92]
	ds_read2_b64 v[91:94], v90 offset0:69 offset1:70
	ds_read2_b64 v[95:98], v90 offset0:71 offset1:72
	s_waitcnt vmcnt(18) lgkmcnt(1)
	v_fma_f64 v[91:92], v[123:124], v[91:92], v[99:100]
	s_waitcnt vmcnt(17)
	v_fma_f64 v[91:92], v[121:122], v[93:94], v[91:92]
	buffer_load_dword v100, off, s[0:3], 0 offset:292
	buffer_load_dword v115, off, s[0:3], 0 offset:312
	buffer_load_dword v121, off, s[0:3], 0 offset:304
	buffer_load_dword v123, off, s[0:3], 0 offset:296
	buffer_load_dword v99, off, s[0:3], 0 offset:288
	buffer_load_dword v124, off, s[0:3], 0 offset:300
	buffer_load_dword v122, off, s[0:3], 0 offset:308
	buffer_load_dword v116, off, s[0:3], 0 offset:316
	s_waitcnt vmcnt(24) lgkmcnt(0)
	v_fma_f64 v[91:92], v[101:102], v[95:96], v[91:92]
	s_waitcnt vmcnt(19)
	v_fma_f64 v[101:102], v[103:104], v[97:98], v[91:92]
	ds_read2_b64 v[91:94], v90 offset0:73 offset1:74
	ds_read2_b64 v[95:98], v90 offset0:75 offset1:76
	;; [unrolled: 18-line block ×3, first 2 shown]
	s_waitcnt vmcnt(18) lgkmcnt(1)
	v_fma_f64 v[91:92], v[119:120], v[91:92], v[105:106]
	buffer_load_dword v105, off, s[0:3], 0 offset:96
	buffer_load_dword v106, off, s[0:3], 0 offset:100
	s_waitcnt vmcnt(19)
	v_fma_f64 v[91:92], v[117:118], v[93:94], v[91:92]
	s_waitcnt vmcnt(18) lgkmcnt(0)
	v_fma_f64 v[91:92], v[113:114], v[95:96], v[91:92]
	s_waitcnt vmcnt(13)
	v_fma_f64 v[99:100], v[99:100], v[97:98], v[91:92]
	ds_read2_b64 v[91:94], v90 offset0:81 offset1:82
	ds_read2_b64 v[95:98], v90 offset0:83 offset1:84
	s_waitcnt vmcnt(12) lgkmcnt(1)
	v_fma_f64 v[91:92], v[123:124], v[91:92], v[99:100]
	s_waitcnt vmcnt(11)
	v_fma_f64 v[91:92], v[121:122], v[93:94], v[91:92]
	s_waitcnt vmcnt(10) lgkmcnt(0)
	v_fma_f64 v[91:92], v[115:116], v[95:96], v[91:92]
	s_waitcnt vmcnt(5)
	v_fma_f64 v[95:96], v[101:102], v[97:98], v[91:92]
	ds_read2_b64 v[91:94], v90 offset0:85 offset1:86
	ds_read_b64 v[97:98], v90 offset:696
	s_waitcnt vmcnt(4) lgkmcnt(1)
	v_fma_f64 v[91:92], v[109:110], v[91:92], v[95:96]
	s_waitcnt vmcnt(3)
	v_fma_f64 v[91:92], v[107:108], v[93:94], v[91:92]
	s_waitcnt vmcnt(2) lgkmcnt(0)
	v_fma_f64 v[91:92], v[103:104], v[97:98], v[91:92]
	s_waitcnt vmcnt(0)
	v_add_f64 v[91:92], v[105:106], -v[91:92]
	buffer_store_dword v92, off, s[0:3], 0 offset:100
	buffer_store_dword v91, off, s[0:3], 0 offset:96
	s_and_saveexec_b64 s[4:5], vcc
	s_cbranch_execz .LBB43_249
; %bb.248:
	buffer_load_dword v91, off, s[0:3], 0 offset:88
	buffer_load_dword v92, off, s[0:3], 0 offset:92
	s_waitcnt vmcnt(0)
	ds_write_b64 v89, v[91:92]
	buffer_store_dword v90, off, s[0:3], 0 offset:88
	buffer_store_dword v90, off, s[0:3], 0 offset:92
.LBB43_249:
	s_or_b64 exec, exec, s[4:5]
	s_waitcnt lgkmcnt(0)
	; wave barrier
	buffer_load_dword v99, off, s[0:3], 0 offset:96
	buffer_load_dword v100, off, s[0:3], 0 offset:100
	;; [unrolled: 1-line block ×22, first 2 shown]
	ds_read_b128 v[91:94], v90 offset:448
	ds_read_b128 v[95:98], v90 offset:464
	v_cmp_lt_u32_e32 vcc, 10, v0
	s_waitcnt vmcnt(20) lgkmcnt(1)
	v_fma_f64 v[91:92], v[99:100], v[91:92], 0
	s_waitcnt vmcnt(18)
	v_fma_f64 v[91:92], v[101:102], v[93:94], v[91:92]
	buffer_load_dword v100, off, s[0:3], 0 offset:188
	buffer_load_dword v101, off, s[0:3], 0 offset:208
	;; [unrolled: 1-line block ×7, first 2 shown]
	s_waitcnt vmcnt(23) lgkmcnt(0)
	v_fma_f64 v[91:92], v[103:104], v[95:96], v[91:92]
	s_waitcnt vmcnt(21)
	v_fma_f64 v[102:103], v[105:106], v[97:98], v[91:92]
	ds_read_b128 v[91:94], v90 offset:480
	ds_read_b128 v[95:98], v90 offset:496
	s_waitcnt vmcnt(19) lgkmcnt(1)
	v_fma_f64 v[91:92], v[107:108], v[91:92], v[102:103]
	buffer_load_dword v102, off, s[0:3], 0 offset:212
	s_waitcnt vmcnt(18)
	v_fma_f64 v[91:92], v[109:110], v[93:94], v[91:92]
	buffer_load_dword v104, off, s[0:3], 0 offset:220
	buffer_load_dword v105, off, s[0:3], 0 offset:240
	;; [unrolled: 1-line block ×7, first 2 shown]
	s_waitcnt vmcnt(23) lgkmcnt(0)
	v_fma_f64 v[91:92], v[111:112], v[95:96], v[91:92]
	s_waitcnt vmcnt(18)
	v_fma_f64 v[111:112], v[113:114], v[97:98], v[91:92]
	ds_read_b128 v[91:94], v90 offset:512
	ds_read_b128 v[95:98], v90 offset:528
	buffer_load_dword v106, off, s[0:3], 0 offset:244
	s_waitcnt vmcnt(18) lgkmcnt(1)
	v_fma_f64 v[91:92], v[119:120], v[91:92], v[111:112]
	s_waitcnt vmcnt(17)
	v_fma_f64 v[91:92], v[117:118], v[93:94], v[91:92]
	buffer_load_dword v112, off, s[0:3], 0 offset:252
	buffer_load_dword v113, off, s[0:3], 0 offset:272
	buffer_load_dword v117, off, s[0:3], 0 offset:264
	buffer_load_dword v119, off, s[0:3], 0 offset:256
	buffer_load_dword v111, off, s[0:3], 0 offset:248
	buffer_load_dword v120, off, s[0:3], 0 offset:260
	buffer_load_dword v118, off, s[0:3], 0 offset:268
	buffer_load_dword v114, off, s[0:3], 0 offset:276
	s_waitcnt vmcnt(24) lgkmcnt(0)
	v_fma_f64 v[91:92], v[115:116], v[95:96], v[91:92]
	s_waitcnt vmcnt(19)
	v_fma_f64 v[99:100], v[99:100], v[97:98], v[91:92]
	ds_read_b128 v[91:94], v90 offset:544
	ds_read_b128 v[95:98], v90 offset:560
	s_waitcnt vmcnt(18) lgkmcnt(1)
	v_fma_f64 v[91:92], v[123:124], v[91:92], v[99:100]
	s_waitcnt vmcnt(17)
	v_fma_f64 v[91:92], v[121:122], v[93:94], v[91:92]
	buffer_load_dword v100, off, s[0:3], 0 offset:284
	buffer_load_dword v115, off, s[0:3], 0 offset:304
	buffer_load_dword v121, off, s[0:3], 0 offset:296
	buffer_load_dword v123, off, s[0:3], 0 offset:288
	buffer_load_dword v99, off, s[0:3], 0 offset:280
	buffer_load_dword v124, off, s[0:3], 0 offset:292
	buffer_load_dword v122, off, s[0:3], 0 offset:300
	buffer_load_dword v116, off, s[0:3], 0 offset:308
	s_waitcnt vmcnt(24) lgkmcnt(0)
	v_fma_f64 v[91:92], v[101:102], v[95:96], v[91:92]
	s_waitcnt vmcnt(19)
	v_fma_f64 v[101:102], v[103:104], v[97:98], v[91:92]
	ds_read_b128 v[91:94], v90 offset:576
	ds_read_b128 v[95:98], v90 offset:592
	;; [unrolled: 18-line block ×3, first 2 shown]
	s_waitcnt vmcnt(18) lgkmcnt(1)
	v_fma_f64 v[91:92], v[119:120], v[91:92], v[105:106]
	buffer_load_dword v106, off, s[0:3], 0 offset:348
	buffer_load_dword v105, off, s[0:3], 0 offset:344
	;; [unrolled: 1-line block ×4, first 2 shown]
	s_waitcnt vmcnt(21)
	v_fma_f64 v[91:92], v[117:118], v[93:94], v[91:92]
	s_waitcnt vmcnt(20) lgkmcnt(0)
	v_fma_f64 v[91:92], v[113:114], v[95:96], v[91:92]
	s_waitcnt vmcnt(15)
	v_fma_f64 v[99:100], v[99:100], v[97:98], v[91:92]
	ds_read_b128 v[91:94], v90 offset:640
	ds_read_b128 v[95:98], v90 offset:656
	s_waitcnt vmcnt(14) lgkmcnt(1)
	v_fma_f64 v[91:92], v[123:124], v[91:92], v[99:100]
	s_waitcnt vmcnt(13)
	v_fma_f64 v[91:92], v[121:122], v[93:94], v[91:92]
	s_waitcnt vmcnt(12) lgkmcnt(0)
	v_fma_f64 v[91:92], v[115:116], v[95:96], v[91:92]
	s_waitcnt vmcnt(7)
	v_fma_f64 v[99:100], v[101:102], v[97:98], v[91:92]
	ds_read_b128 v[91:94], v90 offset:672
	ds_read_b128 v[95:98], v90 offset:688
	s_waitcnt vmcnt(6) lgkmcnt(1)
	v_fma_f64 v[90:91], v[109:110], v[91:92], v[99:100]
	s_waitcnt vmcnt(5)
	v_fma_f64 v[90:91], v[107:108], v[93:94], v[90:91]
	s_waitcnt vmcnt(4) lgkmcnt(0)
	v_fma_f64 v[90:91], v[103:104], v[95:96], v[90:91]
	s_waitcnt vmcnt(2)
	v_fma_f64 v[90:91], v[105:106], v[97:98], v[90:91]
	s_waitcnt vmcnt(0)
	v_add_f64 v[90:91], v[111:112], -v[90:91]
	buffer_store_dword v91, off, s[0:3], 0 offset:92
	buffer_store_dword v90, off, s[0:3], 0 offset:88
	s_and_saveexec_b64 s[4:5], vcc
	s_cbranch_execz .LBB43_251
; %bb.250:
	buffer_load_dword v90, off, s[0:3], 0 offset:80
	buffer_load_dword v91, off, s[0:3], 0 offset:84
	v_mov_b32_e32 v92, 0
	buffer_store_dword v92, off, s[0:3], 0 offset:80
	buffer_store_dword v92, off, s[0:3], 0 offset:84
	s_waitcnt vmcnt(2)
	ds_write_b64 v89, v[90:91]
.LBB43_251:
	s_or_b64 exec, exec, s[4:5]
	s_waitcnt lgkmcnt(0)
	; wave barrier
	buffer_load_dword v99, off, s[0:3], 0 offset:88
	buffer_load_dword v100, off, s[0:3], 0 offset:92
	;; [unrolled: 1-line block ×21, first 2 shown]
	v_mov_b32_e32 v90, 0
	ds_read2_b64 v[91:94], v90 offset0:55 offset1:56
	ds_read2_b64 v[95:98], v90 offset0:57 offset1:58
	buffer_load_dword v116, off, s[0:3], 0 offset:172
	v_cmp_lt_u32_e32 vcc, 9, v0
	s_waitcnt vmcnt(20) lgkmcnt(1)
	v_fma_f64 v[91:92], v[99:100], v[91:92], 0
	s_waitcnt vmcnt(18)
	v_fma_f64 v[91:92], v[101:102], v[93:94], v[91:92]
	buffer_load_dword v100, off, s[0:3], 0 offset:180
	buffer_load_dword v101, off, s[0:3], 0 offset:200
	;; [unrolled: 1-line block ×7, first 2 shown]
	s_waitcnt vmcnt(23) lgkmcnt(0)
	v_fma_f64 v[91:92], v[103:104], v[95:96], v[91:92]
	s_waitcnt vmcnt(21)
	v_fma_f64 v[102:103], v[105:106], v[97:98], v[91:92]
	ds_read2_b64 v[91:94], v90 offset0:59 offset1:60
	ds_read2_b64 v[95:98], v90 offset0:61 offset1:62
	s_waitcnt vmcnt(19) lgkmcnt(1)
	v_fma_f64 v[91:92], v[107:108], v[91:92], v[102:103]
	buffer_load_dword v102, off, s[0:3], 0 offset:204
	s_waitcnt vmcnt(18)
	v_fma_f64 v[91:92], v[109:110], v[93:94], v[91:92]
	buffer_load_dword v104, off, s[0:3], 0 offset:212
	buffer_load_dword v105, off, s[0:3], 0 offset:232
	;; [unrolled: 1-line block ×7, first 2 shown]
	s_waitcnt vmcnt(23) lgkmcnt(0)
	v_fma_f64 v[91:92], v[111:112], v[95:96], v[91:92]
	s_waitcnt vmcnt(18)
	v_fma_f64 v[111:112], v[113:114], v[97:98], v[91:92]
	ds_read2_b64 v[91:94], v90 offset0:63 offset1:64
	ds_read2_b64 v[95:98], v90 offset0:65 offset1:66
	buffer_load_dword v106, off, s[0:3], 0 offset:236
	s_waitcnt vmcnt(18) lgkmcnt(1)
	v_fma_f64 v[91:92], v[119:120], v[91:92], v[111:112]
	s_waitcnt vmcnt(17)
	v_fma_f64 v[91:92], v[117:118], v[93:94], v[91:92]
	buffer_load_dword v112, off, s[0:3], 0 offset:244
	buffer_load_dword v113, off, s[0:3], 0 offset:264
	buffer_load_dword v117, off, s[0:3], 0 offset:256
	buffer_load_dword v119, off, s[0:3], 0 offset:248
	buffer_load_dword v111, off, s[0:3], 0 offset:240
	buffer_load_dword v120, off, s[0:3], 0 offset:252
	buffer_load_dword v118, off, s[0:3], 0 offset:260
	s_waitcnt vmcnt(23) lgkmcnt(0)
	v_fma_f64 v[91:92], v[115:116], v[95:96], v[91:92]
	s_waitcnt vmcnt(18)
	v_fma_f64 v[99:100], v[99:100], v[97:98], v[91:92]
	ds_read2_b64 v[91:94], v90 offset0:67 offset1:68
	ds_read2_b64 v[95:98], v90 offset0:69 offset1:70
	buffer_load_dword v114, off, s[0:3], 0 offset:268
	s_waitcnt vmcnt(18) lgkmcnt(1)
	v_fma_f64 v[91:92], v[123:124], v[91:92], v[99:100]
	s_waitcnt vmcnt(17)
	v_fma_f64 v[91:92], v[121:122], v[93:94], v[91:92]
	buffer_load_dword v100, off, s[0:3], 0 offset:276
	buffer_load_dword v115, off, s[0:3], 0 offset:296
	;; [unrolled: 1-line block ×8, first 2 shown]
	s_waitcnt vmcnt(24) lgkmcnt(0)
	v_fma_f64 v[91:92], v[101:102], v[95:96], v[91:92]
	s_waitcnt vmcnt(19)
	v_fma_f64 v[101:102], v[103:104], v[97:98], v[91:92]
	ds_read2_b64 v[91:94], v90 offset0:71 offset1:72
	ds_read2_b64 v[95:98], v90 offset0:73 offset1:74
	s_waitcnt vmcnt(18) lgkmcnt(1)
	v_fma_f64 v[91:92], v[109:110], v[91:92], v[101:102]
	s_waitcnt vmcnt(17)
	v_fma_f64 v[91:92], v[107:108], v[93:94], v[91:92]
	buffer_load_dword v102, off, s[0:3], 0 offset:308
	buffer_load_dword v103, off, s[0:3], 0 offset:328
	;; [unrolled: 1-line block ×7, first 2 shown]
	s_waitcnt vmcnt(23) lgkmcnt(0)
	v_fma_f64 v[91:92], v[105:106], v[95:96], v[91:92]
	s_waitcnt vmcnt(18)
	v_fma_f64 v[104:105], v[111:112], v[97:98], v[91:92]
	ds_read2_b64 v[91:94], v90 offset0:75 offset1:76
	ds_read2_b64 v[95:98], v90 offset0:77 offset1:78
	s_waitcnt vmcnt(17) lgkmcnt(1)
	v_fma_f64 v[91:92], v[119:120], v[91:92], v[104:105]
	buffer_load_dword v104, off, s[0:3], 0 offset:332
	buffer_load_dword v106, off, s[0:3], 0 offset:340
	;; [unrolled: 1-line block ×5, first 2 shown]
	s_waitcnt vmcnt(21)
	v_fma_f64 v[91:92], v[117:118], v[93:94], v[91:92]
	s_waitcnt vmcnt(20) lgkmcnt(0)
	v_fma_f64 v[91:92], v[113:114], v[95:96], v[91:92]
	buffer_load_dword v113, off, s[0:3], 0 offset:80
	buffer_load_dword v114, off, s[0:3], 0 offset:84
	s_waitcnt vmcnt(17)
	v_fma_f64 v[99:100], v[99:100], v[97:98], v[91:92]
	ds_read2_b64 v[91:94], v90 offset0:79 offset1:80
	ds_read2_b64 v[95:98], v90 offset0:81 offset1:82
	s_waitcnt vmcnt(16) lgkmcnt(1)
	v_fma_f64 v[91:92], v[123:124], v[91:92], v[99:100]
	s_waitcnt vmcnt(15)
	v_fma_f64 v[91:92], v[121:122], v[93:94], v[91:92]
	s_waitcnt vmcnt(14) lgkmcnt(0)
	v_fma_f64 v[91:92], v[115:116], v[95:96], v[91:92]
	s_waitcnt vmcnt(9)
	v_fma_f64 v[99:100], v[101:102], v[97:98], v[91:92]
	ds_read2_b64 v[91:94], v90 offset0:83 offset1:84
	ds_read2_b64 v[95:98], v90 offset0:85 offset1:86
	s_waitcnt vmcnt(8) lgkmcnt(1)
	v_fma_f64 v[91:92], v[109:110], v[91:92], v[99:100]
	s_waitcnt vmcnt(7)
	v_fma_f64 v[91:92], v[107:108], v[93:94], v[91:92]
	ds_read_b64 v[93:94], v90 offset:696
	s_waitcnt vmcnt(6) lgkmcnt(1)
	v_fma_f64 v[91:92], v[103:104], v[95:96], v[91:92]
	s_waitcnt vmcnt(3)
	v_fma_f64 v[91:92], v[105:106], v[97:98], v[91:92]
	s_waitcnt vmcnt(2) lgkmcnt(0)
	v_fma_f64 v[91:92], v[111:112], v[93:94], v[91:92]
	s_waitcnt vmcnt(0)
	v_add_f64 v[91:92], v[113:114], -v[91:92]
	buffer_store_dword v92, off, s[0:3], 0 offset:84
	buffer_store_dword v91, off, s[0:3], 0 offset:80
	s_and_saveexec_b64 s[4:5], vcc
	s_cbranch_execz .LBB43_253
; %bb.252:
	buffer_load_dword v91, off, s[0:3], 0 offset:72
	buffer_load_dword v92, off, s[0:3], 0 offset:76
	s_waitcnt vmcnt(0)
	ds_write_b64 v89, v[91:92]
	buffer_store_dword v90, off, s[0:3], 0 offset:72
	buffer_store_dword v90, off, s[0:3], 0 offset:76
.LBB43_253:
	s_or_b64 exec, exec, s[4:5]
	s_waitcnt lgkmcnt(0)
	; wave barrier
	buffer_load_dword v99, off, s[0:3], 0 offset:80
	buffer_load_dword v100, off, s[0:3], 0 offset:84
	;; [unrolled: 1-line block ×21, first 2 shown]
	ds_read_b128 v[91:94], v90 offset:432
	ds_read_b128 v[95:98], v90 offset:448
	buffer_load_dword v116, off, s[0:3], 0 offset:164
	v_cmp_lt_u32_e32 vcc, 8, v0
	s_waitcnt vmcnt(20) lgkmcnt(1)
	v_fma_f64 v[91:92], v[99:100], v[91:92], 0
	s_waitcnt vmcnt(18)
	v_fma_f64 v[91:92], v[101:102], v[93:94], v[91:92]
	buffer_load_dword v100, off, s[0:3], 0 offset:172
	buffer_load_dword v101, off, s[0:3], 0 offset:192
	;; [unrolled: 1-line block ×7, first 2 shown]
	s_waitcnt vmcnt(23) lgkmcnt(0)
	v_fma_f64 v[91:92], v[103:104], v[95:96], v[91:92]
	s_waitcnt vmcnt(21)
	v_fma_f64 v[102:103], v[105:106], v[97:98], v[91:92]
	ds_read_b128 v[91:94], v90 offset:464
	ds_read_b128 v[95:98], v90 offset:480
	s_waitcnt vmcnt(19) lgkmcnt(1)
	v_fma_f64 v[91:92], v[107:108], v[91:92], v[102:103]
	buffer_load_dword v102, off, s[0:3], 0 offset:196
	s_waitcnt vmcnt(18)
	v_fma_f64 v[91:92], v[109:110], v[93:94], v[91:92]
	buffer_load_dword v104, off, s[0:3], 0 offset:204
	buffer_load_dword v105, off, s[0:3], 0 offset:224
	;; [unrolled: 1-line block ×8, first 2 shown]
	s_waitcnt vmcnt(24) lgkmcnt(0)
	v_fma_f64 v[91:92], v[111:112], v[95:96], v[91:92]
	s_waitcnt vmcnt(19)
	v_fma_f64 v[111:112], v[113:114], v[97:98], v[91:92]
	ds_read_b128 v[91:94], v90 offset:496
	ds_read_b128 v[95:98], v90 offset:512
	s_waitcnt vmcnt(18) lgkmcnt(1)
	v_fma_f64 v[91:92], v[119:120], v[91:92], v[111:112]
	s_waitcnt vmcnt(17)
	v_fma_f64 v[91:92], v[117:118], v[93:94], v[91:92]
	buffer_load_dword v112, off, s[0:3], 0 offset:236
	buffer_load_dword v113, off, s[0:3], 0 offset:256
	;; [unrolled: 1-line block ×7, first 2 shown]
	s_waitcnt vmcnt(23) lgkmcnt(0)
	v_fma_f64 v[91:92], v[115:116], v[95:96], v[91:92]
	s_waitcnt vmcnt(18)
	v_fma_f64 v[99:100], v[99:100], v[97:98], v[91:92]
	ds_read_b128 v[91:94], v90 offset:528
	ds_read_b128 v[95:98], v90 offset:544
	buffer_load_dword v114, off, s[0:3], 0 offset:260
	s_waitcnt vmcnt(18) lgkmcnt(1)
	v_fma_f64 v[91:92], v[123:124], v[91:92], v[99:100]
	s_waitcnt vmcnt(17)
	v_fma_f64 v[91:92], v[121:122], v[93:94], v[91:92]
	buffer_load_dword v100, off, s[0:3], 0 offset:268
	buffer_load_dword v115, off, s[0:3], 0 offset:288
	;; [unrolled: 1-line block ×8, first 2 shown]
	s_waitcnt vmcnt(24) lgkmcnt(0)
	v_fma_f64 v[91:92], v[101:102], v[95:96], v[91:92]
	s_waitcnt vmcnt(19)
	v_fma_f64 v[101:102], v[103:104], v[97:98], v[91:92]
	ds_read_b128 v[91:94], v90 offset:560
	ds_read_b128 v[95:98], v90 offset:576
	s_waitcnt vmcnt(18) lgkmcnt(1)
	v_fma_f64 v[91:92], v[109:110], v[91:92], v[101:102]
	s_waitcnt vmcnt(17)
	v_fma_f64 v[91:92], v[107:108], v[93:94], v[91:92]
	buffer_load_dword v102, off, s[0:3], 0 offset:300
	buffer_load_dword v103, off, s[0:3], 0 offset:320
	;; [unrolled: 1-line block ×7, first 2 shown]
	s_waitcnt vmcnt(23) lgkmcnt(0)
	v_fma_f64 v[91:92], v[105:106], v[95:96], v[91:92]
	s_waitcnt vmcnt(18)
	v_fma_f64 v[104:105], v[111:112], v[97:98], v[91:92]
	ds_read_b128 v[91:94], v90 offset:592
	ds_read_b128 v[95:98], v90 offset:608
	s_waitcnt vmcnt(17) lgkmcnt(1)
	v_fma_f64 v[91:92], v[119:120], v[91:92], v[104:105]
	buffer_load_dword v104, off, s[0:3], 0 offset:324
	s_waitcnt vmcnt(17)
	v_fma_f64 v[91:92], v[117:118], v[93:94], v[91:92]
	buffer_load_dword v106, off, s[0:3], 0 offset:332
	buffer_load_dword v111, off, s[0:3], 0 offset:344
	;; [unrolled: 1-line block ×6, first 2 shown]
	s_waitcnt vmcnt(22) lgkmcnt(0)
	v_fma_f64 v[91:92], v[113:114], v[95:96], v[91:92]
	s_waitcnt vmcnt(17)
	v_fma_f64 v[99:100], v[99:100], v[97:98], v[91:92]
	ds_read_b128 v[91:94], v90 offset:624
	buffer_load_dword v113, off, s[0:3], 0 offset:72
	buffer_load_dword v114, off, s[0:3], 0 offset:76
	ds_read_b128 v[95:98], v90 offset:640
	s_waitcnt vmcnt(18) lgkmcnt(1)
	v_fma_f64 v[91:92], v[123:124], v[91:92], v[99:100]
	s_waitcnt vmcnt(17)
	v_fma_f64 v[91:92], v[121:122], v[93:94], v[91:92]
	s_waitcnt vmcnt(16) lgkmcnt(0)
	v_fma_f64 v[91:92], v[115:116], v[95:96], v[91:92]
	s_waitcnt vmcnt(11)
	v_fma_f64 v[99:100], v[101:102], v[97:98], v[91:92]
	ds_read_b128 v[91:94], v90 offset:656
	ds_read_b128 v[95:98], v90 offset:672
	s_waitcnt vmcnt(10) lgkmcnt(1)
	v_fma_f64 v[91:92], v[109:110], v[91:92], v[99:100]
	s_waitcnt vmcnt(9)
	v_fma_f64 v[91:92], v[107:108], v[93:94], v[91:92]
	s_waitcnt vmcnt(8) lgkmcnt(0)
	v_fma_f64 v[91:92], v[103:104], v[95:96], v[91:92]
	s_waitcnt vmcnt(4)
	v_fma_f64 v[94:95], v[105:106], v[97:98], v[91:92]
	ds_read_b128 v[90:93], v90 offset:688
	s_waitcnt vmcnt(3) lgkmcnt(0)
	v_fma_f64 v[90:91], v[117:118], v[90:91], v[94:95]
	s_waitcnt vmcnt(2)
	v_fma_f64 v[90:91], v[111:112], v[92:93], v[90:91]
	s_waitcnt vmcnt(0)
	v_add_f64 v[90:91], v[113:114], -v[90:91]
	buffer_store_dword v91, off, s[0:3], 0 offset:76
	buffer_store_dword v90, off, s[0:3], 0 offset:72
	s_and_saveexec_b64 s[4:5], vcc
	s_cbranch_execz .LBB43_255
; %bb.254:
	buffer_load_dword v90, off, s[0:3], 0 offset:64
	buffer_load_dword v91, off, s[0:3], 0 offset:68
	v_mov_b32_e32 v92, 0
	buffer_store_dword v92, off, s[0:3], 0 offset:64
	buffer_store_dword v92, off, s[0:3], 0 offset:68
	s_waitcnt vmcnt(2)
	ds_write_b64 v89, v[90:91]
.LBB43_255:
	s_or_b64 exec, exec, s[4:5]
	s_waitcnt lgkmcnt(0)
	; wave barrier
	buffer_load_dword v99, off, s[0:3], 0 offset:72
	buffer_load_dword v100, off, s[0:3], 0 offset:76
	;; [unrolled: 1-line block ×21, first 2 shown]
	v_mov_b32_e32 v90, 0
	ds_read2_b64 v[91:94], v90 offset0:53 offset1:54
	ds_read2_b64 v[95:98], v90 offset0:55 offset1:56
	buffer_load_dword v116, off, s[0:3], 0 offset:156
	v_cmp_lt_u32_e32 vcc, 7, v0
	s_waitcnt vmcnt(20) lgkmcnt(1)
	v_fma_f64 v[91:92], v[99:100], v[91:92], 0
	s_waitcnt vmcnt(18)
	v_fma_f64 v[91:92], v[101:102], v[93:94], v[91:92]
	buffer_load_dword v100, off, s[0:3], 0 offset:164
	buffer_load_dword v101, off, s[0:3], 0 offset:184
	;; [unrolled: 1-line block ×7, first 2 shown]
	s_waitcnt vmcnt(23) lgkmcnt(0)
	v_fma_f64 v[91:92], v[103:104], v[95:96], v[91:92]
	s_waitcnt vmcnt(21)
	v_fma_f64 v[102:103], v[105:106], v[97:98], v[91:92]
	ds_read2_b64 v[91:94], v90 offset0:57 offset1:58
	ds_read2_b64 v[95:98], v90 offset0:59 offset1:60
	s_waitcnt vmcnt(19) lgkmcnt(1)
	v_fma_f64 v[91:92], v[107:108], v[91:92], v[102:103]
	buffer_load_dword v102, off, s[0:3], 0 offset:188
	s_waitcnt vmcnt(18)
	v_fma_f64 v[91:92], v[109:110], v[93:94], v[91:92]
	buffer_load_dword v104, off, s[0:3], 0 offset:196
	buffer_load_dword v105, off, s[0:3], 0 offset:216
	;; [unrolled: 1-line block ×8, first 2 shown]
	s_waitcnt vmcnt(24) lgkmcnt(0)
	v_fma_f64 v[91:92], v[111:112], v[95:96], v[91:92]
	s_waitcnt vmcnt(19)
	v_fma_f64 v[111:112], v[113:114], v[97:98], v[91:92]
	ds_read2_b64 v[91:94], v90 offset0:61 offset1:62
	ds_read2_b64 v[95:98], v90 offset0:63 offset1:64
	s_waitcnt vmcnt(18) lgkmcnt(1)
	v_fma_f64 v[91:92], v[119:120], v[91:92], v[111:112]
	s_waitcnt vmcnt(17)
	v_fma_f64 v[91:92], v[117:118], v[93:94], v[91:92]
	buffer_load_dword v112, off, s[0:3], 0 offset:228
	buffer_load_dword v113, off, s[0:3], 0 offset:248
	;; [unrolled: 1-line block ×7, first 2 shown]
	s_waitcnt vmcnt(23) lgkmcnt(0)
	v_fma_f64 v[91:92], v[115:116], v[95:96], v[91:92]
	s_waitcnt vmcnt(18)
	v_fma_f64 v[99:100], v[99:100], v[97:98], v[91:92]
	ds_read2_b64 v[91:94], v90 offset0:65 offset1:66
	ds_read2_b64 v[95:98], v90 offset0:67 offset1:68
	buffer_load_dword v114, off, s[0:3], 0 offset:252
	s_waitcnt vmcnt(18) lgkmcnt(1)
	v_fma_f64 v[91:92], v[123:124], v[91:92], v[99:100]
	s_waitcnt vmcnt(17)
	v_fma_f64 v[91:92], v[121:122], v[93:94], v[91:92]
	buffer_load_dword v100, off, s[0:3], 0 offset:260
	buffer_load_dword v115, off, s[0:3], 0 offset:280
	;; [unrolled: 1-line block ×8, first 2 shown]
	s_waitcnt vmcnt(24) lgkmcnt(0)
	v_fma_f64 v[91:92], v[101:102], v[95:96], v[91:92]
	s_waitcnt vmcnt(19)
	v_fma_f64 v[101:102], v[103:104], v[97:98], v[91:92]
	ds_read2_b64 v[91:94], v90 offset0:69 offset1:70
	ds_read2_b64 v[95:98], v90 offset0:71 offset1:72
	s_waitcnt vmcnt(18) lgkmcnt(1)
	v_fma_f64 v[91:92], v[109:110], v[91:92], v[101:102]
	s_waitcnt vmcnt(17)
	v_fma_f64 v[91:92], v[107:108], v[93:94], v[91:92]
	buffer_load_dword v102, off, s[0:3], 0 offset:292
	buffer_load_dword v103, off, s[0:3], 0 offset:312
	;; [unrolled: 1-line block ×7, first 2 shown]
	s_waitcnt vmcnt(23) lgkmcnt(0)
	v_fma_f64 v[91:92], v[105:106], v[95:96], v[91:92]
	s_waitcnt vmcnt(18)
	v_fma_f64 v[104:105], v[111:112], v[97:98], v[91:92]
	ds_read2_b64 v[91:94], v90 offset0:73 offset1:74
	ds_read2_b64 v[95:98], v90 offset0:75 offset1:76
	s_waitcnt vmcnt(17) lgkmcnt(1)
	v_fma_f64 v[91:92], v[119:120], v[91:92], v[104:105]
	buffer_load_dword v104, off, s[0:3], 0 offset:316
	s_waitcnt vmcnt(17)
	v_fma_f64 v[91:92], v[117:118], v[93:94], v[91:92]
	buffer_load_dword v106, off, s[0:3], 0 offset:324
	buffer_load_dword v111, off, s[0:3], 0 offset:344
	;; [unrolled: 1-line block ×8, first 2 shown]
	s_waitcnt vmcnt(24) lgkmcnt(0)
	v_fma_f64 v[91:92], v[113:114], v[95:96], v[91:92]
	s_waitcnt vmcnt(19)
	v_fma_f64 v[99:100], v[99:100], v[97:98], v[91:92]
	ds_read2_b64 v[91:94], v90 offset0:77 offset1:78
	ds_read2_b64 v[95:98], v90 offset0:79 offset1:80
	s_waitcnt vmcnt(18) lgkmcnt(1)
	v_fma_f64 v[91:92], v[123:124], v[91:92], v[99:100]
	buffer_load_dword v99, off, s[0:3], 0 offset:64
	buffer_load_dword v100, off, s[0:3], 0 offset:68
	s_waitcnt vmcnt(19)
	v_fma_f64 v[91:92], v[121:122], v[93:94], v[91:92]
	s_waitcnt vmcnt(18) lgkmcnt(0)
	v_fma_f64 v[91:92], v[115:116], v[95:96], v[91:92]
	s_waitcnt vmcnt(13)
	v_fma_f64 v[101:102], v[101:102], v[97:98], v[91:92]
	ds_read2_b64 v[91:94], v90 offset0:81 offset1:82
	ds_read2_b64 v[95:98], v90 offset0:83 offset1:84
	s_waitcnt vmcnt(12) lgkmcnt(1)
	v_fma_f64 v[91:92], v[109:110], v[91:92], v[101:102]
	s_waitcnt vmcnt(11)
	v_fma_f64 v[91:92], v[107:108], v[93:94], v[91:92]
	s_waitcnt vmcnt(10) lgkmcnt(0)
	v_fma_f64 v[91:92], v[103:104], v[95:96], v[91:92]
	s_waitcnt vmcnt(5)
	v_fma_f64 v[95:96], v[105:106], v[97:98], v[91:92]
	ds_read2_b64 v[91:94], v90 offset0:85 offset1:86
	ds_read_b64 v[97:98], v90 offset:696
	s_waitcnt vmcnt(4) lgkmcnt(1)
	v_fma_f64 v[91:92], v[119:120], v[91:92], v[95:96]
	s_waitcnt vmcnt(3)
	v_fma_f64 v[91:92], v[117:118], v[93:94], v[91:92]
	s_waitcnt vmcnt(2) lgkmcnt(0)
	v_fma_f64 v[91:92], v[111:112], v[97:98], v[91:92]
	s_waitcnt vmcnt(0)
	v_add_f64 v[91:92], v[99:100], -v[91:92]
	buffer_store_dword v92, off, s[0:3], 0 offset:68
	buffer_store_dword v91, off, s[0:3], 0 offset:64
	s_and_saveexec_b64 s[4:5], vcc
	s_cbranch_execz .LBB43_257
; %bb.256:
	buffer_load_dword v91, off, s[0:3], 0 offset:56
	buffer_load_dword v92, off, s[0:3], 0 offset:60
	s_waitcnt vmcnt(0)
	ds_write_b64 v89, v[91:92]
	buffer_store_dword v90, off, s[0:3], 0 offset:56
	buffer_store_dword v90, off, s[0:3], 0 offset:60
.LBB43_257:
	s_or_b64 exec, exec, s[4:5]
	s_waitcnt lgkmcnt(0)
	; wave barrier
	buffer_load_dword v99, off, s[0:3], 0 offset:64
	buffer_load_dword v100, off, s[0:3], 0 offset:68
	;; [unrolled: 1-line block ×21, first 2 shown]
	ds_read_b128 v[91:94], v90 offset:416
	ds_read_b128 v[95:98], v90 offset:432
	buffer_load_dword v116, off, s[0:3], 0 offset:148
	v_cmp_lt_u32_e32 vcc, 6, v0
	s_waitcnt vmcnt(20) lgkmcnt(1)
	v_fma_f64 v[91:92], v[99:100], v[91:92], 0
	s_waitcnt vmcnt(18)
	v_fma_f64 v[91:92], v[101:102], v[93:94], v[91:92]
	buffer_load_dword v100, off, s[0:3], 0 offset:156
	buffer_load_dword v101, off, s[0:3], 0 offset:176
	;; [unrolled: 1-line block ×7, first 2 shown]
	s_waitcnt vmcnt(23) lgkmcnt(0)
	v_fma_f64 v[91:92], v[103:104], v[95:96], v[91:92]
	s_waitcnt vmcnt(21)
	v_fma_f64 v[102:103], v[105:106], v[97:98], v[91:92]
	ds_read_b128 v[91:94], v90 offset:448
	ds_read_b128 v[95:98], v90 offset:464
	s_waitcnt vmcnt(19) lgkmcnt(1)
	v_fma_f64 v[91:92], v[107:108], v[91:92], v[102:103]
	buffer_load_dword v102, off, s[0:3], 0 offset:180
	s_waitcnt vmcnt(18)
	v_fma_f64 v[91:92], v[109:110], v[93:94], v[91:92]
	buffer_load_dword v104, off, s[0:3], 0 offset:188
	buffer_load_dword v105, off, s[0:3], 0 offset:208
	;; [unrolled: 1-line block ×8, first 2 shown]
	s_waitcnt vmcnt(24) lgkmcnt(0)
	v_fma_f64 v[91:92], v[111:112], v[95:96], v[91:92]
	s_waitcnt vmcnt(19)
	v_fma_f64 v[111:112], v[113:114], v[97:98], v[91:92]
	ds_read_b128 v[91:94], v90 offset:480
	ds_read_b128 v[95:98], v90 offset:496
	s_waitcnt vmcnt(18) lgkmcnt(1)
	v_fma_f64 v[91:92], v[119:120], v[91:92], v[111:112]
	s_waitcnt vmcnt(17)
	v_fma_f64 v[91:92], v[117:118], v[93:94], v[91:92]
	buffer_load_dword v112, off, s[0:3], 0 offset:220
	buffer_load_dword v113, off, s[0:3], 0 offset:240
	;; [unrolled: 1-line block ×7, first 2 shown]
	s_waitcnt vmcnt(23) lgkmcnt(0)
	v_fma_f64 v[91:92], v[115:116], v[95:96], v[91:92]
	s_waitcnt vmcnt(18)
	v_fma_f64 v[99:100], v[99:100], v[97:98], v[91:92]
	ds_read_b128 v[91:94], v90 offset:512
	ds_read_b128 v[95:98], v90 offset:528
	buffer_load_dword v114, off, s[0:3], 0 offset:244
	s_waitcnt vmcnt(18) lgkmcnt(1)
	v_fma_f64 v[91:92], v[123:124], v[91:92], v[99:100]
	s_waitcnt vmcnt(17)
	v_fma_f64 v[91:92], v[121:122], v[93:94], v[91:92]
	buffer_load_dword v100, off, s[0:3], 0 offset:252
	buffer_load_dword v115, off, s[0:3], 0 offset:272
	;; [unrolled: 1-line block ×8, first 2 shown]
	s_waitcnt vmcnt(24) lgkmcnt(0)
	v_fma_f64 v[91:92], v[101:102], v[95:96], v[91:92]
	s_waitcnt vmcnt(19)
	v_fma_f64 v[101:102], v[103:104], v[97:98], v[91:92]
	ds_read_b128 v[91:94], v90 offset:544
	ds_read_b128 v[95:98], v90 offset:560
	s_waitcnt vmcnt(18) lgkmcnt(1)
	v_fma_f64 v[91:92], v[109:110], v[91:92], v[101:102]
	s_waitcnt vmcnt(17)
	v_fma_f64 v[91:92], v[107:108], v[93:94], v[91:92]
	buffer_load_dword v102, off, s[0:3], 0 offset:284
	buffer_load_dword v103, off, s[0:3], 0 offset:304
	;; [unrolled: 1-line block ×7, first 2 shown]
	s_waitcnt vmcnt(23) lgkmcnt(0)
	v_fma_f64 v[91:92], v[105:106], v[95:96], v[91:92]
	s_waitcnt vmcnt(18)
	v_fma_f64 v[104:105], v[111:112], v[97:98], v[91:92]
	ds_read_b128 v[91:94], v90 offset:576
	ds_read_b128 v[95:98], v90 offset:592
	s_waitcnt vmcnt(17) lgkmcnt(1)
	v_fma_f64 v[91:92], v[119:120], v[91:92], v[104:105]
	buffer_load_dword v104, off, s[0:3], 0 offset:308
	s_waitcnt vmcnt(17)
	v_fma_f64 v[91:92], v[117:118], v[93:94], v[91:92]
	buffer_load_dword v106, off, s[0:3], 0 offset:316
	buffer_load_dword v111, off, s[0:3], 0 offset:336
	;; [unrolled: 1-line block ×8, first 2 shown]
	s_waitcnt vmcnt(24) lgkmcnt(0)
	v_fma_f64 v[91:92], v[113:114], v[95:96], v[91:92]
	s_waitcnt vmcnt(19)
	v_fma_f64 v[99:100], v[99:100], v[97:98], v[91:92]
	ds_read_b128 v[91:94], v90 offset:608
	ds_read_b128 v[95:98], v90 offset:624
	s_waitcnt vmcnt(18) lgkmcnt(1)
	v_fma_f64 v[91:92], v[123:124], v[91:92], v[99:100]
	buffer_load_dword v100, off, s[0:3], 0 offset:348
	buffer_load_dword v99, off, s[0:3], 0 offset:344
	;; [unrolled: 1-line block ×4, first 2 shown]
	s_waitcnt vmcnt(21)
	v_fma_f64 v[91:92], v[121:122], v[93:94], v[91:92]
	s_waitcnt vmcnt(20) lgkmcnt(0)
	v_fma_f64 v[91:92], v[115:116], v[95:96], v[91:92]
	s_waitcnt vmcnt(15)
	v_fma_f64 v[101:102], v[101:102], v[97:98], v[91:92]
	ds_read_b128 v[91:94], v90 offset:640
	ds_read_b128 v[95:98], v90 offset:656
	s_waitcnt vmcnt(14) lgkmcnt(1)
	v_fma_f64 v[91:92], v[109:110], v[91:92], v[101:102]
	s_waitcnt vmcnt(13)
	v_fma_f64 v[91:92], v[107:108], v[93:94], v[91:92]
	s_waitcnt vmcnt(12) lgkmcnt(0)
	v_fma_f64 v[91:92], v[103:104], v[95:96], v[91:92]
	s_waitcnt vmcnt(7)
	v_fma_f64 v[101:102], v[105:106], v[97:98], v[91:92]
	ds_read_b128 v[91:94], v90 offset:672
	ds_read_b128 v[95:98], v90 offset:688
	s_waitcnt vmcnt(6) lgkmcnt(1)
	v_fma_f64 v[90:91], v[119:120], v[91:92], v[101:102]
	s_waitcnt vmcnt(5)
	v_fma_f64 v[90:91], v[117:118], v[93:94], v[90:91]
	s_waitcnt vmcnt(4) lgkmcnt(0)
	v_fma_f64 v[90:91], v[111:112], v[95:96], v[90:91]
	s_waitcnt vmcnt(2)
	v_fma_f64 v[90:91], v[99:100], v[97:98], v[90:91]
	s_waitcnt vmcnt(0)
	v_add_f64 v[90:91], v[113:114], -v[90:91]
	buffer_store_dword v91, off, s[0:3], 0 offset:60
	buffer_store_dword v90, off, s[0:3], 0 offset:56
	s_and_saveexec_b64 s[4:5], vcc
	s_cbranch_execz .LBB43_259
; %bb.258:
	buffer_load_dword v90, off, s[0:3], 0 offset:48
	buffer_load_dword v91, off, s[0:3], 0 offset:52
	v_mov_b32_e32 v92, 0
	buffer_store_dword v92, off, s[0:3], 0 offset:48
	buffer_store_dword v92, off, s[0:3], 0 offset:52
	s_waitcnt vmcnt(2)
	ds_write_b64 v89, v[90:91]
.LBB43_259:
	s_or_b64 exec, exec, s[4:5]
	s_waitcnt lgkmcnt(0)
	; wave barrier
	buffer_load_dword v99, off, s[0:3], 0 offset:56
	buffer_load_dword v100, off, s[0:3], 0 offset:60
	buffer_load_dword v101, off, s[0:3], 0 offset:64
	buffer_load_dword v102, off, s[0:3], 0 offset:68
	buffer_load_dword v103, off, s[0:3], 0 offset:72
	buffer_load_dword v104, off, s[0:3], 0 offset:76
	buffer_load_dword v105, off, s[0:3], 0 offset:80
	buffer_load_dword v106, off, s[0:3], 0 offset:84
	buffer_load_dword v107, off, s[0:3], 0 offset:88
	buffer_load_dword v108, off, s[0:3], 0 offset:92
	buffer_load_dword v109, off, s[0:3], 0 offset:96
	buffer_load_dword v110, off, s[0:3], 0 offset:100
	buffer_load_dword v111, off, s[0:3], 0 offset:104
	buffer_load_dword v112, off, s[0:3], 0 offset:108
	buffer_load_dword v114, off, s[0:3], 0 offset:116
	buffer_load_dword v115, off, s[0:3], 0 offset:136
	buffer_load_dword v117, off, s[0:3], 0 offset:128
	buffer_load_dword v119, off, s[0:3], 0 offset:120
	buffer_load_dword v113, off, s[0:3], 0 offset:112
	buffer_load_dword v120, off, s[0:3], 0 offset:124
	buffer_load_dword v118, off, s[0:3], 0 offset:132
	v_mov_b32_e32 v90, 0
	ds_read2_b64 v[91:94], v90 offset0:51 offset1:52
	ds_read2_b64 v[95:98], v90 offset0:53 offset1:54
	buffer_load_dword v116, off, s[0:3], 0 offset:140
	v_cmp_lt_u32_e32 vcc, 5, v0
	s_waitcnt vmcnt(20) lgkmcnt(1)
	v_fma_f64 v[91:92], v[99:100], v[91:92], 0
	s_waitcnt vmcnt(18)
	v_fma_f64 v[91:92], v[101:102], v[93:94], v[91:92]
	buffer_load_dword v100, off, s[0:3], 0 offset:148
	buffer_load_dword v101, off, s[0:3], 0 offset:168
	;; [unrolled: 1-line block ×7, first 2 shown]
	s_waitcnt vmcnt(23) lgkmcnt(0)
	v_fma_f64 v[91:92], v[103:104], v[95:96], v[91:92]
	s_waitcnt vmcnt(21)
	v_fma_f64 v[102:103], v[105:106], v[97:98], v[91:92]
	ds_read2_b64 v[91:94], v90 offset0:55 offset1:56
	ds_read2_b64 v[95:98], v90 offset0:57 offset1:58
	s_waitcnt vmcnt(19) lgkmcnt(1)
	v_fma_f64 v[91:92], v[107:108], v[91:92], v[102:103]
	buffer_load_dword v102, off, s[0:3], 0 offset:172
	s_waitcnt vmcnt(18)
	v_fma_f64 v[91:92], v[109:110], v[93:94], v[91:92]
	buffer_load_dword v104, off, s[0:3], 0 offset:180
	buffer_load_dword v105, off, s[0:3], 0 offset:200
	;; [unrolled: 1-line block ×8, first 2 shown]
	s_waitcnt vmcnt(24) lgkmcnt(0)
	v_fma_f64 v[91:92], v[111:112], v[95:96], v[91:92]
	s_waitcnt vmcnt(19)
	v_fma_f64 v[111:112], v[113:114], v[97:98], v[91:92]
	ds_read2_b64 v[91:94], v90 offset0:59 offset1:60
	ds_read2_b64 v[95:98], v90 offset0:61 offset1:62
	s_waitcnt vmcnt(18) lgkmcnt(1)
	v_fma_f64 v[91:92], v[119:120], v[91:92], v[111:112]
	s_waitcnt vmcnt(17)
	v_fma_f64 v[91:92], v[117:118], v[93:94], v[91:92]
	buffer_load_dword v112, off, s[0:3], 0 offset:212
	buffer_load_dword v113, off, s[0:3], 0 offset:232
	;; [unrolled: 1-line block ×7, first 2 shown]
	s_waitcnt vmcnt(23) lgkmcnt(0)
	v_fma_f64 v[91:92], v[115:116], v[95:96], v[91:92]
	s_waitcnt vmcnt(18)
	v_fma_f64 v[99:100], v[99:100], v[97:98], v[91:92]
	ds_read2_b64 v[91:94], v90 offset0:63 offset1:64
	ds_read2_b64 v[95:98], v90 offset0:65 offset1:66
	buffer_load_dword v114, off, s[0:3], 0 offset:236
	s_waitcnt vmcnt(18) lgkmcnt(1)
	v_fma_f64 v[91:92], v[123:124], v[91:92], v[99:100]
	s_waitcnt vmcnt(17)
	v_fma_f64 v[91:92], v[121:122], v[93:94], v[91:92]
	buffer_load_dword v100, off, s[0:3], 0 offset:244
	buffer_load_dword v115, off, s[0:3], 0 offset:264
	;; [unrolled: 1-line block ×7, first 2 shown]
	s_waitcnt vmcnt(23) lgkmcnt(0)
	v_fma_f64 v[91:92], v[101:102], v[95:96], v[91:92]
	s_waitcnt vmcnt(18)
	v_fma_f64 v[101:102], v[103:104], v[97:98], v[91:92]
	ds_read2_b64 v[91:94], v90 offset0:67 offset1:68
	ds_read2_b64 v[95:98], v90 offset0:69 offset1:70
	buffer_load_dword v116, off, s[0:3], 0 offset:268
	s_waitcnt vmcnt(18) lgkmcnt(1)
	v_fma_f64 v[91:92], v[109:110], v[91:92], v[101:102]
	s_waitcnt vmcnt(17)
	v_fma_f64 v[91:92], v[107:108], v[93:94], v[91:92]
	buffer_load_dword v102, off, s[0:3], 0 offset:276
	buffer_load_dword v103, off, s[0:3], 0 offset:296
	;; [unrolled: 1-line block ×7, first 2 shown]
	s_waitcnt vmcnt(23) lgkmcnt(0)
	v_fma_f64 v[91:92], v[105:106], v[95:96], v[91:92]
	s_waitcnt vmcnt(18)
	v_fma_f64 v[104:105], v[111:112], v[97:98], v[91:92]
	ds_read2_b64 v[91:94], v90 offset0:71 offset1:72
	ds_read2_b64 v[95:98], v90 offset0:73 offset1:74
	s_waitcnt vmcnt(17) lgkmcnt(1)
	v_fma_f64 v[91:92], v[119:120], v[91:92], v[104:105]
	buffer_load_dword v104, off, s[0:3], 0 offset:300
	s_waitcnt vmcnt(17)
	v_fma_f64 v[91:92], v[117:118], v[93:94], v[91:92]
	buffer_load_dword v106, off, s[0:3], 0 offset:308
	buffer_load_dword v111, off, s[0:3], 0 offset:328
	;; [unrolled: 1-line block ×7, first 2 shown]
	s_waitcnt vmcnt(23) lgkmcnt(0)
	v_fma_f64 v[91:92], v[113:114], v[95:96], v[91:92]
	s_waitcnt vmcnt(18)
	v_fma_f64 v[99:100], v[99:100], v[97:98], v[91:92]
	ds_read2_b64 v[91:94], v90 offset0:75 offset1:76
	ds_read2_b64 v[95:98], v90 offset0:77 offset1:78
	buffer_load_dword v112, off, s[0:3], 0 offset:332
	s_waitcnt vmcnt(18) lgkmcnt(1)
	v_fma_f64 v[91:92], v[123:124], v[91:92], v[99:100]
	buffer_load_dword v100, off, s[0:3], 0 offset:340
	buffer_load_dword v113, off, s[0:3], 0 offset:344
	;; [unrolled: 1-line block ×4, first 2 shown]
	s_waitcnt vmcnt(21)
	v_fma_f64 v[91:92], v[121:122], v[93:94], v[91:92]
	s_waitcnt vmcnt(20) lgkmcnt(0)
	v_fma_f64 v[91:92], v[115:116], v[95:96], v[91:92]
	buffer_load_dword v115, off, s[0:3], 0 offset:48
	buffer_load_dword v116, off, s[0:3], 0 offset:52
	s_waitcnt vmcnt(17)
	v_fma_f64 v[101:102], v[101:102], v[97:98], v[91:92]
	ds_read2_b64 v[91:94], v90 offset0:79 offset1:80
	ds_read2_b64 v[95:98], v90 offset0:81 offset1:82
	s_waitcnt vmcnt(16) lgkmcnt(1)
	v_fma_f64 v[91:92], v[109:110], v[91:92], v[101:102]
	s_waitcnt vmcnt(15)
	v_fma_f64 v[91:92], v[107:108], v[93:94], v[91:92]
	s_waitcnt vmcnt(14) lgkmcnt(0)
	v_fma_f64 v[91:92], v[103:104], v[95:96], v[91:92]
	s_waitcnt vmcnt(9)
	v_fma_f64 v[101:102], v[105:106], v[97:98], v[91:92]
	ds_read2_b64 v[91:94], v90 offset0:83 offset1:84
	ds_read2_b64 v[95:98], v90 offset0:85 offset1:86
	s_waitcnt vmcnt(8) lgkmcnt(1)
	v_fma_f64 v[91:92], v[119:120], v[91:92], v[101:102]
	s_waitcnt vmcnt(7)
	v_fma_f64 v[91:92], v[117:118], v[93:94], v[91:92]
	ds_read_b64 v[93:94], v90 offset:696
	s_waitcnt vmcnt(6) lgkmcnt(1)
	v_fma_f64 v[91:92], v[111:112], v[95:96], v[91:92]
	s_waitcnt vmcnt(3)
	v_fma_f64 v[91:92], v[99:100], v[97:98], v[91:92]
	s_waitcnt vmcnt(2) lgkmcnt(0)
	v_fma_f64 v[91:92], v[113:114], v[93:94], v[91:92]
	s_waitcnt vmcnt(0)
	v_add_f64 v[91:92], v[115:116], -v[91:92]
	buffer_store_dword v92, off, s[0:3], 0 offset:52
	buffer_store_dword v91, off, s[0:3], 0 offset:48
	s_and_saveexec_b64 s[4:5], vcc
	s_cbranch_execz .LBB43_261
; %bb.260:
	buffer_load_dword v91, off, s[0:3], 0 offset:40
	buffer_load_dword v92, off, s[0:3], 0 offset:44
	s_waitcnt vmcnt(0)
	ds_write_b64 v89, v[91:92]
	buffer_store_dword v90, off, s[0:3], 0 offset:40
	buffer_store_dword v90, off, s[0:3], 0 offset:44
.LBB43_261:
	s_or_b64 exec, exec, s[4:5]
	s_waitcnt lgkmcnt(0)
	; wave barrier
	buffer_load_dword v99, off, s[0:3], 0 offset:48
	buffer_load_dword v100, off, s[0:3], 0 offset:52
	;; [unrolled: 1-line block ×22, first 2 shown]
	ds_read_b128 v[91:94], v90 offset:400
	ds_read_b128 v[95:98], v90 offset:416
	v_cmp_lt_u32_e32 vcc, 4, v0
	s_waitcnt vmcnt(20) lgkmcnt(1)
	v_fma_f64 v[91:92], v[99:100], v[91:92], 0
	s_waitcnt vmcnt(18)
	v_fma_f64 v[91:92], v[101:102], v[93:94], v[91:92]
	buffer_load_dword v100, off, s[0:3], 0 offset:140
	buffer_load_dword v101, off, s[0:3], 0 offset:160
	;; [unrolled: 1-line block ×7, first 2 shown]
	s_waitcnt vmcnt(23) lgkmcnt(0)
	v_fma_f64 v[91:92], v[103:104], v[95:96], v[91:92]
	s_waitcnt vmcnt(21)
	v_fma_f64 v[102:103], v[105:106], v[97:98], v[91:92]
	ds_read_b128 v[91:94], v90 offset:432
	ds_read_b128 v[95:98], v90 offset:448
	s_waitcnt vmcnt(19) lgkmcnt(1)
	v_fma_f64 v[91:92], v[107:108], v[91:92], v[102:103]
	buffer_load_dword v102, off, s[0:3], 0 offset:164
	s_waitcnt vmcnt(18)
	v_fma_f64 v[91:92], v[109:110], v[93:94], v[91:92]
	buffer_load_dword v104, off, s[0:3], 0 offset:172
	buffer_load_dword v105, off, s[0:3], 0 offset:192
	;; [unrolled: 1-line block ×8, first 2 shown]
	s_waitcnt vmcnt(24) lgkmcnt(0)
	v_fma_f64 v[91:92], v[111:112], v[95:96], v[91:92]
	s_waitcnt vmcnt(19)
	v_fma_f64 v[111:112], v[113:114], v[97:98], v[91:92]
	ds_read_b128 v[91:94], v90 offset:464
	ds_read_b128 v[95:98], v90 offset:480
	s_waitcnt vmcnt(18) lgkmcnt(1)
	v_fma_f64 v[91:92], v[119:120], v[91:92], v[111:112]
	s_waitcnt vmcnt(17)
	v_fma_f64 v[91:92], v[117:118], v[93:94], v[91:92]
	buffer_load_dword v112, off, s[0:3], 0 offset:204
	buffer_load_dword v113, off, s[0:3], 0 offset:224
	;; [unrolled: 1-line block ×8, first 2 shown]
	s_waitcnt vmcnt(24) lgkmcnt(0)
	v_fma_f64 v[91:92], v[115:116], v[95:96], v[91:92]
	s_waitcnt vmcnt(19)
	v_fma_f64 v[99:100], v[99:100], v[97:98], v[91:92]
	ds_read_b128 v[91:94], v90 offset:496
	ds_read_b128 v[95:98], v90 offset:512
	s_waitcnt vmcnt(18) lgkmcnt(1)
	v_fma_f64 v[91:92], v[123:124], v[91:92], v[99:100]
	s_waitcnt vmcnt(17)
	v_fma_f64 v[91:92], v[121:122], v[93:94], v[91:92]
	buffer_load_dword v100, off, s[0:3], 0 offset:236
	buffer_load_dword v115, off, s[0:3], 0 offset:256
	;; [unrolled: 1-line block ×7, first 2 shown]
	s_waitcnt vmcnt(23) lgkmcnt(0)
	v_fma_f64 v[91:92], v[101:102], v[95:96], v[91:92]
	s_waitcnt vmcnt(18)
	v_fma_f64 v[101:102], v[103:104], v[97:98], v[91:92]
	ds_read_b128 v[91:94], v90 offset:528
	ds_read_b128 v[95:98], v90 offset:544
	buffer_load_dword v116, off, s[0:3], 0 offset:260
	s_waitcnt vmcnt(18) lgkmcnt(1)
	v_fma_f64 v[91:92], v[109:110], v[91:92], v[101:102]
	s_waitcnt vmcnt(17)
	v_fma_f64 v[91:92], v[107:108], v[93:94], v[91:92]
	buffer_load_dword v102, off, s[0:3], 0 offset:268
	buffer_load_dword v103, off, s[0:3], 0 offset:288
	;; [unrolled: 1-line block ×7, first 2 shown]
	s_waitcnt vmcnt(23) lgkmcnt(0)
	v_fma_f64 v[91:92], v[105:106], v[95:96], v[91:92]
	s_waitcnt vmcnt(18)
	v_fma_f64 v[104:105], v[111:112], v[97:98], v[91:92]
	ds_read_b128 v[91:94], v90 offset:560
	ds_read_b128 v[95:98], v90 offset:576
	s_waitcnt vmcnt(17) lgkmcnt(1)
	v_fma_f64 v[91:92], v[119:120], v[91:92], v[104:105]
	buffer_load_dword v104, off, s[0:3], 0 offset:292
	s_waitcnt vmcnt(17)
	v_fma_f64 v[91:92], v[117:118], v[93:94], v[91:92]
	buffer_load_dword v106, off, s[0:3], 0 offset:300
	buffer_load_dword v111, off, s[0:3], 0 offset:320
	;; [unrolled: 1-line block ×8, first 2 shown]
	s_waitcnt vmcnt(24) lgkmcnt(0)
	v_fma_f64 v[91:92], v[113:114], v[95:96], v[91:92]
	s_waitcnt vmcnt(19)
	v_fma_f64 v[99:100], v[99:100], v[97:98], v[91:92]
	ds_read_b128 v[91:94], v90 offset:592
	ds_read_b128 v[95:98], v90 offset:608
	s_waitcnt vmcnt(18) lgkmcnt(1)
	v_fma_f64 v[91:92], v[123:124], v[91:92], v[99:100]
	s_waitcnt vmcnt(17)
	v_fma_f64 v[91:92], v[121:122], v[93:94], v[91:92]
	buffer_load_dword v100, off, s[0:3], 0 offset:332
	buffer_load_dword v113, off, s[0:3], 0 offset:344
	;; [unrolled: 1-line block ×6, first 2 shown]
	s_waitcnt vmcnt(22) lgkmcnt(0)
	v_fma_f64 v[91:92], v[115:116], v[95:96], v[91:92]
	s_waitcnt vmcnt(17)
	v_fma_f64 v[101:102], v[101:102], v[97:98], v[91:92]
	ds_read_b128 v[91:94], v90 offset:624
	buffer_load_dword v115, off, s[0:3], 0 offset:40
	buffer_load_dword v116, off, s[0:3], 0 offset:44
	ds_read_b128 v[95:98], v90 offset:640
	s_waitcnt vmcnt(18) lgkmcnt(1)
	v_fma_f64 v[91:92], v[109:110], v[91:92], v[101:102]
	s_waitcnt vmcnt(17)
	v_fma_f64 v[91:92], v[107:108], v[93:94], v[91:92]
	s_waitcnt vmcnt(16) lgkmcnt(0)
	v_fma_f64 v[91:92], v[103:104], v[95:96], v[91:92]
	s_waitcnt vmcnt(11)
	v_fma_f64 v[101:102], v[105:106], v[97:98], v[91:92]
	ds_read_b128 v[91:94], v90 offset:656
	ds_read_b128 v[95:98], v90 offset:672
	s_waitcnt vmcnt(10) lgkmcnt(1)
	v_fma_f64 v[91:92], v[119:120], v[91:92], v[101:102]
	s_waitcnt vmcnt(9)
	v_fma_f64 v[91:92], v[117:118], v[93:94], v[91:92]
	s_waitcnt vmcnt(8) lgkmcnt(0)
	v_fma_f64 v[91:92], v[111:112], v[95:96], v[91:92]
	s_waitcnt vmcnt(4)
	v_fma_f64 v[94:95], v[99:100], v[97:98], v[91:92]
	ds_read_b128 v[90:93], v90 offset:688
	s_waitcnt vmcnt(3) lgkmcnt(0)
	v_fma_f64 v[90:91], v[121:122], v[90:91], v[94:95]
	s_waitcnt vmcnt(2)
	v_fma_f64 v[90:91], v[113:114], v[92:93], v[90:91]
	s_waitcnt vmcnt(0)
	v_add_f64 v[90:91], v[115:116], -v[90:91]
	buffer_store_dword v91, off, s[0:3], 0 offset:44
	buffer_store_dword v90, off, s[0:3], 0 offset:40
	s_and_saveexec_b64 s[4:5], vcc
	s_cbranch_execz .LBB43_263
; %bb.262:
	buffer_load_dword v90, off, s[0:3], 0 offset:32
	buffer_load_dword v91, off, s[0:3], 0 offset:36
	v_mov_b32_e32 v92, 0
	buffer_store_dword v92, off, s[0:3], 0 offset:32
	buffer_store_dword v92, off, s[0:3], 0 offset:36
	s_waitcnt vmcnt(2)
	ds_write_b64 v89, v[90:91]
.LBB43_263:
	s_or_b64 exec, exec, s[4:5]
	s_waitcnt lgkmcnt(0)
	; wave barrier
	buffer_load_dword v99, off, s[0:3], 0 offset:40
	buffer_load_dword v100, off, s[0:3], 0 offset:44
	;; [unrolled: 1-line block ×22, first 2 shown]
	v_mov_b32_e32 v90, 0
	ds_read2_b64 v[91:94], v90 offset0:49 offset1:50
	ds_read2_b64 v[95:98], v90 offset0:51 offset1:52
	v_cmp_lt_u32_e32 vcc, 3, v0
	s_waitcnt vmcnt(20) lgkmcnt(1)
	v_fma_f64 v[91:92], v[99:100], v[91:92], 0
	s_waitcnt vmcnt(18)
	v_fma_f64 v[91:92], v[101:102], v[93:94], v[91:92]
	buffer_load_dword v100, off, s[0:3], 0 offset:132
	buffer_load_dword v101, off, s[0:3], 0 offset:152
	;; [unrolled: 1-line block ×7, first 2 shown]
	s_waitcnt vmcnt(23) lgkmcnt(0)
	v_fma_f64 v[91:92], v[103:104], v[95:96], v[91:92]
	s_waitcnt vmcnt(21)
	v_fma_f64 v[102:103], v[105:106], v[97:98], v[91:92]
	ds_read2_b64 v[91:94], v90 offset0:53 offset1:54
	ds_read2_b64 v[95:98], v90 offset0:55 offset1:56
	s_waitcnt vmcnt(19) lgkmcnt(1)
	v_fma_f64 v[91:92], v[107:108], v[91:92], v[102:103]
	buffer_load_dword v102, off, s[0:3], 0 offset:156
	s_waitcnt vmcnt(18)
	v_fma_f64 v[91:92], v[109:110], v[93:94], v[91:92]
	buffer_load_dword v104, off, s[0:3], 0 offset:164
	buffer_load_dword v105, off, s[0:3], 0 offset:184
	;; [unrolled: 1-line block ×8, first 2 shown]
	s_waitcnt vmcnt(24) lgkmcnt(0)
	v_fma_f64 v[91:92], v[111:112], v[95:96], v[91:92]
	s_waitcnt vmcnt(19)
	v_fma_f64 v[111:112], v[113:114], v[97:98], v[91:92]
	ds_read2_b64 v[91:94], v90 offset0:57 offset1:58
	ds_read2_b64 v[95:98], v90 offset0:59 offset1:60
	s_waitcnt vmcnt(18) lgkmcnt(1)
	v_fma_f64 v[91:92], v[119:120], v[91:92], v[111:112]
	s_waitcnt vmcnt(17)
	v_fma_f64 v[91:92], v[117:118], v[93:94], v[91:92]
	buffer_load_dword v112, off, s[0:3], 0 offset:196
	buffer_load_dword v113, off, s[0:3], 0 offset:216
	;; [unrolled: 1-line block ×8, first 2 shown]
	s_waitcnt vmcnt(24) lgkmcnt(0)
	v_fma_f64 v[91:92], v[115:116], v[95:96], v[91:92]
	s_waitcnt vmcnt(19)
	v_fma_f64 v[99:100], v[99:100], v[97:98], v[91:92]
	ds_read2_b64 v[91:94], v90 offset0:61 offset1:62
	ds_read2_b64 v[95:98], v90 offset0:63 offset1:64
	s_waitcnt vmcnt(18) lgkmcnt(1)
	v_fma_f64 v[91:92], v[123:124], v[91:92], v[99:100]
	s_waitcnt vmcnt(17)
	v_fma_f64 v[91:92], v[121:122], v[93:94], v[91:92]
	buffer_load_dword v100, off, s[0:3], 0 offset:228
	buffer_load_dword v115, off, s[0:3], 0 offset:248
	;; [unrolled: 1-line block ×7, first 2 shown]
	s_waitcnt vmcnt(23) lgkmcnt(0)
	v_fma_f64 v[91:92], v[101:102], v[95:96], v[91:92]
	s_waitcnt vmcnt(18)
	v_fma_f64 v[101:102], v[103:104], v[97:98], v[91:92]
	ds_read2_b64 v[91:94], v90 offset0:65 offset1:66
	ds_read2_b64 v[95:98], v90 offset0:67 offset1:68
	buffer_load_dword v116, off, s[0:3], 0 offset:252
	s_waitcnt vmcnt(18) lgkmcnt(1)
	v_fma_f64 v[91:92], v[109:110], v[91:92], v[101:102]
	s_waitcnt vmcnt(17)
	v_fma_f64 v[91:92], v[107:108], v[93:94], v[91:92]
	buffer_load_dword v102, off, s[0:3], 0 offset:260
	buffer_load_dword v103, off, s[0:3], 0 offset:280
	;; [unrolled: 1-line block ×7, first 2 shown]
	s_waitcnt vmcnt(23) lgkmcnt(0)
	v_fma_f64 v[91:92], v[105:106], v[95:96], v[91:92]
	s_waitcnt vmcnt(18)
	v_fma_f64 v[104:105], v[111:112], v[97:98], v[91:92]
	ds_read2_b64 v[91:94], v90 offset0:69 offset1:70
	ds_read2_b64 v[95:98], v90 offset0:71 offset1:72
	s_waitcnt vmcnt(17) lgkmcnt(1)
	v_fma_f64 v[91:92], v[119:120], v[91:92], v[104:105]
	buffer_load_dword v104, off, s[0:3], 0 offset:284
	s_waitcnt vmcnt(17)
	v_fma_f64 v[91:92], v[117:118], v[93:94], v[91:92]
	buffer_load_dword v106, off, s[0:3], 0 offset:292
	buffer_load_dword v111, off, s[0:3], 0 offset:312
	buffer_load_dword v117, off, s[0:3], 0 offset:304
	buffer_load_dword v119, off, s[0:3], 0 offset:296
	buffer_load_dword v105, off, s[0:3], 0 offset:288
	buffer_load_dword v120, off, s[0:3], 0 offset:300
	buffer_load_dword v118, off, s[0:3], 0 offset:308
	buffer_load_dword v112, off, s[0:3], 0 offset:316
	s_waitcnt vmcnt(24) lgkmcnt(0)
	v_fma_f64 v[91:92], v[113:114], v[95:96], v[91:92]
	s_waitcnt vmcnt(19)
	v_fma_f64 v[99:100], v[99:100], v[97:98], v[91:92]
	ds_read2_b64 v[91:94], v90 offset0:73 offset1:74
	ds_read2_b64 v[95:98], v90 offset0:75 offset1:76
	s_waitcnt vmcnt(18) lgkmcnt(1)
	v_fma_f64 v[91:92], v[123:124], v[91:92], v[99:100]
	s_waitcnt vmcnt(17)
	v_fma_f64 v[91:92], v[121:122], v[93:94], v[91:92]
	buffer_load_dword v100, off, s[0:3], 0 offset:324
	buffer_load_dword v113, off, s[0:3], 0 offset:344
	;; [unrolled: 1-line block ×8, first 2 shown]
	s_waitcnt vmcnt(24) lgkmcnt(0)
	v_fma_f64 v[91:92], v[115:116], v[95:96], v[91:92]
	s_waitcnt vmcnt(19)
	v_fma_f64 v[101:102], v[101:102], v[97:98], v[91:92]
	ds_read2_b64 v[91:94], v90 offset0:77 offset1:78
	ds_read2_b64 v[95:98], v90 offset0:79 offset1:80
	s_waitcnt vmcnt(18) lgkmcnt(1)
	v_fma_f64 v[91:92], v[109:110], v[91:92], v[101:102]
	buffer_load_dword v101, off, s[0:3], 0 offset:32
	buffer_load_dword v102, off, s[0:3], 0 offset:36
	s_waitcnt vmcnt(19)
	v_fma_f64 v[91:92], v[107:108], v[93:94], v[91:92]
	s_waitcnt vmcnt(18) lgkmcnt(0)
	v_fma_f64 v[91:92], v[103:104], v[95:96], v[91:92]
	s_waitcnt vmcnt(13)
	v_fma_f64 v[103:104], v[105:106], v[97:98], v[91:92]
	ds_read2_b64 v[91:94], v90 offset0:81 offset1:82
	ds_read2_b64 v[95:98], v90 offset0:83 offset1:84
	s_waitcnt vmcnt(12) lgkmcnt(1)
	v_fma_f64 v[91:92], v[119:120], v[91:92], v[103:104]
	s_waitcnt vmcnt(11)
	v_fma_f64 v[91:92], v[117:118], v[93:94], v[91:92]
	s_waitcnt vmcnt(10) lgkmcnt(0)
	v_fma_f64 v[91:92], v[111:112], v[95:96], v[91:92]
	s_waitcnt vmcnt(5)
	v_fma_f64 v[95:96], v[99:100], v[97:98], v[91:92]
	ds_read2_b64 v[91:94], v90 offset0:85 offset1:86
	ds_read_b64 v[97:98], v90 offset:696
	s_waitcnt vmcnt(4) lgkmcnt(1)
	v_fma_f64 v[91:92], v[123:124], v[91:92], v[95:96]
	s_waitcnt vmcnt(3)
	v_fma_f64 v[91:92], v[121:122], v[93:94], v[91:92]
	s_waitcnt vmcnt(2) lgkmcnt(0)
	v_fma_f64 v[91:92], v[113:114], v[97:98], v[91:92]
	s_waitcnt vmcnt(0)
	v_add_f64 v[91:92], v[101:102], -v[91:92]
	buffer_store_dword v92, off, s[0:3], 0 offset:36
	buffer_store_dword v91, off, s[0:3], 0 offset:32
	s_and_saveexec_b64 s[4:5], vcc
	s_cbranch_execz .LBB43_265
; %bb.264:
	buffer_load_dword v91, off, s[0:3], 0 offset:24
	buffer_load_dword v92, off, s[0:3], 0 offset:28
	s_waitcnt vmcnt(0)
	ds_write_b64 v89, v[91:92]
	buffer_store_dword v90, off, s[0:3], 0 offset:24
	buffer_store_dword v90, off, s[0:3], 0 offset:28
.LBB43_265:
	s_or_b64 exec, exec, s[4:5]
	s_waitcnt lgkmcnt(0)
	; wave barrier
	buffer_load_dword v99, off, s[0:3], 0 offset:32
	buffer_load_dword v100, off, s[0:3], 0 offset:36
	;; [unrolled: 1-line block ×22, first 2 shown]
	ds_read_b128 v[91:94], v90 offset:384
	ds_read_b128 v[95:98], v90 offset:400
	v_cmp_lt_u32_e32 vcc, 2, v0
	s_waitcnt vmcnt(20) lgkmcnt(1)
	v_fma_f64 v[91:92], v[99:100], v[91:92], 0
	s_waitcnt vmcnt(18)
	v_fma_f64 v[91:92], v[101:102], v[93:94], v[91:92]
	buffer_load_dword v100, off, s[0:3], 0 offset:124
	buffer_load_dword v101, off, s[0:3], 0 offset:144
	;; [unrolled: 1-line block ×7, first 2 shown]
	s_waitcnt vmcnt(23) lgkmcnt(0)
	v_fma_f64 v[91:92], v[103:104], v[95:96], v[91:92]
	s_waitcnt vmcnt(21)
	v_fma_f64 v[102:103], v[105:106], v[97:98], v[91:92]
	ds_read_b128 v[91:94], v90 offset:416
	ds_read_b128 v[95:98], v90 offset:432
	s_waitcnt vmcnt(19) lgkmcnt(1)
	v_fma_f64 v[91:92], v[107:108], v[91:92], v[102:103]
	buffer_load_dword v102, off, s[0:3], 0 offset:148
	s_waitcnt vmcnt(18)
	v_fma_f64 v[91:92], v[109:110], v[93:94], v[91:92]
	buffer_load_dword v104, off, s[0:3], 0 offset:156
	buffer_load_dword v105, off, s[0:3], 0 offset:176
	;; [unrolled: 1-line block ×8, first 2 shown]
	s_waitcnt vmcnt(24) lgkmcnt(0)
	v_fma_f64 v[91:92], v[111:112], v[95:96], v[91:92]
	s_waitcnt vmcnt(19)
	v_fma_f64 v[111:112], v[113:114], v[97:98], v[91:92]
	ds_read_b128 v[91:94], v90 offset:448
	ds_read_b128 v[95:98], v90 offset:464
	s_waitcnt vmcnt(18) lgkmcnt(1)
	v_fma_f64 v[91:92], v[119:120], v[91:92], v[111:112]
	s_waitcnt vmcnt(17)
	v_fma_f64 v[91:92], v[117:118], v[93:94], v[91:92]
	buffer_load_dword v112, off, s[0:3], 0 offset:188
	buffer_load_dword v113, off, s[0:3], 0 offset:208
	;; [unrolled: 1-line block ×8, first 2 shown]
	s_waitcnt vmcnt(24) lgkmcnt(0)
	v_fma_f64 v[91:92], v[115:116], v[95:96], v[91:92]
	s_waitcnt vmcnt(19)
	v_fma_f64 v[99:100], v[99:100], v[97:98], v[91:92]
	ds_read_b128 v[91:94], v90 offset:480
	ds_read_b128 v[95:98], v90 offset:496
	s_waitcnt vmcnt(18) lgkmcnt(1)
	v_fma_f64 v[91:92], v[123:124], v[91:92], v[99:100]
	s_waitcnt vmcnt(17)
	v_fma_f64 v[91:92], v[121:122], v[93:94], v[91:92]
	buffer_load_dword v100, off, s[0:3], 0 offset:220
	buffer_load_dword v115, off, s[0:3], 0 offset:240
	;; [unrolled: 1-line block ×7, first 2 shown]
	s_waitcnt vmcnt(23) lgkmcnt(0)
	v_fma_f64 v[91:92], v[101:102], v[95:96], v[91:92]
	s_waitcnt vmcnt(18)
	v_fma_f64 v[101:102], v[103:104], v[97:98], v[91:92]
	ds_read_b128 v[91:94], v90 offset:512
	ds_read_b128 v[95:98], v90 offset:528
	buffer_load_dword v116, off, s[0:3], 0 offset:244
	s_waitcnt vmcnt(18) lgkmcnt(1)
	v_fma_f64 v[91:92], v[109:110], v[91:92], v[101:102]
	s_waitcnt vmcnt(17)
	v_fma_f64 v[91:92], v[107:108], v[93:94], v[91:92]
	buffer_load_dword v102, off, s[0:3], 0 offset:252
	buffer_load_dword v103, off, s[0:3], 0 offset:272
	;; [unrolled: 1-line block ×7, first 2 shown]
	s_waitcnt vmcnt(23) lgkmcnt(0)
	v_fma_f64 v[91:92], v[105:106], v[95:96], v[91:92]
	s_waitcnt vmcnt(18)
	v_fma_f64 v[104:105], v[111:112], v[97:98], v[91:92]
	ds_read_b128 v[91:94], v90 offset:544
	ds_read_b128 v[95:98], v90 offset:560
	s_waitcnt vmcnt(17) lgkmcnt(1)
	v_fma_f64 v[91:92], v[119:120], v[91:92], v[104:105]
	buffer_load_dword v104, off, s[0:3], 0 offset:276
	s_waitcnt vmcnt(17)
	v_fma_f64 v[91:92], v[117:118], v[93:94], v[91:92]
	buffer_load_dword v106, off, s[0:3], 0 offset:284
	buffer_load_dword v111, off, s[0:3], 0 offset:304
	;; [unrolled: 1-line block ×8, first 2 shown]
	s_waitcnt vmcnt(24) lgkmcnt(0)
	v_fma_f64 v[91:92], v[113:114], v[95:96], v[91:92]
	s_waitcnt vmcnt(19)
	v_fma_f64 v[99:100], v[99:100], v[97:98], v[91:92]
	ds_read_b128 v[91:94], v90 offset:576
	ds_read_b128 v[95:98], v90 offset:592
	s_waitcnt vmcnt(18) lgkmcnt(1)
	v_fma_f64 v[91:92], v[123:124], v[91:92], v[99:100]
	s_waitcnt vmcnt(17)
	v_fma_f64 v[91:92], v[121:122], v[93:94], v[91:92]
	buffer_load_dword v100, off, s[0:3], 0 offset:316
	buffer_load_dword v113, off, s[0:3], 0 offset:336
	;; [unrolled: 1-line block ×8, first 2 shown]
	s_waitcnt vmcnt(24) lgkmcnt(0)
	v_fma_f64 v[91:92], v[115:116], v[95:96], v[91:92]
	s_waitcnt vmcnt(19)
	v_fma_f64 v[101:102], v[101:102], v[97:98], v[91:92]
	ds_read_b128 v[91:94], v90 offset:608
	ds_read_b128 v[95:98], v90 offset:624
	s_waitcnt vmcnt(18) lgkmcnt(1)
	v_fma_f64 v[91:92], v[109:110], v[91:92], v[101:102]
	buffer_load_dword v102, off, s[0:3], 0 offset:348
	buffer_load_dword v101, off, s[0:3], 0 offset:344
	s_waitcnt vmcnt(19)
	v_fma_f64 v[91:92], v[107:108], v[93:94], v[91:92]
	buffer_load_dword v107, off, s[0:3], 0 offset:24
	buffer_load_dword v108, off, s[0:3], 0 offset:28
	s_waitcnt vmcnt(20) lgkmcnt(0)
	v_fma_f64 v[91:92], v[103:104], v[95:96], v[91:92]
	s_waitcnt vmcnt(15)
	v_fma_f64 v[103:104], v[105:106], v[97:98], v[91:92]
	ds_read_b128 v[91:94], v90 offset:640
	ds_read_b128 v[95:98], v90 offset:656
	s_waitcnt vmcnt(14) lgkmcnt(1)
	v_fma_f64 v[91:92], v[119:120], v[91:92], v[103:104]
	s_waitcnt vmcnt(13)
	v_fma_f64 v[91:92], v[117:118], v[93:94], v[91:92]
	s_waitcnt vmcnt(12) lgkmcnt(0)
	v_fma_f64 v[91:92], v[111:112], v[95:96], v[91:92]
	s_waitcnt vmcnt(7)
	v_fma_f64 v[99:100], v[99:100], v[97:98], v[91:92]
	ds_read_b128 v[91:94], v90 offset:672
	ds_read_b128 v[95:98], v90 offset:688
	s_waitcnt vmcnt(6) lgkmcnt(1)
	v_fma_f64 v[90:91], v[123:124], v[91:92], v[99:100]
	s_waitcnt vmcnt(5)
	v_fma_f64 v[90:91], v[121:122], v[93:94], v[90:91]
	s_waitcnt vmcnt(4) lgkmcnt(0)
	v_fma_f64 v[90:91], v[113:114], v[95:96], v[90:91]
	s_waitcnt vmcnt(2)
	v_fma_f64 v[90:91], v[101:102], v[97:98], v[90:91]
	s_waitcnt vmcnt(0)
	v_add_f64 v[90:91], v[107:108], -v[90:91]
	buffer_store_dword v91, off, s[0:3], 0 offset:28
	buffer_store_dword v90, off, s[0:3], 0 offset:24
	s_and_saveexec_b64 s[4:5], vcc
	s_cbranch_execz .LBB43_267
; %bb.266:
	buffer_load_dword v90, off, s[0:3], 0 offset:16
	buffer_load_dword v91, off, s[0:3], 0 offset:20
	v_mov_b32_e32 v92, 0
	buffer_store_dword v92, off, s[0:3], 0 offset:16
	buffer_store_dword v92, off, s[0:3], 0 offset:20
	s_waitcnt vmcnt(2)
	ds_write_b64 v89, v[90:91]
.LBB43_267:
	s_or_b64 exec, exec, s[4:5]
	s_waitcnt lgkmcnt(0)
	; wave barrier
	buffer_load_dword v99, off, s[0:3], 0 offset:24
	buffer_load_dword v100, off, s[0:3], 0 offset:28
	;; [unrolled: 1-line block ×22, first 2 shown]
	v_mov_b32_e32 v90, 0
	ds_read2_b64 v[91:94], v90 offset0:47 offset1:48
	ds_read2_b64 v[95:98], v90 offset0:49 offset1:50
	v_cmp_lt_u32_e32 vcc, 1, v0
	s_waitcnt vmcnt(20) lgkmcnt(1)
	v_fma_f64 v[91:92], v[99:100], v[91:92], 0
	s_waitcnt vmcnt(18)
	v_fma_f64 v[91:92], v[101:102], v[93:94], v[91:92]
	buffer_load_dword v100, off, s[0:3], 0 offset:116
	buffer_load_dword v101, off, s[0:3], 0 offset:136
	;; [unrolled: 1-line block ×7, first 2 shown]
	s_waitcnt vmcnt(23) lgkmcnt(0)
	v_fma_f64 v[91:92], v[103:104], v[95:96], v[91:92]
	s_waitcnt vmcnt(21)
	v_fma_f64 v[102:103], v[105:106], v[97:98], v[91:92]
	ds_read2_b64 v[91:94], v90 offset0:51 offset1:52
	ds_read2_b64 v[95:98], v90 offset0:53 offset1:54
	s_waitcnt vmcnt(19) lgkmcnt(1)
	v_fma_f64 v[91:92], v[107:108], v[91:92], v[102:103]
	buffer_load_dword v102, off, s[0:3], 0 offset:140
	s_waitcnt vmcnt(18)
	v_fma_f64 v[91:92], v[109:110], v[93:94], v[91:92]
	buffer_load_dword v104, off, s[0:3], 0 offset:148
	buffer_load_dword v105, off, s[0:3], 0 offset:168
	;; [unrolled: 1-line block ×7, first 2 shown]
	s_waitcnt vmcnt(23) lgkmcnt(0)
	v_fma_f64 v[91:92], v[111:112], v[95:96], v[91:92]
	s_waitcnt vmcnt(18)
	v_fma_f64 v[111:112], v[113:114], v[97:98], v[91:92]
	ds_read2_b64 v[91:94], v90 offset0:55 offset1:56
	ds_read2_b64 v[95:98], v90 offset0:57 offset1:58
	buffer_load_dword v106, off, s[0:3], 0 offset:172
	s_waitcnt vmcnt(18) lgkmcnt(1)
	v_fma_f64 v[91:92], v[119:120], v[91:92], v[111:112]
	s_waitcnt vmcnt(17)
	v_fma_f64 v[91:92], v[117:118], v[93:94], v[91:92]
	buffer_load_dword v112, off, s[0:3], 0 offset:180
	buffer_load_dword v113, off, s[0:3], 0 offset:200
	;; [unrolled: 1-line block ×8, first 2 shown]
	s_waitcnt vmcnt(24) lgkmcnt(0)
	v_fma_f64 v[91:92], v[115:116], v[95:96], v[91:92]
	s_waitcnt vmcnt(19)
	v_fma_f64 v[99:100], v[99:100], v[97:98], v[91:92]
	ds_read2_b64 v[91:94], v90 offset0:59 offset1:60
	ds_read2_b64 v[95:98], v90 offset0:61 offset1:62
	s_waitcnt vmcnt(18) lgkmcnt(1)
	v_fma_f64 v[91:92], v[123:124], v[91:92], v[99:100]
	s_waitcnt vmcnt(17)
	v_fma_f64 v[91:92], v[121:122], v[93:94], v[91:92]
	buffer_load_dword v100, off, s[0:3], 0 offset:212
	buffer_load_dword v115, off, s[0:3], 0 offset:232
	;; [unrolled: 1-line block ×7, first 2 shown]
	s_waitcnt vmcnt(23) lgkmcnt(0)
	v_fma_f64 v[91:92], v[101:102], v[95:96], v[91:92]
	s_waitcnt vmcnt(18)
	v_fma_f64 v[101:102], v[103:104], v[97:98], v[91:92]
	ds_read2_b64 v[91:94], v90 offset0:63 offset1:64
	ds_read2_b64 v[95:98], v90 offset0:65 offset1:66
	buffer_load_dword v116, off, s[0:3], 0 offset:236
	s_waitcnt vmcnt(18) lgkmcnt(1)
	v_fma_f64 v[91:92], v[109:110], v[91:92], v[101:102]
	s_waitcnt vmcnt(17)
	v_fma_f64 v[91:92], v[107:108], v[93:94], v[91:92]
	buffer_load_dword v102, off, s[0:3], 0 offset:244
	buffer_load_dword v103, off, s[0:3], 0 offset:264
	;; [unrolled: 1-line block ×7, first 2 shown]
	s_waitcnt vmcnt(23) lgkmcnt(0)
	v_fma_f64 v[91:92], v[105:106], v[95:96], v[91:92]
	s_waitcnt vmcnt(18)
	v_fma_f64 v[104:105], v[111:112], v[97:98], v[91:92]
	ds_read2_b64 v[91:94], v90 offset0:67 offset1:68
	ds_read2_b64 v[95:98], v90 offset0:69 offset1:70
	s_waitcnt vmcnt(17) lgkmcnt(1)
	v_fma_f64 v[91:92], v[119:120], v[91:92], v[104:105]
	buffer_load_dword v104, off, s[0:3], 0 offset:268
	s_waitcnt vmcnt(17)
	v_fma_f64 v[91:92], v[117:118], v[93:94], v[91:92]
	buffer_load_dword v106, off, s[0:3], 0 offset:276
	buffer_load_dword v111, off, s[0:3], 0 offset:296
	;; [unrolled: 1-line block ×8, first 2 shown]
	s_waitcnt vmcnt(24) lgkmcnt(0)
	v_fma_f64 v[91:92], v[113:114], v[95:96], v[91:92]
	s_waitcnt vmcnt(19)
	v_fma_f64 v[99:100], v[99:100], v[97:98], v[91:92]
	ds_read2_b64 v[91:94], v90 offset0:71 offset1:72
	ds_read2_b64 v[95:98], v90 offset0:73 offset1:74
	s_waitcnt vmcnt(18) lgkmcnt(1)
	v_fma_f64 v[91:92], v[123:124], v[91:92], v[99:100]
	s_waitcnt vmcnt(17)
	v_fma_f64 v[91:92], v[121:122], v[93:94], v[91:92]
	buffer_load_dword v100, off, s[0:3], 0 offset:308
	buffer_load_dword v113, off, s[0:3], 0 offset:328
	;; [unrolled: 1-line block ×7, first 2 shown]
	s_waitcnt vmcnt(23) lgkmcnt(0)
	v_fma_f64 v[91:92], v[115:116], v[95:96], v[91:92]
	s_waitcnt vmcnt(18)
	v_fma_f64 v[101:102], v[101:102], v[97:98], v[91:92]
	ds_read2_b64 v[91:94], v90 offset0:75 offset1:76
	ds_read2_b64 v[95:98], v90 offset0:77 offset1:78
	buffer_load_dword v114, off, s[0:3], 0 offset:332
	s_waitcnt vmcnt(18) lgkmcnt(1)
	v_fma_f64 v[91:92], v[109:110], v[91:92], v[101:102]
	s_waitcnt vmcnt(17)
	v_fma_f64 v[91:92], v[107:108], v[93:94], v[91:92]
	buffer_load_dword v102, off, s[0:3], 0 offset:340
	buffer_load_dword v107, off, s[0:3], 0 offset:344
	;; [unrolled: 1-line block ×4, first 2 shown]
	s_waitcnt vmcnt(20) lgkmcnt(0)
	v_fma_f64 v[91:92], v[103:104], v[95:96], v[91:92]
	buffer_load_dword v103, off, s[0:3], 0 offset:16
	buffer_load_dword v104, off, s[0:3], 0 offset:20
	s_waitcnt vmcnt(17)
	v_fma_f64 v[105:106], v[105:106], v[97:98], v[91:92]
	ds_read2_b64 v[91:94], v90 offset0:79 offset1:80
	ds_read2_b64 v[95:98], v90 offset0:81 offset1:82
	s_waitcnt vmcnt(16) lgkmcnt(1)
	v_fma_f64 v[91:92], v[119:120], v[91:92], v[105:106]
	s_waitcnt vmcnt(15)
	v_fma_f64 v[91:92], v[117:118], v[93:94], v[91:92]
	s_waitcnt vmcnt(14) lgkmcnt(0)
	v_fma_f64 v[91:92], v[111:112], v[95:96], v[91:92]
	s_waitcnt vmcnt(9)
	v_fma_f64 v[99:100], v[99:100], v[97:98], v[91:92]
	ds_read2_b64 v[91:94], v90 offset0:83 offset1:84
	ds_read2_b64 v[95:98], v90 offset0:85 offset1:86
	s_waitcnt vmcnt(8) lgkmcnt(1)
	v_fma_f64 v[91:92], v[123:124], v[91:92], v[99:100]
	s_waitcnt vmcnt(7)
	v_fma_f64 v[91:92], v[121:122], v[93:94], v[91:92]
	ds_read_b64 v[93:94], v90 offset:696
	s_waitcnt vmcnt(6) lgkmcnt(1)
	v_fma_f64 v[91:92], v[113:114], v[95:96], v[91:92]
	s_waitcnt vmcnt(3)
	v_fma_f64 v[91:92], v[101:102], v[97:98], v[91:92]
	s_waitcnt vmcnt(2) lgkmcnt(0)
	v_fma_f64 v[91:92], v[107:108], v[93:94], v[91:92]
	s_waitcnt vmcnt(0)
	v_add_f64 v[91:92], v[103:104], -v[91:92]
	buffer_store_dword v92, off, s[0:3], 0 offset:20
	buffer_store_dword v91, off, s[0:3], 0 offset:16
	s_and_saveexec_b64 s[4:5], vcc
	s_cbranch_execz .LBB43_269
; %bb.268:
	buffer_load_dword v91, off, s[0:3], 0 offset:8
	buffer_load_dword v92, off, s[0:3], 0 offset:12
	s_waitcnt vmcnt(0)
	ds_write_b64 v89, v[91:92]
	buffer_store_dword v90, off, s[0:3], 0 offset:8
	buffer_store_dword v90, off, s[0:3], 0 offset:12
.LBB43_269:
	s_or_b64 exec, exec, s[4:5]
	s_waitcnt lgkmcnt(0)
	; wave barrier
	buffer_load_dword v99, off, s[0:3], 0 offset:16
	buffer_load_dword v100, off, s[0:3], 0 offset:20
	;; [unrolled: 1-line block ×22, first 2 shown]
	ds_read_b128 v[91:94], v90 offset:368
	ds_read_b128 v[95:98], v90 offset:384
	v_cmp_ne_u32_e32 vcc, 0, v0
	s_waitcnt vmcnt(20) lgkmcnt(1)
	v_fma_f64 v[91:92], v[99:100], v[91:92], 0
	s_waitcnt vmcnt(18)
	v_fma_f64 v[91:92], v[101:102], v[93:94], v[91:92]
	buffer_load_dword v100, off, s[0:3], 0 offset:108
	buffer_load_dword v101, off, s[0:3], 0 offset:128
	;; [unrolled: 1-line block ×7, first 2 shown]
	s_waitcnt vmcnt(23) lgkmcnt(0)
	v_fma_f64 v[91:92], v[103:104], v[95:96], v[91:92]
	s_waitcnt vmcnt(21)
	v_fma_f64 v[102:103], v[105:106], v[97:98], v[91:92]
	ds_read_b128 v[91:94], v90 offset:400
	ds_read_b128 v[95:98], v90 offset:416
	s_waitcnt vmcnt(19) lgkmcnt(1)
	v_fma_f64 v[91:92], v[107:108], v[91:92], v[102:103]
	buffer_load_dword v102, off, s[0:3], 0 offset:132
	s_waitcnt vmcnt(18)
	v_fma_f64 v[91:92], v[109:110], v[93:94], v[91:92]
	buffer_load_dword v104, off, s[0:3], 0 offset:140
	buffer_load_dword v105, off, s[0:3], 0 offset:160
	;; [unrolled: 1-line block ×7, first 2 shown]
	s_waitcnt vmcnt(23) lgkmcnt(0)
	v_fma_f64 v[91:92], v[111:112], v[95:96], v[91:92]
	s_waitcnt vmcnt(18)
	v_fma_f64 v[111:112], v[113:114], v[97:98], v[91:92]
	ds_read_b128 v[91:94], v90 offset:432
	ds_read_b128 v[95:98], v90 offset:448
	buffer_load_dword v106, off, s[0:3], 0 offset:164
	s_waitcnt vmcnt(18) lgkmcnt(1)
	v_fma_f64 v[91:92], v[119:120], v[91:92], v[111:112]
	s_waitcnt vmcnt(17)
	v_fma_f64 v[91:92], v[117:118], v[93:94], v[91:92]
	buffer_load_dword v112, off, s[0:3], 0 offset:172
	buffer_load_dword v113, off, s[0:3], 0 offset:192
	;; [unrolled: 1-line block ×8, first 2 shown]
	s_waitcnt vmcnt(24) lgkmcnt(0)
	v_fma_f64 v[91:92], v[115:116], v[95:96], v[91:92]
	s_waitcnt vmcnt(19)
	v_fma_f64 v[99:100], v[99:100], v[97:98], v[91:92]
	ds_read_b128 v[91:94], v90 offset:464
	ds_read_b128 v[95:98], v90 offset:480
	s_waitcnt vmcnt(18) lgkmcnt(1)
	v_fma_f64 v[91:92], v[123:124], v[91:92], v[99:100]
	s_waitcnt vmcnt(17)
	v_fma_f64 v[91:92], v[121:122], v[93:94], v[91:92]
	buffer_load_dword v100, off, s[0:3], 0 offset:204
	buffer_load_dword v115, off, s[0:3], 0 offset:224
	;; [unrolled: 1-line block ×8, first 2 shown]
	s_waitcnt vmcnt(24) lgkmcnt(0)
	v_fma_f64 v[91:92], v[101:102], v[95:96], v[91:92]
	s_waitcnt vmcnt(19)
	v_fma_f64 v[101:102], v[103:104], v[97:98], v[91:92]
	ds_read_b128 v[91:94], v90 offset:496
	ds_read_b128 v[95:98], v90 offset:512
	s_waitcnt vmcnt(18) lgkmcnt(1)
	v_fma_f64 v[91:92], v[109:110], v[91:92], v[101:102]
	s_waitcnt vmcnt(17)
	v_fma_f64 v[91:92], v[107:108], v[93:94], v[91:92]
	buffer_load_dword v102, off, s[0:3], 0 offset:236
	buffer_load_dword v103, off, s[0:3], 0 offset:256
	;; [unrolled: 1-line block ×7, first 2 shown]
	s_waitcnt vmcnt(23) lgkmcnt(0)
	v_fma_f64 v[91:92], v[105:106], v[95:96], v[91:92]
	s_waitcnt vmcnt(18)
	v_fma_f64 v[104:105], v[111:112], v[97:98], v[91:92]
	ds_read_b128 v[91:94], v90 offset:528
	ds_read_b128 v[95:98], v90 offset:544
	s_waitcnt vmcnt(17) lgkmcnt(1)
	v_fma_f64 v[91:92], v[119:120], v[91:92], v[104:105]
	buffer_load_dword v104, off, s[0:3], 0 offset:260
	s_waitcnt vmcnt(17)
	v_fma_f64 v[91:92], v[117:118], v[93:94], v[91:92]
	buffer_load_dword v106, off, s[0:3], 0 offset:268
	buffer_load_dword v111, off, s[0:3], 0 offset:288
	;; [unrolled: 1-line block ×8, first 2 shown]
	s_waitcnt vmcnt(24) lgkmcnt(0)
	v_fma_f64 v[91:92], v[113:114], v[95:96], v[91:92]
	s_waitcnt vmcnt(19)
	v_fma_f64 v[99:100], v[99:100], v[97:98], v[91:92]
	ds_read_b128 v[91:94], v90 offset:560
	ds_read_b128 v[95:98], v90 offset:576
	s_waitcnt vmcnt(18) lgkmcnt(1)
	v_fma_f64 v[91:92], v[123:124], v[91:92], v[99:100]
	s_waitcnt vmcnt(17)
	v_fma_f64 v[91:92], v[121:122], v[93:94], v[91:92]
	buffer_load_dword v100, off, s[0:3], 0 offset:300
	buffer_load_dword v113, off, s[0:3], 0 offset:320
	;; [unrolled: 1-line block ×8, first 2 shown]
	s_waitcnt vmcnt(24) lgkmcnt(0)
	v_fma_f64 v[91:92], v[115:116], v[95:96], v[91:92]
	s_waitcnt vmcnt(19)
	v_fma_f64 v[101:102], v[101:102], v[97:98], v[91:92]
	ds_read_b128 v[91:94], v90 offset:592
	ds_read_b128 v[95:98], v90 offset:608
	s_waitcnt vmcnt(18) lgkmcnt(1)
	v_fma_f64 v[91:92], v[109:110], v[91:92], v[101:102]
	s_waitcnt vmcnt(17)
	v_fma_f64 v[91:92], v[107:108], v[93:94], v[91:92]
	buffer_load_dword v102, off, s[0:3], 0 offset:332
	buffer_load_dword v107, off, s[0:3], 0 offset:344
	;; [unrolled: 1-line block ×6, first 2 shown]
	s_waitcnt vmcnt(22) lgkmcnt(0)
	v_fma_f64 v[91:92], v[103:104], v[95:96], v[91:92]
	s_waitcnt vmcnt(17)
	v_fma_f64 v[103:104], v[105:106], v[97:98], v[91:92]
	ds_read_b128 v[91:94], v90 offset:624
	buffer_load_dword v105, off, s[0:3], 0 offset:8
	buffer_load_dword v106, off, s[0:3], 0 offset:12
	ds_read_b128 v[95:98], v90 offset:640
	s_waitcnt vmcnt(18) lgkmcnt(1)
	v_fma_f64 v[91:92], v[119:120], v[91:92], v[103:104]
	s_waitcnt vmcnt(17)
	v_fma_f64 v[91:92], v[117:118], v[93:94], v[91:92]
	s_waitcnt vmcnt(16) lgkmcnt(0)
	v_fma_f64 v[91:92], v[111:112], v[95:96], v[91:92]
	s_waitcnt vmcnt(11)
	v_fma_f64 v[99:100], v[99:100], v[97:98], v[91:92]
	ds_read_b128 v[91:94], v90 offset:656
	ds_read_b128 v[95:98], v90 offset:672
	s_waitcnt vmcnt(10) lgkmcnt(1)
	v_fma_f64 v[91:92], v[123:124], v[91:92], v[99:100]
	s_waitcnt vmcnt(9)
	v_fma_f64 v[91:92], v[121:122], v[93:94], v[91:92]
	s_waitcnt vmcnt(8) lgkmcnt(0)
	v_fma_f64 v[91:92], v[113:114], v[95:96], v[91:92]
	s_waitcnt vmcnt(4)
	v_fma_f64 v[94:95], v[101:102], v[97:98], v[91:92]
	ds_read_b128 v[90:93], v90 offset:688
	s_waitcnt vmcnt(3) lgkmcnt(0)
	v_fma_f64 v[90:91], v[109:110], v[90:91], v[94:95]
	s_waitcnt vmcnt(2)
	v_fma_f64 v[90:91], v[107:108], v[92:93], v[90:91]
	s_waitcnt vmcnt(0)
	v_add_f64 v[90:91], v[105:106], -v[90:91]
	buffer_store_dword v91, off, s[0:3], 0 offset:12
	buffer_store_dword v90, off, s[0:3], 0 offset:8
	s_and_saveexec_b64 s[4:5], vcc
	s_cbranch_execz .LBB43_271
; %bb.270:
	buffer_load_dword v90, off, s[0:3], 0
	buffer_load_dword v91, off, s[0:3], 0 offset:4
	v_mov_b32_e32 v0, 0
	buffer_store_dword v0, off, s[0:3], 0
	buffer_store_dword v0, off, s[0:3], 0 offset:4
	s_waitcnt vmcnt(2)
	ds_write_b64 v89, v[90:91]
.LBB43_271:
	s_or_b64 exec, exec, s[4:5]
	s_waitcnt lgkmcnt(0)
	; wave barrier
	buffer_load_dword v97, off, s[0:3], 0 offset:8
	buffer_load_dword v98, off, s[0:3], 0 offset:12
	buffer_load_dword v99, off, s[0:3], 0 offset:16
	buffer_load_dword v100, off, s[0:3], 0 offset:20
	buffer_load_dword v101, off, s[0:3], 0 offset:24
	buffer_load_dword v102, off, s[0:3], 0 offset:28
	buffer_load_dword v103, off, s[0:3], 0 offset:32
	buffer_load_dword v104, off, s[0:3], 0 offset:36
	buffer_load_dword v105, off, s[0:3], 0 offset:40
	buffer_load_dword v106, off, s[0:3], 0 offset:44
	buffer_load_dword v107, off, s[0:3], 0 offset:48
	buffer_load_dword v108, off, s[0:3], 0 offset:52
	buffer_load_dword v109, off, s[0:3], 0 offset:56
	buffer_load_dword v110, off, s[0:3], 0 offset:60
	buffer_load_dword v112, off, s[0:3], 0 offset:68
	buffer_load_dword v113, off, s[0:3], 0 offset:88
	buffer_load_dword v115, off, s[0:3], 0 offset:80
	buffer_load_dword v117, off, s[0:3], 0 offset:72
	buffer_load_dword v111, off, s[0:3], 0 offset:64
	buffer_load_dword v118, off, s[0:3], 0 offset:76
	buffer_load_dword v116, off, s[0:3], 0 offset:84
	buffer_load_dword v114, off, s[0:3], 0 offset:92
	v_mov_b32_e32 v0, 0
	ds_read2_b64 v[89:92], v0 offset0:45 offset1:46
	ds_read2_b64 v[93:96], v0 offset0:47 offset1:48
	s_and_b64 vcc, exec, s[22:23]
	s_waitcnt vmcnt(20) lgkmcnt(1)
	v_fma_f64 v[89:90], v[97:98], v[89:90], 0
	s_waitcnt vmcnt(18)
	v_fma_f64 v[89:90], v[99:100], v[91:92], v[89:90]
	buffer_load_dword v98, off, s[0:3], 0 offset:100
	buffer_load_dword v99, off, s[0:3], 0 offset:120
	;; [unrolled: 1-line block ×7, first 2 shown]
	s_waitcnt vmcnt(23) lgkmcnt(0)
	v_fma_f64 v[89:90], v[101:102], v[93:94], v[89:90]
	s_waitcnt vmcnt(21)
	v_fma_f64 v[100:101], v[103:104], v[95:96], v[89:90]
	ds_read2_b64 v[89:92], v0 offset0:49 offset1:50
	ds_read2_b64 v[93:96], v0 offset0:51 offset1:52
	s_waitcnt vmcnt(19) lgkmcnt(1)
	v_fma_f64 v[89:90], v[105:106], v[89:90], v[100:101]
	buffer_load_dword v100, off, s[0:3], 0 offset:124
	s_waitcnt vmcnt(18)
	v_fma_f64 v[89:90], v[107:108], v[91:92], v[89:90]
	buffer_load_dword v102, off, s[0:3], 0 offset:132
	buffer_load_dword v103, off, s[0:3], 0 offset:152
	;; [unrolled: 1-line block ×7, first 2 shown]
	s_waitcnt vmcnt(23) lgkmcnt(0)
	v_fma_f64 v[89:90], v[109:110], v[93:94], v[89:90]
	s_waitcnt vmcnt(18)
	v_fma_f64 v[109:110], v[111:112], v[95:96], v[89:90]
	ds_read2_b64 v[89:92], v0 offset0:53 offset1:54
	ds_read2_b64 v[93:96], v0 offset0:55 offset1:56
	buffer_load_dword v104, off, s[0:3], 0 offset:156
	s_waitcnt vmcnt(18) lgkmcnt(1)
	v_fma_f64 v[89:90], v[117:118], v[89:90], v[109:110]
	s_waitcnt vmcnt(17)
	v_fma_f64 v[89:90], v[115:116], v[91:92], v[89:90]
	buffer_load_dword v110, off, s[0:3], 0 offset:164
	buffer_load_dword v111, off, s[0:3], 0 offset:184
	;; [unrolled: 1-line block ×8, first 2 shown]
	s_waitcnt vmcnt(24) lgkmcnt(0)
	v_fma_f64 v[89:90], v[113:114], v[93:94], v[89:90]
	s_waitcnt vmcnt(19)
	v_fma_f64 v[97:98], v[97:98], v[95:96], v[89:90]
	ds_read2_b64 v[89:92], v0 offset0:57 offset1:58
	ds_read2_b64 v[93:96], v0 offset0:59 offset1:60
	s_waitcnt vmcnt(18) lgkmcnt(1)
	v_fma_f64 v[89:90], v[121:122], v[89:90], v[97:98]
	s_waitcnt vmcnt(17)
	v_fma_f64 v[89:90], v[119:120], v[91:92], v[89:90]
	buffer_load_dword v98, off, s[0:3], 0 offset:196
	buffer_load_dword v113, off, s[0:3], 0 offset:216
	buffer_load_dword v119, off, s[0:3], 0 offset:208
	buffer_load_dword v121, off, s[0:3], 0 offset:200
	buffer_load_dword v97, off, s[0:3], 0 offset:192
	buffer_load_dword v122, off, s[0:3], 0 offset:204
	buffer_load_dword v120, off, s[0:3], 0 offset:212
	buffer_load_dword v114, off, s[0:3], 0 offset:220
	s_waitcnt vmcnt(24) lgkmcnt(0)
	v_fma_f64 v[89:90], v[99:100], v[93:94], v[89:90]
	s_waitcnt vmcnt(19)
	v_fma_f64 v[99:100], v[101:102], v[95:96], v[89:90]
	ds_read2_b64 v[89:92], v0 offset0:61 offset1:62
	ds_read2_b64 v[93:96], v0 offset0:63 offset1:64
	s_waitcnt vmcnt(18) lgkmcnt(1)
	v_fma_f64 v[89:90], v[107:108], v[89:90], v[99:100]
	s_waitcnt vmcnt(17)
	v_fma_f64 v[89:90], v[105:106], v[91:92], v[89:90]
	buffer_load_dword v100, off, s[0:3], 0 offset:228
	buffer_load_dword v101, off, s[0:3], 0 offset:248
	;; [unrolled: 1-line block ×7, first 2 shown]
	s_waitcnt vmcnt(23) lgkmcnt(0)
	v_fma_f64 v[89:90], v[103:104], v[93:94], v[89:90]
	s_waitcnt vmcnt(18)
	v_fma_f64 v[102:103], v[109:110], v[95:96], v[89:90]
	ds_read2_b64 v[89:92], v0 offset0:65 offset1:66
	ds_read2_b64 v[93:96], v0 offset0:67 offset1:68
	s_waitcnt vmcnt(17) lgkmcnt(1)
	v_fma_f64 v[89:90], v[117:118], v[89:90], v[102:103]
	buffer_load_dword v102, off, s[0:3], 0 offset:252
	s_waitcnt vmcnt(17)
	v_fma_f64 v[89:90], v[115:116], v[91:92], v[89:90]
	buffer_load_dword v104, off, s[0:3], 0 offset:260
	buffer_load_dword v109, off, s[0:3], 0 offset:280
	;; [unrolled: 1-line block ×8, first 2 shown]
	s_waitcnt vmcnt(24) lgkmcnt(0)
	v_fma_f64 v[89:90], v[111:112], v[93:94], v[89:90]
	s_waitcnt vmcnt(19)
	v_fma_f64 v[97:98], v[97:98], v[95:96], v[89:90]
	ds_read2_b64 v[89:92], v0 offset0:69 offset1:70
	ds_read2_b64 v[93:96], v0 offset0:71 offset1:72
	s_waitcnt vmcnt(18) lgkmcnt(1)
	v_fma_f64 v[89:90], v[121:122], v[89:90], v[97:98]
	s_waitcnt vmcnt(17)
	v_fma_f64 v[89:90], v[119:120], v[91:92], v[89:90]
	buffer_load_dword v112, off, s[0:3], 0 offset:292
	buffer_load_dword v119, off, s[0:3], 0 offset:312
	;; [unrolled: 1-line block ×8, first 2 shown]
	s_waitcnt vmcnt(24) lgkmcnt(0)
	v_fma_f64 v[89:90], v[113:114], v[93:94], v[89:90]
	s_waitcnt vmcnt(19)
	v_fma_f64 v[97:98], v[99:100], v[95:96], v[89:90]
	ds_read2_b64 v[89:92], v0 offset0:73 offset1:74
	ds_read2_b64 v[93:96], v0 offset0:75 offset1:76
	s_waitcnt vmcnt(18) lgkmcnt(1)
	v_fma_f64 v[89:90], v[107:108], v[89:90], v[97:98]
	s_waitcnt vmcnt(17)
	v_fma_f64 v[89:90], v[105:106], v[91:92], v[89:90]
	buffer_load_dword v106, off, s[0:3], 0 offset:324
	buffer_load_dword v107, off, s[0:3], 0 offset:344
	;; [unrolled: 1-line block ×8, first 2 shown]
	ds_read2_b64 v[97:100], v0 offset0:79 offset1:80
	s_waitcnt vmcnt(24) lgkmcnt(1)
	v_fma_f64 v[89:90], v[101:102], v[93:94], v[89:90]
	s_waitcnt vmcnt(19)
	v_fma_f64 v[89:90], v[103:104], v[95:96], v[89:90]
	ds_read2_b64 v[93:96], v0 offset0:77 offset1:78
	buffer_load_dword v101, off, s[0:3], 0
	buffer_load_dword v102, off, s[0:3], 0 offset:4
	s_waitcnt vmcnt(20) lgkmcnt(0)
	v_fma_f64 v[89:90], v[117:118], v[93:94], v[89:90]
	s_waitcnt vmcnt(19)
	v_fma_f64 v[89:90], v[115:116], v[95:96], v[89:90]
	s_waitcnt vmcnt(18)
	;; [unrolled: 2-line block ×3, first 2 shown]
	v_fma_f64 v[89:90], v[111:112], v[99:100], v[89:90]
	ds_read2_b64 v[93:96], v0 offset0:81 offset1:82
	ds_read2_b64 v[97:100], v0 offset0:83 offset1:84
	s_waitcnt vmcnt(12) lgkmcnt(1)
	v_fma_f64 v[89:90], v[123:124], v[93:94], v[89:90]
	s_waitcnt vmcnt(11)
	v_fma_f64 v[89:90], v[121:122], v[95:96], v[89:90]
	s_waitcnt vmcnt(10) lgkmcnt(0)
	v_fma_f64 v[89:90], v[119:120], v[97:98], v[89:90]
	ds_read2_b64 v[93:96], v0 offset0:85 offset1:86
	ds_read_b64 v[97:98], v0 offset:696
	s_waitcnt vmcnt(5)
	v_fma_f64 v[89:90], v[105:106], v[99:100], v[89:90]
	s_waitcnt vmcnt(4) lgkmcnt(1)
	v_fma_f64 v[89:90], v[113:114], v[93:94], v[89:90]
	s_waitcnt vmcnt(3)
	v_fma_f64 v[89:90], v[91:92], v[95:96], v[89:90]
	s_waitcnt vmcnt(2) lgkmcnt(0)
	v_fma_f64 v[89:90], v[107:108], v[97:98], v[89:90]
	s_waitcnt vmcnt(0)
	v_add_f64 v[89:90], v[101:102], -v[89:90]
	buffer_store_dword v90, off, s[0:3], 0 offset:4
	buffer_store_dword v89, off, s[0:3], 0
	s_cbranch_vccz .LBB43_358
; %bb.272:
	global_load_dword v0, v0, s[20:21] offset:168
	s_waitcnt vmcnt(0)
	v_add_u32_e32 v0, -1, v0
	v_cmp_ne_u32_e32 vcc, 42, v0
	s_cbranch_vccz .LBB43_274
; %bb.273:
	v_lshlrev_b32_e32 v0, 3, v0
	buffer_load_dword v89, v0, s[0:3], 0 offen offset:4
	buffer_load_dword v90, v0, s[0:3], 0 offen
	s_waitcnt vmcnt(1)
	buffer_store_dword v89, off, s[0:3], 0 offset:340
	s_waitcnt vmcnt(1)
	buffer_store_dword v90, off, s[0:3], 0 offset:336
	buffer_store_dword v92, v0, s[0:3], 0 offen offset:4
	buffer_store_dword v91, v0, s[0:3], 0 offen
.LBB43_274:
	v_mov_b32_e32 v0, 0
	global_load_dword v89, v0, s[20:21] offset:164
	s_waitcnt vmcnt(0)
	v_add_u32_e32 v89, -1, v89
	v_cmp_eq_u32_e32 vcc, 41, v89
	s_cbranch_vccnz .LBB43_276
; %bb.275:
	v_lshlrev_b32_e32 v89, 3, v89
	buffer_load_dword v90, v89, s[0:3], 0 offen
	buffer_load_dword v91, v89, s[0:3], 0 offen offset:4
	buffer_load_dword v92, off, s[0:3], 0 offset:328
	buffer_load_dword v93, off, s[0:3], 0 offset:332
	s_waitcnt vmcnt(3)
	buffer_store_dword v90, off, s[0:3], 0 offset:328
	s_waitcnt vmcnt(3)
	buffer_store_dword v91, off, s[0:3], 0 offset:332
	s_waitcnt vmcnt(3)
	buffer_store_dword v92, v89, s[0:3], 0 offen
	s_waitcnt vmcnt(3)
	buffer_store_dword v93, v89, s[0:3], 0 offen offset:4
.LBB43_276:
	global_load_dword v0, v0, s[20:21] offset:160
	s_waitcnt vmcnt(0)
	v_add_u32_e32 v0, -1, v0
	v_cmp_eq_u32_e32 vcc, 40, v0
	s_cbranch_vccnz .LBB43_278
; %bb.277:
	v_lshlrev_b32_e32 v0, 3, v0
	buffer_load_dword v89, v0, s[0:3], 0 offen
	buffer_load_dword v90, v0, s[0:3], 0 offen offset:4
	buffer_load_dword v91, off, s[0:3], 0 offset:324
	buffer_load_dword v92, off, s[0:3], 0 offset:320
	s_waitcnt vmcnt(3)
	buffer_store_dword v89, off, s[0:3], 0 offset:320
	s_waitcnt vmcnt(3)
	buffer_store_dword v90, off, s[0:3], 0 offset:324
	s_waitcnt vmcnt(3)
	buffer_store_dword v91, v0, s[0:3], 0 offen offset:4
	s_waitcnt vmcnt(3)
	buffer_store_dword v92, v0, s[0:3], 0 offen
.LBB43_278:
	v_mov_b32_e32 v0, 0
	global_load_dword v89, v0, s[20:21] offset:156
	s_waitcnt vmcnt(0)
	v_add_u32_e32 v89, -1, v89
	v_cmp_eq_u32_e32 vcc, 39, v89
	s_cbranch_vccnz .LBB43_280
; %bb.279:
	v_lshlrev_b32_e32 v89, 3, v89
	buffer_load_dword v90, v89, s[0:3], 0 offen
	buffer_load_dword v91, v89, s[0:3], 0 offen offset:4
	buffer_load_dword v92, off, s[0:3], 0 offset:312
	buffer_load_dword v93, off, s[0:3], 0 offset:316
	s_waitcnt vmcnt(3)
	buffer_store_dword v90, off, s[0:3], 0 offset:312
	s_waitcnt vmcnt(3)
	buffer_store_dword v91, off, s[0:3], 0 offset:316
	s_waitcnt vmcnt(3)
	buffer_store_dword v92, v89, s[0:3], 0 offen
	s_waitcnt vmcnt(3)
	buffer_store_dword v93, v89, s[0:3], 0 offen offset:4
.LBB43_280:
	global_load_dword v0, v0, s[20:21] offset:152
	s_waitcnt vmcnt(0)
	v_add_u32_e32 v0, -1, v0
	v_cmp_eq_u32_e32 vcc, 38, v0
	s_cbranch_vccnz .LBB43_282
; %bb.281:
	v_lshlrev_b32_e32 v0, 3, v0
	buffer_load_dword v89, v0, s[0:3], 0 offen
	buffer_load_dword v90, v0, s[0:3], 0 offen offset:4
	buffer_load_dword v91, off, s[0:3], 0 offset:308
	buffer_load_dword v92, off, s[0:3], 0 offset:304
	s_waitcnt vmcnt(3)
	buffer_store_dword v89, off, s[0:3], 0 offset:304
	s_waitcnt vmcnt(3)
	buffer_store_dword v90, off, s[0:3], 0 offset:308
	s_waitcnt vmcnt(3)
	buffer_store_dword v91, v0, s[0:3], 0 offen offset:4
	s_waitcnt vmcnt(3)
	buffer_store_dword v92, v0, s[0:3], 0 offen
.LBB43_282:
	;; [unrolled: 41-line block ×20, first 2 shown]
	v_mov_b32_e32 v0, 0
	global_load_dword v89, v0, s[20:21] offset:4
	s_waitcnt vmcnt(0)
	v_add_u32_e32 v89, -1, v89
	v_cmp_eq_u32_e32 vcc, 1, v89
	s_cbranch_vccnz .LBB43_356
; %bb.355:
	v_lshlrev_b32_e32 v89, 3, v89
	buffer_load_dword v90, v89, s[0:3], 0 offen
	buffer_load_dword v91, v89, s[0:3], 0 offen offset:4
	buffer_load_dword v92, off, s[0:3], 0 offset:8
	buffer_load_dword v93, off, s[0:3], 0 offset:12
	s_waitcnt vmcnt(3)
	buffer_store_dword v90, off, s[0:3], 0 offset:8
	s_waitcnt vmcnt(3)
	buffer_store_dword v91, off, s[0:3], 0 offset:12
	s_waitcnt vmcnt(3)
	buffer_store_dword v92, v89, s[0:3], 0 offen
	s_waitcnt vmcnt(3)
	buffer_store_dword v93, v89, s[0:3], 0 offen offset:4
.LBB43_356:
	global_load_dword v0, v0, s[20:21]
	s_nop 0
	buffer_load_dword v89, off, s[0:3], 0
	buffer_load_dword v90, off, s[0:3], 0 offset:4
	s_waitcnt vmcnt(2)
	v_add_u32_e32 v0, -1, v0
	v_cmp_eq_u32_e32 vcc, 0, v0
	s_cbranch_vccnz .LBB43_358
; %bb.357:
	v_lshlrev_b32_e32 v0, 3, v0
	buffer_load_dword v91, v0, s[0:3], 0 offen offset:4
	buffer_load_dword v92, v0, s[0:3], 0 offen
	s_waitcnt vmcnt(1)
	buffer_store_dword v91, off, s[0:3], 0 offset:4
	s_waitcnt vmcnt(1)
	buffer_store_dword v92, off, s[0:3], 0
	buffer_store_dword v90, v0, s[0:3], 0 offen offset:4
	buffer_store_dword v89, v0, s[0:3], 0 offen
	buffer_load_dword v89, off, s[0:3], 0
	s_nop 0
	buffer_load_dword v90, off, s[0:3], 0 offset:4
.LBB43_358:
	buffer_load_dword v91, off, s[0:3], 0 offset:8
	buffer_load_dword v92, off, s[0:3], 0 offset:12
	;; [unrolled: 1-line block ×24, first 2 shown]
	s_waitcnt vmcnt(24)
	global_store_dwordx2 v[87:88], v[89:90], off
	buffer_load_dword v87, off, s[0:3], 0 offset:104
	s_nop 0
	buffer_load_dword v88, off, s[0:3], 0 offset:108
	buffer_load_dword v89, off, s[0:3], 0 offset:112
	;; [unrolled: 1-line block ×7, first 2 shown]
	s_waitcnt vmcnt(31)
	global_store_dwordx2 v[85:86], v[91:92], off
	buffer_load_dword v85, off, s[0:3], 0 offset:136
	s_nop 0
	buffer_load_dword v86, off, s[0:3], 0 offset:140
	buffer_load_dword v91, off, s[0:3], 0 offset:144
	buffer_load_dword v92, off, s[0:3], 0 offset:148
	buffer_load_dword v119, off, s[0:3], 0 offset:152
	buffer_load_dword v120, off, s[0:3], 0 offset:156
	buffer_load_dword v121, off, s[0:3], 0 offset:160
	buffer_load_dword v122, off, s[0:3], 0 offset:164
	s_waitcnt vmcnt(38)
	global_store_dwordx2 v[1:2], v[93:94], off
	s_waitcnt vmcnt(37)
	global_store_dwordx2 v[7:8], v[95:96], off
	buffer_load_dword v0, off, s[0:3], 0 offset:168
	buffer_load_dword v1, off, s[0:3], 0 offset:172
	s_nop 0
	buffer_load_dword v7, off, s[0:3], 0 offset:176
	buffer_load_dword v8, off, s[0:3], 0 offset:180
	buffer_load_dword v93, off, s[0:3], 0 offset:184
	buffer_load_dword v94, off, s[0:3], 0 offset:188
	buffer_load_dword v95, off, s[0:3], 0 offset:192
	buffer_load_dword v96, off, s[0:3], 0 offset:196
	s_waitcnt vmcnt(44)
	global_store_dwordx2 v[3:4], v[97:98], off
	s_waitcnt vmcnt(43)
	global_store_dwordx2 v[11:12], v[99:100], off
	buffer_load_dword v2, off, s[0:3], 0 offset:200
	buffer_load_dword v3, off, s[0:3], 0 offset:204
	s_nop 0
	buffer_load_dword v11, off, s[0:3], 0 offset:208
	buffer_load_dword v12, off, s[0:3], 0 offset:212
	buffer_load_dword v97, off, s[0:3], 0 offset:216
	buffer_load_dword v98, off, s[0:3], 0 offset:220
	buffer_load_dword v99, off, s[0:3], 0 offset:224
	buffer_load_dword v100, off, s[0:3], 0 offset:228
	;; [unrolled: 13-line block ×3, first 2 shown]
	s_waitcnt vmcnt(56)
	global_store_dwordx2 v[9:10], v[105:106], off
	s_waitcnt vmcnt(55)
	global_store_dwordx2 v[15:16], v[107:108], off
	;; [unrolled: 2-line block ×5, first 2 shown]
	buffer_load_dword v9, off, s[0:3], 0 offset:264
	buffer_load_dword v10, off, s[0:3], 0 offset:268
	buffer_load_dword v15, off, s[0:3], 0 offset:272
	buffer_load_dword v16, off, s[0:3], 0 offset:276
	buffer_load_dword v19, off, s[0:3], 0 offset:280
	buffer_load_dword v20, off, s[0:3], 0 offset:284
	buffer_load_dword v23, off, s[0:3], 0 offset:288
	buffer_load_dword v24, off, s[0:3], 0 offset:292
	buffer_load_dword v27, off, s[0:3], 0 offset:296
	buffer_load_dword v28, off, s[0:3], 0 offset:300
	buffer_load_dword v105, off, s[0:3], 0 offset:304
	buffer_load_dword v106, off, s[0:3], 0 offset:308
	buffer_load_dword v107, off, s[0:3], 0 offset:312
	buffer_load_dword v108, off, s[0:3], 0 offset:316
	buffer_load_dword v109, off, s[0:3], 0 offset:320
	buffer_load_dword v110, off, s[0:3], 0 offset:324
	buffer_load_dword v111, off, s[0:3], 0 offset:328
	buffer_load_dword v112, off, s[0:3], 0 offset:332
	buffer_load_dword v113, off, s[0:3], 0 offset:336
	buffer_load_dword v114, off, s[0:3], 0 offset:340
	buffer_load_dword v123, off, s[0:3], 0 offset:344
	buffer_load_dword v124, off, s[0:3], 0 offset:348
	s_waitcnt vmcnt(62)
	global_store_dwordx2 v[17:18], v[87:88], off
	global_store_dwordx2 v[21:22], v[89:90], off
	;; [unrolled: 1-line block ×5, first 2 shown]
	s_waitcnt vmcnt(62)
	global_store_dwordx2 v[33:34], v[91:92], off
	global_store_dwordx2 v[35:36], v[119:120], off
	;; [unrolled: 1-line block ×3, first 2 shown]
	s_waitcnt vmcnt(61)
	global_store_dwordx2 v[39:40], v[0:1], off
	s_waitcnt vmcnt(60)
	global_store_dwordx2 v[41:42], v[7:8], off
	;; [unrolled: 2-line block ×23, first 2 shown]
	s_endpgm
	.section	.rodata,"a",@progbits
	.p2align	6, 0x0
	.amdhsa_kernel _ZN9rocsolver6v33100L18getri_kernel_smallILi44EdPdEEvT1_iilPiilS4_bb
		.amdhsa_group_segment_fixed_size 712
		.amdhsa_private_segment_fixed_size 368
		.amdhsa_kernarg_size 60
		.amdhsa_user_sgpr_count 6
		.amdhsa_user_sgpr_private_segment_buffer 1
		.amdhsa_user_sgpr_dispatch_ptr 0
		.amdhsa_user_sgpr_queue_ptr 0
		.amdhsa_user_sgpr_kernarg_segment_ptr 1
		.amdhsa_user_sgpr_dispatch_id 0
		.amdhsa_user_sgpr_flat_scratch_init 0
		.amdhsa_user_sgpr_private_segment_size 0
		.amdhsa_uses_dynamic_stack 0
		.amdhsa_system_sgpr_private_segment_wavefront_offset 1
		.amdhsa_system_sgpr_workgroup_id_x 1
		.amdhsa_system_sgpr_workgroup_id_y 0
		.amdhsa_system_sgpr_workgroup_id_z 0
		.amdhsa_system_sgpr_workgroup_info 0
		.amdhsa_system_vgpr_workitem_id 0
		.amdhsa_next_free_vgpr 125
		.amdhsa_next_free_sgpr 24
		.amdhsa_reserve_vcc 1
		.amdhsa_reserve_flat_scratch 0
		.amdhsa_float_round_mode_32 0
		.amdhsa_float_round_mode_16_64 0
		.amdhsa_float_denorm_mode_32 3
		.amdhsa_float_denorm_mode_16_64 3
		.amdhsa_dx10_clamp 1
		.amdhsa_ieee_mode 1
		.amdhsa_fp16_overflow 0
		.amdhsa_exception_fp_ieee_invalid_op 0
		.amdhsa_exception_fp_denorm_src 0
		.amdhsa_exception_fp_ieee_div_zero 0
		.amdhsa_exception_fp_ieee_overflow 0
		.amdhsa_exception_fp_ieee_underflow 0
		.amdhsa_exception_fp_ieee_inexact 0
		.amdhsa_exception_int_div_zero 0
	.end_amdhsa_kernel
	.section	.text._ZN9rocsolver6v33100L18getri_kernel_smallILi44EdPdEEvT1_iilPiilS4_bb,"axG",@progbits,_ZN9rocsolver6v33100L18getri_kernel_smallILi44EdPdEEvT1_iilPiilS4_bb,comdat
.Lfunc_end43:
	.size	_ZN9rocsolver6v33100L18getri_kernel_smallILi44EdPdEEvT1_iilPiilS4_bb, .Lfunc_end43-_ZN9rocsolver6v33100L18getri_kernel_smallILi44EdPdEEvT1_iilPiilS4_bb
                                        ; -- End function
	.set _ZN9rocsolver6v33100L18getri_kernel_smallILi44EdPdEEvT1_iilPiilS4_bb.num_vgpr, 125
	.set _ZN9rocsolver6v33100L18getri_kernel_smallILi44EdPdEEvT1_iilPiilS4_bb.num_agpr, 0
	.set _ZN9rocsolver6v33100L18getri_kernel_smallILi44EdPdEEvT1_iilPiilS4_bb.numbered_sgpr, 24
	.set _ZN9rocsolver6v33100L18getri_kernel_smallILi44EdPdEEvT1_iilPiilS4_bb.num_named_barrier, 0
	.set _ZN9rocsolver6v33100L18getri_kernel_smallILi44EdPdEEvT1_iilPiilS4_bb.private_seg_size, 368
	.set _ZN9rocsolver6v33100L18getri_kernel_smallILi44EdPdEEvT1_iilPiilS4_bb.uses_vcc, 1
	.set _ZN9rocsolver6v33100L18getri_kernel_smallILi44EdPdEEvT1_iilPiilS4_bb.uses_flat_scratch, 0
	.set _ZN9rocsolver6v33100L18getri_kernel_smallILi44EdPdEEvT1_iilPiilS4_bb.has_dyn_sized_stack, 0
	.set _ZN9rocsolver6v33100L18getri_kernel_smallILi44EdPdEEvT1_iilPiilS4_bb.has_recursion, 0
	.set _ZN9rocsolver6v33100L18getri_kernel_smallILi44EdPdEEvT1_iilPiilS4_bb.has_indirect_call, 0
	.section	.AMDGPU.csdata,"",@progbits
; Kernel info:
; codeLenInByte = 52048
; TotalNumSgprs: 28
; NumVgprs: 125
; ScratchSize: 368
; MemoryBound: 1
; FloatMode: 240
; IeeeMode: 1
; LDSByteSize: 712 bytes/workgroup (compile time only)
; SGPRBlocks: 3
; VGPRBlocks: 31
; NumSGPRsForWavesPerEU: 28
; NumVGPRsForWavesPerEU: 125
; Occupancy: 2
; WaveLimiterHint : 1
; COMPUTE_PGM_RSRC2:SCRATCH_EN: 1
; COMPUTE_PGM_RSRC2:USER_SGPR: 6
; COMPUTE_PGM_RSRC2:TRAP_HANDLER: 0
; COMPUTE_PGM_RSRC2:TGID_X_EN: 1
; COMPUTE_PGM_RSRC2:TGID_Y_EN: 0
; COMPUTE_PGM_RSRC2:TGID_Z_EN: 0
; COMPUTE_PGM_RSRC2:TIDIG_COMP_CNT: 0
	.section	.text._ZN9rocsolver6v33100L18getri_kernel_smallILi45EdPdEEvT1_iilPiilS4_bb,"axG",@progbits,_ZN9rocsolver6v33100L18getri_kernel_smallILi45EdPdEEvT1_iilPiilS4_bb,comdat
	.globl	_ZN9rocsolver6v33100L18getri_kernel_smallILi45EdPdEEvT1_iilPiilS4_bb ; -- Begin function _ZN9rocsolver6v33100L18getri_kernel_smallILi45EdPdEEvT1_iilPiilS4_bb
	.p2align	8
	.type	_ZN9rocsolver6v33100L18getri_kernel_smallILi45EdPdEEvT1_iilPiilS4_bb,@function
_ZN9rocsolver6v33100L18getri_kernel_smallILi45EdPdEEvT1_iilPiilS4_bb: ; @_ZN9rocsolver6v33100L18getri_kernel_smallILi45EdPdEEvT1_iilPiilS4_bb
; %bb.0:
	s_add_u32 s0, s0, s7
	s_addc_u32 s1, s1, 0
	v_cmp_gt_u32_e32 vcc, 45, v0
	s_and_saveexec_b64 s[8:9], vcc
	s_cbranch_execz .LBB44_188
; %bb.1:
	s_load_dword s12, s[4:5], 0x38
	s_load_dwordx4 s[16:19], s[4:5], 0x10
	s_load_dwordx4 s[8:11], s[4:5], 0x28
                                        ; implicit-def: $sgpr20_sgpr21
	s_waitcnt lgkmcnt(0)
	s_bitcmp1_b32 s12, 8
	s_cselect_b64 s[22:23], -1, 0
	s_ashr_i32 s7, s6, 31
	s_bfe_u32 s12, s12, 0x10008
	s_cmp_eq_u32 s12, 0
	s_cbranch_scc1 .LBB44_3
; %bb.2:
	s_load_dword s12, s[4:5], 0x20
	s_mul_i32 s13, s8, s7
	s_mul_hi_u32 s14, s8, s6
	s_mul_i32 s9, s9, s6
	s_add_i32 s14, s14, s13
	s_add_i32 s9, s14, s9
	s_mul_i32 s8, s8, s6
	s_waitcnt lgkmcnt(0)
	s_ashr_i32 s13, s12, 31
	s_lshl_b64 s[8:9], s[8:9], 2
	s_add_u32 s14, s18, s8
	s_addc_u32 s15, s19, s9
	s_lshl_b64 s[8:9], s[12:13], 2
	s_add_u32 s20, s14, s8
	s_addc_u32 s21, s15, s9
.LBB44_3:
	s_load_dwordx4 s[12:15], s[4:5], 0x0
	s_load_dword s8, s[4:5], 0x38
	s_mul_i32 s9, s16, s7
	s_mul_hi_u32 s18, s16, s6
	s_add_i32 s9, s18, s9
	s_waitcnt lgkmcnt(0)
	s_ashr_i32 s5, s14, 31
	s_mov_b32 s4, s14
	s_mul_i32 s14, s17, s6
	s_add_i32 s17, s9, s14
	s_mul_i32 s16, s16, s6
	s_lshl_b64 s[16:17], s[16:17], 3
	s_add_u32 s9, s12, s16
	s_addc_u32 s12, s13, s17
	s_lshl_b64 s[4:5], s[4:5], 3
	s_add_u32 s4, s9, s4
	s_addc_u32 s5, s12, s5
	s_add_i32 s9, s15, s15
	v_add_u32_e32 v3, s9, v0
	v_ashrrev_i32_e32 v4, 31, v3
	v_lshlrev_b64 v[1:2], 3, v[3:4]
	v_mov_b32_e32 v4, s5
	v_add_co_u32_e32 v1, vcc, s4, v1
	v_add_u32_e32 v3, s15, v3
	v_addc_co_u32_e32 v2, vcc, v4, v2, vcc
	v_ashrrev_i32_e32 v4, 31, v3
	v_lshlrev_b64 v[4:5], 3, v[3:4]
	v_mov_b32_e32 v6, s5
	v_add_co_u32_e32 v7, vcc, s4, v4
	v_addc_co_u32_e32 v8, vcc, v6, v5, vcc
	v_add_u32_e32 v5, s15, v3
	v_ashrrev_i32_e32 v6, 31, v5
	v_lshlrev_b64 v[3:4], 3, v[5:6]
	v_mov_b32_e32 v6, s5
	v_add_co_u32_e32 v3, vcc, s4, v3
	v_add_u32_e32 v5, s15, v5
	v_addc_co_u32_e32 v4, vcc, v6, v4, vcc
	v_ashrrev_i32_e32 v6, 31, v5
	v_lshlrev_b64 v[9:10], 3, v[5:6]
	v_mov_b32_e32 v6, s5
	v_add_co_u32_e32 v11, vcc, s4, v9
	v_add_u32_e32 v9, s15, v5
	v_addc_co_u32_e32 v12, vcc, v6, v10, vcc
	;; [unrolled: 6-line block ×3, first 2 shown]
	v_ashrrev_i32_e32 v10, 31, v9
	v_lshlrev_b64 v[13:14], 3, v[9:10]
	v_add_u32_e32 v15, s15, v9
	v_mov_b32_e32 v10, s5
	v_add_co_u32_e32 v13, vcc, s4, v13
	v_ashrrev_i32_e32 v16, 31, v15
	v_addc_co_u32_e32 v14, vcc, v10, v14, vcc
	v_lshlrev_b64 v[9:10], 3, v[15:16]
	v_add_u32_e32 v17, s15, v15
	v_mov_b32_e32 v16, s5
	v_add_co_u32_e32 v9, vcc, s4, v9
	v_ashrrev_i32_e32 v18, 31, v17
	v_addc_co_u32_e32 v10, vcc, v16, v10, vcc
	v_lshlrev_b64 v[15:16], 3, v[17:18]
	v_mov_b32_e32 v18, s5
	v_add_co_u32_e32 v15, vcc, s4, v15
	v_add_u32_e32 v17, s15, v17
	v_addc_co_u32_e32 v16, vcc, v18, v16, vcc
	v_ashrrev_i32_e32 v18, 31, v17
	v_lshlrev_b64 v[19:20], 3, v[17:18]
	v_add_u32_e32 v17, s15, v17
	v_mov_b32_e32 v21, s5
	v_add_co_u32_e32 v19, vcc, s4, v19
	v_ashrrev_i32_e32 v18, 31, v17
	v_addc_co_u32_e32 v20, vcc, v21, v20, vcc
	v_lshlrev_b64 v[21:22], 3, v[17:18]
	v_add_u32_e32 v17, s15, v17
	v_mov_b32_e32 v24, s5
	v_add_co_u32_e32 v23, vcc, s4, v21
	v_ashrrev_i32_e32 v18, 31, v17
	v_addc_co_u32_e32 v24, vcc, v24, v22, vcc
	;; [unrolled: 6-line block ×3, first 2 shown]
	v_lshlrev_b64 v[21:22], 3, v[17:18]
	v_mov_b32_e32 v29, s5
	v_add_co_u32_e32 v31, vcc, s4, v21
	v_add_u32_e32 v21, s15, v17
	v_addc_co_u32_e32 v32, vcc, v25, v22, vcc
	v_ashrrev_i32_e32 v22, 31, v21
	v_lshlrev_b64 v[17:18], 3, v[21:22]
	v_mov_b32_e32 v33, s5
	v_add_co_u32_e32 v17, vcc, s4, v17
	v_addc_co_u32_e32 v18, vcc, v25, v18, vcc
	v_add_u32_e32 v25, s15, v21
	v_ashrrev_i32_e32 v26, 31, v25
	v_lshlrev_b64 v[21:22], 3, v[25:26]
	v_mov_b32_e32 v35, s5
	v_add_co_u32_e32 v21, vcc, s4, v21
	v_addc_co_u32_e32 v22, vcc, v29, v22, vcc
	v_add_u32_e32 v29, s15, v25
	;; [unrolled: 6-line block ×20, first 2 shown]
	v_ashrrev_i32_e32 v68, 31, v67
	v_lshlrev_b64 v[65:66], 3, v[67:68]
	v_lshlrev_b32_e32 v93, 3, v0
	v_add_co_u32_e32 v65, vcc, s4, v65
	v_addc_co_u32_e32 v66, vcc, v69, v66, vcc
	v_add_u32_e32 v69, s15, v67
	v_ashrrev_i32_e32 v70, 31, v69
	v_lshlrev_b64 v[67:68], 3, v[69:70]
	s_ashr_i32 s13, s15, 31
	v_add_co_u32_e32 v67, vcc, s4, v67
	v_addc_co_u32_e32 v68, vcc, v71, v68, vcc
	v_add_u32_e32 v71, s15, v69
	v_ashrrev_i32_e32 v72, 31, v71
	v_lshlrev_b64 v[69:70], 3, v[71:72]
	v_mov_b32_e32 v72, s5
	v_add_co_u32_e32 v89, vcc, s4, v93
	s_mov_b32 s12, s15
	v_addc_co_u32_e32 v90, vcc, 0, v72, vcc
	s_lshl_b64 s[12:13], s[12:13], 3
	global_load_dwordx2 v[91:92], v93, s[4:5]
	global_load_dwordx2 v[96:97], v[1:2], off
	global_load_dwordx2 v[100:101], v[3:4], off
	;; [unrolled: 1-line block ×3, first 2 shown]
	v_mov_b32_e32 v72, s13
	v_add_co_u32_e32 v87, vcc, s12, v89
	v_addc_co_u32_e32 v88, vcc, v90, v72, vcc
	global_load_dwordx2 v[94:95], v[87:88], off
	global_load_dwordx2 v[110:111], v[15:16], off
	;; [unrolled: 1-line block ×9, first 2 shown]
	v_mov_b32_e32 v73, s5
	v_add_co_u32_e32 v69, vcc, s4, v69
	v_addc_co_u32_e32 v70, vcc, v73, v70, vcc
	v_add_u32_e32 v73, s15, v71
	v_ashrrev_i32_e32 v74, 31, v73
	v_lshlrev_b64 v[71:72], 3, v[73:74]
	v_mov_b32_e32 v75, s5
	v_add_co_u32_e32 v71, vcc, s4, v71
	v_addc_co_u32_e32 v72, vcc, v75, v72, vcc
	v_add_u32_e32 v75, s15, v73
	v_ashrrev_i32_e32 v76, 31, v75
	v_lshlrev_b64 v[73:74], 3, v[75:76]
	;; [unrolled: 6-line block ×6, first 2 shown]
	v_mov_b32_e32 v85, s5
	v_add_co_u32_e32 v81, vcc, s4, v81
	v_addc_co_u32_e32 v82, vcc, v85, v82, vcc
	v_add_u32_e32 v85, s15, v83
	s_waitcnt vmcnt(12)
	buffer_store_dword v92, off, s[0:3], 0 offset:4
	buffer_store_dword v91, off, s[0:3], 0
	s_waitcnt vmcnt(10)
	buffer_store_dword v95, off, s[0:3], 0 offset:12
	buffer_store_dword v94, off, s[0:3], 0 offset:8
	v_ashrrev_i32_e32 v86, 31, v85
	global_load_dwordx2 v[91:92], v[31:32], off
	global_load_dwordx2 v[120:121], v[33:34], off
	;; [unrolled: 1-line block ×3, first 2 shown]
	v_lshlrev_b64 v[83:84], 3, v[85:86]
	v_add_u32_e32 v85, s15, v85
	v_ashrrev_i32_e32 v86, 31, v85
	global_load_dwordx2 v[94:95], v[17:18], off
	v_mov_b32_e32 v118, s5
	v_add_co_u32_e32 v83, vcc, s4, v83
	v_lshlrev_b64 v[85:86], 3, v[85:86]
	v_addc_co_u32_e32 v84, vcc, v118, v84, vcc
	buffer_store_dword v97, off, s[0:3], 0 offset:20
	buffer_store_dword v96, off, s[0:3], 0 offset:16
	global_load_dwordx2 v[96:97], v[21:22], off
	v_add_co_u32_e32 v85, vcc, s4, v85
	v_addc_co_u32_e32 v86, vcc, v118, v86, vcc
	global_load_dwordx2 v[118:119], v[25:26], off
	s_bitcmp0_b32 s8, 0
	s_waitcnt vmcnt(17)
	buffer_store_dword v99, off, s[0:3], 0 offset:28
	buffer_store_dword v98, off, s[0:3], 0 offset:24
	global_load_dwordx2 v[98:99], v[29:30], off
	s_mov_b64 s[8:9], -1
	s_waitcnt vmcnt(19)
	buffer_store_dword v103, off, s[0:3], 0 offset:44
	buffer_store_dword v102, off, s[0:3], 0 offset:40
	global_load_dwordx2 v[102:103], v[39:40], off
	s_nop 0
	buffer_store_dword v101, off, s[0:3], 0 offset:36
	buffer_store_dword v100, off, s[0:3], 0 offset:32
	global_load_dwordx2 v[100:101], v[35:36], off
	s_nop 0
	buffer_store_dword v105, off, s[0:3], 0 offset:52
	buffer_store_dword v104, off, s[0:3], 0 offset:48
	global_load_dwordx2 v[104:105], v[41:42], off
	s_waitcnt vmcnt(27)
	buffer_store_dword v107, off, s[0:3], 0 offset:60
	buffer_store_dword v106, off, s[0:3], 0 offset:56
	global_load_dwordx2 v[106:107], v[43:44], off
	s_waitcnt vmcnt(29)
	buffer_store_dword v109, off, s[0:3], 0 offset:68
	buffer_store_dword v108, off, s[0:3], 0 offset:64
	global_load_dwordx2 v[108:109], v[45:46], off
	s_nop 0
	buffer_store_dword v110, off, s[0:3], 0 offset:72
	buffer_store_dword v111, off, s[0:3], 0 offset:76
	global_load_dwordx2 v[110:111], v[47:48], off
	s_nop 0
	buffer_store_dword v112, off, s[0:3], 0 offset:80
	buffer_store_dword v113, off, s[0:3], 0 offset:84
	global_load_dwordx2 v[112:113], v[49:50], off
	s_waitcnt vmcnt(37)
	buffer_store_dword v114, off, s[0:3], 0 offset:88
	buffer_store_dword v115, off, s[0:3], 0 offset:92
	global_load_dwordx2 v[114:115], v[51:52], off
	s_waitcnt vmcnt(39)
	;; [unrolled: 4-line block ×3, first 2 shown]
	buffer_store_dword v91, off, s[0:3], 0 offset:104
	buffer_store_dword v92, off, s[0:3], 0 offset:108
	s_waitcnt vmcnt(36)
	buffer_store_dword v95, off, s[0:3], 0 offset:116
	buffer_store_dword v94, off, s[0:3], 0 offset:112
	s_waitcnt vmcnt(35)
	;; [unrolled: 3-line block ×4, first 2 shown]
	buffer_store_dword v98, off, s[0:3], 0 offset:136
	buffer_store_dword v99, off, s[0:3], 0 offset:140
	;; [unrolled: 1-line block ×4, first 2 shown]
	s_waitcnt vmcnt(33)
	buffer_store_dword v101, off, s[0:3], 0 offset:156
	buffer_store_dword v100, off, s[0:3], 0 offset:152
	;; [unrolled: 1-line block ×5, first 2 shown]
	global_load_dwordx2 v[91:92], v[55:56], off
	global_load_dwordx2 v[94:95], v[57:58], off
	;; [unrolled: 1-line block ×8, first 2 shown]
	s_nop 0
	buffer_store_dword v103, off, s[0:3], 0 offset:172
	global_load_dwordx2 v[102:103], v[65:66], off
	s_waitcnt vmcnt(45)
	buffer_store_dword v104, off, s[0:3], 0 offset:176
	buffer_store_dword v105, off, s[0:3], 0 offset:180
	global_load_dwordx2 v[104:105], v[67:68], off
	s_waitcnt vmcnt(45)
	buffer_store_dword v106, off, s[0:3], 0 offset:184
	;; [unrolled: 4-line block ×8, first 2 shown]
	buffer_store_dword v92, off, s[0:3], 0 offset:236
	s_waitcnt vmcnt(31)
	buffer_store_dword v94, off, s[0:3], 0 offset:240
	buffer_store_dword v95, off, s[0:3], 0 offset:244
	s_waitcnt vmcnt(32)
	buffer_store_dword v97, off, s[0:3], 0 offset:252
	;; [unrolled: 3-line block ×9, first 2 shown]
	buffer_store_dword v110, off, s[0:3], 0 offset:304
	buffer_store_dword v118, off, s[0:3], 0 offset:312
	buffer_store_dword v119, off, s[0:3], 0 offset:316
	s_waitcnt vmcnt(28)
	buffer_store_dword v112, off, s[0:3], 0 offset:320
	buffer_store_dword v113, off, s[0:3], 0 offset:324
	buffer_store_dword v120, off, s[0:3], 0 offset:328
	buffer_store_dword v121, off, s[0:3], 0 offset:332
	s_waitcnt vmcnt(29)
	buffer_store_dword v114, off, s[0:3], 0 offset:336
	;; [unrolled: 5-line block ×3, first 2 shown]
	buffer_store_dword v116, off, s[0:3], 0 offset:352
	s_cbranch_scc1 .LBB44_186
; %bb.4:
	v_cmp_eq_u32_e64 s[4:5], 0, v0
	s_and_saveexec_b64 s[8:9], s[4:5]
; %bb.5:
	v_mov_b32_e32 v91, 0
	ds_write_b32 v91, v91 offset:360
; %bb.6:
	s_or_b64 exec, exec, s[8:9]
	v_mov_b32_e32 v91, 0
	v_lshl_add_u32 v91, v0, 3, v91
	s_waitcnt lgkmcnt(0)
	; wave barrier
	buffer_load_dword v94, v91, s[0:3], 0 offen
	buffer_load_dword v95, v91, s[0:3], 0 offen offset:4
	s_waitcnt vmcnt(0)
	v_cmp_eq_f64_e32 vcc, 0, v[94:95]
	s_and_saveexec_b64 s[12:13], vcc
	s_cbranch_execz .LBB44_10
; %bb.7:
	v_mov_b32_e32 v92, 0
	ds_read_b32 v95, v92 offset:360
	v_add_u32_e32 v94, 1, v0
	s_waitcnt lgkmcnt(0)
	v_readfirstlane_b32 s8, v95
	s_cmp_eq_u32 s8, 0
	s_cselect_b64 s[14:15], -1, 0
	v_cmp_gt_i32_e32 vcc, s8, v94
	s_or_b64 s[14:15], s[14:15], vcc
	s_and_b64 exec, exec, s[14:15]
	s_cbranch_execz .LBB44_10
; %bb.8:
	s_mov_b64 s[14:15], 0
	v_mov_b32_e32 v95, s8
.LBB44_9:                               ; =>This Inner Loop Header: Depth=1
	ds_cmpst_rtn_b32 v95, v92, v95, v94 offset:360
	s_waitcnt lgkmcnt(0)
	v_cmp_ne_u32_e32 vcc, 0, v95
	v_cmp_le_i32_e64 s[8:9], v95, v94
	s_and_b64 s[8:9], vcc, s[8:9]
	s_and_b64 s[8:9], exec, s[8:9]
	s_or_b64 s[14:15], s[8:9], s[14:15]
	s_andn2_b64 exec, exec, s[14:15]
	s_cbranch_execnz .LBB44_9
.LBB44_10:
	s_or_b64 exec, exec, s[12:13]
	v_mov_b32_e32 v94, 0
	; wave barrier
	ds_read_b32 v92, v94 offset:360
	s_and_saveexec_b64 s[8:9], s[4:5]
	s_cbranch_execz .LBB44_12
; %bb.11:
	s_lshl_b64 s[12:13], s[6:7], 2
	s_add_u32 s12, s10, s12
	s_addc_u32 s13, s11, s13
	s_waitcnt lgkmcnt(0)
	global_store_dword v94, v92, s[12:13]
.LBB44_12:
	s_or_b64 exec, exec, s[8:9]
	s_waitcnt lgkmcnt(0)
	v_cmp_ne_u32_e32 vcc, 0, v92
	s_mov_b64 s[8:9], 0
	s_cbranch_vccnz .LBB44_186
; %bb.13:
	buffer_load_dword v94, v91, s[0:3], 0 offen
	buffer_load_dword v95, v91, s[0:3], 0 offen offset:4
	s_waitcnt vmcnt(0)
	v_div_scale_f64 v[96:97], s[8:9], v[94:95], v[94:95], 1.0
	v_rcp_f64_e32 v[98:99], v[96:97]
	v_fma_f64 v[100:101], -v[96:97], v[98:99], 1.0
	v_fma_f64 v[98:99], v[98:99], v[100:101], v[98:99]
	v_div_scale_f64 v[100:101], vcc, 1.0, v[94:95], 1.0
	v_fma_f64 v[102:103], -v[96:97], v[98:99], 1.0
	v_fma_f64 v[98:99], v[98:99], v[102:103], v[98:99]
	v_mul_f64 v[102:103], v[100:101], v[98:99]
	v_fma_f64 v[96:97], -v[96:97], v[102:103], v[100:101]
	v_div_fmas_f64 v[96:97], v[96:97], v[98:99], v[102:103]
	v_div_fixup_f64 v[95:96], v[96:97], v[94:95], 1.0
	v_add_u32_e32 v94, 0x170, v93
	buffer_store_dword v96, v91, s[0:3], 0 offen offset:4
	buffer_store_dword v95, v91, s[0:3], 0 offen
	buffer_load_dword v98, off, s[0:3], 0 offset:12
	buffer_load_dword v97, off, s[0:3], 0 offset:8
	v_xor_b32_e32 v96, 0x80000000, v96
	s_waitcnt vmcnt(0)
	ds_write2_b64 v93, v[95:96], v[97:98] offset1:46
	s_waitcnt lgkmcnt(0)
	; wave barrier
	s_and_saveexec_b64 s[8:9], s[4:5]
	s_cbranch_execz .LBB44_15
; %bb.14:
	buffer_load_dword v95, v91, s[0:3], 0 offen
	buffer_load_dword v96, v91, s[0:3], 0 offen offset:4
	ds_read_b64 v[97:98], v94
	v_mov_b32_e32 v92, 0
	ds_read_b64 v[99:100], v92 offset:8
	s_waitcnt vmcnt(0) lgkmcnt(1)
	v_fma_f64 v[95:96], v[95:96], v[97:98], 0
	s_waitcnt lgkmcnt(0)
	v_mul_f64 v[95:96], v[95:96], v[99:100]
	buffer_store_dword v95, off, s[0:3], 0 offset:8
	buffer_store_dword v96, off, s[0:3], 0 offset:12
.LBB44_15:
	s_or_b64 exec, exec, s[8:9]
	; wave barrier
	buffer_load_dword v95, off, s[0:3], 0 offset:16
	buffer_load_dword v96, off, s[0:3], 0 offset:20
	v_cmp_gt_u32_e32 vcc, 2, v0
	s_waitcnt vmcnt(0)
	ds_write_b64 v94, v[95:96]
	s_waitcnt lgkmcnt(0)
	; wave barrier
	s_and_saveexec_b64 s[8:9], vcc
	s_cbranch_execz .LBB44_17
; %bb.16:
	buffer_load_dword v95, v91, s[0:3], 0 offen
	buffer_load_dword v96, v91, s[0:3], 0 offen offset:4
                                        ; kill: killed $vgpr91
	s_nop 0
	buffer_load_dword v91, off, s[0:3], 0 offset:8
	buffer_load_dword v92, off, s[0:3], 0 offset:12
	ds_read_b64 v[97:98], v94
	s_waitcnt vmcnt(2) lgkmcnt(0)
	v_fma_f64 v[99:100], v[95:96], v[97:98], 0
	v_mov_b32_e32 v95, 0
	ds_read2_b64 v[95:98], v95 offset0:2 offset1:47
	s_waitcnt vmcnt(0) lgkmcnt(0)
	v_fma_f64 v[91:92], v[91:92], v[97:98], v[99:100]
	v_cndmask_b32_e64 v92, v100, v92, s[4:5]
	v_cndmask_b32_e64 v91, v99, v91, s[4:5]
	v_mul_f64 v[91:92], v[91:92], v[95:96]
	buffer_store_dword v92, off, s[0:3], 0 offset:20
	buffer_store_dword v91, off, s[0:3], 0 offset:16
.LBB44_17:
	s_or_b64 exec, exec, s[8:9]
	; wave barrier
	buffer_load_dword v91, off, s[0:3], 0 offset:24
	buffer_load_dword v92, off, s[0:3], 0 offset:28
	v_cmp_gt_u32_e32 vcc, 3, v0
	v_add_u32_e32 v95, -1, v0
	s_waitcnt vmcnt(0)
	ds_write_b64 v94, v[91:92]
	s_waitcnt lgkmcnt(0)
	; wave barrier
	s_and_saveexec_b64 s[4:5], vcc
	s_cbranch_execz .LBB44_21
; %bb.18:
	v_mov_b32_e32 v91, 0
	v_add_u32_e32 v96, -1, v0
	v_add_u32_e32 v97, 0x170, v93
	v_mov_b32_e32 v98, v93
	v_mov_b32_e32 v92, 0
	s_mov_b64 s[8:9], 0
.LBB44_19:                              ; =>This Inner Loop Header: Depth=1
	buffer_load_dword v99, v98, s[0:3], 0 offen
	buffer_load_dword v100, v98, s[0:3], 0 offen offset:4
	ds_read_b64 v[101:102], v97
	v_add_u32_e32 v96, 1, v96
	v_cmp_lt_u32_e32 vcc, 1, v96
	v_add_u32_e32 v97, 8, v97
	s_or_b64 s[8:9], vcc, s[8:9]
	v_add_u32_e32 v98, 8, v98
	s_waitcnt vmcnt(0) lgkmcnt(0)
	v_fma_f64 v[91:92], v[99:100], v[101:102], v[91:92]
	s_andn2_b64 exec, exec, s[8:9]
	s_cbranch_execnz .LBB44_19
; %bb.20:
	s_or_b64 exec, exec, s[8:9]
	v_mov_b32_e32 v96, 0
	ds_read_b64 v[96:97], v96 offset:24
	s_waitcnt lgkmcnt(0)
	v_mul_f64 v[91:92], v[91:92], v[96:97]
	buffer_store_dword v92, off, s[0:3], 0 offset:28
	buffer_store_dword v91, off, s[0:3], 0 offset:24
.LBB44_21:
	s_or_b64 exec, exec, s[4:5]
	; wave barrier
	buffer_load_dword v91, off, s[0:3], 0 offset:32
	buffer_load_dword v92, off, s[0:3], 0 offset:36
	v_cmp_gt_u32_e32 vcc, 4, v0
	s_waitcnt vmcnt(0)
	ds_write_b64 v94, v[91:92]
	s_waitcnt lgkmcnt(0)
	; wave barrier
	s_and_saveexec_b64 s[4:5], vcc
	s_cbranch_execz .LBB44_25
; %bb.22:
	v_mov_b32_e32 v91, 0
	v_add_u32_e32 v96, -1, v0
	v_add_u32_e32 v97, 0x170, v93
	v_mov_b32_e32 v98, v93
	v_mov_b32_e32 v92, 0
	s_mov_b64 s[8:9], 0
.LBB44_23:                              ; =>This Inner Loop Header: Depth=1
	buffer_load_dword v99, v98, s[0:3], 0 offen
	buffer_load_dword v100, v98, s[0:3], 0 offen offset:4
	ds_read_b64 v[101:102], v97
	v_add_u32_e32 v96, 1, v96
	v_cmp_lt_u32_e32 vcc, 2, v96
	v_add_u32_e32 v97, 8, v97
	s_or_b64 s[8:9], vcc, s[8:9]
	v_add_u32_e32 v98, 8, v98
	s_waitcnt vmcnt(0) lgkmcnt(0)
	v_fma_f64 v[91:92], v[99:100], v[101:102], v[91:92]
	s_andn2_b64 exec, exec, s[8:9]
	s_cbranch_execnz .LBB44_23
; %bb.24:
	s_or_b64 exec, exec, s[8:9]
	v_mov_b32_e32 v96, 0
	ds_read_b64 v[96:97], v96 offset:32
	s_waitcnt lgkmcnt(0)
	v_mul_f64 v[91:92], v[91:92], v[96:97]
	buffer_store_dword v92, off, s[0:3], 0 offset:36
	buffer_store_dword v91, off, s[0:3], 0 offset:32
.LBB44_25:
	s_or_b64 exec, exec, s[4:5]
	; wave barrier
	buffer_load_dword v91, off, s[0:3], 0 offset:40
	buffer_load_dword v92, off, s[0:3], 0 offset:44
	v_cmp_gt_u32_e32 vcc, 5, v0
	;; [unrolled: 40-line block ×21, first 2 shown]
	s_waitcnt vmcnt(0)
	ds_write_b64 v94, v[91:92]
	s_waitcnt lgkmcnt(0)
	; wave barrier
	s_and_saveexec_b64 s[4:5], vcc
	s_cbranch_execz .LBB44_105
; %bb.102:
	v_mov_b32_e32 v91, 0
	v_add_u32_e32 v96, -1, v0
	v_add_u32_e32 v97, 0x170, v93
	v_mov_b32_e32 v98, v93
	v_mov_b32_e32 v92, 0
	s_mov_b64 s[8:9], 0
.LBB44_103:                             ; =>This Inner Loop Header: Depth=1
	buffer_load_dword v99, v98, s[0:3], 0 offen
	buffer_load_dword v100, v98, s[0:3], 0 offen offset:4
	ds_read_b64 v[101:102], v97
	v_add_u32_e32 v96, 1, v96
	v_cmp_lt_u32_e32 vcc, 22, v96
	v_add_u32_e32 v97, 8, v97
	s_or_b64 s[8:9], vcc, s[8:9]
	v_add_u32_e32 v98, 8, v98
	s_waitcnt vmcnt(0) lgkmcnt(0)
	v_fma_f64 v[91:92], v[99:100], v[101:102], v[91:92]
	s_andn2_b64 exec, exec, s[8:9]
	s_cbranch_execnz .LBB44_103
; %bb.104:
	s_or_b64 exec, exec, s[8:9]
	v_mov_b32_e32 v96, 0
	ds_read_b64 v[96:97], v96 offset:192
	s_waitcnt lgkmcnt(0)
	v_mul_f64 v[91:92], v[91:92], v[96:97]
	buffer_store_dword v92, off, s[0:3], 0 offset:196
	buffer_store_dword v91, off, s[0:3], 0 offset:192
.LBB44_105:
	s_or_b64 exec, exec, s[4:5]
	; wave barrier
	buffer_load_dword v91, off, s[0:3], 0 offset:200
	buffer_load_dword v92, off, s[0:3], 0 offset:204
	v_cmp_gt_u32_e32 vcc, 25, v0
	s_waitcnt vmcnt(0)
	ds_write_b64 v94, v[91:92]
	s_waitcnt lgkmcnt(0)
	; wave barrier
	s_and_saveexec_b64 s[4:5], vcc
	s_cbranch_execz .LBB44_109
; %bb.106:
	v_mov_b32_e32 v91, 0
	v_add_u32_e32 v96, -1, v0
	v_add_u32_e32 v97, 0x170, v93
	v_mov_b32_e32 v98, v93
	v_mov_b32_e32 v92, 0
	s_mov_b64 s[8:9], 0
.LBB44_107:                             ; =>This Inner Loop Header: Depth=1
	buffer_load_dword v99, v98, s[0:3], 0 offen
	buffer_load_dword v100, v98, s[0:3], 0 offen offset:4
	ds_read_b64 v[101:102], v97
	v_add_u32_e32 v96, 1, v96
	v_cmp_lt_u32_e32 vcc, 23, v96
	v_add_u32_e32 v97, 8, v97
	s_or_b64 s[8:9], vcc, s[8:9]
	v_add_u32_e32 v98, 8, v98
	s_waitcnt vmcnt(0) lgkmcnt(0)
	v_fma_f64 v[91:92], v[99:100], v[101:102], v[91:92]
	s_andn2_b64 exec, exec, s[8:9]
	s_cbranch_execnz .LBB44_107
; %bb.108:
	s_or_b64 exec, exec, s[8:9]
	v_mov_b32_e32 v96, 0
	ds_read_b64 v[96:97], v96 offset:200
	s_waitcnt lgkmcnt(0)
	v_mul_f64 v[91:92], v[91:92], v[96:97]
	buffer_store_dword v92, off, s[0:3], 0 offset:204
	buffer_store_dword v91, off, s[0:3], 0 offset:200
.LBB44_109:
	s_or_b64 exec, exec, s[4:5]
	; wave barrier
	buffer_load_dword v91, off, s[0:3], 0 offset:208
	buffer_load_dword v92, off, s[0:3], 0 offset:212
	v_cmp_gt_u32_e32 vcc, 26, v0
	;; [unrolled: 40-line block ×19, first 2 shown]
	s_waitcnt vmcnt(0)
	ds_write_b64 v94, v[91:92]
	s_waitcnt lgkmcnt(0)
	; wave barrier
	s_and_saveexec_b64 s[4:5], vcc
	s_cbranch_execz .LBB44_181
; %bb.178:
	v_mov_b32_e32 v91, 0
	v_add_u32_e32 v96, -1, v0
	v_add_u32_e32 v97, 0x170, v93
	v_mov_b32_e32 v98, v93
	v_mov_b32_e32 v92, 0
	s_mov_b64 s[8:9], 0
.LBB44_179:                             ; =>This Inner Loop Header: Depth=1
	buffer_load_dword v99, v98, s[0:3], 0 offen
	buffer_load_dword v100, v98, s[0:3], 0 offen offset:4
	ds_read_b64 v[101:102], v97
	v_add_u32_e32 v96, 1, v96
	v_cmp_lt_u32_e32 vcc, 41, v96
	v_add_u32_e32 v97, 8, v97
	s_or_b64 s[8:9], vcc, s[8:9]
	v_add_u32_e32 v98, 8, v98
	s_waitcnt vmcnt(0) lgkmcnt(0)
	v_fma_f64 v[91:92], v[99:100], v[101:102], v[91:92]
	s_andn2_b64 exec, exec, s[8:9]
	s_cbranch_execnz .LBB44_179
; %bb.180:
	s_or_b64 exec, exec, s[8:9]
	v_mov_b32_e32 v96, 0
	ds_read_b64 v[96:97], v96 offset:344
	s_waitcnt lgkmcnt(0)
	v_mul_f64 v[91:92], v[91:92], v[96:97]
	buffer_store_dword v92, off, s[0:3], 0 offset:348
	buffer_store_dword v91, off, s[0:3], 0 offset:344
.LBB44_181:
	s_or_b64 exec, exec, s[4:5]
	; wave barrier
	buffer_load_dword v91, off, s[0:3], 0 offset:352
	buffer_load_dword v92, off, s[0:3], 0 offset:356
	v_cmp_ne_u32_e32 vcc, 44, v0
	s_waitcnt vmcnt(0)
	ds_write_b64 v94, v[91:92]
	s_waitcnt lgkmcnt(0)
	; wave barrier
	s_and_saveexec_b64 s[4:5], vcc
	s_cbranch_execz .LBB44_185
; %bb.182:
	v_mov_b32_e32 v91, 0
	v_add_u32_e32 v94, 0x170, v93
	v_mov_b32_e32 v92, 0
	s_mov_b64 s[8:9], 0
.LBB44_183:                             ; =>This Inner Loop Header: Depth=1
	buffer_load_dword v96, v93, s[0:3], 0 offen
	buffer_load_dword v97, v93, s[0:3], 0 offen offset:4
	ds_read_b64 v[98:99], v94
	v_add_u32_e32 v95, 1, v95
	v_cmp_lt_u32_e32 vcc, 42, v95
	v_add_u32_e32 v94, 8, v94
	s_or_b64 s[8:9], vcc, s[8:9]
	v_add_u32_e32 v93, 8, v93
	s_waitcnt vmcnt(0) lgkmcnt(0)
	v_fma_f64 v[91:92], v[96:97], v[98:99], v[91:92]
	s_andn2_b64 exec, exec, s[8:9]
	s_cbranch_execnz .LBB44_183
; %bb.184:
	s_or_b64 exec, exec, s[8:9]
	v_mov_b32_e32 v93, 0
	ds_read_b64 v[93:94], v93 offset:352
	s_waitcnt lgkmcnt(0)
	v_mul_f64 v[91:92], v[91:92], v[93:94]
	buffer_store_dword v92, off, s[0:3], 0 offset:356
	buffer_store_dword v91, off, s[0:3], 0 offset:352
.LBB44_185:
	s_or_b64 exec, exec, s[4:5]
	s_mov_b64 s[8:9], -1
	; wave barrier
.LBB44_186:
	s_and_b64 vcc, exec, s[8:9]
	s_cbranch_vccz .LBB44_188
; %bb.187:
	s_lshl_b64 s[4:5], s[6:7], 2
	s_add_u32 s4, s10, s4
	s_addc_u32 s5, s11, s5
	v_mov_b32_e32 v91, 0
	global_load_dword v91, v91, s[4:5]
	s_waitcnt vmcnt(0)
	v_cmp_ne_u32_e32 vcc, 0, v91
	s_cbranch_vccz .LBB44_189
.LBB44_188:
	s_endpgm
.LBB44_189:
	v_mov_b32_e32 v91, 0x170
	v_lshl_add_u32 v91, v0, 3, v91
	v_cmp_eq_u32_e32 vcc, 44, v0
	s_and_saveexec_b64 s[4:5], vcc
	s_cbranch_execz .LBB44_191
; %bb.190:
	buffer_load_dword v92, off, s[0:3], 0 offset:344
	buffer_load_dword v93, off, s[0:3], 0 offset:348
	v_mov_b32_e32 v94, 0
	buffer_store_dword v94, off, s[0:3], 0 offset:344
	buffer_store_dword v94, off, s[0:3], 0 offset:348
	s_waitcnt vmcnt(2)
	ds_write_b64 v91, v[92:93]
.LBB44_191:
	s_or_b64 exec, exec, s[4:5]
	s_waitcnt lgkmcnt(0)
	; wave barrier
	buffer_load_dword v93, off, s[0:3], 0 offset:352
	buffer_load_dword v94, off, s[0:3], 0 offset:356
	;; [unrolled: 1-line block ×4, first 2 shown]
	v_mov_b32_e32 v92, 0
	ds_read_b64 v[97:98], v92 offset:720
	v_cmp_lt_u32_e32 vcc, 42, v0
	s_waitcnt vmcnt(2) lgkmcnt(0)
	v_fma_f64 v[93:94], v[93:94], v[97:98], 0
	s_waitcnt vmcnt(0)
	v_add_f64 v[93:94], v[95:96], -v[93:94]
	buffer_store_dword v93, off, s[0:3], 0 offset:344
	buffer_store_dword v94, off, s[0:3], 0 offset:348
	s_and_saveexec_b64 s[4:5], vcc
	s_cbranch_execz .LBB44_193
; %bb.192:
	buffer_load_dword v93, off, s[0:3], 0 offset:336
	buffer_load_dword v94, off, s[0:3], 0 offset:340
	s_waitcnt vmcnt(0)
	ds_write_b64 v91, v[93:94]
	buffer_store_dword v92, off, s[0:3], 0 offset:336
	buffer_store_dword v92, off, s[0:3], 0 offset:340
.LBB44_193:
	s_or_b64 exec, exec, s[4:5]
	s_waitcnt lgkmcnt(0)
	; wave barrier
	buffer_load_dword v96, off, s[0:3], 0 offset:344
	buffer_load_dword v97, off, s[0:3], 0 offset:348
	;; [unrolled: 1-line block ×6, first 2 shown]
	ds_read2_b64 v[92:95], v92 offset0:89 offset1:90
	v_cmp_lt_u32_e32 vcc, 41, v0
	s_waitcnt vmcnt(4) lgkmcnt(0)
	v_fma_f64 v[92:93], v[96:97], v[92:93], 0
	s_waitcnt vmcnt(2)
	v_fma_f64 v[92:93], v[98:99], v[94:95], v[92:93]
	s_waitcnt vmcnt(0)
	v_add_f64 v[92:93], v[100:101], -v[92:93]
	buffer_store_dword v92, off, s[0:3], 0 offset:336
	buffer_store_dword v93, off, s[0:3], 0 offset:340
	s_and_saveexec_b64 s[4:5], vcc
	s_cbranch_execz .LBB44_195
; %bb.194:
	buffer_load_dword v92, off, s[0:3], 0 offset:328
	buffer_load_dword v93, off, s[0:3], 0 offset:332
	v_mov_b32_e32 v94, 0
	buffer_store_dword v94, off, s[0:3], 0 offset:328
	buffer_store_dword v94, off, s[0:3], 0 offset:332
	s_waitcnt vmcnt(2)
	ds_write_b64 v91, v[92:93]
.LBB44_195:
	s_or_b64 exec, exec, s[4:5]
	s_waitcnt lgkmcnt(0)
	; wave barrier
	buffer_load_dword v97, off, s[0:3], 0 offset:336
	buffer_load_dword v98, off, s[0:3], 0 offset:340
	;; [unrolled: 1-line block ×8, first 2 shown]
	v_mov_b32_e32 v92, 0
	ds_read_b128 v[93:96], v92 offset:704
	ds_read_b64 v[105:106], v92 offset:720
	v_cmp_lt_u32_e32 vcc, 40, v0
	s_waitcnt vmcnt(6) lgkmcnt(1)
	v_fma_f64 v[93:94], v[97:98], v[93:94], 0
	s_waitcnt vmcnt(4)
	v_fma_f64 v[93:94], v[99:100], v[95:96], v[93:94]
	s_waitcnt vmcnt(2) lgkmcnt(0)
	v_fma_f64 v[93:94], v[101:102], v[105:106], v[93:94]
	s_waitcnt vmcnt(0)
	v_add_f64 v[93:94], v[103:104], -v[93:94]
	buffer_store_dword v93, off, s[0:3], 0 offset:328
	buffer_store_dword v94, off, s[0:3], 0 offset:332
	s_and_saveexec_b64 s[4:5], vcc
	s_cbranch_execz .LBB44_197
; %bb.196:
	buffer_load_dword v93, off, s[0:3], 0 offset:320
	buffer_load_dword v94, off, s[0:3], 0 offset:324
	s_waitcnt vmcnt(0)
	ds_write_b64 v91, v[93:94]
	buffer_store_dword v92, off, s[0:3], 0 offset:320
	buffer_store_dword v92, off, s[0:3], 0 offset:324
.LBB44_197:
	s_or_b64 exec, exec, s[4:5]
	s_waitcnt lgkmcnt(0)
	; wave barrier
	buffer_load_dword v101, off, s[0:3], 0 offset:328
	buffer_load_dword v102, off, s[0:3], 0 offset:332
	;; [unrolled: 1-line block ×10, first 2 shown]
	ds_read2_b64 v[93:96], v92 offset0:87 offset1:88
	ds_read2_b64 v[97:100], v92 offset0:89 offset1:90
	v_cmp_lt_u32_e32 vcc, 39, v0
	s_waitcnt vmcnt(8) lgkmcnt(1)
	v_fma_f64 v[92:93], v[101:102], v[93:94], 0
	s_waitcnt vmcnt(6)
	v_fma_f64 v[92:93], v[103:104], v[95:96], v[92:93]
	s_waitcnt vmcnt(4) lgkmcnt(0)
	v_fma_f64 v[92:93], v[105:106], v[97:98], v[92:93]
	s_waitcnt vmcnt(2)
	v_fma_f64 v[92:93], v[107:108], v[99:100], v[92:93]
	s_waitcnt vmcnt(0)
	v_add_f64 v[92:93], v[109:110], -v[92:93]
	buffer_store_dword v92, off, s[0:3], 0 offset:320
	buffer_store_dword v93, off, s[0:3], 0 offset:324
	s_and_saveexec_b64 s[4:5], vcc
	s_cbranch_execz .LBB44_199
; %bb.198:
	buffer_load_dword v92, off, s[0:3], 0 offset:312
	buffer_load_dword v93, off, s[0:3], 0 offset:316
	v_mov_b32_e32 v94, 0
	buffer_store_dword v94, off, s[0:3], 0 offset:312
	buffer_store_dword v94, off, s[0:3], 0 offset:316
	s_waitcnt vmcnt(2)
	ds_write_b64 v91, v[92:93]
.LBB44_199:
	s_or_b64 exec, exec, s[4:5]
	s_waitcnt lgkmcnt(0)
	; wave barrier
	buffer_load_dword v101, off, s[0:3], 0 offset:320
	buffer_load_dword v102, off, s[0:3], 0 offset:324
	;; [unrolled: 1-line block ×12, first 2 shown]
	v_mov_b32_e32 v92, 0
	ds_read_b128 v[93:96], v92 offset:688
	ds_read_b128 v[97:100], v92 offset:704
	v_cmp_lt_u32_e32 vcc, 38, v0
	s_waitcnt vmcnt(10) lgkmcnt(1)
	v_fma_f64 v[93:94], v[101:102], v[93:94], 0
	s_waitcnt vmcnt(8)
	v_fma_f64 v[93:94], v[103:104], v[95:96], v[93:94]
	ds_read_b64 v[95:96], v92 offset:720
	s_waitcnt vmcnt(6) lgkmcnt(1)
	v_fma_f64 v[93:94], v[105:106], v[97:98], v[93:94]
	s_waitcnt vmcnt(4)
	v_fma_f64 v[93:94], v[107:108], v[99:100], v[93:94]
	s_waitcnt vmcnt(2) lgkmcnt(0)
	v_fma_f64 v[93:94], v[109:110], v[95:96], v[93:94]
	s_waitcnt vmcnt(0)
	v_add_f64 v[93:94], v[111:112], -v[93:94]
	buffer_store_dword v93, off, s[0:3], 0 offset:312
	buffer_store_dword v94, off, s[0:3], 0 offset:316
	s_and_saveexec_b64 s[4:5], vcc
	s_cbranch_execz .LBB44_201
; %bb.200:
	buffer_load_dword v93, off, s[0:3], 0 offset:304
	buffer_load_dword v94, off, s[0:3], 0 offset:308
	s_waitcnt vmcnt(0)
	ds_write_b64 v91, v[93:94]
	buffer_store_dword v92, off, s[0:3], 0 offset:304
	buffer_store_dword v92, off, s[0:3], 0 offset:308
.LBB44_201:
	s_or_b64 exec, exec, s[4:5]
	s_waitcnt lgkmcnt(0)
	; wave barrier
	buffer_load_dword v101, off, s[0:3], 0 offset:312
	buffer_load_dword v102, off, s[0:3], 0 offset:316
	buffer_load_dword v103, off, s[0:3], 0 offset:320
	buffer_load_dword v104, off, s[0:3], 0 offset:324
	buffer_load_dword v105, off, s[0:3], 0 offset:328
	buffer_load_dword v106, off, s[0:3], 0 offset:332
	buffer_load_dword v107, off, s[0:3], 0 offset:336
	buffer_load_dword v108, off, s[0:3], 0 offset:340
	buffer_load_dword v109, off, s[0:3], 0 offset:344
	buffer_load_dword v110, off, s[0:3], 0 offset:348
	buffer_load_dword v111, off, s[0:3], 0 offset:352
	buffer_load_dword v112, off, s[0:3], 0 offset:356
	buffer_load_dword v113, off, s[0:3], 0 offset:304
	buffer_load_dword v114, off, s[0:3], 0 offset:308
	ds_read2_b64 v[93:96], v92 offset0:85 offset1:86
	ds_read2_b64 v[97:100], v92 offset0:87 offset1:88
	v_cmp_lt_u32_e32 vcc, 37, v0
	s_waitcnt vmcnt(12) lgkmcnt(1)
	v_fma_f64 v[93:94], v[101:102], v[93:94], 0
	s_waitcnt vmcnt(10)
	v_fma_f64 v[93:94], v[103:104], v[95:96], v[93:94]
	s_waitcnt vmcnt(8) lgkmcnt(0)
	v_fma_f64 v[93:94], v[105:106], v[97:98], v[93:94]
	s_waitcnt vmcnt(6)
	v_fma_f64 v[96:97], v[107:108], v[99:100], v[93:94]
	ds_read2_b64 v[92:95], v92 offset0:89 offset1:90
	s_waitcnt vmcnt(4) lgkmcnt(0)
	v_fma_f64 v[92:93], v[109:110], v[92:93], v[96:97]
	s_waitcnt vmcnt(2)
	v_fma_f64 v[92:93], v[111:112], v[94:95], v[92:93]
	s_waitcnt vmcnt(0)
	v_add_f64 v[92:93], v[113:114], -v[92:93]
	buffer_store_dword v92, off, s[0:3], 0 offset:304
	buffer_store_dword v93, off, s[0:3], 0 offset:308
	s_and_saveexec_b64 s[4:5], vcc
	s_cbranch_execz .LBB44_203
; %bb.202:
	buffer_load_dword v92, off, s[0:3], 0 offset:296
	buffer_load_dword v93, off, s[0:3], 0 offset:300
	v_mov_b32_e32 v94, 0
	buffer_store_dword v94, off, s[0:3], 0 offset:296
	buffer_store_dword v94, off, s[0:3], 0 offset:300
	s_waitcnt vmcnt(2)
	ds_write_b64 v91, v[92:93]
.LBB44_203:
	s_or_b64 exec, exec, s[4:5]
	s_waitcnt lgkmcnt(0)
	; wave barrier
	buffer_load_dword v101, off, s[0:3], 0 offset:304
	buffer_load_dword v102, off, s[0:3], 0 offset:308
	;; [unrolled: 1-line block ×16, first 2 shown]
	v_mov_b32_e32 v92, 0
	ds_read_b128 v[93:96], v92 offset:672
	ds_read_b128 v[97:100], v92 offset:688
	v_cmp_lt_u32_e32 vcc, 36, v0
	s_waitcnt vmcnt(14) lgkmcnt(1)
	v_fma_f64 v[93:94], v[101:102], v[93:94], 0
	s_waitcnt vmcnt(12)
	v_fma_f64 v[93:94], v[103:104], v[95:96], v[93:94]
	s_waitcnt vmcnt(10) lgkmcnt(0)
	v_fma_f64 v[93:94], v[105:106], v[97:98], v[93:94]
	s_waitcnt vmcnt(8)
	v_fma_f64 v[97:98], v[107:108], v[99:100], v[93:94]
	ds_read_b128 v[93:96], v92 offset:704
	ds_read_b64 v[99:100], v92 offset:720
	s_waitcnt vmcnt(6) lgkmcnt(1)
	v_fma_f64 v[93:94], v[109:110], v[93:94], v[97:98]
	s_waitcnt vmcnt(4)
	v_fma_f64 v[93:94], v[111:112], v[95:96], v[93:94]
	s_waitcnt vmcnt(2) lgkmcnt(0)
	v_fma_f64 v[93:94], v[113:114], v[99:100], v[93:94]
	s_waitcnt vmcnt(0)
	v_add_f64 v[93:94], v[115:116], -v[93:94]
	buffer_store_dword v93, off, s[0:3], 0 offset:296
	buffer_store_dword v94, off, s[0:3], 0 offset:300
	s_and_saveexec_b64 s[4:5], vcc
	s_cbranch_execz .LBB44_205
; %bb.204:
	buffer_load_dword v93, off, s[0:3], 0 offset:288
	buffer_load_dword v94, off, s[0:3], 0 offset:292
	s_waitcnt vmcnt(0)
	ds_write_b64 v91, v[93:94]
	buffer_store_dword v92, off, s[0:3], 0 offset:288
	buffer_store_dword v92, off, s[0:3], 0 offset:292
.LBB44_205:
	s_or_b64 exec, exec, s[4:5]
	s_waitcnt lgkmcnt(0)
	; wave barrier
	buffer_load_dword v101, off, s[0:3], 0 offset:296
	buffer_load_dword v102, off, s[0:3], 0 offset:300
	;; [unrolled: 1-line block ×18, first 2 shown]
	ds_read2_b64 v[93:96], v92 offset0:83 offset1:84
	ds_read2_b64 v[97:100], v92 offset0:85 offset1:86
	v_cmp_lt_u32_e32 vcc, 35, v0
	s_waitcnt vmcnt(16) lgkmcnt(1)
	v_fma_f64 v[93:94], v[101:102], v[93:94], 0
	s_waitcnt vmcnt(14)
	v_fma_f64 v[93:94], v[103:104], v[95:96], v[93:94]
	s_waitcnt vmcnt(12) lgkmcnt(0)
	v_fma_f64 v[93:94], v[105:106], v[97:98], v[93:94]
	s_waitcnt vmcnt(10)
	v_fma_f64 v[101:102], v[107:108], v[99:100], v[93:94]
	ds_read2_b64 v[93:96], v92 offset0:87 offset1:88
	ds_read2_b64 v[97:100], v92 offset0:89 offset1:90
	s_waitcnt vmcnt(8) lgkmcnt(1)
	v_fma_f64 v[92:93], v[109:110], v[93:94], v[101:102]
	s_waitcnt vmcnt(6)
	v_fma_f64 v[92:93], v[111:112], v[95:96], v[92:93]
	s_waitcnt vmcnt(4) lgkmcnt(0)
	v_fma_f64 v[92:93], v[113:114], v[97:98], v[92:93]
	s_waitcnt vmcnt(2)
	v_fma_f64 v[92:93], v[115:116], v[99:100], v[92:93]
	s_waitcnt vmcnt(0)
	v_add_f64 v[92:93], v[117:118], -v[92:93]
	buffer_store_dword v92, off, s[0:3], 0 offset:288
	buffer_store_dword v93, off, s[0:3], 0 offset:292
	s_and_saveexec_b64 s[4:5], vcc
	s_cbranch_execz .LBB44_207
; %bb.206:
	buffer_load_dword v92, off, s[0:3], 0 offset:280
	buffer_load_dword v93, off, s[0:3], 0 offset:284
	v_mov_b32_e32 v94, 0
	buffer_store_dword v94, off, s[0:3], 0 offset:280
	buffer_store_dword v94, off, s[0:3], 0 offset:284
	s_waitcnt vmcnt(2)
	ds_write_b64 v91, v[92:93]
.LBB44_207:
	s_or_b64 exec, exec, s[4:5]
	s_waitcnt lgkmcnt(0)
	; wave barrier
	buffer_load_dword v101, off, s[0:3], 0 offset:288
	buffer_load_dword v102, off, s[0:3], 0 offset:292
	;; [unrolled: 1-line block ×20, first 2 shown]
	v_mov_b32_e32 v92, 0
	ds_read_b128 v[93:96], v92 offset:656
	ds_read_b128 v[97:100], v92 offset:672
	v_cmp_lt_u32_e32 vcc, 34, v0
	s_waitcnt vmcnt(18) lgkmcnt(1)
	v_fma_f64 v[93:94], v[101:102], v[93:94], 0
	s_waitcnt vmcnt(16)
	v_fma_f64 v[93:94], v[103:104], v[95:96], v[93:94]
	s_waitcnt vmcnt(14) lgkmcnt(0)
	v_fma_f64 v[93:94], v[105:106], v[97:98], v[93:94]
	s_waitcnt vmcnt(12)
	v_fma_f64 v[101:102], v[107:108], v[99:100], v[93:94]
	ds_read_b128 v[93:96], v92 offset:688
	ds_read_b128 v[97:100], v92 offset:704
	s_waitcnt vmcnt(10) lgkmcnt(1)
	v_fma_f64 v[93:94], v[109:110], v[93:94], v[101:102]
	s_waitcnt vmcnt(8)
	v_fma_f64 v[93:94], v[111:112], v[95:96], v[93:94]
	ds_read_b64 v[95:96], v92 offset:720
	s_waitcnt vmcnt(6) lgkmcnt(1)
	v_fma_f64 v[93:94], v[113:114], v[97:98], v[93:94]
	s_waitcnt vmcnt(3)
	v_fma_f64 v[93:94], v[115:116], v[99:100], v[93:94]
	s_waitcnt vmcnt(2) lgkmcnt(0)
	v_fma_f64 v[93:94], v[117:118], v[95:96], v[93:94]
	s_waitcnt vmcnt(0)
	v_add_f64 v[93:94], v[119:120], -v[93:94]
	buffer_store_dword v93, off, s[0:3], 0 offset:280
	buffer_store_dword v94, off, s[0:3], 0 offset:284
	s_and_saveexec_b64 s[4:5], vcc
	s_cbranch_execz .LBB44_209
; %bb.208:
	buffer_load_dword v93, off, s[0:3], 0 offset:272
	buffer_load_dword v94, off, s[0:3], 0 offset:276
	s_waitcnt vmcnt(0)
	ds_write_b64 v91, v[93:94]
	buffer_store_dword v92, off, s[0:3], 0 offset:272
	buffer_store_dword v92, off, s[0:3], 0 offset:276
.LBB44_209:
	s_or_b64 exec, exec, s[4:5]
	s_waitcnt lgkmcnt(0)
	; wave barrier
	buffer_load_dword v101, off, s[0:3], 0 offset:280
	buffer_load_dword v102, off, s[0:3], 0 offset:284
	;; [unrolled: 1-line block ×20, first 2 shown]
	ds_read2_b64 v[93:96], v92 offset0:81 offset1:82
	buffer_load_dword v121, off, s[0:3], 0 offset:272
	buffer_load_dword v122, off, s[0:3], 0 offset:276
	ds_read2_b64 v[97:100], v92 offset0:83 offset1:84
	v_cmp_lt_u32_e32 vcc, 33, v0
	s_waitcnt vmcnt(20) lgkmcnt(1)
	v_fma_f64 v[93:94], v[101:102], v[93:94], 0
	s_waitcnt vmcnt(18)
	v_fma_f64 v[93:94], v[103:104], v[95:96], v[93:94]
	s_waitcnt vmcnt(16) lgkmcnt(0)
	v_fma_f64 v[93:94], v[105:106], v[97:98], v[93:94]
	s_waitcnt vmcnt(14)
	v_fma_f64 v[101:102], v[107:108], v[99:100], v[93:94]
	ds_read2_b64 v[93:96], v92 offset0:85 offset1:86
	ds_read2_b64 v[97:100], v92 offset0:87 offset1:88
	s_waitcnt vmcnt(12) lgkmcnt(1)
	v_fma_f64 v[93:94], v[109:110], v[93:94], v[101:102]
	s_waitcnt vmcnt(10)
	v_fma_f64 v[93:94], v[111:112], v[95:96], v[93:94]
	s_waitcnt vmcnt(8) lgkmcnt(0)
	v_fma_f64 v[93:94], v[113:114], v[97:98], v[93:94]
	s_waitcnt vmcnt(4)
	v_fma_f64 v[96:97], v[115:116], v[99:100], v[93:94]
	ds_read2_b64 v[92:95], v92 offset0:89 offset1:90
	s_waitcnt vmcnt(3) lgkmcnt(0)
	v_fma_f64 v[92:93], v[119:120], v[92:93], v[96:97]
	s_waitcnt vmcnt(2)
	v_fma_f64 v[92:93], v[117:118], v[94:95], v[92:93]
	s_waitcnt vmcnt(0)
	v_add_f64 v[92:93], v[121:122], -v[92:93]
	buffer_store_dword v92, off, s[0:3], 0 offset:272
	buffer_store_dword v93, off, s[0:3], 0 offset:276
	s_and_saveexec_b64 s[4:5], vcc
	s_cbranch_execz .LBB44_211
; %bb.210:
	buffer_load_dword v92, off, s[0:3], 0 offset:264
	buffer_load_dword v93, off, s[0:3], 0 offset:268
	v_mov_b32_e32 v94, 0
	buffer_store_dword v94, off, s[0:3], 0 offset:264
	buffer_store_dword v94, off, s[0:3], 0 offset:268
	s_waitcnt vmcnt(2)
	ds_write_b64 v91, v[92:93]
.LBB44_211:
	s_or_b64 exec, exec, s[4:5]
	s_waitcnt lgkmcnt(0)
	; wave barrier
	buffer_load_dword v101, off, s[0:3], 0 offset:272
	buffer_load_dword v102, off, s[0:3], 0 offset:276
	;; [unrolled: 1-line block ×21, first 2 shown]
	v_mov_b32_e32 v92, 0
	ds_read_b128 v[93:96], v92 offset:640
	ds_read_b128 v[97:100], v92 offset:656
	buffer_load_dword v118, off, s[0:3], 0 offset:356
	v_cmp_lt_u32_e32 vcc, 32, v0
	s_waitcnt vmcnt(20) lgkmcnt(1)
	v_fma_f64 v[93:94], v[101:102], v[93:94], 0
	buffer_load_dword v101, off, s[0:3], 0 offset:264
	buffer_load_dword v102, off, s[0:3], 0 offset:268
	s_waitcnt vmcnt(20)
	v_fma_f64 v[93:94], v[103:104], v[95:96], v[93:94]
	s_waitcnt vmcnt(18) lgkmcnt(0)
	v_fma_f64 v[93:94], v[105:106], v[97:98], v[93:94]
	s_waitcnt vmcnt(16)
	v_fma_f64 v[103:104], v[107:108], v[99:100], v[93:94]
	ds_read_b128 v[93:96], v92 offset:672
	ds_read_b128 v[97:100], v92 offset:688
	s_waitcnt vmcnt(14) lgkmcnt(1)
	v_fma_f64 v[93:94], v[109:110], v[93:94], v[103:104]
	s_waitcnt vmcnt(12)
	v_fma_f64 v[93:94], v[111:112], v[95:96], v[93:94]
	s_waitcnt vmcnt(10) lgkmcnt(0)
	v_fma_f64 v[93:94], v[113:114], v[97:98], v[93:94]
	s_waitcnt vmcnt(5)
	v_fma_f64 v[97:98], v[115:116], v[99:100], v[93:94]
	ds_read_b128 v[93:96], v92 offset:704
	ds_read_b64 v[99:100], v92 offset:720
	s_waitcnt vmcnt(4) lgkmcnt(1)
	v_fma_f64 v[93:94], v[121:122], v[93:94], v[97:98]
	s_waitcnt vmcnt(3)
	v_fma_f64 v[93:94], v[119:120], v[95:96], v[93:94]
	s_waitcnt vmcnt(2) lgkmcnt(0)
	v_fma_f64 v[93:94], v[117:118], v[99:100], v[93:94]
	s_waitcnt vmcnt(0)
	v_add_f64 v[93:94], v[101:102], -v[93:94]
	buffer_store_dword v94, off, s[0:3], 0 offset:268
	buffer_store_dword v93, off, s[0:3], 0 offset:264
	s_and_saveexec_b64 s[4:5], vcc
	s_cbranch_execz .LBB44_213
; %bb.212:
	buffer_load_dword v93, off, s[0:3], 0 offset:256
	buffer_load_dword v94, off, s[0:3], 0 offset:260
	s_waitcnt vmcnt(0)
	ds_write_b64 v91, v[93:94]
	buffer_store_dword v92, off, s[0:3], 0 offset:256
	buffer_store_dword v92, off, s[0:3], 0 offset:260
.LBB44_213:
	s_or_b64 exec, exec, s[4:5]
	s_waitcnt lgkmcnt(0)
	; wave barrier
	buffer_load_dword v101, off, s[0:3], 0 offset:264
	buffer_load_dword v102, off, s[0:3], 0 offset:268
	;; [unrolled: 1-line block ×21, first 2 shown]
	ds_read2_b64 v[93:96], v92 offset0:79 offset1:80
	ds_read2_b64 v[97:100], v92 offset0:81 offset1:82
	buffer_load_dword v118, off, s[0:3], 0 offset:348
	v_cmp_lt_u32_e32 vcc, 31, v0
	s_waitcnt vmcnt(20) lgkmcnt(1)
	v_fma_f64 v[93:94], v[101:102], v[93:94], 0
	buffer_load_dword v102, off, s[0:3], 0 offset:356
	buffer_load_dword v101, off, s[0:3], 0 offset:352
	s_waitcnt vmcnt(20)
	v_fma_f64 v[93:94], v[103:104], v[95:96], v[93:94]
	buffer_load_dword v103, off, s[0:3], 0 offset:256
	buffer_load_dword v104, off, s[0:3], 0 offset:260
	s_waitcnt vmcnt(20) lgkmcnt(0)
	v_fma_f64 v[93:94], v[105:106], v[97:98], v[93:94]
	s_waitcnt vmcnt(18)
	v_fma_f64 v[105:106], v[107:108], v[99:100], v[93:94]
	ds_read2_b64 v[93:96], v92 offset0:83 offset1:84
	ds_read2_b64 v[97:100], v92 offset0:85 offset1:86
	s_waitcnt vmcnt(16) lgkmcnt(1)
	v_fma_f64 v[93:94], v[109:110], v[93:94], v[105:106]
	s_waitcnt vmcnt(14)
	v_fma_f64 v[93:94], v[111:112], v[95:96], v[93:94]
	s_waitcnt vmcnt(12) lgkmcnt(0)
	v_fma_f64 v[93:94], v[113:114], v[97:98], v[93:94]
	s_waitcnt vmcnt(7)
	v_fma_f64 v[105:106], v[115:116], v[99:100], v[93:94]
	ds_read2_b64 v[93:96], v92 offset0:87 offset1:88
	ds_read2_b64 v[97:100], v92 offset0:89 offset1:90
	s_waitcnt vmcnt(6) lgkmcnt(1)
	v_fma_f64 v[92:93], v[121:122], v[93:94], v[105:106]
	s_waitcnt vmcnt(5)
	v_fma_f64 v[92:93], v[119:120], v[95:96], v[92:93]
	s_waitcnt vmcnt(4) lgkmcnt(0)
	v_fma_f64 v[92:93], v[117:118], v[97:98], v[92:93]
	s_waitcnt vmcnt(2)
	v_fma_f64 v[92:93], v[101:102], v[99:100], v[92:93]
	s_waitcnt vmcnt(0)
	v_add_f64 v[92:93], v[103:104], -v[92:93]
	buffer_store_dword v93, off, s[0:3], 0 offset:260
	buffer_store_dword v92, off, s[0:3], 0 offset:256
	s_and_saveexec_b64 s[4:5], vcc
	s_cbranch_execz .LBB44_215
; %bb.214:
	buffer_load_dword v92, off, s[0:3], 0 offset:248
	buffer_load_dword v93, off, s[0:3], 0 offset:252
	v_mov_b32_e32 v94, 0
	buffer_store_dword v94, off, s[0:3], 0 offset:248
	buffer_store_dword v94, off, s[0:3], 0 offset:252
	s_waitcnt vmcnt(2)
	ds_write_b64 v91, v[92:93]
.LBB44_215:
	s_or_b64 exec, exec, s[4:5]
	s_waitcnt lgkmcnt(0)
	; wave barrier
	buffer_load_dword v101, off, s[0:3], 0 offset:256
	buffer_load_dword v102, off, s[0:3], 0 offset:260
	;; [unrolled: 1-line block ×21, first 2 shown]
	v_mov_b32_e32 v92, 0
	ds_read_b128 v[93:96], v92 offset:624
	ds_read_b128 v[97:100], v92 offset:640
	buffer_load_dword v118, off, s[0:3], 0 offset:340
	v_cmp_lt_u32_e32 vcc, 30, v0
	s_waitcnt vmcnt(20) lgkmcnt(1)
	v_fma_f64 v[93:94], v[101:102], v[93:94], 0
	s_waitcnt vmcnt(18)
	v_fma_f64 v[93:94], v[103:104], v[95:96], v[93:94]
	buffer_load_dword v102, off, s[0:3], 0 offset:348
	buffer_load_dword v103, off, s[0:3], 0 offset:352
	;; [unrolled: 1-line block ×4, first 2 shown]
	s_waitcnt vmcnt(20) lgkmcnt(0)
	v_fma_f64 v[93:94], v[105:106], v[97:98], v[93:94]
	buffer_load_dword v105, off, s[0:3], 0 offset:248
	buffer_load_dword v106, off, s[0:3], 0 offset:252
	s_waitcnt vmcnt(20)
	v_fma_f64 v[107:108], v[107:108], v[99:100], v[93:94]
	ds_read_b128 v[93:96], v92 offset:656
	ds_read_b128 v[97:100], v92 offset:672
	s_waitcnt vmcnt(18) lgkmcnt(1)
	v_fma_f64 v[93:94], v[109:110], v[93:94], v[107:108]
	s_waitcnt vmcnt(16)
	v_fma_f64 v[93:94], v[111:112], v[95:96], v[93:94]
	s_waitcnt vmcnt(14) lgkmcnt(0)
	v_fma_f64 v[93:94], v[113:114], v[97:98], v[93:94]
	s_waitcnt vmcnt(9)
	v_fma_f64 v[107:108], v[115:116], v[99:100], v[93:94]
	ds_read_b128 v[93:96], v92 offset:688
	ds_read_b128 v[97:100], v92 offset:704
	s_waitcnt vmcnt(8) lgkmcnt(1)
	v_fma_f64 v[93:94], v[121:122], v[93:94], v[107:108]
	s_waitcnt vmcnt(7)
	v_fma_f64 v[93:94], v[119:120], v[95:96], v[93:94]
	ds_read_b64 v[95:96], v92 offset:720
	s_waitcnt vmcnt(6) lgkmcnt(1)
	v_fma_f64 v[93:94], v[117:118], v[97:98], v[93:94]
	s_waitcnt vmcnt(3)
	v_fma_f64 v[93:94], v[101:102], v[99:100], v[93:94]
	s_waitcnt vmcnt(2) lgkmcnt(0)
	v_fma_f64 v[93:94], v[103:104], v[95:96], v[93:94]
	s_waitcnt vmcnt(0)
	v_add_f64 v[93:94], v[105:106], -v[93:94]
	buffer_store_dword v94, off, s[0:3], 0 offset:252
	buffer_store_dword v93, off, s[0:3], 0 offset:248
	s_and_saveexec_b64 s[4:5], vcc
	s_cbranch_execz .LBB44_217
; %bb.216:
	buffer_load_dword v93, off, s[0:3], 0 offset:240
	buffer_load_dword v94, off, s[0:3], 0 offset:244
	s_waitcnt vmcnt(0)
	ds_write_b64 v91, v[93:94]
	buffer_store_dword v92, off, s[0:3], 0 offset:240
	buffer_store_dword v92, off, s[0:3], 0 offset:244
.LBB44_217:
	s_or_b64 exec, exec, s[4:5]
	s_waitcnt lgkmcnt(0)
	; wave barrier
	buffer_load_dword v101, off, s[0:3], 0 offset:248
	buffer_load_dword v102, off, s[0:3], 0 offset:252
	;; [unrolled: 1-line block ×22, first 2 shown]
	ds_read2_b64 v[93:96], v92 offset0:77 offset1:78
	ds_read2_b64 v[97:100], v92 offset0:79 offset1:80
	v_cmp_lt_u32_e32 vcc, 29, v0
	s_waitcnt vmcnt(20) lgkmcnt(1)
	v_fma_f64 v[93:94], v[101:102], v[93:94], 0
	s_waitcnt vmcnt(18)
	v_fma_f64 v[93:94], v[103:104], v[95:96], v[93:94]
	buffer_load_dword v102, off, s[0:3], 0 offset:340
	buffer_load_dword v103, off, s[0:3], 0 offset:352
	;; [unrolled: 1-line block ×6, first 2 shown]
	s_waitcnt vmcnt(22) lgkmcnt(0)
	v_fma_f64 v[93:94], v[105:106], v[97:98], v[93:94]
	s_waitcnt vmcnt(20)
	v_fma_f64 v[105:106], v[107:108], v[99:100], v[93:94]
	ds_read2_b64 v[93:96], v92 offset0:81 offset1:82
	buffer_load_dword v107, off, s[0:3], 0 offset:240
	buffer_load_dword v108, off, s[0:3], 0 offset:244
	ds_read2_b64 v[97:100], v92 offset0:83 offset1:84
	s_waitcnt vmcnt(20) lgkmcnt(1)
	v_fma_f64 v[93:94], v[109:110], v[93:94], v[105:106]
	s_waitcnt vmcnt(18)
	v_fma_f64 v[93:94], v[111:112], v[95:96], v[93:94]
	s_waitcnt vmcnt(16) lgkmcnt(0)
	v_fma_f64 v[93:94], v[113:114], v[97:98], v[93:94]
	s_waitcnt vmcnt(11)
	v_fma_f64 v[105:106], v[115:116], v[99:100], v[93:94]
	ds_read2_b64 v[93:96], v92 offset0:85 offset1:86
	ds_read2_b64 v[97:100], v92 offset0:87 offset1:88
	s_waitcnt vmcnt(10) lgkmcnt(1)
	v_fma_f64 v[93:94], v[121:122], v[93:94], v[105:106]
	s_waitcnt vmcnt(9)
	v_fma_f64 v[93:94], v[119:120], v[95:96], v[93:94]
	s_waitcnt vmcnt(8) lgkmcnt(0)
	v_fma_f64 v[93:94], v[117:118], v[97:98], v[93:94]
	s_waitcnt vmcnt(4)
	v_fma_f64 v[96:97], v[101:102], v[99:100], v[93:94]
	ds_read2_b64 v[92:95], v92 offset0:89 offset1:90
	s_waitcnt vmcnt(3) lgkmcnt(0)
	v_fma_f64 v[92:93], v[123:124], v[92:93], v[96:97]
	s_waitcnt vmcnt(2)
	v_fma_f64 v[92:93], v[103:104], v[94:95], v[92:93]
	s_waitcnt vmcnt(0)
	v_add_f64 v[92:93], v[107:108], -v[92:93]
	buffer_store_dword v93, off, s[0:3], 0 offset:244
	buffer_store_dword v92, off, s[0:3], 0 offset:240
	s_and_saveexec_b64 s[4:5], vcc
	s_cbranch_execz .LBB44_219
; %bb.218:
	buffer_load_dword v92, off, s[0:3], 0 offset:232
	buffer_load_dword v93, off, s[0:3], 0 offset:236
	v_mov_b32_e32 v94, 0
	buffer_store_dword v94, off, s[0:3], 0 offset:232
	buffer_store_dword v94, off, s[0:3], 0 offset:236
	s_waitcnt vmcnt(2)
	ds_write_b64 v91, v[92:93]
.LBB44_219:
	s_or_b64 exec, exec, s[4:5]
	s_waitcnt lgkmcnt(0)
	; wave barrier
	buffer_load_dword v101, off, s[0:3], 0 offset:240
	buffer_load_dword v102, off, s[0:3], 0 offset:244
	;; [unrolled: 1-line block ×22, first 2 shown]
	v_mov_b32_e32 v92, 0
	ds_read_b128 v[93:96], v92 offset:608
	ds_read_b128 v[97:100], v92 offset:624
	v_cmp_lt_u32_e32 vcc, 28, v0
	s_waitcnt vmcnt(20) lgkmcnt(1)
	v_fma_f64 v[93:94], v[101:102], v[93:94], 0
	s_waitcnt vmcnt(18)
	v_fma_f64 v[93:94], v[103:104], v[95:96], v[93:94]
	buffer_load_dword v102, off, s[0:3], 0 offset:332
	buffer_load_dword v103, off, s[0:3], 0 offset:352
	;; [unrolled: 1-line block ×8, first 2 shown]
	s_waitcnt vmcnt(24) lgkmcnt(0)
	v_fma_f64 v[93:94], v[105:106], v[97:98], v[93:94]
	s_waitcnt vmcnt(22)
	v_fma_f64 v[105:106], v[107:108], v[99:100], v[93:94]
	ds_read_b128 v[93:96], v92 offset:640
	ds_read_b128 v[97:100], v92 offset:656
	s_waitcnt vmcnt(20) lgkmcnt(1)
	v_fma_f64 v[93:94], v[109:110], v[93:94], v[105:106]
	buffer_load_dword v105, off, s[0:3], 0 offset:232
	buffer_load_dword v106, off, s[0:3], 0 offset:236
	s_waitcnt vmcnt(20)
	v_fma_f64 v[93:94], v[111:112], v[95:96], v[93:94]
	s_waitcnt vmcnt(18) lgkmcnt(0)
	v_fma_f64 v[93:94], v[113:114], v[97:98], v[93:94]
	s_waitcnt vmcnt(13)
	v_fma_f64 v[107:108], v[115:116], v[99:100], v[93:94]
	ds_read_b128 v[93:96], v92 offset:672
	ds_read_b128 v[97:100], v92 offset:688
	s_waitcnt vmcnt(12) lgkmcnt(1)
	v_fma_f64 v[93:94], v[121:122], v[93:94], v[107:108]
	s_waitcnt vmcnt(11)
	v_fma_f64 v[93:94], v[119:120], v[95:96], v[93:94]
	s_waitcnt vmcnt(10) lgkmcnt(0)
	v_fma_f64 v[93:94], v[117:118], v[97:98], v[93:94]
	s_waitcnt vmcnt(5)
	v_fma_f64 v[97:98], v[101:102], v[99:100], v[93:94]
	ds_read_b128 v[93:96], v92 offset:704
	ds_read_b64 v[99:100], v92 offset:720
	s_waitcnt vmcnt(4) lgkmcnt(1)
	v_fma_f64 v[93:94], v[125:126], v[93:94], v[97:98]
	s_waitcnt vmcnt(3)
	v_fma_f64 v[93:94], v[123:124], v[95:96], v[93:94]
	s_waitcnt vmcnt(2) lgkmcnt(0)
	v_fma_f64 v[93:94], v[103:104], v[99:100], v[93:94]
	s_waitcnt vmcnt(0)
	v_add_f64 v[93:94], v[105:106], -v[93:94]
	buffer_store_dword v94, off, s[0:3], 0 offset:236
	buffer_store_dword v93, off, s[0:3], 0 offset:232
	s_and_saveexec_b64 s[4:5], vcc
	s_cbranch_execz .LBB44_221
; %bb.220:
	buffer_load_dword v93, off, s[0:3], 0 offset:224
	buffer_load_dword v94, off, s[0:3], 0 offset:228
	s_waitcnt vmcnt(0)
	ds_write_b64 v91, v[93:94]
	buffer_store_dword v92, off, s[0:3], 0 offset:224
	buffer_store_dword v92, off, s[0:3], 0 offset:228
.LBB44_221:
	s_or_b64 exec, exec, s[4:5]
	s_waitcnt lgkmcnt(0)
	; wave barrier
	buffer_load_dword v101, off, s[0:3], 0 offset:232
	buffer_load_dword v102, off, s[0:3], 0 offset:236
	;; [unrolled: 1-line block ×22, first 2 shown]
	ds_read2_b64 v[93:96], v92 offset0:75 offset1:76
	ds_read2_b64 v[97:100], v92 offset0:77 offset1:78
	v_cmp_lt_u32_e32 vcc, 27, v0
	s_waitcnt vmcnt(20) lgkmcnt(1)
	v_fma_f64 v[93:94], v[101:102], v[93:94], 0
	s_waitcnt vmcnt(18)
	v_fma_f64 v[93:94], v[103:104], v[95:96], v[93:94]
	buffer_load_dword v102, off, s[0:3], 0 offset:324
	buffer_load_dword v103, off, s[0:3], 0 offset:344
	;; [unrolled: 1-line block ×8, first 2 shown]
	s_waitcnt vmcnt(24) lgkmcnt(0)
	v_fma_f64 v[93:94], v[105:106], v[97:98], v[93:94]
	s_waitcnt vmcnt(22)
	v_fma_f64 v[105:106], v[107:108], v[99:100], v[93:94]
	ds_read2_b64 v[93:96], v92 offset0:79 offset1:80
	ds_read2_b64 v[97:100], v92 offset0:81 offset1:82
	s_waitcnt vmcnt(20) lgkmcnt(1)
	v_fma_f64 v[93:94], v[109:110], v[93:94], v[105:106]
	buffer_load_dword v106, off, s[0:3], 0 offset:356
	buffer_load_dword v105, off, s[0:3], 0 offset:352
	;; [unrolled: 1-line block ×4, first 2 shown]
	s_waitcnt vmcnt(22)
	v_fma_f64 v[93:94], v[111:112], v[95:96], v[93:94]
	s_waitcnt vmcnt(20) lgkmcnt(0)
	v_fma_f64 v[93:94], v[113:114], v[97:98], v[93:94]
	s_waitcnt vmcnt(15)
	v_fma_f64 v[109:110], v[115:116], v[99:100], v[93:94]
	ds_read2_b64 v[93:96], v92 offset0:83 offset1:84
	ds_read2_b64 v[97:100], v92 offset0:85 offset1:86
	s_waitcnt vmcnt(14) lgkmcnt(1)
	v_fma_f64 v[93:94], v[121:122], v[93:94], v[109:110]
	s_waitcnt vmcnt(13)
	v_fma_f64 v[93:94], v[119:120], v[95:96], v[93:94]
	s_waitcnt vmcnt(12) lgkmcnt(0)
	v_fma_f64 v[93:94], v[117:118], v[97:98], v[93:94]
	s_waitcnt vmcnt(7)
	v_fma_f64 v[101:102], v[101:102], v[99:100], v[93:94]
	ds_read2_b64 v[93:96], v92 offset0:87 offset1:88
	ds_read2_b64 v[97:100], v92 offset0:89 offset1:90
	s_waitcnt vmcnt(6) lgkmcnt(1)
	v_fma_f64 v[92:93], v[125:126], v[93:94], v[101:102]
	s_waitcnt vmcnt(5)
	v_fma_f64 v[92:93], v[123:124], v[95:96], v[92:93]
	s_waitcnt vmcnt(4) lgkmcnt(0)
	v_fma_f64 v[92:93], v[103:104], v[97:98], v[92:93]
	s_waitcnt vmcnt(2)
	v_fma_f64 v[92:93], v[105:106], v[99:100], v[92:93]
	s_waitcnt vmcnt(0)
	v_add_f64 v[92:93], v[107:108], -v[92:93]
	buffer_store_dword v93, off, s[0:3], 0 offset:228
	buffer_store_dword v92, off, s[0:3], 0 offset:224
	s_and_saveexec_b64 s[4:5], vcc
	s_cbranch_execz .LBB44_223
; %bb.222:
	buffer_load_dword v92, off, s[0:3], 0 offset:216
	buffer_load_dword v93, off, s[0:3], 0 offset:220
	v_mov_b32_e32 v94, 0
	buffer_store_dword v94, off, s[0:3], 0 offset:216
	buffer_store_dword v94, off, s[0:3], 0 offset:220
	s_waitcnt vmcnt(2)
	ds_write_b64 v91, v[92:93]
.LBB44_223:
	s_or_b64 exec, exec, s[4:5]
	s_waitcnt lgkmcnt(0)
	; wave barrier
	buffer_load_dword v101, off, s[0:3], 0 offset:224
	buffer_load_dword v102, off, s[0:3], 0 offset:228
	;; [unrolled: 1-line block ×22, first 2 shown]
	v_mov_b32_e32 v92, 0
	ds_read_b128 v[93:96], v92 offset:592
	ds_read_b128 v[97:100], v92 offset:608
	v_cmp_lt_u32_e32 vcc, 26, v0
	s_waitcnt vmcnt(20) lgkmcnt(1)
	v_fma_f64 v[93:94], v[101:102], v[93:94], 0
	s_waitcnt vmcnt(18)
	v_fma_f64 v[93:94], v[103:104], v[95:96], v[93:94]
	buffer_load_dword v102, off, s[0:3], 0 offset:316
	buffer_load_dword v103, off, s[0:3], 0 offset:336
	;; [unrolled: 1-line block ×7, first 2 shown]
	s_waitcnt vmcnt(23) lgkmcnt(0)
	v_fma_f64 v[93:94], v[105:106], v[97:98], v[93:94]
	s_waitcnt vmcnt(21)
	v_fma_f64 v[104:105], v[107:108], v[99:100], v[93:94]
	ds_read_b128 v[93:96], v92 offset:624
	ds_read_b128 v[97:100], v92 offset:640
	s_waitcnt vmcnt(19) lgkmcnt(1)
	v_fma_f64 v[93:94], v[109:110], v[93:94], v[104:105]
	buffer_load_dword v104, off, s[0:3], 0 offset:340
	buffer_load_dword v106, off, s[0:3], 0 offset:348
	;; [unrolled: 1-line block ×7, first 2 shown]
	s_waitcnt vmcnt(24)
	v_fma_f64 v[93:94], v[111:112], v[95:96], v[93:94]
	s_waitcnt vmcnt(22) lgkmcnt(0)
	v_fma_f64 v[93:94], v[113:114], v[97:98], v[93:94]
	s_waitcnt vmcnt(17)
	v_fma_f64 v[111:112], v[115:116], v[99:100], v[93:94]
	ds_read_b128 v[93:96], v92 offset:656
	ds_read_b128 v[97:100], v92 offset:672
	s_waitcnt vmcnt(16) lgkmcnt(1)
	v_fma_f64 v[93:94], v[121:122], v[93:94], v[111:112]
	s_waitcnt vmcnt(15)
	v_fma_f64 v[93:94], v[119:120], v[95:96], v[93:94]
	s_waitcnt vmcnt(14) lgkmcnt(0)
	v_fma_f64 v[93:94], v[117:118], v[97:98], v[93:94]
	s_waitcnt vmcnt(9)
	v_fma_f64 v[101:102], v[101:102], v[99:100], v[93:94]
	ds_read_b128 v[93:96], v92 offset:688
	ds_read_b128 v[97:100], v92 offset:704
	s_waitcnt vmcnt(8) lgkmcnt(1)
	v_fma_f64 v[93:94], v[125:126], v[93:94], v[101:102]
	s_waitcnt vmcnt(7)
	v_fma_f64 v[93:94], v[123:124], v[95:96], v[93:94]
	ds_read_b64 v[95:96], v92 offset:720
	s_waitcnt vmcnt(6) lgkmcnt(1)
	v_fma_f64 v[93:94], v[103:104], v[97:98], v[93:94]
	s_waitcnt vmcnt(3)
	v_fma_f64 v[93:94], v[105:106], v[99:100], v[93:94]
	s_waitcnt vmcnt(2) lgkmcnt(0)
	v_fma_f64 v[93:94], v[107:108], v[95:96], v[93:94]
	s_waitcnt vmcnt(0)
	v_add_f64 v[93:94], v[109:110], -v[93:94]
	buffer_store_dword v94, off, s[0:3], 0 offset:220
	buffer_store_dword v93, off, s[0:3], 0 offset:216
	s_and_saveexec_b64 s[4:5], vcc
	s_cbranch_execz .LBB44_225
; %bb.224:
	buffer_load_dword v93, off, s[0:3], 0 offset:208
	buffer_load_dword v94, off, s[0:3], 0 offset:212
	s_waitcnt vmcnt(0)
	ds_write_b64 v91, v[93:94]
	buffer_store_dword v92, off, s[0:3], 0 offset:208
	buffer_store_dword v92, off, s[0:3], 0 offset:212
.LBB44_225:
	s_or_b64 exec, exec, s[4:5]
	s_waitcnt lgkmcnt(0)
	; wave barrier
	buffer_load_dword v101, off, s[0:3], 0 offset:216
	buffer_load_dword v102, off, s[0:3], 0 offset:220
	;; [unrolled: 1-line block ×22, first 2 shown]
	ds_read2_b64 v[93:96], v92 offset0:73 offset1:74
	ds_read2_b64 v[97:100], v92 offset0:75 offset1:76
	v_cmp_lt_u32_e32 vcc, 25, v0
	s_waitcnt vmcnt(20) lgkmcnt(1)
	v_fma_f64 v[93:94], v[101:102], v[93:94], 0
	s_waitcnt vmcnt(18)
	v_fma_f64 v[93:94], v[103:104], v[95:96], v[93:94]
	buffer_load_dword v102, off, s[0:3], 0 offset:308
	buffer_load_dword v103, off, s[0:3], 0 offset:328
	;; [unrolled: 1-line block ×7, first 2 shown]
	s_waitcnt vmcnt(23) lgkmcnt(0)
	v_fma_f64 v[93:94], v[105:106], v[97:98], v[93:94]
	s_waitcnt vmcnt(21)
	v_fma_f64 v[104:105], v[107:108], v[99:100], v[93:94]
	ds_read2_b64 v[93:96], v92 offset0:77 offset1:78
	ds_read2_b64 v[97:100], v92 offset0:79 offset1:80
	s_waitcnt vmcnt(19) lgkmcnt(1)
	v_fma_f64 v[93:94], v[109:110], v[93:94], v[104:105]
	buffer_load_dword v104, off, s[0:3], 0 offset:332
	buffer_load_dword v106, off, s[0:3], 0 offset:340
	;; [unrolled: 1-line block ×7, first 2 shown]
	s_waitcnt vmcnt(24)
	v_fma_f64 v[93:94], v[111:112], v[95:96], v[93:94]
	s_waitcnt vmcnt(22) lgkmcnt(0)
	v_fma_f64 v[93:94], v[113:114], v[97:98], v[93:94]
	s_waitcnt vmcnt(17)
	v_fma_f64 v[111:112], v[115:116], v[99:100], v[93:94]
	ds_read2_b64 v[93:96], v92 offset0:81 offset1:82
	buffer_load_dword v113, off, s[0:3], 0 offset:208
	buffer_load_dword v114, off, s[0:3], 0 offset:212
	ds_read2_b64 v[97:100], v92 offset0:83 offset1:84
	s_waitcnt vmcnt(18) lgkmcnt(1)
	v_fma_f64 v[93:94], v[121:122], v[93:94], v[111:112]
	s_waitcnt vmcnt(17)
	v_fma_f64 v[93:94], v[119:120], v[95:96], v[93:94]
	s_waitcnt vmcnt(16) lgkmcnt(0)
	v_fma_f64 v[93:94], v[117:118], v[97:98], v[93:94]
	s_waitcnt vmcnt(11)
	v_fma_f64 v[101:102], v[101:102], v[99:100], v[93:94]
	ds_read2_b64 v[93:96], v92 offset0:85 offset1:86
	ds_read2_b64 v[97:100], v92 offset0:87 offset1:88
	s_waitcnt vmcnt(10) lgkmcnt(1)
	v_fma_f64 v[93:94], v[125:126], v[93:94], v[101:102]
	s_waitcnt vmcnt(9)
	v_fma_f64 v[93:94], v[123:124], v[95:96], v[93:94]
	s_waitcnt vmcnt(8) lgkmcnt(0)
	v_fma_f64 v[93:94], v[103:104], v[97:98], v[93:94]
	s_waitcnt vmcnt(4)
	v_fma_f64 v[96:97], v[105:106], v[99:100], v[93:94]
	ds_read2_b64 v[92:95], v92 offset0:89 offset1:90
	s_waitcnt vmcnt(3) lgkmcnt(0)
	v_fma_f64 v[92:93], v[109:110], v[92:93], v[96:97]
	s_waitcnt vmcnt(2)
	v_fma_f64 v[92:93], v[107:108], v[94:95], v[92:93]
	s_waitcnt vmcnt(0)
	v_add_f64 v[92:93], v[113:114], -v[92:93]
	buffer_store_dword v93, off, s[0:3], 0 offset:212
	buffer_store_dword v92, off, s[0:3], 0 offset:208
	s_and_saveexec_b64 s[4:5], vcc
	s_cbranch_execz .LBB44_227
; %bb.226:
	buffer_load_dword v92, off, s[0:3], 0 offset:200
	buffer_load_dword v93, off, s[0:3], 0 offset:204
	v_mov_b32_e32 v94, 0
	buffer_store_dword v94, off, s[0:3], 0 offset:200
	buffer_store_dword v94, off, s[0:3], 0 offset:204
	s_waitcnt vmcnt(2)
	ds_write_b64 v91, v[92:93]
.LBB44_227:
	s_or_b64 exec, exec, s[4:5]
	s_waitcnt lgkmcnt(0)
	; wave barrier
	buffer_load_dword v101, off, s[0:3], 0 offset:208
	buffer_load_dword v102, off, s[0:3], 0 offset:212
	;; [unrolled: 1-line block ×22, first 2 shown]
	v_mov_b32_e32 v92, 0
	ds_read_b128 v[93:96], v92 offset:576
	ds_read_b128 v[97:100], v92 offset:592
	v_cmp_lt_u32_e32 vcc, 24, v0
	s_waitcnt vmcnt(20) lgkmcnt(1)
	v_fma_f64 v[93:94], v[101:102], v[93:94], 0
	s_waitcnt vmcnt(18)
	v_fma_f64 v[93:94], v[103:104], v[95:96], v[93:94]
	buffer_load_dword v102, off, s[0:3], 0 offset:300
	buffer_load_dword v103, off, s[0:3], 0 offset:320
	;; [unrolled: 1-line block ×7, first 2 shown]
	s_waitcnt vmcnt(23) lgkmcnt(0)
	v_fma_f64 v[93:94], v[105:106], v[97:98], v[93:94]
	s_waitcnt vmcnt(21)
	v_fma_f64 v[104:105], v[107:108], v[99:100], v[93:94]
	ds_read_b128 v[93:96], v92 offset:608
	ds_read_b128 v[97:100], v92 offset:624
	s_waitcnt vmcnt(19) lgkmcnt(1)
	v_fma_f64 v[93:94], v[109:110], v[93:94], v[104:105]
	buffer_load_dword v104, off, s[0:3], 0 offset:324
	s_waitcnt vmcnt(18)
	v_fma_f64 v[93:94], v[111:112], v[95:96], v[93:94]
	buffer_load_dword v106, off, s[0:3], 0 offset:332
	buffer_load_dword v107, off, s[0:3], 0 offset:352
	;; [unrolled: 1-line block ×8, first 2 shown]
	s_waitcnt vmcnt(24) lgkmcnt(0)
	v_fma_f64 v[93:94], v[113:114], v[97:98], v[93:94]
	s_waitcnt vmcnt(19)
	v_fma_f64 v[113:114], v[115:116], v[99:100], v[93:94]
	ds_read_b128 v[93:96], v92 offset:640
	ds_read_b128 v[97:100], v92 offset:656
	s_waitcnt vmcnt(18) lgkmcnt(1)
	v_fma_f64 v[93:94], v[121:122], v[93:94], v[113:114]
	buffer_load_dword v113, off, s[0:3], 0 offset:200
	buffer_load_dword v114, off, s[0:3], 0 offset:204
	s_waitcnt vmcnt(19)
	v_fma_f64 v[93:94], v[119:120], v[95:96], v[93:94]
	s_waitcnt vmcnt(18) lgkmcnt(0)
	v_fma_f64 v[93:94], v[117:118], v[97:98], v[93:94]
	s_waitcnt vmcnt(13)
	v_fma_f64 v[101:102], v[101:102], v[99:100], v[93:94]
	ds_read_b128 v[93:96], v92 offset:672
	ds_read_b128 v[97:100], v92 offset:688
	s_waitcnt vmcnt(12) lgkmcnt(1)
	v_fma_f64 v[93:94], v[125:126], v[93:94], v[101:102]
	s_waitcnt vmcnt(11)
	v_fma_f64 v[93:94], v[123:124], v[95:96], v[93:94]
	s_waitcnt vmcnt(10) lgkmcnt(0)
	v_fma_f64 v[93:94], v[103:104], v[97:98], v[93:94]
	s_waitcnt vmcnt(5)
	v_fma_f64 v[97:98], v[105:106], v[99:100], v[93:94]
	ds_read_b128 v[93:96], v92 offset:704
	ds_read_b64 v[99:100], v92 offset:720
	s_waitcnt vmcnt(4) lgkmcnt(1)
	v_fma_f64 v[93:94], v[111:112], v[93:94], v[97:98]
	s_waitcnt vmcnt(3)
	v_fma_f64 v[93:94], v[109:110], v[95:96], v[93:94]
	s_waitcnt vmcnt(2) lgkmcnt(0)
	v_fma_f64 v[93:94], v[107:108], v[99:100], v[93:94]
	s_waitcnt vmcnt(0)
	v_add_f64 v[93:94], v[113:114], -v[93:94]
	buffer_store_dword v94, off, s[0:3], 0 offset:204
	buffer_store_dword v93, off, s[0:3], 0 offset:200
	s_and_saveexec_b64 s[4:5], vcc
	s_cbranch_execz .LBB44_229
; %bb.228:
	buffer_load_dword v93, off, s[0:3], 0 offset:192
	buffer_load_dword v94, off, s[0:3], 0 offset:196
	s_waitcnt vmcnt(0)
	ds_write_b64 v91, v[93:94]
	buffer_store_dword v92, off, s[0:3], 0 offset:192
	buffer_store_dword v92, off, s[0:3], 0 offset:196
.LBB44_229:
	s_or_b64 exec, exec, s[4:5]
	s_waitcnt lgkmcnt(0)
	; wave barrier
	buffer_load_dword v101, off, s[0:3], 0 offset:200
	buffer_load_dword v102, off, s[0:3], 0 offset:204
	buffer_load_dword v103, off, s[0:3], 0 offset:208
	buffer_load_dword v104, off, s[0:3], 0 offset:212
	buffer_load_dword v105, off, s[0:3], 0 offset:216
	buffer_load_dword v106, off, s[0:3], 0 offset:220
	buffer_load_dword v107, off, s[0:3], 0 offset:224
	buffer_load_dword v108, off, s[0:3], 0 offset:228
	buffer_load_dword v109, off, s[0:3], 0 offset:232
	buffer_load_dword v110, off, s[0:3], 0 offset:236
	buffer_load_dword v111, off, s[0:3], 0 offset:240
	buffer_load_dword v112, off, s[0:3], 0 offset:244
	buffer_load_dword v113, off, s[0:3], 0 offset:248
	buffer_load_dword v114, off, s[0:3], 0 offset:252
	buffer_load_dword v116, off, s[0:3], 0 offset:260
	buffer_load_dword v117, off, s[0:3], 0 offset:280
	buffer_load_dword v119, off, s[0:3], 0 offset:272
	buffer_load_dword v121, off, s[0:3], 0 offset:264
	buffer_load_dword v115, off, s[0:3], 0 offset:256
	buffer_load_dword v122, off, s[0:3], 0 offset:268
	buffer_load_dword v120, off, s[0:3], 0 offset:276
	buffer_load_dword v118, off, s[0:3], 0 offset:284
	ds_read2_b64 v[93:96], v92 offset0:71 offset1:72
	ds_read2_b64 v[97:100], v92 offset0:73 offset1:74
	v_cmp_lt_u32_e32 vcc, 23, v0
	s_waitcnt vmcnt(20) lgkmcnt(1)
	v_fma_f64 v[93:94], v[101:102], v[93:94], 0
	s_waitcnt vmcnt(18)
	v_fma_f64 v[93:94], v[103:104], v[95:96], v[93:94]
	buffer_load_dword v102, off, s[0:3], 0 offset:292
	buffer_load_dword v103, off, s[0:3], 0 offset:312
	;; [unrolled: 1-line block ×7, first 2 shown]
	s_waitcnt vmcnt(23) lgkmcnt(0)
	v_fma_f64 v[93:94], v[105:106], v[97:98], v[93:94]
	s_waitcnt vmcnt(21)
	v_fma_f64 v[104:105], v[107:108], v[99:100], v[93:94]
	ds_read2_b64 v[93:96], v92 offset0:75 offset1:76
	ds_read2_b64 v[97:100], v92 offset0:77 offset1:78
	s_waitcnt vmcnt(19) lgkmcnt(1)
	v_fma_f64 v[93:94], v[109:110], v[93:94], v[104:105]
	buffer_load_dword v104, off, s[0:3], 0 offset:316
	s_waitcnt vmcnt(18)
	v_fma_f64 v[93:94], v[111:112], v[95:96], v[93:94]
	buffer_load_dword v106, off, s[0:3], 0 offset:324
	buffer_load_dword v107, off, s[0:3], 0 offset:344
	;; [unrolled: 1-line block ×8, first 2 shown]
	s_waitcnt vmcnt(24) lgkmcnt(0)
	v_fma_f64 v[93:94], v[113:114], v[97:98], v[93:94]
	s_waitcnt vmcnt(19)
	v_fma_f64 v[113:114], v[115:116], v[99:100], v[93:94]
	ds_read2_b64 v[93:96], v92 offset0:79 offset1:80
	ds_read2_b64 v[97:100], v92 offset0:81 offset1:82
	s_waitcnt vmcnt(18) lgkmcnt(1)
	v_fma_f64 v[93:94], v[121:122], v[93:94], v[113:114]
	buffer_load_dword v114, off, s[0:3], 0 offset:356
	buffer_load_dword v113, off, s[0:3], 0 offset:352
	;; [unrolled: 1-line block ×4, first 2 shown]
	s_waitcnt vmcnt(21)
	v_fma_f64 v[93:94], v[119:120], v[95:96], v[93:94]
	s_waitcnt vmcnt(20) lgkmcnt(0)
	v_fma_f64 v[93:94], v[117:118], v[97:98], v[93:94]
	s_waitcnt vmcnt(15)
	v_fma_f64 v[101:102], v[101:102], v[99:100], v[93:94]
	ds_read2_b64 v[93:96], v92 offset0:83 offset1:84
	ds_read2_b64 v[97:100], v92 offset0:85 offset1:86
	s_waitcnt vmcnt(14) lgkmcnt(1)
	v_fma_f64 v[93:94], v[125:126], v[93:94], v[101:102]
	s_waitcnt vmcnt(13)
	v_fma_f64 v[93:94], v[123:124], v[95:96], v[93:94]
	s_waitcnt vmcnt(12) lgkmcnt(0)
	v_fma_f64 v[93:94], v[103:104], v[97:98], v[93:94]
	s_waitcnt vmcnt(7)
	v_fma_f64 v[101:102], v[105:106], v[99:100], v[93:94]
	ds_read2_b64 v[93:96], v92 offset0:87 offset1:88
	ds_read2_b64 v[97:100], v92 offset0:89 offset1:90
	s_waitcnt vmcnt(6) lgkmcnt(1)
	v_fma_f64 v[92:93], v[111:112], v[93:94], v[101:102]
	s_waitcnt vmcnt(5)
	v_fma_f64 v[92:93], v[109:110], v[95:96], v[92:93]
	s_waitcnt vmcnt(4) lgkmcnt(0)
	v_fma_f64 v[92:93], v[107:108], v[97:98], v[92:93]
	s_waitcnt vmcnt(2)
	v_fma_f64 v[92:93], v[113:114], v[99:100], v[92:93]
	s_waitcnt vmcnt(0)
	v_add_f64 v[92:93], v[115:116], -v[92:93]
	buffer_store_dword v93, off, s[0:3], 0 offset:196
	buffer_store_dword v92, off, s[0:3], 0 offset:192
	s_and_saveexec_b64 s[4:5], vcc
	s_cbranch_execz .LBB44_231
; %bb.230:
	buffer_load_dword v92, off, s[0:3], 0 offset:184
	buffer_load_dword v93, off, s[0:3], 0 offset:188
	v_mov_b32_e32 v94, 0
	buffer_store_dword v94, off, s[0:3], 0 offset:184
	buffer_store_dword v94, off, s[0:3], 0 offset:188
	s_waitcnt vmcnt(2)
	ds_write_b64 v91, v[92:93]
.LBB44_231:
	s_or_b64 exec, exec, s[4:5]
	s_waitcnt lgkmcnt(0)
	; wave barrier
	buffer_load_dword v101, off, s[0:3], 0 offset:192
	buffer_load_dword v102, off, s[0:3], 0 offset:196
	;; [unrolled: 1-line block ×21, first 2 shown]
	v_mov_b32_e32 v92, 0
	ds_read_b128 v[93:96], v92 offset:560
	ds_read_b128 v[97:100], v92 offset:576
	buffer_load_dword v118, off, s[0:3], 0 offset:276
	v_cmp_lt_u32_e32 vcc, 22, v0
	s_waitcnt vmcnt(20) lgkmcnt(1)
	v_fma_f64 v[93:94], v[101:102], v[93:94], 0
	s_waitcnt vmcnt(18)
	v_fma_f64 v[93:94], v[103:104], v[95:96], v[93:94]
	buffer_load_dword v102, off, s[0:3], 0 offset:284
	buffer_load_dword v103, off, s[0:3], 0 offset:304
	;; [unrolled: 1-line block ×7, first 2 shown]
	s_waitcnt vmcnt(23) lgkmcnt(0)
	v_fma_f64 v[93:94], v[105:106], v[97:98], v[93:94]
	s_waitcnt vmcnt(21)
	v_fma_f64 v[104:105], v[107:108], v[99:100], v[93:94]
	ds_read_b128 v[93:96], v92 offset:592
	ds_read_b128 v[97:100], v92 offset:608
	s_waitcnt vmcnt(19) lgkmcnt(1)
	v_fma_f64 v[93:94], v[109:110], v[93:94], v[104:105]
	buffer_load_dword v104, off, s[0:3], 0 offset:308
	s_waitcnt vmcnt(18)
	v_fma_f64 v[93:94], v[111:112], v[95:96], v[93:94]
	buffer_load_dword v106, off, s[0:3], 0 offset:316
	buffer_load_dword v107, off, s[0:3], 0 offset:336
	;; [unrolled: 1-line block ×7, first 2 shown]
	s_waitcnt vmcnt(23) lgkmcnt(0)
	v_fma_f64 v[93:94], v[113:114], v[97:98], v[93:94]
	s_waitcnt vmcnt(18)
	v_fma_f64 v[113:114], v[115:116], v[99:100], v[93:94]
	ds_read_b128 v[93:96], v92 offset:624
	ds_read_b128 v[97:100], v92 offset:640
	buffer_load_dword v108, off, s[0:3], 0 offset:340
	s_waitcnt vmcnt(18) lgkmcnt(1)
	v_fma_f64 v[93:94], v[121:122], v[93:94], v[113:114]
	buffer_load_dword v114, off, s[0:3], 0 offset:348
	buffer_load_dword v115, off, s[0:3], 0 offset:352
	;; [unrolled: 1-line block ×4, first 2 shown]
	s_waitcnt vmcnt(21)
	v_fma_f64 v[93:94], v[119:120], v[95:96], v[93:94]
	s_waitcnt vmcnt(20) lgkmcnt(0)
	v_fma_f64 v[93:94], v[117:118], v[97:98], v[93:94]
	buffer_load_dword v117, off, s[0:3], 0 offset:184
	buffer_load_dword v118, off, s[0:3], 0 offset:188
	s_waitcnt vmcnt(17)
	v_fma_f64 v[101:102], v[101:102], v[99:100], v[93:94]
	ds_read_b128 v[93:96], v92 offset:656
	ds_read_b128 v[97:100], v92 offset:672
	s_waitcnt vmcnt(16) lgkmcnt(1)
	v_fma_f64 v[93:94], v[125:126], v[93:94], v[101:102]
	s_waitcnt vmcnt(15)
	v_fma_f64 v[93:94], v[123:124], v[95:96], v[93:94]
	s_waitcnt vmcnt(14) lgkmcnt(0)
	v_fma_f64 v[93:94], v[103:104], v[97:98], v[93:94]
	s_waitcnt vmcnt(9)
	v_fma_f64 v[101:102], v[105:106], v[99:100], v[93:94]
	ds_read_b128 v[93:96], v92 offset:688
	ds_read_b128 v[97:100], v92 offset:704
	s_waitcnt vmcnt(8) lgkmcnt(1)
	v_fma_f64 v[93:94], v[111:112], v[93:94], v[101:102]
	s_waitcnt vmcnt(7)
	v_fma_f64 v[93:94], v[109:110], v[95:96], v[93:94]
	ds_read_b64 v[95:96], v92 offset:720
	s_waitcnt vmcnt(6) lgkmcnt(1)
	v_fma_f64 v[93:94], v[107:108], v[97:98], v[93:94]
	s_waitcnt vmcnt(3)
	v_fma_f64 v[93:94], v[113:114], v[99:100], v[93:94]
	s_waitcnt vmcnt(2) lgkmcnt(0)
	v_fma_f64 v[93:94], v[115:116], v[95:96], v[93:94]
	s_waitcnt vmcnt(0)
	v_add_f64 v[93:94], v[117:118], -v[93:94]
	buffer_store_dword v94, off, s[0:3], 0 offset:188
	buffer_store_dword v93, off, s[0:3], 0 offset:184
	s_and_saveexec_b64 s[4:5], vcc
	s_cbranch_execz .LBB44_233
; %bb.232:
	buffer_load_dword v93, off, s[0:3], 0 offset:176
	buffer_load_dword v94, off, s[0:3], 0 offset:180
	s_waitcnt vmcnt(0)
	ds_write_b64 v91, v[93:94]
	buffer_store_dword v92, off, s[0:3], 0 offset:176
	buffer_store_dword v92, off, s[0:3], 0 offset:180
.LBB44_233:
	s_or_b64 exec, exec, s[4:5]
	s_waitcnt lgkmcnt(0)
	; wave barrier
	buffer_load_dword v101, off, s[0:3], 0 offset:184
	buffer_load_dword v102, off, s[0:3], 0 offset:188
	;; [unrolled: 1-line block ×21, first 2 shown]
	ds_read2_b64 v[93:96], v92 offset0:69 offset1:70
	ds_read2_b64 v[97:100], v92 offset0:71 offset1:72
	buffer_load_dword v118, off, s[0:3], 0 offset:268
	v_cmp_lt_u32_e32 vcc, 21, v0
	s_waitcnt vmcnt(20) lgkmcnt(1)
	v_fma_f64 v[93:94], v[101:102], v[93:94], 0
	s_waitcnt vmcnt(18)
	v_fma_f64 v[93:94], v[103:104], v[95:96], v[93:94]
	buffer_load_dword v102, off, s[0:3], 0 offset:276
	buffer_load_dword v103, off, s[0:3], 0 offset:296
	;; [unrolled: 1-line block ×7, first 2 shown]
	s_waitcnt vmcnt(23) lgkmcnt(0)
	v_fma_f64 v[93:94], v[105:106], v[97:98], v[93:94]
	s_waitcnt vmcnt(21)
	v_fma_f64 v[104:105], v[107:108], v[99:100], v[93:94]
	ds_read2_b64 v[93:96], v92 offset0:73 offset1:74
	ds_read2_b64 v[97:100], v92 offset0:75 offset1:76
	s_waitcnt vmcnt(19) lgkmcnt(1)
	v_fma_f64 v[93:94], v[109:110], v[93:94], v[104:105]
	buffer_load_dword v104, off, s[0:3], 0 offset:300
	s_waitcnt vmcnt(18)
	v_fma_f64 v[93:94], v[111:112], v[95:96], v[93:94]
	buffer_load_dword v106, off, s[0:3], 0 offset:308
	buffer_load_dword v107, off, s[0:3], 0 offset:328
	;; [unrolled: 1-line block ×8, first 2 shown]
	s_waitcnt vmcnt(24) lgkmcnt(0)
	v_fma_f64 v[93:94], v[113:114], v[97:98], v[93:94]
	s_waitcnt vmcnt(19)
	v_fma_f64 v[113:114], v[115:116], v[99:100], v[93:94]
	ds_read2_b64 v[93:96], v92 offset0:77 offset1:78
	ds_read2_b64 v[97:100], v92 offset0:79 offset1:80
	s_waitcnt vmcnt(18) lgkmcnt(1)
	v_fma_f64 v[93:94], v[121:122], v[93:94], v[113:114]
	s_waitcnt vmcnt(17)
	v_fma_f64 v[93:94], v[119:120], v[95:96], v[93:94]
	buffer_load_dword v114, off, s[0:3], 0 offset:340
	buffer_load_dword v115, off, s[0:3], 0 offset:352
	;; [unrolled: 1-line block ×6, first 2 shown]
	s_waitcnt vmcnt(22) lgkmcnt(0)
	v_fma_f64 v[93:94], v[117:118], v[97:98], v[93:94]
	s_waitcnt vmcnt(17)
	v_fma_f64 v[101:102], v[101:102], v[99:100], v[93:94]
	ds_read2_b64 v[93:96], v92 offset0:81 offset1:82
	buffer_load_dword v117, off, s[0:3], 0 offset:176
	buffer_load_dword v118, off, s[0:3], 0 offset:180
	ds_read2_b64 v[97:100], v92 offset0:83 offset1:84
	s_waitcnt vmcnt(18) lgkmcnt(1)
	v_fma_f64 v[93:94], v[125:126], v[93:94], v[101:102]
	s_waitcnt vmcnt(17)
	v_fma_f64 v[93:94], v[123:124], v[95:96], v[93:94]
	s_waitcnt vmcnt(16) lgkmcnt(0)
	v_fma_f64 v[93:94], v[103:104], v[97:98], v[93:94]
	s_waitcnt vmcnt(11)
	v_fma_f64 v[101:102], v[105:106], v[99:100], v[93:94]
	ds_read2_b64 v[93:96], v92 offset0:85 offset1:86
	ds_read2_b64 v[97:100], v92 offset0:87 offset1:88
	s_waitcnt vmcnt(10) lgkmcnt(1)
	v_fma_f64 v[93:94], v[111:112], v[93:94], v[101:102]
	s_waitcnt vmcnt(9)
	v_fma_f64 v[93:94], v[109:110], v[95:96], v[93:94]
	s_waitcnt vmcnt(8) lgkmcnt(0)
	v_fma_f64 v[93:94], v[107:108], v[97:98], v[93:94]
	s_waitcnt vmcnt(4)
	v_fma_f64 v[96:97], v[113:114], v[99:100], v[93:94]
	ds_read2_b64 v[92:95], v92 offset0:89 offset1:90
	s_waitcnt vmcnt(3) lgkmcnt(0)
	v_fma_f64 v[92:93], v[119:120], v[92:93], v[96:97]
	s_waitcnt vmcnt(2)
	v_fma_f64 v[92:93], v[115:116], v[94:95], v[92:93]
	s_waitcnt vmcnt(0)
	v_add_f64 v[92:93], v[117:118], -v[92:93]
	buffer_store_dword v93, off, s[0:3], 0 offset:180
	buffer_store_dword v92, off, s[0:3], 0 offset:176
	s_and_saveexec_b64 s[4:5], vcc
	s_cbranch_execz .LBB44_235
; %bb.234:
	buffer_load_dword v92, off, s[0:3], 0 offset:168
	buffer_load_dword v93, off, s[0:3], 0 offset:172
	v_mov_b32_e32 v94, 0
	buffer_store_dword v94, off, s[0:3], 0 offset:168
	buffer_store_dword v94, off, s[0:3], 0 offset:172
	s_waitcnt vmcnt(2)
	ds_write_b64 v91, v[92:93]
.LBB44_235:
	s_or_b64 exec, exec, s[4:5]
	s_waitcnt lgkmcnt(0)
	; wave barrier
	buffer_load_dword v101, off, s[0:3], 0 offset:176
	buffer_load_dword v102, off, s[0:3], 0 offset:180
	;; [unrolled: 1-line block ×21, first 2 shown]
	v_mov_b32_e32 v92, 0
	ds_read_b128 v[93:96], v92 offset:544
	ds_read_b128 v[97:100], v92 offset:560
	buffer_load_dword v118, off, s[0:3], 0 offset:260
	v_cmp_lt_u32_e32 vcc, 20, v0
	s_waitcnt vmcnt(20) lgkmcnt(1)
	v_fma_f64 v[93:94], v[101:102], v[93:94], 0
	s_waitcnt vmcnt(18)
	v_fma_f64 v[93:94], v[103:104], v[95:96], v[93:94]
	buffer_load_dword v102, off, s[0:3], 0 offset:268
	buffer_load_dword v103, off, s[0:3], 0 offset:288
	;; [unrolled: 1-line block ×7, first 2 shown]
	s_waitcnt vmcnt(23) lgkmcnt(0)
	v_fma_f64 v[93:94], v[105:106], v[97:98], v[93:94]
	s_waitcnt vmcnt(21)
	v_fma_f64 v[104:105], v[107:108], v[99:100], v[93:94]
	ds_read_b128 v[93:96], v92 offset:576
	ds_read_b128 v[97:100], v92 offset:592
	s_waitcnt vmcnt(19) lgkmcnt(1)
	v_fma_f64 v[93:94], v[109:110], v[93:94], v[104:105]
	buffer_load_dword v104, off, s[0:3], 0 offset:292
	s_waitcnt vmcnt(18)
	v_fma_f64 v[93:94], v[111:112], v[95:96], v[93:94]
	buffer_load_dword v106, off, s[0:3], 0 offset:300
	buffer_load_dword v107, off, s[0:3], 0 offset:320
	buffer_load_dword v109, off, s[0:3], 0 offset:312
	buffer_load_dword v111, off, s[0:3], 0 offset:304
	buffer_load_dword v105, off, s[0:3], 0 offset:296
	buffer_load_dword v112, off, s[0:3], 0 offset:308
	buffer_load_dword v110, off, s[0:3], 0 offset:316
	buffer_load_dword v108, off, s[0:3], 0 offset:324
	s_waitcnt vmcnt(24) lgkmcnt(0)
	v_fma_f64 v[93:94], v[113:114], v[97:98], v[93:94]
	s_waitcnt vmcnt(19)
	v_fma_f64 v[113:114], v[115:116], v[99:100], v[93:94]
	ds_read_b128 v[93:96], v92 offset:608
	ds_read_b128 v[97:100], v92 offset:624
	s_waitcnt vmcnt(18) lgkmcnt(1)
	v_fma_f64 v[93:94], v[121:122], v[93:94], v[113:114]
	s_waitcnt vmcnt(17)
	v_fma_f64 v[93:94], v[119:120], v[95:96], v[93:94]
	buffer_load_dword v114, off, s[0:3], 0 offset:332
	buffer_load_dword v115, off, s[0:3], 0 offset:352
	;; [unrolled: 1-line block ×8, first 2 shown]
	s_waitcnt vmcnt(24) lgkmcnt(0)
	v_fma_f64 v[93:94], v[117:118], v[97:98], v[93:94]
	s_waitcnt vmcnt(19)
	v_fma_f64 v[101:102], v[101:102], v[99:100], v[93:94]
	ds_read_b128 v[93:96], v92 offset:640
	ds_read_b128 v[97:100], v92 offset:656
	s_waitcnt vmcnt(18) lgkmcnt(1)
	v_fma_f64 v[93:94], v[125:126], v[93:94], v[101:102]
	buffer_load_dword v101, off, s[0:3], 0 offset:168
	buffer_load_dword v102, off, s[0:3], 0 offset:172
	s_waitcnt vmcnt(19)
	v_fma_f64 v[93:94], v[123:124], v[95:96], v[93:94]
	s_waitcnt vmcnt(18) lgkmcnt(0)
	v_fma_f64 v[93:94], v[103:104], v[97:98], v[93:94]
	s_waitcnt vmcnt(13)
	v_fma_f64 v[103:104], v[105:106], v[99:100], v[93:94]
	ds_read_b128 v[93:96], v92 offset:672
	ds_read_b128 v[97:100], v92 offset:688
	s_waitcnt vmcnt(12) lgkmcnt(1)
	v_fma_f64 v[93:94], v[111:112], v[93:94], v[103:104]
	s_waitcnt vmcnt(11)
	v_fma_f64 v[93:94], v[109:110], v[95:96], v[93:94]
	s_waitcnt vmcnt(10) lgkmcnt(0)
	v_fma_f64 v[93:94], v[107:108], v[97:98], v[93:94]
	s_waitcnt vmcnt(5)
	v_fma_f64 v[97:98], v[113:114], v[99:100], v[93:94]
	ds_read_b128 v[93:96], v92 offset:704
	ds_read_b64 v[99:100], v92 offset:720
	s_waitcnt vmcnt(4) lgkmcnt(1)
	v_fma_f64 v[93:94], v[121:122], v[93:94], v[97:98]
	s_waitcnt vmcnt(3)
	v_fma_f64 v[93:94], v[119:120], v[95:96], v[93:94]
	s_waitcnt vmcnt(2) lgkmcnt(0)
	v_fma_f64 v[93:94], v[115:116], v[99:100], v[93:94]
	s_waitcnt vmcnt(0)
	v_add_f64 v[93:94], v[101:102], -v[93:94]
	buffer_store_dword v94, off, s[0:3], 0 offset:172
	buffer_store_dword v93, off, s[0:3], 0 offset:168
	s_and_saveexec_b64 s[4:5], vcc
	s_cbranch_execz .LBB44_237
; %bb.236:
	buffer_load_dword v93, off, s[0:3], 0 offset:160
	buffer_load_dword v94, off, s[0:3], 0 offset:164
	s_waitcnt vmcnt(0)
	ds_write_b64 v91, v[93:94]
	buffer_store_dword v92, off, s[0:3], 0 offset:160
	buffer_store_dword v92, off, s[0:3], 0 offset:164
.LBB44_237:
	s_or_b64 exec, exec, s[4:5]
	s_waitcnt lgkmcnt(0)
	; wave barrier
	buffer_load_dword v101, off, s[0:3], 0 offset:168
	buffer_load_dword v102, off, s[0:3], 0 offset:172
	;; [unrolled: 1-line block ×21, first 2 shown]
	ds_read2_b64 v[93:96], v92 offset0:67 offset1:68
	ds_read2_b64 v[97:100], v92 offset0:69 offset1:70
	buffer_load_dword v118, off, s[0:3], 0 offset:252
	v_cmp_lt_u32_e32 vcc, 19, v0
	s_waitcnt vmcnt(20) lgkmcnt(1)
	v_fma_f64 v[93:94], v[101:102], v[93:94], 0
	s_waitcnt vmcnt(18)
	v_fma_f64 v[93:94], v[103:104], v[95:96], v[93:94]
	buffer_load_dword v102, off, s[0:3], 0 offset:260
	buffer_load_dword v103, off, s[0:3], 0 offset:280
	;; [unrolled: 1-line block ×7, first 2 shown]
	s_waitcnt vmcnt(23) lgkmcnt(0)
	v_fma_f64 v[93:94], v[105:106], v[97:98], v[93:94]
	s_waitcnt vmcnt(21)
	v_fma_f64 v[104:105], v[107:108], v[99:100], v[93:94]
	ds_read2_b64 v[93:96], v92 offset0:71 offset1:72
	ds_read2_b64 v[97:100], v92 offset0:73 offset1:74
	s_waitcnt vmcnt(19) lgkmcnt(1)
	v_fma_f64 v[93:94], v[109:110], v[93:94], v[104:105]
	buffer_load_dword v104, off, s[0:3], 0 offset:284
	s_waitcnt vmcnt(18)
	v_fma_f64 v[93:94], v[111:112], v[95:96], v[93:94]
	buffer_load_dword v106, off, s[0:3], 0 offset:292
	buffer_load_dword v107, off, s[0:3], 0 offset:312
	;; [unrolled: 1-line block ×8, first 2 shown]
	s_waitcnt vmcnt(24) lgkmcnt(0)
	v_fma_f64 v[93:94], v[113:114], v[97:98], v[93:94]
	s_waitcnt vmcnt(19)
	v_fma_f64 v[113:114], v[115:116], v[99:100], v[93:94]
	ds_read2_b64 v[93:96], v92 offset0:75 offset1:76
	ds_read2_b64 v[97:100], v92 offset0:77 offset1:78
	s_waitcnt vmcnt(18) lgkmcnt(1)
	v_fma_f64 v[93:94], v[121:122], v[93:94], v[113:114]
	s_waitcnt vmcnt(17)
	v_fma_f64 v[93:94], v[119:120], v[95:96], v[93:94]
	buffer_load_dword v114, off, s[0:3], 0 offset:324
	buffer_load_dword v115, off, s[0:3], 0 offset:344
	;; [unrolled: 1-line block ×8, first 2 shown]
	s_waitcnt vmcnt(24) lgkmcnt(0)
	v_fma_f64 v[93:94], v[117:118], v[97:98], v[93:94]
	s_waitcnt vmcnt(19)
	v_fma_f64 v[101:102], v[101:102], v[99:100], v[93:94]
	ds_read2_b64 v[93:96], v92 offset0:79 offset1:80
	ds_read2_b64 v[97:100], v92 offset0:81 offset1:82
	s_waitcnt vmcnt(18) lgkmcnt(1)
	v_fma_f64 v[93:94], v[125:126], v[93:94], v[101:102]
	buffer_load_dword v102, off, s[0:3], 0 offset:356
	buffer_load_dword v101, off, s[0:3], 0 offset:352
	;; [unrolled: 1-line block ×4, first 2 shown]
	s_waitcnt vmcnt(21)
	v_fma_f64 v[93:94], v[123:124], v[95:96], v[93:94]
	s_waitcnt vmcnt(20) lgkmcnt(0)
	v_fma_f64 v[93:94], v[103:104], v[97:98], v[93:94]
	s_waitcnt vmcnt(15)
	v_fma_f64 v[103:104], v[105:106], v[99:100], v[93:94]
	ds_read2_b64 v[93:96], v92 offset0:83 offset1:84
	ds_read2_b64 v[97:100], v92 offset0:85 offset1:86
	s_waitcnt vmcnt(14) lgkmcnt(1)
	v_fma_f64 v[93:94], v[111:112], v[93:94], v[103:104]
	s_waitcnt vmcnt(13)
	v_fma_f64 v[93:94], v[109:110], v[95:96], v[93:94]
	s_waitcnt vmcnt(12) lgkmcnt(0)
	v_fma_f64 v[93:94], v[107:108], v[97:98], v[93:94]
	s_waitcnt vmcnt(7)
	v_fma_f64 v[103:104], v[113:114], v[99:100], v[93:94]
	ds_read2_b64 v[93:96], v92 offset0:87 offset1:88
	ds_read2_b64 v[97:100], v92 offset0:89 offset1:90
	s_waitcnt vmcnt(6) lgkmcnt(1)
	v_fma_f64 v[92:93], v[121:122], v[93:94], v[103:104]
	s_waitcnt vmcnt(5)
	v_fma_f64 v[92:93], v[119:120], v[95:96], v[92:93]
	s_waitcnt vmcnt(4) lgkmcnt(0)
	v_fma_f64 v[92:93], v[115:116], v[97:98], v[92:93]
	s_waitcnt vmcnt(2)
	v_fma_f64 v[92:93], v[101:102], v[99:100], v[92:93]
	s_waitcnt vmcnt(0)
	v_add_f64 v[92:93], v[117:118], -v[92:93]
	buffer_store_dword v93, off, s[0:3], 0 offset:164
	buffer_store_dword v92, off, s[0:3], 0 offset:160
	s_and_saveexec_b64 s[4:5], vcc
	s_cbranch_execz .LBB44_239
; %bb.238:
	buffer_load_dword v92, off, s[0:3], 0 offset:152
	buffer_load_dword v93, off, s[0:3], 0 offset:156
	v_mov_b32_e32 v94, 0
	buffer_store_dword v94, off, s[0:3], 0 offset:152
	buffer_store_dword v94, off, s[0:3], 0 offset:156
	s_waitcnt vmcnt(2)
	ds_write_b64 v91, v[92:93]
.LBB44_239:
	s_or_b64 exec, exec, s[4:5]
	s_waitcnt lgkmcnt(0)
	; wave barrier
	buffer_load_dword v101, off, s[0:3], 0 offset:160
	buffer_load_dword v102, off, s[0:3], 0 offset:164
	;; [unrolled: 1-line block ×21, first 2 shown]
	v_mov_b32_e32 v92, 0
	ds_read_b128 v[93:96], v92 offset:528
	ds_read_b128 v[97:100], v92 offset:544
	buffer_load_dword v118, off, s[0:3], 0 offset:244
	v_cmp_lt_u32_e32 vcc, 18, v0
	s_waitcnt vmcnt(20) lgkmcnt(1)
	v_fma_f64 v[93:94], v[101:102], v[93:94], 0
	s_waitcnt vmcnt(18)
	v_fma_f64 v[93:94], v[103:104], v[95:96], v[93:94]
	buffer_load_dword v102, off, s[0:3], 0 offset:252
	buffer_load_dword v103, off, s[0:3], 0 offset:272
	;; [unrolled: 1-line block ×7, first 2 shown]
	s_waitcnt vmcnt(23) lgkmcnt(0)
	v_fma_f64 v[93:94], v[105:106], v[97:98], v[93:94]
	s_waitcnt vmcnt(21)
	v_fma_f64 v[104:105], v[107:108], v[99:100], v[93:94]
	ds_read_b128 v[93:96], v92 offset:560
	ds_read_b128 v[97:100], v92 offset:576
	s_waitcnt vmcnt(19) lgkmcnt(1)
	v_fma_f64 v[93:94], v[109:110], v[93:94], v[104:105]
	buffer_load_dword v104, off, s[0:3], 0 offset:276
	s_waitcnt vmcnt(18)
	v_fma_f64 v[93:94], v[111:112], v[95:96], v[93:94]
	buffer_load_dword v106, off, s[0:3], 0 offset:284
	buffer_load_dword v107, off, s[0:3], 0 offset:304
	;; [unrolled: 1-line block ×8, first 2 shown]
	s_waitcnt vmcnt(24) lgkmcnt(0)
	v_fma_f64 v[93:94], v[113:114], v[97:98], v[93:94]
	s_waitcnt vmcnt(19)
	v_fma_f64 v[113:114], v[115:116], v[99:100], v[93:94]
	ds_read_b128 v[93:96], v92 offset:592
	ds_read_b128 v[97:100], v92 offset:608
	s_waitcnt vmcnt(18) lgkmcnt(1)
	v_fma_f64 v[93:94], v[121:122], v[93:94], v[113:114]
	s_waitcnt vmcnt(17)
	v_fma_f64 v[93:94], v[119:120], v[95:96], v[93:94]
	buffer_load_dword v114, off, s[0:3], 0 offset:316
	buffer_load_dword v115, off, s[0:3], 0 offset:336
	buffer_load_dword v119, off, s[0:3], 0 offset:328
	buffer_load_dword v121, off, s[0:3], 0 offset:320
	buffer_load_dword v113, off, s[0:3], 0 offset:312
	buffer_load_dword v122, off, s[0:3], 0 offset:324
	buffer_load_dword v120, off, s[0:3], 0 offset:332
	s_waitcnt vmcnt(23) lgkmcnt(0)
	v_fma_f64 v[93:94], v[117:118], v[97:98], v[93:94]
	s_waitcnt vmcnt(18)
	v_fma_f64 v[101:102], v[101:102], v[99:100], v[93:94]
	ds_read_b128 v[93:96], v92 offset:624
	ds_read_b128 v[97:100], v92 offset:640
	buffer_load_dword v116, off, s[0:3], 0 offset:340
	s_waitcnt vmcnt(18) lgkmcnt(1)
	v_fma_f64 v[93:94], v[125:126], v[93:94], v[101:102]
	buffer_load_dword v102, off, s[0:3], 0 offset:348
	buffer_load_dword v117, off, s[0:3], 0 offset:352
	;; [unrolled: 1-line block ×4, first 2 shown]
	s_waitcnt vmcnt(21)
	v_fma_f64 v[93:94], v[123:124], v[95:96], v[93:94]
	s_waitcnt vmcnt(20) lgkmcnt(0)
	v_fma_f64 v[93:94], v[103:104], v[97:98], v[93:94]
	buffer_load_dword v103, off, s[0:3], 0 offset:152
	buffer_load_dword v104, off, s[0:3], 0 offset:156
	s_waitcnt vmcnt(17)
	v_fma_f64 v[105:106], v[105:106], v[99:100], v[93:94]
	ds_read_b128 v[93:96], v92 offset:656
	ds_read_b128 v[97:100], v92 offset:672
	s_waitcnt vmcnt(16) lgkmcnt(1)
	v_fma_f64 v[93:94], v[111:112], v[93:94], v[105:106]
	s_waitcnt vmcnt(15)
	v_fma_f64 v[93:94], v[109:110], v[95:96], v[93:94]
	s_waitcnt vmcnt(14) lgkmcnt(0)
	v_fma_f64 v[93:94], v[107:108], v[97:98], v[93:94]
	s_waitcnt vmcnt(9)
	v_fma_f64 v[105:106], v[113:114], v[99:100], v[93:94]
	ds_read_b128 v[93:96], v92 offset:688
	ds_read_b128 v[97:100], v92 offset:704
	s_waitcnt vmcnt(8) lgkmcnt(1)
	v_fma_f64 v[93:94], v[121:122], v[93:94], v[105:106]
	s_waitcnt vmcnt(7)
	v_fma_f64 v[93:94], v[119:120], v[95:96], v[93:94]
	ds_read_b64 v[95:96], v92 offset:720
	s_waitcnt vmcnt(6) lgkmcnt(1)
	v_fma_f64 v[93:94], v[115:116], v[97:98], v[93:94]
	s_waitcnt vmcnt(3)
	v_fma_f64 v[93:94], v[101:102], v[99:100], v[93:94]
	s_waitcnt vmcnt(2) lgkmcnt(0)
	v_fma_f64 v[93:94], v[117:118], v[95:96], v[93:94]
	s_waitcnt vmcnt(0)
	v_add_f64 v[93:94], v[103:104], -v[93:94]
	buffer_store_dword v94, off, s[0:3], 0 offset:156
	buffer_store_dword v93, off, s[0:3], 0 offset:152
	s_and_saveexec_b64 s[4:5], vcc
	s_cbranch_execz .LBB44_241
; %bb.240:
	buffer_load_dword v93, off, s[0:3], 0 offset:144
	buffer_load_dword v94, off, s[0:3], 0 offset:148
	s_waitcnt vmcnt(0)
	ds_write_b64 v91, v[93:94]
	buffer_store_dword v92, off, s[0:3], 0 offset:144
	buffer_store_dword v92, off, s[0:3], 0 offset:148
.LBB44_241:
	s_or_b64 exec, exec, s[4:5]
	s_waitcnt lgkmcnt(0)
	; wave barrier
	buffer_load_dword v101, off, s[0:3], 0 offset:152
	buffer_load_dword v102, off, s[0:3], 0 offset:156
	;; [unrolled: 1-line block ×22, first 2 shown]
	ds_read2_b64 v[93:96], v92 offset0:65 offset1:66
	ds_read2_b64 v[97:100], v92 offset0:67 offset1:68
	v_cmp_lt_u32_e32 vcc, 17, v0
	s_waitcnt vmcnt(20) lgkmcnt(1)
	v_fma_f64 v[93:94], v[101:102], v[93:94], 0
	s_waitcnt vmcnt(18)
	v_fma_f64 v[93:94], v[103:104], v[95:96], v[93:94]
	buffer_load_dword v102, off, s[0:3], 0 offset:244
	buffer_load_dword v103, off, s[0:3], 0 offset:264
	buffer_load_dword v123, off, s[0:3], 0 offset:256
	buffer_load_dword v125, off, s[0:3], 0 offset:248
	buffer_load_dword v101, off, s[0:3], 0 offset:240
	buffer_load_dword v126, off, s[0:3], 0 offset:252
	buffer_load_dword v124, off, s[0:3], 0 offset:260
	s_waitcnt vmcnt(23) lgkmcnt(0)
	v_fma_f64 v[93:94], v[105:106], v[97:98], v[93:94]
	s_waitcnt vmcnt(21)
	v_fma_f64 v[104:105], v[107:108], v[99:100], v[93:94]
	ds_read2_b64 v[93:96], v92 offset0:69 offset1:70
	ds_read2_b64 v[97:100], v92 offset0:71 offset1:72
	s_waitcnt vmcnt(19) lgkmcnt(1)
	v_fma_f64 v[93:94], v[109:110], v[93:94], v[104:105]
	buffer_load_dword v104, off, s[0:3], 0 offset:268
	s_waitcnt vmcnt(18)
	v_fma_f64 v[93:94], v[111:112], v[95:96], v[93:94]
	buffer_load_dword v106, off, s[0:3], 0 offset:276
	buffer_load_dword v107, off, s[0:3], 0 offset:296
	;; [unrolled: 1-line block ×8, first 2 shown]
	s_waitcnt vmcnt(24) lgkmcnt(0)
	v_fma_f64 v[93:94], v[113:114], v[97:98], v[93:94]
	s_waitcnt vmcnt(19)
	v_fma_f64 v[113:114], v[115:116], v[99:100], v[93:94]
	ds_read2_b64 v[93:96], v92 offset0:73 offset1:74
	ds_read2_b64 v[97:100], v92 offset0:75 offset1:76
	s_waitcnt vmcnt(18) lgkmcnt(1)
	v_fma_f64 v[93:94], v[121:122], v[93:94], v[113:114]
	s_waitcnt vmcnt(17)
	v_fma_f64 v[93:94], v[119:120], v[95:96], v[93:94]
	buffer_load_dword v114, off, s[0:3], 0 offset:308
	buffer_load_dword v115, off, s[0:3], 0 offset:328
	;; [unrolled: 1-line block ×8, first 2 shown]
	s_waitcnt vmcnt(24) lgkmcnt(0)
	v_fma_f64 v[93:94], v[117:118], v[97:98], v[93:94]
	s_waitcnt vmcnt(19)
	v_fma_f64 v[101:102], v[101:102], v[99:100], v[93:94]
	ds_read2_b64 v[93:96], v92 offset0:77 offset1:78
	ds_read2_b64 v[97:100], v92 offset0:79 offset1:80
	s_waitcnt vmcnt(18) lgkmcnt(1)
	v_fma_f64 v[93:94], v[125:126], v[93:94], v[101:102]
	s_waitcnt vmcnt(17)
	v_fma_f64 v[93:94], v[123:124], v[95:96], v[93:94]
	buffer_load_dword v102, off, s[0:3], 0 offset:340
	buffer_load_dword v117, off, s[0:3], 0 offset:352
	;; [unrolled: 1-line block ×6, first 2 shown]
	s_waitcnt vmcnt(22) lgkmcnt(0)
	v_fma_f64 v[93:94], v[103:104], v[97:98], v[93:94]
	s_waitcnt vmcnt(17)
	v_fma_f64 v[103:104], v[105:106], v[99:100], v[93:94]
	ds_read2_b64 v[93:96], v92 offset0:81 offset1:82
	buffer_load_dword v105, off, s[0:3], 0 offset:144
	buffer_load_dword v106, off, s[0:3], 0 offset:148
	ds_read2_b64 v[97:100], v92 offset0:83 offset1:84
	s_waitcnt vmcnt(18) lgkmcnt(1)
	v_fma_f64 v[93:94], v[111:112], v[93:94], v[103:104]
	s_waitcnt vmcnt(17)
	v_fma_f64 v[93:94], v[109:110], v[95:96], v[93:94]
	s_waitcnt vmcnt(16) lgkmcnt(0)
	v_fma_f64 v[93:94], v[107:108], v[97:98], v[93:94]
	s_waitcnt vmcnt(11)
	v_fma_f64 v[103:104], v[113:114], v[99:100], v[93:94]
	ds_read2_b64 v[93:96], v92 offset0:85 offset1:86
	ds_read2_b64 v[97:100], v92 offset0:87 offset1:88
	s_waitcnt vmcnt(10) lgkmcnt(1)
	v_fma_f64 v[93:94], v[121:122], v[93:94], v[103:104]
	s_waitcnt vmcnt(9)
	v_fma_f64 v[93:94], v[119:120], v[95:96], v[93:94]
	s_waitcnt vmcnt(8) lgkmcnt(0)
	v_fma_f64 v[93:94], v[115:116], v[97:98], v[93:94]
	s_waitcnt vmcnt(4)
	v_fma_f64 v[96:97], v[101:102], v[99:100], v[93:94]
	ds_read2_b64 v[92:95], v92 offset0:89 offset1:90
	s_waitcnt vmcnt(3) lgkmcnt(0)
	v_fma_f64 v[92:93], v[123:124], v[92:93], v[96:97]
	s_waitcnt vmcnt(2)
	v_fma_f64 v[92:93], v[117:118], v[94:95], v[92:93]
	s_waitcnt vmcnt(0)
	v_add_f64 v[92:93], v[105:106], -v[92:93]
	buffer_store_dword v93, off, s[0:3], 0 offset:148
	buffer_store_dword v92, off, s[0:3], 0 offset:144
	s_and_saveexec_b64 s[4:5], vcc
	s_cbranch_execz .LBB44_243
; %bb.242:
	buffer_load_dword v92, off, s[0:3], 0 offset:136
	buffer_load_dword v93, off, s[0:3], 0 offset:140
	v_mov_b32_e32 v94, 0
	buffer_store_dword v94, off, s[0:3], 0 offset:136
	buffer_store_dword v94, off, s[0:3], 0 offset:140
	s_waitcnt vmcnt(2)
	ds_write_b64 v91, v[92:93]
.LBB44_243:
	s_or_b64 exec, exec, s[4:5]
	s_waitcnt lgkmcnt(0)
	; wave barrier
	buffer_load_dword v101, off, s[0:3], 0 offset:144
	buffer_load_dword v102, off, s[0:3], 0 offset:148
	;; [unrolled: 1-line block ×22, first 2 shown]
	v_mov_b32_e32 v92, 0
	ds_read_b128 v[93:96], v92 offset:512
	ds_read_b128 v[97:100], v92 offset:528
	v_cmp_lt_u32_e32 vcc, 16, v0
	s_waitcnt vmcnt(20) lgkmcnt(1)
	v_fma_f64 v[93:94], v[101:102], v[93:94], 0
	s_waitcnt vmcnt(18)
	v_fma_f64 v[93:94], v[103:104], v[95:96], v[93:94]
	buffer_load_dword v102, off, s[0:3], 0 offset:236
	buffer_load_dword v103, off, s[0:3], 0 offset:256
	;; [unrolled: 1-line block ×7, first 2 shown]
	s_waitcnt vmcnt(23) lgkmcnt(0)
	v_fma_f64 v[93:94], v[105:106], v[97:98], v[93:94]
	s_waitcnt vmcnt(21)
	v_fma_f64 v[104:105], v[107:108], v[99:100], v[93:94]
	ds_read_b128 v[93:96], v92 offset:544
	ds_read_b128 v[97:100], v92 offset:560
	s_waitcnt vmcnt(19) lgkmcnt(1)
	v_fma_f64 v[93:94], v[109:110], v[93:94], v[104:105]
	buffer_load_dword v104, off, s[0:3], 0 offset:260
	s_waitcnt vmcnt(18)
	v_fma_f64 v[93:94], v[111:112], v[95:96], v[93:94]
	buffer_load_dword v106, off, s[0:3], 0 offset:268
	buffer_load_dword v107, off, s[0:3], 0 offset:288
	buffer_load_dword v109, off, s[0:3], 0 offset:280
	buffer_load_dword v111, off, s[0:3], 0 offset:272
	buffer_load_dword v105, off, s[0:3], 0 offset:264
	buffer_load_dword v112, off, s[0:3], 0 offset:276
	buffer_load_dword v110, off, s[0:3], 0 offset:284
	buffer_load_dword v108, off, s[0:3], 0 offset:292
	s_waitcnt vmcnt(24) lgkmcnt(0)
	v_fma_f64 v[93:94], v[113:114], v[97:98], v[93:94]
	s_waitcnt vmcnt(19)
	v_fma_f64 v[113:114], v[115:116], v[99:100], v[93:94]
	ds_read_b128 v[93:96], v92 offset:576
	ds_read_b128 v[97:100], v92 offset:592
	s_waitcnt vmcnt(18) lgkmcnt(1)
	v_fma_f64 v[93:94], v[121:122], v[93:94], v[113:114]
	s_waitcnt vmcnt(17)
	v_fma_f64 v[93:94], v[119:120], v[95:96], v[93:94]
	buffer_load_dword v114, off, s[0:3], 0 offset:300
	buffer_load_dword v115, off, s[0:3], 0 offset:320
	buffer_load_dword v119, off, s[0:3], 0 offset:312
	buffer_load_dword v121, off, s[0:3], 0 offset:304
	buffer_load_dword v113, off, s[0:3], 0 offset:296
	buffer_load_dword v122, off, s[0:3], 0 offset:308
	buffer_load_dword v120, off, s[0:3], 0 offset:316
	buffer_load_dword v116, off, s[0:3], 0 offset:324
	s_waitcnt vmcnt(24) lgkmcnt(0)
	v_fma_f64 v[93:94], v[117:118], v[97:98], v[93:94]
	s_waitcnt vmcnt(19)
	v_fma_f64 v[101:102], v[101:102], v[99:100], v[93:94]
	ds_read_b128 v[93:96], v92 offset:608
	ds_read_b128 v[97:100], v92 offset:624
	s_waitcnt vmcnt(18) lgkmcnt(1)
	v_fma_f64 v[93:94], v[125:126], v[93:94], v[101:102]
	;; [unrolled: 18-line block ×3, first 2 shown]
	buffer_load_dword v103, off, s[0:3], 0 offset:136
	buffer_load_dword v104, off, s[0:3], 0 offset:140
	s_waitcnt vmcnt(19)
	v_fma_f64 v[93:94], v[109:110], v[95:96], v[93:94]
	s_waitcnt vmcnt(18) lgkmcnt(0)
	v_fma_f64 v[93:94], v[107:108], v[97:98], v[93:94]
	s_waitcnt vmcnt(13)
	v_fma_f64 v[105:106], v[113:114], v[99:100], v[93:94]
	ds_read_b128 v[93:96], v92 offset:672
	ds_read_b128 v[97:100], v92 offset:688
	s_waitcnt vmcnt(12) lgkmcnt(1)
	v_fma_f64 v[93:94], v[121:122], v[93:94], v[105:106]
	s_waitcnt vmcnt(11)
	v_fma_f64 v[93:94], v[119:120], v[95:96], v[93:94]
	s_waitcnt vmcnt(10) lgkmcnt(0)
	v_fma_f64 v[93:94], v[115:116], v[97:98], v[93:94]
	s_waitcnt vmcnt(5)
	v_fma_f64 v[97:98], v[101:102], v[99:100], v[93:94]
	ds_read_b128 v[93:96], v92 offset:704
	ds_read_b64 v[99:100], v92 offset:720
	s_waitcnt vmcnt(4) lgkmcnt(1)
	v_fma_f64 v[93:94], v[125:126], v[93:94], v[97:98]
	s_waitcnt vmcnt(3)
	v_fma_f64 v[93:94], v[123:124], v[95:96], v[93:94]
	s_waitcnt vmcnt(2) lgkmcnt(0)
	v_fma_f64 v[93:94], v[117:118], v[99:100], v[93:94]
	s_waitcnt vmcnt(0)
	v_add_f64 v[93:94], v[103:104], -v[93:94]
	buffer_store_dword v94, off, s[0:3], 0 offset:140
	buffer_store_dword v93, off, s[0:3], 0 offset:136
	s_and_saveexec_b64 s[4:5], vcc
	s_cbranch_execz .LBB44_245
; %bb.244:
	buffer_load_dword v93, off, s[0:3], 0 offset:128
	buffer_load_dword v94, off, s[0:3], 0 offset:132
	s_waitcnt vmcnt(0)
	ds_write_b64 v91, v[93:94]
	buffer_store_dword v92, off, s[0:3], 0 offset:128
	buffer_store_dword v92, off, s[0:3], 0 offset:132
.LBB44_245:
	s_or_b64 exec, exec, s[4:5]
	s_waitcnt lgkmcnt(0)
	; wave barrier
	buffer_load_dword v101, off, s[0:3], 0 offset:136
	buffer_load_dword v102, off, s[0:3], 0 offset:140
	;; [unrolled: 1-line block ×22, first 2 shown]
	ds_read2_b64 v[93:96], v92 offset0:63 offset1:64
	ds_read2_b64 v[97:100], v92 offset0:65 offset1:66
	v_cmp_lt_u32_e32 vcc, 15, v0
	s_waitcnt vmcnt(20) lgkmcnt(1)
	v_fma_f64 v[93:94], v[101:102], v[93:94], 0
	s_waitcnt vmcnt(18)
	v_fma_f64 v[93:94], v[103:104], v[95:96], v[93:94]
	buffer_load_dword v102, off, s[0:3], 0 offset:228
	buffer_load_dword v103, off, s[0:3], 0 offset:248
	;; [unrolled: 1-line block ×7, first 2 shown]
	s_waitcnt vmcnt(23) lgkmcnt(0)
	v_fma_f64 v[93:94], v[105:106], v[97:98], v[93:94]
	s_waitcnt vmcnt(21)
	v_fma_f64 v[104:105], v[107:108], v[99:100], v[93:94]
	ds_read2_b64 v[93:96], v92 offset0:67 offset1:68
	ds_read2_b64 v[97:100], v92 offset0:69 offset1:70
	s_waitcnt vmcnt(19) lgkmcnt(1)
	v_fma_f64 v[93:94], v[109:110], v[93:94], v[104:105]
	buffer_load_dword v104, off, s[0:3], 0 offset:252
	s_waitcnt vmcnt(18)
	v_fma_f64 v[93:94], v[111:112], v[95:96], v[93:94]
	buffer_load_dword v106, off, s[0:3], 0 offset:260
	buffer_load_dword v107, off, s[0:3], 0 offset:280
	buffer_load_dword v109, off, s[0:3], 0 offset:272
	buffer_load_dword v111, off, s[0:3], 0 offset:264
	buffer_load_dword v105, off, s[0:3], 0 offset:256
	buffer_load_dword v112, off, s[0:3], 0 offset:268
	buffer_load_dword v110, off, s[0:3], 0 offset:276
	buffer_load_dword v108, off, s[0:3], 0 offset:284
	s_waitcnt vmcnt(24) lgkmcnt(0)
	v_fma_f64 v[93:94], v[113:114], v[97:98], v[93:94]
	s_waitcnt vmcnt(19)
	v_fma_f64 v[113:114], v[115:116], v[99:100], v[93:94]
	ds_read2_b64 v[93:96], v92 offset0:71 offset1:72
	ds_read2_b64 v[97:100], v92 offset0:73 offset1:74
	s_waitcnt vmcnt(18) lgkmcnt(1)
	v_fma_f64 v[93:94], v[121:122], v[93:94], v[113:114]
	s_waitcnt vmcnt(17)
	v_fma_f64 v[93:94], v[119:120], v[95:96], v[93:94]
	buffer_load_dword v114, off, s[0:3], 0 offset:292
	buffer_load_dword v115, off, s[0:3], 0 offset:312
	buffer_load_dword v119, off, s[0:3], 0 offset:304
	buffer_load_dword v121, off, s[0:3], 0 offset:296
	buffer_load_dword v113, off, s[0:3], 0 offset:288
	buffer_load_dword v122, off, s[0:3], 0 offset:300
	buffer_load_dword v120, off, s[0:3], 0 offset:308
	buffer_load_dword v116, off, s[0:3], 0 offset:316
	s_waitcnt vmcnt(24) lgkmcnt(0)
	v_fma_f64 v[93:94], v[117:118], v[97:98], v[93:94]
	s_waitcnt vmcnt(19)
	v_fma_f64 v[101:102], v[101:102], v[99:100], v[93:94]
	ds_read2_b64 v[93:96], v92 offset0:75 offset1:76
	ds_read2_b64 v[97:100], v92 offset0:77 offset1:78
	s_waitcnt vmcnt(18) lgkmcnt(1)
	v_fma_f64 v[93:94], v[125:126], v[93:94], v[101:102]
	;; [unrolled: 18-line block ×3, first 2 shown]
	buffer_load_dword v104, off, s[0:3], 0 offset:356
	buffer_load_dword v103, off, s[0:3], 0 offset:352
	;; [unrolled: 1-line block ×4, first 2 shown]
	s_waitcnt vmcnt(21)
	v_fma_f64 v[93:94], v[109:110], v[95:96], v[93:94]
	s_waitcnt vmcnt(20) lgkmcnt(0)
	v_fma_f64 v[93:94], v[107:108], v[97:98], v[93:94]
	s_waitcnt vmcnt(15)
	v_fma_f64 v[107:108], v[113:114], v[99:100], v[93:94]
	ds_read2_b64 v[93:96], v92 offset0:83 offset1:84
	ds_read2_b64 v[97:100], v92 offset0:85 offset1:86
	s_waitcnt vmcnt(14) lgkmcnt(1)
	v_fma_f64 v[93:94], v[121:122], v[93:94], v[107:108]
	s_waitcnt vmcnt(13)
	v_fma_f64 v[93:94], v[119:120], v[95:96], v[93:94]
	s_waitcnt vmcnt(12) lgkmcnt(0)
	v_fma_f64 v[93:94], v[115:116], v[97:98], v[93:94]
	s_waitcnt vmcnt(7)
	v_fma_f64 v[101:102], v[101:102], v[99:100], v[93:94]
	ds_read2_b64 v[93:96], v92 offset0:87 offset1:88
	ds_read2_b64 v[97:100], v92 offset0:89 offset1:90
	s_waitcnt vmcnt(6) lgkmcnt(1)
	v_fma_f64 v[92:93], v[125:126], v[93:94], v[101:102]
	s_waitcnt vmcnt(5)
	v_fma_f64 v[92:93], v[123:124], v[95:96], v[92:93]
	s_waitcnt vmcnt(4) lgkmcnt(0)
	v_fma_f64 v[92:93], v[117:118], v[97:98], v[92:93]
	s_waitcnt vmcnt(2)
	v_fma_f64 v[92:93], v[103:104], v[99:100], v[92:93]
	s_waitcnt vmcnt(0)
	v_add_f64 v[92:93], v[105:106], -v[92:93]
	buffer_store_dword v93, off, s[0:3], 0 offset:132
	buffer_store_dword v92, off, s[0:3], 0 offset:128
	s_and_saveexec_b64 s[4:5], vcc
	s_cbranch_execz .LBB44_247
; %bb.246:
	buffer_load_dword v92, off, s[0:3], 0 offset:120
	buffer_load_dword v93, off, s[0:3], 0 offset:124
	v_mov_b32_e32 v94, 0
	buffer_store_dword v94, off, s[0:3], 0 offset:120
	buffer_store_dword v94, off, s[0:3], 0 offset:124
	s_waitcnt vmcnt(2)
	ds_write_b64 v91, v[92:93]
.LBB44_247:
	s_or_b64 exec, exec, s[4:5]
	s_waitcnt lgkmcnt(0)
	; wave barrier
	buffer_load_dword v101, off, s[0:3], 0 offset:128
	buffer_load_dword v102, off, s[0:3], 0 offset:132
	;; [unrolled: 1-line block ×22, first 2 shown]
	v_mov_b32_e32 v92, 0
	ds_read_b128 v[93:96], v92 offset:496
	ds_read_b128 v[97:100], v92 offset:512
	v_cmp_lt_u32_e32 vcc, 14, v0
	s_waitcnt vmcnt(20) lgkmcnt(1)
	v_fma_f64 v[93:94], v[101:102], v[93:94], 0
	s_waitcnt vmcnt(18)
	v_fma_f64 v[93:94], v[103:104], v[95:96], v[93:94]
	buffer_load_dword v102, off, s[0:3], 0 offset:220
	buffer_load_dword v103, off, s[0:3], 0 offset:240
	;; [unrolled: 1-line block ×7, first 2 shown]
	s_waitcnt vmcnt(23) lgkmcnt(0)
	v_fma_f64 v[93:94], v[105:106], v[97:98], v[93:94]
	s_waitcnt vmcnt(21)
	v_fma_f64 v[104:105], v[107:108], v[99:100], v[93:94]
	ds_read_b128 v[93:96], v92 offset:528
	ds_read_b128 v[97:100], v92 offset:544
	s_waitcnt vmcnt(19) lgkmcnt(1)
	v_fma_f64 v[93:94], v[109:110], v[93:94], v[104:105]
	buffer_load_dword v104, off, s[0:3], 0 offset:244
	s_waitcnt vmcnt(18)
	v_fma_f64 v[93:94], v[111:112], v[95:96], v[93:94]
	buffer_load_dword v106, off, s[0:3], 0 offset:252
	buffer_load_dword v107, off, s[0:3], 0 offset:272
	;; [unrolled: 1-line block ×7, first 2 shown]
	s_waitcnt vmcnt(23) lgkmcnt(0)
	v_fma_f64 v[93:94], v[113:114], v[97:98], v[93:94]
	s_waitcnt vmcnt(18)
	v_fma_f64 v[113:114], v[115:116], v[99:100], v[93:94]
	ds_read_b128 v[93:96], v92 offset:560
	ds_read_b128 v[97:100], v92 offset:576
	buffer_load_dword v108, off, s[0:3], 0 offset:276
	s_waitcnt vmcnt(18) lgkmcnt(1)
	v_fma_f64 v[93:94], v[121:122], v[93:94], v[113:114]
	s_waitcnt vmcnt(17)
	v_fma_f64 v[93:94], v[119:120], v[95:96], v[93:94]
	buffer_load_dword v114, off, s[0:3], 0 offset:284
	buffer_load_dword v115, off, s[0:3], 0 offset:304
	;; [unrolled: 1-line block ×8, first 2 shown]
	s_waitcnt vmcnt(24) lgkmcnt(0)
	v_fma_f64 v[93:94], v[117:118], v[97:98], v[93:94]
	s_waitcnt vmcnt(19)
	v_fma_f64 v[101:102], v[101:102], v[99:100], v[93:94]
	ds_read_b128 v[93:96], v92 offset:592
	ds_read_b128 v[97:100], v92 offset:608
	s_waitcnt vmcnt(18) lgkmcnt(1)
	v_fma_f64 v[93:94], v[125:126], v[93:94], v[101:102]
	s_waitcnt vmcnt(17)
	v_fma_f64 v[93:94], v[123:124], v[95:96], v[93:94]
	buffer_load_dword v102, off, s[0:3], 0 offset:316
	buffer_load_dword v117, off, s[0:3], 0 offset:336
	;; [unrolled: 1-line block ×7, first 2 shown]
	s_waitcnt vmcnt(23) lgkmcnt(0)
	v_fma_f64 v[93:94], v[103:104], v[97:98], v[93:94]
	s_waitcnt vmcnt(18)
	v_fma_f64 v[103:104], v[105:106], v[99:100], v[93:94]
	ds_read_b128 v[93:96], v92 offset:624
	ds_read_b128 v[97:100], v92 offset:640
	buffer_load_dword v118, off, s[0:3], 0 offset:340
	s_waitcnt vmcnt(18) lgkmcnt(1)
	v_fma_f64 v[93:94], v[111:112], v[93:94], v[103:104]
	buffer_load_dword v104, off, s[0:3], 0 offset:348
	buffer_load_dword v105, off, s[0:3], 0 offset:352
	;; [unrolled: 1-line block ×4, first 2 shown]
	s_waitcnt vmcnt(21)
	v_fma_f64 v[93:94], v[109:110], v[95:96], v[93:94]
	s_waitcnt vmcnt(20) lgkmcnt(0)
	v_fma_f64 v[93:94], v[107:108], v[97:98], v[93:94]
	buffer_load_dword v107, off, s[0:3], 0 offset:120
	buffer_load_dword v108, off, s[0:3], 0 offset:124
	s_waitcnt vmcnt(17)
	v_fma_f64 v[109:110], v[113:114], v[99:100], v[93:94]
	ds_read_b128 v[93:96], v92 offset:656
	ds_read_b128 v[97:100], v92 offset:672
	s_waitcnt vmcnt(16) lgkmcnt(1)
	v_fma_f64 v[93:94], v[121:122], v[93:94], v[109:110]
	s_waitcnt vmcnt(15)
	v_fma_f64 v[93:94], v[119:120], v[95:96], v[93:94]
	s_waitcnt vmcnt(14) lgkmcnt(0)
	v_fma_f64 v[93:94], v[115:116], v[97:98], v[93:94]
	s_waitcnt vmcnt(9)
	v_fma_f64 v[101:102], v[101:102], v[99:100], v[93:94]
	ds_read_b128 v[93:96], v92 offset:688
	ds_read_b128 v[97:100], v92 offset:704
	s_waitcnt vmcnt(8) lgkmcnt(1)
	v_fma_f64 v[93:94], v[125:126], v[93:94], v[101:102]
	s_waitcnt vmcnt(7)
	v_fma_f64 v[93:94], v[123:124], v[95:96], v[93:94]
	ds_read_b64 v[95:96], v92 offset:720
	s_waitcnt vmcnt(6) lgkmcnt(1)
	v_fma_f64 v[93:94], v[117:118], v[97:98], v[93:94]
	s_waitcnt vmcnt(3)
	v_fma_f64 v[93:94], v[103:104], v[99:100], v[93:94]
	s_waitcnt vmcnt(2) lgkmcnt(0)
	v_fma_f64 v[93:94], v[105:106], v[95:96], v[93:94]
	s_waitcnt vmcnt(0)
	v_add_f64 v[93:94], v[107:108], -v[93:94]
	buffer_store_dword v94, off, s[0:3], 0 offset:124
	buffer_store_dword v93, off, s[0:3], 0 offset:120
	s_and_saveexec_b64 s[4:5], vcc
	s_cbranch_execz .LBB44_249
; %bb.248:
	buffer_load_dword v93, off, s[0:3], 0 offset:112
	buffer_load_dword v94, off, s[0:3], 0 offset:116
	s_waitcnt vmcnt(0)
	ds_write_b64 v91, v[93:94]
	buffer_store_dword v92, off, s[0:3], 0 offset:112
	buffer_store_dword v92, off, s[0:3], 0 offset:116
.LBB44_249:
	s_or_b64 exec, exec, s[4:5]
	s_waitcnt lgkmcnt(0)
	; wave barrier
	buffer_load_dword v101, off, s[0:3], 0 offset:120
	buffer_load_dword v102, off, s[0:3], 0 offset:124
	;; [unrolled: 1-line block ×22, first 2 shown]
	ds_read2_b64 v[93:96], v92 offset0:61 offset1:62
	ds_read2_b64 v[97:100], v92 offset0:63 offset1:64
	v_cmp_lt_u32_e32 vcc, 13, v0
	s_waitcnt vmcnt(20) lgkmcnt(1)
	v_fma_f64 v[93:94], v[101:102], v[93:94], 0
	s_waitcnt vmcnt(18)
	v_fma_f64 v[93:94], v[103:104], v[95:96], v[93:94]
	buffer_load_dword v102, off, s[0:3], 0 offset:212
	buffer_load_dword v103, off, s[0:3], 0 offset:232
	;; [unrolled: 1-line block ×7, first 2 shown]
	s_waitcnt vmcnt(23) lgkmcnt(0)
	v_fma_f64 v[93:94], v[105:106], v[97:98], v[93:94]
	s_waitcnt vmcnt(21)
	v_fma_f64 v[104:105], v[107:108], v[99:100], v[93:94]
	ds_read2_b64 v[93:96], v92 offset0:65 offset1:66
	ds_read2_b64 v[97:100], v92 offset0:67 offset1:68
	s_waitcnt vmcnt(19) lgkmcnt(1)
	v_fma_f64 v[93:94], v[109:110], v[93:94], v[104:105]
	buffer_load_dword v104, off, s[0:3], 0 offset:236
	s_waitcnt vmcnt(18)
	v_fma_f64 v[93:94], v[111:112], v[95:96], v[93:94]
	buffer_load_dword v106, off, s[0:3], 0 offset:244
	buffer_load_dword v107, off, s[0:3], 0 offset:264
	;; [unrolled: 1-line block ×7, first 2 shown]
	s_waitcnt vmcnt(23) lgkmcnt(0)
	v_fma_f64 v[93:94], v[113:114], v[97:98], v[93:94]
	s_waitcnt vmcnt(18)
	v_fma_f64 v[113:114], v[115:116], v[99:100], v[93:94]
	ds_read2_b64 v[93:96], v92 offset0:69 offset1:70
	ds_read2_b64 v[97:100], v92 offset0:71 offset1:72
	buffer_load_dword v108, off, s[0:3], 0 offset:268
	s_waitcnt vmcnt(18) lgkmcnt(1)
	v_fma_f64 v[93:94], v[121:122], v[93:94], v[113:114]
	s_waitcnt vmcnt(17)
	v_fma_f64 v[93:94], v[119:120], v[95:96], v[93:94]
	buffer_load_dword v114, off, s[0:3], 0 offset:276
	buffer_load_dword v115, off, s[0:3], 0 offset:296
	;; [unrolled: 1-line block ×8, first 2 shown]
	s_waitcnt vmcnt(24) lgkmcnt(0)
	v_fma_f64 v[93:94], v[117:118], v[97:98], v[93:94]
	s_waitcnt vmcnt(19)
	v_fma_f64 v[101:102], v[101:102], v[99:100], v[93:94]
	ds_read2_b64 v[93:96], v92 offset0:73 offset1:74
	ds_read2_b64 v[97:100], v92 offset0:75 offset1:76
	s_waitcnt vmcnt(18) lgkmcnt(1)
	v_fma_f64 v[93:94], v[125:126], v[93:94], v[101:102]
	s_waitcnt vmcnt(17)
	v_fma_f64 v[93:94], v[123:124], v[95:96], v[93:94]
	buffer_load_dword v102, off, s[0:3], 0 offset:308
	buffer_load_dword v117, off, s[0:3], 0 offset:328
	;; [unrolled: 1-line block ×8, first 2 shown]
	s_waitcnt vmcnt(24) lgkmcnt(0)
	v_fma_f64 v[93:94], v[103:104], v[97:98], v[93:94]
	s_waitcnt vmcnt(19)
	v_fma_f64 v[103:104], v[105:106], v[99:100], v[93:94]
	ds_read2_b64 v[93:96], v92 offset0:77 offset1:78
	ds_read2_b64 v[97:100], v92 offset0:79 offset1:80
	s_waitcnt vmcnt(18) lgkmcnt(1)
	v_fma_f64 v[93:94], v[111:112], v[93:94], v[103:104]
	s_waitcnt vmcnt(17)
	v_fma_f64 v[93:94], v[109:110], v[95:96], v[93:94]
	buffer_load_dword v104, off, s[0:3], 0 offset:340
	buffer_load_dword v105, off, s[0:3], 0 offset:352
	;; [unrolled: 1-line block ×6, first 2 shown]
	s_waitcnt vmcnt(22) lgkmcnt(0)
	v_fma_f64 v[93:94], v[107:108], v[97:98], v[93:94]
	s_waitcnt vmcnt(17)
	v_fma_f64 v[107:108], v[113:114], v[99:100], v[93:94]
	ds_read2_b64 v[93:96], v92 offset0:81 offset1:82
	buffer_load_dword v111, off, s[0:3], 0 offset:112
	buffer_load_dword v112, off, s[0:3], 0 offset:116
	ds_read2_b64 v[97:100], v92 offset0:83 offset1:84
	s_waitcnt vmcnt(18) lgkmcnt(1)
	v_fma_f64 v[93:94], v[121:122], v[93:94], v[107:108]
	s_waitcnt vmcnt(17)
	v_fma_f64 v[93:94], v[119:120], v[95:96], v[93:94]
	s_waitcnt vmcnt(16) lgkmcnt(0)
	v_fma_f64 v[93:94], v[115:116], v[97:98], v[93:94]
	s_waitcnt vmcnt(11)
	v_fma_f64 v[101:102], v[101:102], v[99:100], v[93:94]
	ds_read2_b64 v[93:96], v92 offset0:85 offset1:86
	ds_read2_b64 v[97:100], v92 offset0:87 offset1:88
	s_waitcnt vmcnt(10) lgkmcnt(1)
	v_fma_f64 v[93:94], v[125:126], v[93:94], v[101:102]
	s_waitcnt vmcnt(9)
	v_fma_f64 v[93:94], v[123:124], v[95:96], v[93:94]
	s_waitcnt vmcnt(8) lgkmcnt(0)
	v_fma_f64 v[93:94], v[117:118], v[97:98], v[93:94]
	s_waitcnt vmcnt(4)
	v_fma_f64 v[96:97], v[103:104], v[99:100], v[93:94]
	ds_read2_b64 v[92:95], v92 offset0:89 offset1:90
	s_waitcnt vmcnt(3) lgkmcnt(0)
	v_fma_f64 v[92:93], v[109:110], v[92:93], v[96:97]
	s_waitcnt vmcnt(2)
	v_fma_f64 v[92:93], v[105:106], v[94:95], v[92:93]
	s_waitcnt vmcnt(0)
	v_add_f64 v[92:93], v[111:112], -v[92:93]
	buffer_store_dword v93, off, s[0:3], 0 offset:116
	buffer_store_dword v92, off, s[0:3], 0 offset:112
	s_and_saveexec_b64 s[4:5], vcc
	s_cbranch_execz .LBB44_251
; %bb.250:
	buffer_load_dword v92, off, s[0:3], 0 offset:104
	buffer_load_dword v93, off, s[0:3], 0 offset:108
	v_mov_b32_e32 v94, 0
	buffer_store_dword v94, off, s[0:3], 0 offset:104
	buffer_store_dword v94, off, s[0:3], 0 offset:108
	s_waitcnt vmcnt(2)
	ds_write_b64 v91, v[92:93]
.LBB44_251:
	s_or_b64 exec, exec, s[4:5]
	s_waitcnt lgkmcnt(0)
	; wave barrier
	buffer_load_dword v101, off, s[0:3], 0 offset:112
	buffer_load_dword v102, off, s[0:3], 0 offset:116
	;; [unrolled: 1-line block ×22, first 2 shown]
	v_mov_b32_e32 v92, 0
	ds_read_b128 v[93:96], v92 offset:480
	ds_read_b128 v[97:100], v92 offset:496
	v_cmp_lt_u32_e32 vcc, 12, v0
	s_waitcnt vmcnt(20) lgkmcnt(1)
	v_fma_f64 v[93:94], v[101:102], v[93:94], 0
	s_waitcnt vmcnt(18)
	v_fma_f64 v[93:94], v[103:104], v[95:96], v[93:94]
	buffer_load_dword v102, off, s[0:3], 0 offset:204
	buffer_load_dword v103, off, s[0:3], 0 offset:224
	buffer_load_dword v123, off, s[0:3], 0 offset:216
	buffer_load_dword v125, off, s[0:3], 0 offset:208
	buffer_load_dword v101, off, s[0:3], 0 offset:200
	buffer_load_dword v126, off, s[0:3], 0 offset:212
	buffer_load_dword v124, off, s[0:3], 0 offset:220
	s_waitcnt vmcnt(23) lgkmcnt(0)
	v_fma_f64 v[93:94], v[105:106], v[97:98], v[93:94]
	s_waitcnt vmcnt(21)
	v_fma_f64 v[104:105], v[107:108], v[99:100], v[93:94]
	ds_read_b128 v[93:96], v92 offset:512
	ds_read_b128 v[97:100], v92 offset:528
	s_waitcnt vmcnt(19) lgkmcnt(1)
	v_fma_f64 v[93:94], v[109:110], v[93:94], v[104:105]
	buffer_load_dword v104, off, s[0:3], 0 offset:228
	s_waitcnt vmcnt(18)
	v_fma_f64 v[93:94], v[111:112], v[95:96], v[93:94]
	buffer_load_dword v106, off, s[0:3], 0 offset:236
	buffer_load_dword v107, off, s[0:3], 0 offset:256
	;; [unrolled: 1-line block ×7, first 2 shown]
	s_waitcnt vmcnt(23) lgkmcnt(0)
	v_fma_f64 v[93:94], v[113:114], v[97:98], v[93:94]
	s_waitcnt vmcnt(18)
	v_fma_f64 v[113:114], v[115:116], v[99:100], v[93:94]
	ds_read_b128 v[93:96], v92 offset:544
	ds_read_b128 v[97:100], v92 offset:560
	buffer_load_dword v108, off, s[0:3], 0 offset:260
	s_waitcnt vmcnt(18) lgkmcnt(1)
	v_fma_f64 v[93:94], v[121:122], v[93:94], v[113:114]
	s_waitcnt vmcnt(17)
	v_fma_f64 v[93:94], v[119:120], v[95:96], v[93:94]
	buffer_load_dword v114, off, s[0:3], 0 offset:268
	buffer_load_dword v115, off, s[0:3], 0 offset:288
	buffer_load_dword v119, off, s[0:3], 0 offset:280
	buffer_load_dword v121, off, s[0:3], 0 offset:272
	buffer_load_dword v113, off, s[0:3], 0 offset:264
	buffer_load_dword v122, off, s[0:3], 0 offset:276
	buffer_load_dword v120, off, s[0:3], 0 offset:284
	buffer_load_dword v116, off, s[0:3], 0 offset:292
	s_waitcnt vmcnt(24) lgkmcnt(0)
	v_fma_f64 v[93:94], v[117:118], v[97:98], v[93:94]
	s_waitcnt vmcnt(19)
	v_fma_f64 v[101:102], v[101:102], v[99:100], v[93:94]
	ds_read_b128 v[93:96], v92 offset:576
	ds_read_b128 v[97:100], v92 offset:592
	s_waitcnt vmcnt(18) lgkmcnt(1)
	v_fma_f64 v[93:94], v[125:126], v[93:94], v[101:102]
	s_waitcnt vmcnt(17)
	v_fma_f64 v[93:94], v[123:124], v[95:96], v[93:94]
	buffer_load_dword v102, off, s[0:3], 0 offset:300
	buffer_load_dword v117, off, s[0:3], 0 offset:320
	buffer_load_dword v123, off, s[0:3], 0 offset:312
	buffer_load_dword v125, off, s[0:3], 0 offset:304
	buffer_load_dword v101, off, s[0:3], 0 offset:296
	buffer_load_dword v126, off, s[0:3], 0 offset:308
	buffer_load_dword v124, off, s[0:3], 0 offset:316
	buffer_load_dword v118, off, s[0:3], 0 offset:324
	s_waitcnt vmcnt(24) lgkmcnt(0)
	v_fma_f64 v[93:94], v[103:104], v[97:98], v[93:94]
	s_waitcnt vmcnt(19)
	v_fma_f64 v[103:104], v[105:106], v[99:100], v[93:94]
	ds_read_b128 v[93:96], v92 offset:608
	ds_read_b128 v[97:100], v92 offset:624
	;; [unrolled: 18-line block ×3, first 2 shown]
	s_waitcnt vmcnt(18) lgkmcnt(1)
	v_fma_f64 v[93:94], v[121:122], v[93:94], v[107:108]
	buffer_load_dword v107, off, s[0:3], 0 offset:104
	buffer_load_dword v108, off, s[0:3], 0 offset:108
	s_waitcnt vmcnt(19)
	v_fma_f64 v[93:94], v[119:120], v[95:96], v[93:94]
	s_waitcnt vmcnt(18) lgkmcnt(0)
	v_fma_f64 v[93:94], v[115:116], v[97:98], v[93:94]
	s_waitcnt vmcnt(13)
	v_fma_f64 v[101:102], v[101:102], v[99:100], v[93:94]
	ds_read_b128 v[93:96], v92 offset:672
	ds_read_b128 v[97:100], v92 offset:688
	s_waitcnt vmcnt(12) lgkmcnt(1)
	v_fma_f64 v[93:94], v[125:126], v[93:94], v[101:102]
	s_waitcnt vmcnt(11)
	v_fma_f64 v[93:94], v[123:124], v[95:96], v[93:94]
	s_waitcnt vmcnt(10) lgkmcnt(0)
	v_fma_f64 v[93:94], v[117:118], v[97:98], v[93:94]
	s_waitcnt vmcnt(5)
	v_fma_f64 v[97:98], v[103:104], v[99:100], v[93:94]
	ds_read_b128 v[93:96], v92 offset:704
	ds_read_b64 v[99:100], v92 offset:720
	s_waitcnt vmcnt(4) lgkmcnt(1)
	v_fma_f64 v[93:94], v[111:112], v[93:94], v[97:98]
	s_waitcnt vmcnt(3)
	v_fma_f64 v[93:94], v[109:110], v[95:96], v[93:94]
	s_waitcnt vmcnt(2) lgkmcnt(0)
	v_fma_f64 v[93:94], v[105:106], v[99:100], v[93:94]
	s_waitcnt vmcnt(0)
	v_add_f64 v[93:94], v[107:108], -v[93:94]
	buffer_store_dword v94, off, s[0:3], 0 offset:108
	buffer_store_dword v93, off, s[0:3], 0 offset:104
	s_and_saveexec_b64 s[4:5], vcc
	s_cbranch_execz .LBB44_253
; %bb.252:
	buffer_load_dword v93, off, s[0:3], 0 offset:96
	buffer_load_dword v94, off, s[0:3], 0 offset:100
	s_waitcnt vmcnt(0)
	ds_write_b64 v91, v[93:94]
	buffer_store_dword v92, off, s[0:3], 0 offset:96
	buffer_store_dword v92, off, s[0:3], 0 offset:100
.LBB44_253:
	s_or_b64 exec, exec, s[4:5]
	s_waitcnt lgkmcnt(0)
	; wave barrier
	buffer_load_dword v101, off, s[0:3], 0 offset:104
	buffer_load_dword v102, off, s[0:3], 0 offset:108
	;; [unrolled: 1-line block ×22, first 2 shown]
	ds_read2_b64 v[93:96], v92 offset0:59 offset1:60
	ds_read2_b64 v[97:100], v92 offset0:61 offset1:62
	v_cmp_lt_u32_e32 vcc, 11, v0
	s_waitcnt vmcnt(20) lgkmcnt(1)
	v_fma_f64 v[93:94], v[101:102], v[93:94], 0
	s_waitcnt vmcnt(18)
	v_fma_f64 v[93:94], v[103:104], v[95:96], v[93:94]
	buffer_load_dword v102, off, s[0:3], 0 offset:196
	buffer_load_dword v103, off, s[0:3], 0 offset:216
	;; [unrolled: 1-line block ×7, first 2 shown]
	s_waitcnt vmcnt(23) lgkmcnt(0)
	v_fma_f64 v[93:94], v[105:106], v[97:98], v[93:94]
	s_waitcnt vmcnt(21)
	v_fma_f64 v[104:105], v[107:108], v[99:100], v[93:94]
	ds_read2_b64 v[93:96], v92 offset0:63 offset1:64
	ds_read2_b64 v[97:100], v92 offset0:65 offset1:66
	s_waitcnt vmcnt(19) lgkmcnt(1)
	v_fma_f64 v[93:94], v[109:110], v[93:94], v[104:105]
	buffer_load_dword v104, off, s[0:3], 0 offset:220
	s_waitcnt vmcnt(18)
	v_fma_f64 v[93:94], v[111:112], v[95:96], v[93:94]
	buffer_load_dword v106, off, s[0:3], 0 offset:228
	buffer_load_dword v107, off, s[0:3], 0 offset:248
	;; [unrolled: 1-line block ×7, first 2 shown]
	s_waitcnt vmcnt(23) lgkmcnt(0)
	v_fma_f64 v[93:94], v[113:114], v[97:98], v[93:94]
	s_waitcnt vmcnt(18)
	v_fma_f64 v[113:114], v[115:116], v[99:100], v[93:94]
	ds_read2_b64 v[93:96], v92 offset0:67 offset1:68
	ds_read2_b64 v[97:100], v92 offset0:69 offset1:70
	buffer_load_dword v108, off, s[0:3], 0 offset:252
	s_waitcnt vmcnt(18) lgkmcnt(1)
	v_fma_f64 v[93:94], v[121:122], v[93:94], v[113:114]
	s_waitcnt vmcnt(17)
	v_fma_f64 v[93:94], v[119:120], v[95:96], v[93:94]
	buffer_load_dword v114, off, s[0:3], 0 offset:260
	buffer_load_dword v115, off, s[0:3], 0 offset:280
	buffer_load_dword v119, off, s[0:3], 0 offset:272
	buffer_load_dword v121, off, s[0:3], 0 offset:264
	buffer_load_dword v113, off, s[0:3], 0 offset:256
	buffer_load_dword v122, off, s[0:3], 0 offset:268
	buffer_load_dword v120, off, s[0:3], 0 offset:276
	buffer_load_dword v116, off, s[0:3], 0 offset:284
	s_waitcnt vmcnt(24) lgkmcnt(0)
	v_fma_f64 v[93:94], v[117:118], v[97:98], v[93:94]
	s_waitcnt vmcnt(19)
	v_fma_f64 v[101:102], v[101:102], v[99:100], v[93:94]
	ds_read2_b64 v[93:96], v92 offset0:71 offset1:72
	ds_read2_b64 v[97:100], v92 offset0:73 offset1:74
	s_waitcnt vmcnt(18) lgkmcnt(1)
	v_fma_f64 v[93:94], v[125:126], v[93:94], v[101:102]
	s_waitcnt vmcnt(17)
	v_fma_f64 v[93:94], v[123:124], v[95:96], v[93:94]
	buffer_load_dword v102, off, s[0:3], 0 offset:292
	buffer_load_dword v117, off, s[0:3], 0 offset:312
	buffer_load_dword v123, off, s[0:3], 0 offset:304
	buffer_load_dword v125, off, s[0:3], 0 offset:296
	buffer_load_dword v101, off, s[0:3], 0 offset:288
	buffer_load_dword v126, off, s[0:3], 0 offset:300
	buffer_load_dword v124, off, s[0:3], 0 offset:308
	buffer_load_dword v118, off, s[0:3], 0 offset:316
	s_waitcnt vmcnt(24) lgkmcnt(0)
	v_fma_f64 v[93:94], v[103:104], v[97:98], v[93:94]
	s_waitcnt vmcnt(19)
	v_fma_f64 v[103:104], v[105:106], v[99:100], v[93:94]
	ds_read2_b64 v[93:96], v92 offset0:75 offset1:76
	ds_read2_b64 v[97:100], v92 offset0:77 offset1:78
	;; [unrolled: 18-line block ×3, first 2 shown]
	s_waitcnt vmcnt(18) lgkmcnt(1)
	v_fma_f64 v[93:94], v[121:122], v[93:94], v[107:108]
	buffer_load_dword v108, off, s[0:3], 0 offset:356
	buffer_load_dword v107, off, s[0:3], 0 offset:352
	;; [unrolled: 1-line block ×4, first 2 shown]
	s_waitcnt vmcnt(21)
	v_fma_f64 v[93:94], v[119:120], v[95:96], v[93:94]
	s_waitcnt vmcnt(20) lgkmcnt(0)
	v_fma_f64 v[93:94], v[115:116], v[97:98], v[93:94]
	s_waitcnt vmcnt(15)
	v_fma_f64 v[101:102], v[101:102], v[99:100], v[93:94]
	ds_read2_b64 v[93:96], v92 offset0:83 offset1:84
	ds_read2_b64 v[97:100], v92 offset0:85 offset1:86
	s_waitcnt vmcnt(14) lgkmcnt(1)
	v_fma_f64 v[93:94], v[125:126], v[93:94], v[101:102]
	s_waitcnt vmcnt(13)
	v_fma_f64 v[93:94], v[123:124], v[95:96], v[93:94]
	s_waitcnt vmcnt(12) lgkmcnt(0)
	v_fma_f64 v[93:94], v[117:118], v[97:98], v[93:94]
	s_waitcnt vmcnt(7)
	v_fma_f64 v[101:102], v[103:104], v[99:100], v[93:94]
	ds_read2_b64 v[93:96], v92 offset0:87 offset1:88
	ds_read2_b64 v[97:100], v92 offset0:89 offset1:90
	s_waitcnt vmcnt(6) lgkmcnt(1)
	v_fma_f64 v[92:93], v[111:112], v[93:94], v[101:102]
	s_waitcnt vmcnt(5)
	v_fma_f64 v[92:93], v[109:110], v[95:96], v[92:93]
	s_waitcnt vmcnt(4) lgkmcnt(0)
	v_fma_f64 v[92:93], v[105:106], v[97:98], v[92:93]
	s_waitcnt vmcnt(2)
	v_fma_f64 v[92:93], v[107:108], v[99:100], v[92:93]
	s_waitcnt vmcnt(0)
	v_add_f64 v[92:93], v[113:114], -v[92:93]
	buffer_store_dword v93, off, s[0:3], 0 offset:100
	buffer_store_dword v92, off, s[0:3], 0 offset:96
	s_and_saveexec_b64 s[4:5], vcc
	s_cbranch_execz .LBB44_255
; %bb.254:
	buffer_load_dword v92, off, s[0:3], 0 offset:88
	buffer_load_dword v93, off, s[0:3], 0 offset:92
	v_mov_b32_e32 v94, 0
	buffer_store_dword v94, off, s[0:3], 0 offset:88
	buffer_store_dword v94, off, s[0:3], 0 offset:92
	s_waitcnt vmcnt(2)
	ds_write_b64 v91, v[92:93]
.LBB44_255:
	s_or_b64 exec, exec, s[4:5]
	s_waitcnt lgkmcnt(0)
	; wave barrier
	buffer_load_dword v101, off, s[0:3], 0 offset:96
	buffer_load_dword v102, off, s[0:3], 0 offset:100
	buffer_load_dword v103, off, s[0:3], 0 offset:104
	buffer_load_dword v104, off, s[0:3], 0 offset:108
	buffer_load_dword v105, off, s[0:3], 0 offset:112
	buffer_load_dword v106, off, s[0:3], 0 offset:116
	buffer_load_dword v107, off, s[0:3], 0 offset:120
	buffer_load_dword v108, off, s[0:3], 0 offset:124
	buffer_load_dword v109, off, s[0:3], 0 offset:128
	buffer_load_dword v110, off, s[0:3], 0 offset:132
	buffer_load_dword v111, off, s[0:3], 0 offset:136
	buffer_load_dword v112, off, s[0:3], 0 offset:140
	buffer_load_dword v113, off, s[0:3], 0 offset:144
	buffer_load_dword v114, off, s[0:3], 0 offset:148
	buffer_load_dword v116, off, s[0:3], 0 offset:156
	buffer_load_dword v117, off, s[0:3], 0 offset:176
	buffer_load_dword v119, off, s[0:3], 0 offset:168
	buffer_load_dword v121, off, s[0:3], 0 offset:160
	buffer_load_dword v115, off, s[0:3], 0 offset:152
	buffer_load_dword v122, off, s[0:3], 0 offset:164
	buffer_load_dword v120, off, s[0:3], 0 offset:172
	v_mov_b32_e32 v92, 0
	ds_read_b128 v[93:96], v92 offset:464
	ds_read_b128 v[97:100], v92 offset:480
	buffer_load_dword v118, off, s[0:3], 0 offset:180
	v_cmp_lt_u32_e32 vcc, 10, v0
	s_waitcnt vmcnt(20) lgkmcnt(1)
	v_fma_f64 v[93:94], v[101:102], v[93:94], 0
	s_waitcnt vmcnt(18)
	v_fma_f64 v[93:94], v[103:104], v[95:96], v[93:94]
	buffer_load_dword v102, off, s[0:3], 0 offset:188
	buffer_load_dword v103, off, s[0:3], 0 offset:208
	;; [unrolled: 1-line block ×7, first 2 shown]
	s_waitcnt vmcnt(23) lgkmcnt(0)
	v_fma_f64 v[93:94], v[105:106], v[97:98], v[93:94]
	s_waitcnt vmcnt(21)
	v_fma_f64 v[104:105], v[107:108], v[99:100], v[93:94]
	ds_read_b128 v[93:96], v92 offset:496
	ds_read_b128 v[97:100], v92 offset:512
	s_waitcnt vmcnt(19) lgkmcnt(1)
	v_fma_f64 v[93:94], v[109:110], v[93:94], v[104:105]
	buffer_load_dword v104, off, s[0:3], 0 offset:212
	s_waitcnt vmcnt(18)
	v_fma_f64 v[93:94], v[111:112], v[95:96], v[93:94]
	buffer_load_dword v106, off, s[0:3], 0 offset:220
	buffer_load_dword v107, off, s[0:3], 0 offset:240
	;; [unrolled: 1-line block ×7, first 2 shown]
	s_waitcnt vmcnt(23) lgkmcnt(0)
	v_fma_f64 v[93:94], v[113:114], v[97:98], v[93:94]
	s_waitcnt vmcnt(18)
	v_fma_f64 v[113:114], v[115:116], v[99:100], v[93:94]
	ds_read_b128 v[93:96], v92 offset:528
	ds_read_b128 v[97:100], v92 offset:544
	buffer_load_dword v108, off, s[0:3], 0 offset:244
	s_waitcnt vmcnt(18) lgkmcnt(1)
	v_fma_f64 v[93:94], v[121:122], v[93:94], v[113:114]
	s_waitcnt vmcnt(17)
	v_fma_f64 v[93:94], v[119:120], v[95:96], v[93:94]
	buffer_load_dword v114, off, s[0:3], 0 offset:252
	buffer_load_dword v115, off, s[0:3], 0 offset:272
	;; [unrolled: 1-line block ×7, first 2 shown]
	s_waitcnt vmcnt(23) lgkmcnt(0)
	v_fma_f64 v[93:94], v[117:118], v[97:98], v[93:94]
	s_waitcnt vmcnt(18)
	v_fma_f64 v[101:102], v[101:102], v[99:100], v[93:94]
	ds_read_b128 v[93:96], v92 offset:560
	ds_read_b128 v[97:100], v92 offset:576
	buffer_load_dword v116, off, s[0:3], 0 offset:276
	s_waitcnt vmcnt(18) lgkmcnt(1)
	v_fma_f64 v[93:94], v[125:126], v[93:94], v[101:102]
	s_waitcnt vmcnt(17)
	v_fma_f64 v[93:94], v[123:124], v[95:96], v[93:94]
	buffer_load_dword v102, off, s[0:3], 0 offset:284
	buffer_load_dword v117, off, s[0:3], 0 offset:304
	;; [unrolled: 1-line block ×8, first 2 shown]
	s_waitcnt vmcnt(24) lgkmcnt(0)
	v_fma_f64 v[93:94], v[103:104], v[97:98], v[93:94]
	s_waitcnt vmcnt(19)
	v_fma_f64 v[103:104], v[105:106], v[99:100], v[93:94]
	ds_read_b128 v[93:96], v92 offset:592
	ds_read_b128 v[97:100], v92 offset:608
	s_waitcnt vmcnt(18) lgkmcnt(1)
	v_fma_f64 v[93:94], v[111:112], v[93:94], v[103:104]
	s_waitcnt vmcnt(17)
	v_fma_f64 v[93:94], v[109:110], v[95:96], v[93:94]
	buffer_load_dword v104, off, s[0:3], 0 offset:316
	buffer_load_dword v105, off, s[0:3], 0 offset:336
	;; [unrolled: 1-line block ×7, first 2 shown]
	s_waitcnt vmcnt(23) lgkmcnt(0)
	v_fma_f64 v[93:94], v[107:108], v[97:98], v[93:94]
	s_waitcnt vmcnt(18)
	v_fma_f64 v[106:107], v[113:114], v[99:100], v[93:94]
	ds_read_b128 v[93:96], v92 offset:624
	ds_read_b128 v[97:100], v92 offset:640
	s_waitcnt vmcnt(17) lgkmcnt(1)
	v_fma_f64 v[93:94], v[121:122], v[93:94], v[106:107]
	buffer_load_dword v106, off, s[0:3], 0 offset:340
	buffer_load_dword v108, off, s[0:3], 0 offset:348
	;; [unrolled: 1-line block ×5, first 2 shown]
	s_waitcnt vmcnt(21)
	v_fma_f64 v[93:94], v[119:120], v[95:96], v[93:94]
	s_waitcnt vmcnt(20) lgkmcnt(0)
	v_fma_f64 v[93:94], v[115:116], v[97:98], v[93:94]
	buffer_load_dword v115, off, s[0:3], 0 offset:88
	buffer_load_dword v116, off, s[0:3], 0 offset:92
	s_waitcnt vmcnt(17)
	v_fma_f64 v[101:102], v[101:102], v[99:100], v[93:94]
	ds_read_b128 v[93:96], v92 offset:656
	ds_read_b128 v[97:100], v92 offset:672
	s_waitcnt vmcnt(16) lgkmcnt(1)
	v_fma_f64 v[93:94], v[125:126], v[93:94], v[101:102]
	s_waitcnt vmcnt(15)
	v_fma_f64 v[93:94], v[123:124], v[95:96], v[93:94]
	s_waitcnt vmcnt(14) lgkmcnt(0)
	v_fma_f64 v[93:94], v[117:118], v[97:98], v[93:94]
	s_waitcnt vmcnt(9)
	v_fma_f64 v[101:102], v[103:104], v[99:100], v[93:94]
	ds_read_b128 v[93:96], v92 offset:688
	ds_read_b128 v[97:100], v92 offset:704
	s_waitcnt vmcnt(8) lgkmcnt(1)
	v_fma_f64 v[93:94], v[111:112], v[93:94], v[101:102]
	s_waitcnt vmcnt(7)
	v_fma_f64 v[93:94], v[109:110], v[95:96], v[93:94]
	ds_read_b64 v[95:96], v92 offset:720
	s_waitcnt vmcnt(6) lgkmcnt(1)
	v_fma_f64 v[93:94], v[105:106], v[97:98], v[93:94]
	s_waitcnt vmcnt(3)
	v_fma_f64 v[93:94], v[107:108], v[99:100], v[93:94]
	s_waitcnt vmcnt(2) lgkmcnt(0)
	v_fma_f64 v[93:94], v[113:114], v[95:96], v[93:94]
	s_waitcnt vmcnt(0)
	v_add_f64 v[93:94], v[115:116], -v[93:94]
	buffer_store_dword v94, off, s[0:3], 0 offset:92
	buffer_store_dword v93, off, s[0:3], 0 offset:88
	s_and_saveexec_b64 s[4:5], vcc
	s_cbranch_execz .LBB44_257
; %bb.256:
	buffer_load_dword v93, off, s[0:3], 0 offset:80
	buffer_load_dword v94, off, s[0:3], 0 offset:84
	s_waitcnt vmcnt(0)
	ds_write_b64 v91, v[93:94]
	buffer_store_dword v92, off, s[0:3], 0 offset:80
	buffer_store_dword v92, off, s[0:3], 0 offset:84
.LBB44_257:
	s_or_b64 exec, exec, s[4:5]
	s_waitcnt lgkmcnt(0)
	; wave barrier
	buffer_load_dword v101, off, s[0:3], 0 offset:88
	buffer_load_dword v102, off, s[0:3], 0 offset:92
	;; [unrolled: 1-line block ×21, first 2 shown]
	ds_read2_b64 v[93:96], v92 offset0:57 offset1:58
	ds_read2_b64 v[97:100], v92 offset0:59 offset1:60
	buffer_load_dword v118, off, s[0:3], 0 offset:172
	v_cmp_lt_u32_e32 vcc, 9, v0
	s_waitcnt vmcnt(20) lgkmcnt(1)
	v_fma_f64 v[93:94], v[101:102], v[93:94], 0
	s_waitcnt vmcnt(18)
	v_fma_f64 v[93:94], v[103:104], v[95:96], v[93:94]
	buffer_load_dword v102, off, s[0:3], 0 offset:180
	buffer_load_dword v103, off, s[0:3], 0 offset:200
	;; [unrolled: 1-line block ×7, first 2 shown]
	s_waitcnt vmcnt(23) lgkmcnt(0)
	v_fma_f64 v[93:94], v[105:106], v[97:98], v[93:94]
	s_waitcnt vmcnt(21)
	v_fma_f64 v[104:105], v[107:108], v[99:100], v[93:94]
	ds_read2_b64 v[93:96], v92 offset0:61 offset1:62
	ds_read2_b64 v[97:100], v92 offset0:63 offset1:64
	s_waitcnt vmcnt(19) lgkmcnt(1)
	v_fma_f64 v[93:94], v[109:110], v[93:94], v[104:105]
	buffer_load_dword v104, off, s[0:3], 0 offset:204
	s_waitcnt vmcnt(18)
	v_fma_f64 v[93:94], v[111:112], v[95:96], v[93:94]
	buffer_load_dword v106, off, s[0:3], 0 offset:212
	buffer_load_dword v107, off, s[0:3], 0 offset:232
	;; [unrolled: 1-line block ×8, first 2 shown]
	s_waitcnt vmcnt(24) lgkmcnt(0)
	v_fma_f64 v[93:94], v[113:114], v[97:98], v[93:94]
	s_waitcnt vmcnt(19)
	v_fma_f64 v[113:114], v[115:116], v[99:100], v[93:94]
	ds_read2_b64 v[93:96], v92 offset0:65 offset1:66
	ds_read2_b64 v[97:100], v92 offset0:67 offset1:68
	s_waitcnt vmcnt(18) lgkmcnt(1)
	v_fma_f64 v[93:94], v[121:122], v[93:94], v[113:114]
	s_waitcnt vmcnt(17)
	v_fma_f64 v[93:94], v[119:120], v[95:96], v[93:94]
	buffer_load_dword v114, off, s[0:3], 0 offset:244
	buffer_load_dword v115, off, s[0:3], 0 offset:264
	;; [unrolled: 1-line block ×7, first 2 shown]
	s_waitcnt vmcnt(23) lgkmcnt(0)
	v_fma_f64 v[93:94], v[117:118], v[97:98], v[93:94]
	s_waitcnt vmcnt(18)
	v_fma_f64 v[101:102], v[101:102], v[99:100], v[93:94]
	ds_read2_b64 v[93:96], v92 offset0:69 offset1:70
	ds_read2_b64 v[97:100], v92 offset0:71 offset1:72
	buffer_load_dword v116, off, s[0:3], 0 offset:268
	s_waitcnt vmcnt(18) lgkmcnt(1)
	v_fma_f64 v[93:94], v[125:126], v[93:94], v[101:102]
	s_waitcnt vmcnt(17)
	v_fma_f64 v[93:94], v[123:124], v[95:96], v[93:94]
	buffer_load_dword v102, off, s[0:3], 0 offset:276
	buffer_load_dword v117, off, s[0:3], 0 offset:296
	;; [unrolled: 1-line block ×8, first 2 shown]
	s_waitcnt vmcnt(24) lgkmcnt(0)
	v_fma_f64 v[93:94], v[103:104], v[97:98], v[93:94]
	s_waitcnt vmcnt(19)
	v_fma_f64 v[103:104], v[105:106], v[99:100], v[93:94]
	ds_read2_b64 v[93:96], v92 offset0:73 offset1:74
	ds_read2_b64 v[97:100], v92 offset0:75 offset1:76
	s_waitcnt vmcnt(18) lgkmcnt(1)
	v_fma_f64 v[93:94], v[111:112], v[93:94], v[103:104]
	s_waitcnt vmcnt(17)
	v_fma_f64 v[93:94], v[109:110], v[95:96], v[93:94]
	buffer_load_dword v104, off, s[0:3], 0 offset:308
	buffer_load_dword v105, off, s[0:3], 0 offset:328
	;; [unrolled: 1-line block ×7, first 2 shown]
	s_waitcnt vmcnt(23) lgkmcnt(0)
	v_fma_f64 v[93:94], v[107:108], v[97:98], v[93:94]
	s_waitcnt vmcnt(18)
	v_fma_f64 v[106:107], v[113:114], v[99:100], v[93:94]
	ds_read2_b64 v[93:96], v92 offset0:77 offset1:78
	ds_read2_b64 v[97:100], v92 offset0:79 offset1:80
	s_waitcnt vmcnt(17) lgkmcnt(1)
	v_fma_f64 v[93:94], v[121:122], v[93:94], v[106:107]
	buffer_load_dword v106, off, s[0:3], 0 offset:332
	s_waitcnt vmcnt(17)
	v_fma_f64 v[93:94], v[119:120], v[95:96], v[93:94]
	buffer_load_dword v108, off, s[0:3], 0 offset:340
	buffer_load_dword v113, off, s[0:3], 0 offset:352
	buffer_load_dword v119, off, s[0:3], 0 offset:344
	buffer_load_dword v107, off, s[0:3], 0 offset:336
	buffer_load_dword v120, off, s[0:3], 0 offset:348
	buffer_load_dword v114, off, s[0:3], 0 offset:356
	s_waitcnt vmcnt(22) lgkmcnt(0)
	v_fma_f64 v[93:94], v[115:116], v[97:98], v[93:94]
	s_waitcnt vmcnt(17)
	v_fma_f64 v[101:102], v[101:102], v[99:100], v[93:94]
	ds_read2_b64 v[93:96], v92 offset0:81 offset1:82
	buffer_load_dword v115, off, s[0:3], 0 offset:80
	buffer_load_dword v116, off, s[0:3], 0 offset:84
	ds_read2_b64 v[97:100], v92 offset0:83 offset1:84
	s_waitcnt vmcnt(18) lgkmcnt(1)
	v_fma_f64 v[93:94], v[125:126], v[93:94], v[101:102]
	s_waitcnt vmcnt(17)
	v_fma_f64 v[93:94], v[123:124], v[95:96], v[93:94]
	s_waitcnt vmcnt(16) lgkmcnt(0)
	v_fma_f64 v[93:94], v[117:118], v[97:98], v[93:94]
	s_waitcnt vmcnt(11)
	v_fma_f64 v[101:102], v[103:104], v[99:100], v[93:94]
	ds_read2_b64 v[93:96], v92 offset0:85 offset1:86
	ds_read2_b64 v[97:100], v92 offset0:87 offset1:88
	s_waitcnt vmcnt(10) lgkmcnt(1)
	v_fma_f64 v[93:94], v[111:112], v[93:94], v[101:102]
	s_waitcnt vmcnt(9)
	v_fma_f64 v[93:94], v[109:110], v[95:96], v[93:94]
	s_waitcnt vmcnt(8) lgkmcnt(0)
	v_fma_f64 v[93:94], v[105:106], v[97:98], v[93:94]
	s_waitcnt vmcnt(4)
	v_fma_f64 v[96:97], v[107:108], v[99:100], v[93:94]
	ds_read2_b64 v[92:95], v92 offset0:89 offset1:90
	s_waitcnt vmcnt(3) lgkmcnt(0)
	v_fma_f64 v[92:93], v[119:120], v[92:93], v[96:97]
	s_waitcnt vmcnt(2)
	v_fma_f64 v[92:93], v[113:114], v[94:95], v[92:93]
	s_waitcnt vmcnt(0)
	v_add_f64 v[92:93], v[115:116], -v[92:93]
	buffer_store_dword v93, off, s[0:3], 0 offset:84
	buffer_store_dword v92, off, s[0:3], 0 offset:80
	s_and_saveexec_b64 s[4:5], vcc
	s_cbranch_execz .LBB44_259
; %bb.258:
	buffer_load_dword v92, off, s[0:3], 0 offset:72
	buffer_load_dword v93, off, s[0:3], 0 offset:76
	v_mov_b32_e32 v94, 0
	buffer_store_dword v94, off, s[0:3], 0 offset:72
	buffer_store_dword v94, off, s[0:3], 0 offset:76
	s_waitcnt vmcnt(2)
	ds_write_b64 v91, v[92:93]
.LBB44_259:
	s_or_b64 exec, exec, s[4:5]
	s_waitcnt lgkmcnt(0)
	; wave barrier
	buffer_load_dword v101, off, s[0:3], 0 offset:80
	buffer_load_dword v102, off, s[0:3], 0 offset:84
	;; [unrolled: 1-line block ×21, first 2 shown]
	v_mov_b32_e32 v92, 0
	ds_read_b128 v[93:96], v92 offset:448
	ds_read_b128 v[97:100], v92 offset:464
	buffer_load_dword v118, off, s[0:3], 0 offset:164
	v_cmp_lt_u32_e32 vcc, 8, v0
	s_waitcnt vmcnt(20) lgkmcnt(1)
	v_fma_f64 v[93:94], v[101:102], v[93:94], 0
	s_waitcnt vmcnt(18)
	v_fma_f64 v[93:94], v[103:104], v[95:96], v[93:94]
	buffer_load_dword v102, off, s[0:3], 0 offset:172
	buffer_load_dword v103, off, s[0:3], 0 offset:192
	;; [unrolled: 1-line block ×7, first 2 shown]
	s_waitcnt vmcnt(23) lgkmcnt(0)
	v_fma_f64 v[93:94], v[105:106], v[97:98], v[93:94]
	s_waitcnt vmcnt(21)
	v_fma_f64 v[104:105], v[107:108], v[99:100], v[93:94]
	ds_read_b128 v[93:96], v92 offset:480
	ds_read_b128 v[97:100], v92 offset:496
	s_waitcnt vmcnt(19) lgkmcnt(1)
	v_fma_f64 v[93:94], v[109:110], v[93:94], v[104:105]
	buffer_load_dword v104, off, s[0:3], 0 offset:196
	s_waitcnt vmcnt(18)
	v_fma_f64 v[93:94], v[111:112], v[95:96], v[93:94]
	buffer_load_dword v106, off, s[0:3], 0 offset:204
	buffer_load_dword v107, off, s[0:3], 0 offset:224
	;; [unrolled: 1-line block ×8, first 2 shown]
	s_waitcnt vmcnt(24) lgkmcnt(0)
	v_fma_f64 v[93:94], v[113:114], v[97:98], v[93:94]
	s_waitcnt vmcnt(19)
	v_fma_f64 v[113:114], v[115:116], v[99:100], v[93:94]
	ds_read_b128 v[93:96], v92 offset:512
	ds_read_b128 v[97:100], v92 offset:528
	s_waitcnt vmcnt(18) lgkmcnt(1)
	v_fma_f64 v[93:94], v[121:122], v[93:94], v[113:114]
	s_waitcnt vmcnt(17)
	v_fma_f64 v[93:94], v[119:120], v[95:96], v[93:94]
	buffer_load_dword v114, off, s[0:3], 0 offset:236
	buffer_load_dword v115, off, s[0:3], 0 offset:256
	buffer_load_dword v119, off, s[0:3], 0 offset:248
	buffer_load_dword v121, off, s[0:3], 0 offset:240
	buffer_load_dword v113, off, s[0:3], 0 offset:232
	buffer_load_dword v122, off, s[0:3], 0 offset:244
	buffer_load_dword v120, off, s[0:3], 0 offset:252
	s_waitcnt vmcnt(23) lgkmcnt(0)
	v_fma_f64 v[93:94], v[117:118], v[97:98], v[93:94]
	s_waitcnt vmcnt(18)
	v_fma_f64 v[101:102], v[101:102], v[99:100], v[93:94]
	ds_read_b128 v[93:96], v92 offset:544
	ds_read_b128 v[97:100], v92 offset:560
	buffer_load_dword v116, off, s[0:3], 0 offset:260
	s_waitcnt vmcnt(18) lgkmcnt(1)
	v_fma_f64 v[93:94], v[125:126], v[93:94], v[101:102]
	s_waitcnt vmcnt(17)
	v_fma_f64 v[93:94], v[123:124], v[95:96], v[93:94]
	buffer_load_dword v102, off, s[0:3], 0 offset:268
	buffer_load_dword v117, off, s[0:3], 0 offset:288
	;; [unrolled: 1-line block ×8, first 2 shown]
	s_waitcnt vmcnt(24) lgkmcnt(0)
	v_fma_f64 v[93:94], v[103:104], v[97:98], v[93:94]
	s_waitcnt vmcnt(19)
	v_fma_f64 v[103:104], v[105:106], v[99:100], v[93:94]
	ds_read_b128 v[93:96], v92 offset:576
	ds_read_b128 v[97:100], v92 offset:592
	s_waitcnt vmcnt(18) lgkmcnt(1)
	v_fma_f64 v[93:94], v[111:112], v[93:94], v[103:104]
	s_waitcnt vmcnt(17)
	v_fma_f64 v[93:94], v[109:110], v[95:96], v[93:94]
	buffer_load_dword v104, off, s[0:3], 0 offset:300
	buffer_load_dword v105, off, s[0:3], 0 offset:320
	;; [unrolled: 1-line block ×7, first 2 shown]
	s_waitcnt vmcnt(23) lgkmcnt(0)
	v_fma_f64 v[93:94], v[107:108], v[97:98], v[93:94]
	s_waitcnt vmcnt(18)
	v_fma_f64 v[106:107], v[113:114], v[99:100], v[93:94]
	ds_read_b128 v[93:96], v92 offset:608
	ds_read_b128 v[97:100], v92 offset:624
	s_waitcnt vmcnt(17) lgkmcnt(1)
	v_fma_f64 v[93:94], v[121:122], v[93:94], v[106:107]
	buffer_load_dword v106, off, s[0:3], 0 offset:324
	s_waitcnt vmcnt(17)
	v_fma_f64 v[93:94], v[119:120], v[95:96], v[93:94]
	buffer_load_dword v108, off, s[0:3], 0 offset:332
	buffer_load_dword v113, off, s[0:3], 0 offset:352
	;; [unrolled: 1-line block ×8, first 2 shown]
	s_waitcnt vmcnt(24) lgkmcnt(0)
	v_fma_f64 v[93:94], v[115:116], v[97:98], v[93:94]
	s_waitcnt vmcnt(19)
	v_fma_f64 v[101:102], v[101:102], v[99:100], v[93:94]
	ds_read_b128 v[93:96], v92 offset:640
	ds_read_b128 v[97:100], v92 offset:656
	s_waitcnt vmcnt(18) lgkmcnt(1)
	v_fma_f64 v[93:94], v[125:126], v[93:94], v[101:102]
	buffer_load_dword v101, off, s[0:3], 0 offset:72
	buffer_load_dword v102, off, s[0:3], 0 offset:76
	s_waitcnt vmcnt(19)
	v_fma_f64 v[93:94], v[123:124], v[95:96], v[93:94]
	s_waitcnt vmcnt(18) lgkmcnt(0)
	v_fma_f64 v[93:94], v[117:118], v[97:98], v[93:94]
	s_waitcnt vmcnt(13)
	v_fma_f64 v[103:104], v[103:104], v[99:100], v[93:94]
	ds_read_b128 v[93:96], v92 offset:672
	ds_read_b128 v[97:100], v92 offset:688
	s_waitcnt vmcnt(12) lgkmcnt(1)
	v_fma_f64 v[93:94], v[111:112], v[93:94], v[103:104]
	s_waitcnt vmcnt(11)
	v_fma_f64 v[93:94], v[109:110], v[95:96], v[93:94]
	s_waitcnt vmcnt(10) lgkmcnt(0)
	v_fma_f64 v[93:94], v[105:106], v[97:98], v[93:94]
	s_waitcnt vmcnt(5)
	v_fma_f64 v[97:98], v[107:108], v[99:100], v[93:94]
	ds_read_b128 v[93:96], v92 offset:704
	ds_read_b64 v[99:100], v92 offset:720
	s_waitcnt vmcnt(4) lgkmcnt(1)
	v_fma_f64 v[93:94], v[121:122], v[93:94], v[97:98]
	s_waitcnt vmcnt(3)
	v_fma_f64 v[93:94], v[119:120], v[95:96], v[93:94]
	s_waitcnt vmcnt(2) lgkmcnt(0)
	v_fma_f64 v[93:94], v[113:114], v[99:100], v[93:94]
	s_waitcnt vmcnt(0)
	v_add_f64 v[93:94], v[101:102], -v[93:94]
	buffer_store_dword v94, off, s[0:3], 0 offset:76
	buffer_store_dword v93, off, s[0:3], 0 offset:72
	s_and_saveexec_b64 s[4:5], vcc
	s_cbranch_execz .LBB44_261
; %bb.260:
	buffer_load_dword v93, off, s[0:3], 0 offset:64
	buffer_load_dword v94, off, s[0:3], 0 offset:68
	s_waitcnt vmcnt(0)
	ds_write_b64 v91, v[93:94]
	buffer_store_dword v92, off, s[0:3], 0 offset:64
	buffer_store_dword v92, off, s[0:3], 0 offset:68
.LBB44_261:
	s_or_b64 exec, exec, s[4:5]
	s_waitcnt lgkmcnt(0)
	; wave barrier
	buffer_load_dword v101, off, s[0:3], 0 offset:72
	buffer_load_dword v102, off, s[0:3], 0 offset:76
	;; [unrolled: 1-line block ×21, first 2 shown]
	ds_read2_b64 v[93:96], v92 offset0:55 offset1:56
	ds_read2_b64 v[97:100], v92 offset0:57 offset1:58
	buffer_load_dword v118, off, s[0:3], 0 offset:156
	v_cmp_lt_u32_e32 vcc, 7, v0
	s_waitcnt vmcnt(20) lgkmcnt(1)
	v_fma_f64 v[93:94], v[101:102], v[93:94], 0
	s_waitcnt vmcnt(18)
	v_fma_f64 v[93:94], v[103:104], v[95:96], v[93:94]
	buffer_load_dword v102, off, s[0:3], 0 offset:164
	buffer_load_dword v103, off, s[0:3], 0 offset:184
	;; [unrolled: 1-line block ×7, first 2 shown]
	s_waitcnt vmcnt(23) lgkmcnt(0)
	v_fma_f64 v[93:94], v[105:106], v[97:98], v[93:94]
	s_waitcnt vmcnt(21)
	v_fma_f64 v[104:105], v[107:108], v[99:100], v[93:94]
	ds_read2_b64 v[93:96], v92 offset0:59 offset1:60
	ds_read2_b64 v[97:100], v92 offset0:61 offset1:62
	s_waitcnt vmcnt(19) lgkmcnt(1)
	v_fma_f64 v[93:94], v[109:110], v[93:94], v[104:105]
	buffer_load_dword v104, off, s[0:3], 0 offset:188
	s_waitcnt vmcnt(18)
	v_fma_f64 v[93:94], v[111:112], v[95:96], v[93:94]
	buffer_load_dword v106, off, s[0:3], 0 offset:196
	buffer_load_dword v107, off, s[0:3], 0 offset:216
	;; [unrolled: 1-line block ×8, first 2 shown]
	s_waitcnt vmcnt(24) lgkmcnt(0)
	v_fma_f64 v[93:94], v[113:114], v[97:98], v[93:94]
	s_waitcnt vmcnt(19)
	v_fma_f64 v[113:114], v[115:116], v[99:100], v[93:94]
	ds_read2_b64 v[93:96], v92 offset0:63 offset1:64
	ds_read2_b64 v[97:100], v92 offset0:65 offset1:66
	s_waitcnt vmcnt(18) lgkmcnt(1)
	v_fma_f64 v[93:94], v[121:122], v[93:94], v[113:114]
	s_waitcnt vmcnt(17)
	v_fma_f64 v[93:94], v[119:120], v[95:96], v[93:94]
	buffer_load_dword v114, off, s[0:3], 0 offset:228
	buffer_load_dword v115, off, s[0:3], 0 offset:248
	buffer_load_dword v119, off, s[0:3], 0 offset:240
	buffer_load_dword v121, off, s[0:3], 0 offset:232
	buffer_load_dword v113, off, s[0:3], 0 offset:224
	buffer_load_dword v122, off, s[0:3], 0 offset:236
	buffer_load_dword v120, off, s[0:3], 0 offset:244
	s_waitcnt vmcnt(23) lgkmcnt(0)
	v_fma_f64 v[93:94], v[117:118], v[97:98], v[93:94]
	s_waitcnt vmcnt(18)
	v_fma_f64 v[101:102], v[101:102], v[99:100], v[93:94]
	ds_read2_b64 v[93:96], v92 offset0:67 offset1:68
	ds_read2_b64 v[97:100], v92 offset0:69 offset1:70
	buffer_load_dword v116, off, s[0:3], 0 offset:252
	s_waitcnt vmcnt(18) lgkmcnt(1)
	v_fma_f64 v[93:94], v[125:126], v[93:94], v[101:102]
	s_waitcnt vmcnt(17)
	v_fma_f64 v[93:94], v[123:124], v[95:96], v[93:94]
	buffer_load_dword v102, off, s[0:3], 0 offset:260
	buffer_load_dword v117, off, s[0:3], 0 offset:280
	;; [unrolled: 1-line block ×8, first 2 shown]
	s_waitcnt vmcnt(24) lgkmcnt(0)
	v_fma_f64 v[93:94], v[103:104], v[97:98], v[93:94]
	s_waitcnt vmcnt(19)
	v_fma_f64 v[103:104], v[105:106], v[99:100], v[93:94]
	ds_read2_b64 v[93:96], v92 offset0:71 offset1:72
	ds_read2_b64 v[97:100], v92 offset0:73 offset1:74
	s_waitcnt vmcnt(18) lgkmcnt(1)
	v_fma_f64 v[93:94], v[111:112], v[93:94], v[103:104]
	s_waitcnt vmcnt(17)
	v_fma_f64 v[93:94], v[109:110], v[95:96], v[93:94]
	buffer_load_dword v104, off, s[0:3], 0 offset:292
	buffer_load_dword v105, off, s[0:3], 0 offset:312
	;; [unrolled: 1-line block ×7, first 2 shown]
	s_waitcnt vmcnt(23) lgkmcnt(0)
	v_fma_f64 v[93:94], v[107:108], v[97:98], v[93:94]
	s_waitcnt vmcnt(18)
	v_fma_f64 v[106:107], v[113:114], v[99:100], v[93:94]
	ds_read2_b64 v[93:96], v92 offset0:75 offset1:76
	ds_read2_b64 v[97:100], v92 offset0:77 offset1:78
	s_waitcnt vmcnt(17) lgkmcnt(1)
	v_fma_f64 v[93:94], v[121:122], v[93:94], v[106:107]
	buffer_load_dword v106, off, s[0:3], 0 offset:316
	s_waitcnt vmcnt(17)
	v_fma_f64 v[93:94], v[119:120], v[95:96], v[93:94]
	buffer_load_dword v108, off, s[0:3], 0 offset:324
	buffer_load_dword v113, off, s[0:3], 0 offset:344
	;; [unrolled: 1-line block ×8, first 2 shown]
	s_waitcnt vmcnt(24) lgkmcnt(0)
	v_fma_f64 v[93:94], v[115:116], v[97:98], v[93:94]
	s_waitcnt vmcnt(19)
	v_fma_f64 v[101:102], v[101:102], v[99:100], v[93:94]
	ds_read2_b64 v[93:96], v92 offset0:79 offset1:80
	ds_read2_b64 v[97:100], v92 offset0:81 offset1:82
	s_waitcnt vmcnt(18) lgkmcnt(1)
	v_fma_f64 v[93:94], v[125:126], v[93:94], v[101:102]
	buffer_load_dword v102, off, s[0:3], 0 offset:356
	buffer_load_dword v101, off, s[0:3], 0 offset:352
	;; [unrolled: 1-line block ×4, first 2 shown]
	s_waitcnt vmcnt(21)
	v_fma_f64 v[93:94], v[123:124], v[95:96], v[93:94]
	s_waitcnt vmcnt(20) lgkmcnt(0)
	v_fma_f64 v[93:94], v[117:118], v[97:98], v[93:94]
	s_waitcnt vmcnt(15)
	v_fma_f64 v[103:104], v[103:104], v[99:100], v[93:94]
	ds_read2_b64 v[93:96], v92 offset0:83 offset1:84
	ds_read2_b64 v[97:100], v92 offset0:85 offset1:86
	s_waitcnt vmcnt(14) lgkmcnt(1)
	v_fma_f64 v[93:94], v[111:112], v[93:94], v[103:104]
	s_waitcnt vmcnt(13)
	v_fma_f64 v[93:94], v[109:110], v[95:96], v[93:94]
	s_waitcnt vmcnt(12) lgkmcnt(0)
	v_fma_f64 v[93:94], v[105:106], v[97:98], v[93:94]
	s_waitcnt vmcnt(7)
	v_fma_f64 v[103:104], v[107:108], v[99:100], v[93:94]
	ds_read2_b64 v[93:96], v92 offset0:87 offset1:88
	ds_read2_b64 v[97:100], v92 offset0:89 offset1:90
	s_waitcnt vmcnt(6) lgkmcnt(1)
	v_fma_f64 v[92:93], v[121:122], v[93:94], v[103:104]
	s_waitcnt vmcnt(5)
	v_fma_f64 v[92:93], v[119:120], v[95:96], v[92:93]
	s_waitcnt vmcnt(4) lgkmcnt(0)
	v_fma_f64 v[92:93], v[113:114], v[97:98], v[92:93]
	s_waitcnt vmcnt(2)
	v_fma_f64 v[92:93], v[101:102], v[99:100], v[92:93]
	s_waitcnt vmcnt(0)
	v_add_f64 v[92:93], v[115:116], -v[92:93]
	buffer_store_dword v93, off, s[0:3], 0 offset:68
	buffer_store_dword v92, off, s[0:3], 0 offset:64
	s_and_saveexec_b64 s[4:5], vcc
	s_cbranch_execz .LBB44_263
; %bb.262:
	buffer_load_dword v92, off, s[0:3], 0 offset:56
	buffer_load_dword v93, off, s[0:3], 0 offset:60
	v_mov_b32_e32 v94, 0
	buffer_store_dword v94, off, s[0:3], 0 offset:56
	buffer_store_dword v94, off, s[0:3], 0 offset:60
	s_waitcnt vmcnt(2)
	ds_write_b64 v91, v[92:93]
.LBB44_263:
	s_or_b64 exec, exec, s[4:5]
	s_waitcnt lgkmcnt(0)
	; wave barrier
	buffer_load_dword v101, off, s[0:3], 0 offset:64
	buffer_load_dword v102, off, s[0:3], 0 offset:68
	;; [unrolled: 1-line block ×21, first 2 shown]
	v_mov_b32_e32 v92, 0
	ds_read_b128 v[93:96], v92 offset:432
	ds_read_b128 v[97:100], v92 offset:448
	buffer_load_dword v118, off, s[0:3], 0 offset:148
	v_cmp_lt_u32_e32 vcc, 6, v0
	s_waitcnt vmcnt(20) lgkmcnt(1)
	v_fma_f64 v[93:94], v[101:102], v[93:94], 0
	s_waitcnt vmcnt(18)
	v_fma_f64 v[93:94], v[103:104], v[95:96], v[93:94]
	buffer_load_dword v102, off, s[0:3], 0 offset:156
	buffer_load_dword v103, off, s[0:3], 0 offset:176
	;; [unrolled: 1-line block ×7, first 2 shown]
	s_waitcnt vmcnt(23) lgkmcnt(0)
	v_fma_f64 v[93:94], v[105:106], v[97:98], v[93:94]
	s_waitcnt vmcnt(21)
	v_fma_f64 v[104:105], v[107:108], v[99:100], v[93:94]
	ds_read_b128 v[93:96], v92 offset:464
	ds_read_b128 v[97:100], v92 offset:480
	s_waitcnt vmcnt(19) lgkmcnt(1)
	v_fma_f64 v[93:94], v[109:110], v[93:94], v[104:105]
	buffer_load_dword v104, off, s[0:3], 0 offset:180
	s_waitcnt vmcnt(18)
	v_fma_f64 v[93:94], v[111:112], v[95:96], v[93:94]
	buffer_load_dword v106, off, s[0:3], 0 offset:188
	buffer_load_dword v107, off, s[0:3], 0 offset:208
	;; [unrolled: 1-line block ×8, first 2 shown]
	s_waitcnt vmcnt(24) lgkmcnt(0)
	v_fma_f64 v[93:94], v[113:114], v[97:98], v[93:94]
	s_waitcnt vmcnt(19)
	v_fma_f64 v[113:114], v[115:116], v[99:100], v[93:94]
	ds_read_b128 v[93:96], v92 offset:496
	ds_read_b128 v[97:100], v92 offset:512
	s_waitcnt vmcnt(18) lgkmcnt(1)
	v_fma_f64 v[93:94], v[121:122], v[93:94], v[113:114]
	s_waitcnt vmcnt(17)
	v_fma_f64 v[93:94], v[119:120], v[95:96], v[93:94]
	buffer_load_dword v114, off, s[0:3], 0 offset:220
	buffer_load_dword v115, off, s[0:3], 0 offset:240
	;; [unrolled: 1-line block ×7, first 2 shown]
	s_waitcnt vmcnt(23) lgkmcnt(0)
	v_fma_f64 v[93:94], v[117:118], v[97:98], v[93:94]
	s_waitcnt vmcnt(18)
	v_fma_f64 v[101:102], v[101:102], v[99:100], v[93:94]
	ds_read_b128 v[93:96], v92 offset:528
	ds_read_b128 v[97:100], v92 offset:544
	buffer_load_dword v116, off, s[0:3], 0 offset:244
	s_waitcnt vmcnt(18) lgkmcnt(1)
	v_fma_f64 v[93:94], v[125:126], v[93:94], v[101:102]
	s_waitcnt vmcnt(17)
	v_fma_f64 v[93:94], v[123:124], v[95:96], v[93:94]
	buffer_load_dword v102, off, s[0:3], 0 offset:252
	buffer_load_dword v117, off, s[0:3], 0 offset:272
	;; [unrolled: 1-line block ×7, first 2 shown]
	s_waitcnt vmcnt(23) lgkmcnt(0)
	v_fma_f64 v[93:94], v[103:104], v[97:98], v[93:94]
	s_waitcnt vmcnt(18)
	v_fma_f64 v[103:104], v[105:106], v[99:100], v[93:94]
	ds_read_b128 v[93:96], v92 offset:560
	ds_read_b128 v[97:100], v92 offset:576
	buffer_load_dword v118, off, s[0:3], 0 offset:276
	s_waitcnt vmcnt(18) lgkmcnt(1)
	v_fma_f64 v[93:94], v[111:112], v[93:94], v[103:104]
	s_waitcnt vmcnt(17)
	v_fma_f64 v[93:94], v[109:110], v[95:96], v[93:94]
	buffer_load_dword v104, off, s[0:3], 0 offset:284
	buffer_load_dword v105, off, s[0:3], 0 offset:304
	;; [unrolled: 1-line block ×7, first 2 shown]
	s_waitcnt vmcnt(23) lgkmcnt(0)
	v_fma_f64 v[93:94], v[107:108], v[97:98], v[93:94]
	s_waitcnt vmcnt(18)
	v_fma_f64 v[106:107], v[113:114], v[99:100], v[93:94]
	ds_read_b128 v[93:96], v92 offset:592
	ds_read_b128 v[97:100], v92 offset:608
	s_waitcnt vmcnt(17) lgkmcnt(1)
	v_fma_f64 v[93:94], v[121:122], v[93:94], v[106:107]
	buffer_load_dword v106, off, s[0:3], 0 offset:308
	s_waitcnt vmcnt(17)
	v_fma_f64 v[93:94], v[119:120], v[95:96], v[93:94]
	buffer_load_dword v108, off, s[0:3], 0 offset:316
	buffer_load_dword v113, off, s[0:3], 0 offset:336
	;; [unrolled: 1-line block ×7, first 2 shown]
	s_waitcnt vmcnt(23) lgkmcnt(0)
	v_fma_f64 v[93:94], v[115:116], v[97:98], v[93:94]
	s_waitcnt vmcnt(18)
	v_fma_f64 v[101:102], v[101:102], v[99:100], v[93:94]
	ds_read_b128 v[93:96], v92 offset:624
	ds_read_b128 v[97:100], v92 offset:640
	buffer_load_dword v114, off, s[0:3], 0 offset:340
	s_waitcnt vmcnt(18) lgkmcnt(1)
	v_fma_f64 v[93:94], v[125:126], v[93:94], v[101:102]
	buffer_load_dword v102, off, s[0:3], 0 offset:348
	buffer_load_dword v115, off, s[0:3], 0 offset:352
	;; [unrolled: 1-line block ×4, first 2 shown]
	s_waitcnt vmcnt(21)
	v_fma_f64 v[93:94], v[123:124], v[95:96], v[93:94]
	s_waitcnt vmcnt(20) lgkmcnt(0)
	v_fma_f64 v[93:94], v[117:118], v[97:98], v[93:94]
	buffer_load_dword v117, off, s[0:3], 0 offset:56
	buffer_load_dword v118, off, s[0:3], 0 offset:60
	s_waitcnt vmcnt(17)
	v_fma_f64 v[103:104], v[103:104], v[99:100], v[93:94]
	ds_read_b128 v[93:96], v92 offset:656
	ds_read_b128 v[97:100], v92 offset:672
	s_waitcnt vmcnt(16) lgkmcnt(1)
	v_fma_f64 v[93:94], v[111:112], v[93:94], v[103:104]
	s_waitcnt vmcnt(15)
	v_fma_f64 v[93:94], v[109:110], v[95:96], v[93:94]
	s_waitcnt vmcnt(14) lgkmcnt(0)
	v_fma_f64 v[93:94], v[105:106], v[97:98], v[93:94]
	s_waitcnt vmcnt(9)
	v_fma_f64 v[103:104], v[107:108], v[99:100], v[93:94]
	ds_read_b128 v[93:96], v92 offset:688
	ds_read_b128 v[97:100], v92 offset:704
	s_waitcnt vmcnt(8) lgkmcnt(1)
	v_fma_f64 v[93:94], v[121:122], v[93:94], v[103:104]
	s_waitcnt vmcnt(7)
	v_fma_f64 v[93:94], v[119:120], v[95:96], v[93:94]
	ds_read_b64 v[95:96], v92 offset:720
	s_waitcnt vmcnt(6) lgkmcnt(1)
	v_fma_f64 v[93:94], v[113:114], v[97:98], v[93:94]
	s_waitcnt vmcnt(3)
	v_fma_f64 v[93:94], v[101:102], v[99:100], v[93:94]
	s_waitcnt vmcnt(2) lgkmcnt(0)
	v_fma_f64 v[93:94], v[115:116], v[95:96], v[93:94]
	s_waitcnt vmcnt(0)
	v_add_f64 v[93:94], v[117:118], -v[93:94]
	buffer_store_dword v94, off, s[0:3], 0 offset:60
	buffer_store_dword v93, off, s[0:3], 0 offset:56
	s_and_saveexec_b64 s[4:5], vcc
	s_cbranch_execz .LBB44_265
; %bb.264:
	buffer_load_dword v93, off, s[0:3], 0 offset:48
	buffer_load_dword v94, off, s[0:3], 0 offset:52
	s_waitcnt vmcnt(0)
	ds_write_b64 v91, v[93:94]
	buffer_store_dword v92, off, s[0:3], 0 offset:48
	buffer_store_dword v92, off, s[0:3], 0 offset:52
.LBB44_265:
	s_or_b64 exec, exec, s[4:5]
	s_waitcnt lgkmcnt(0)
	; wave barrier
	buffer_load_dword v101, off, s[0:3], 0 offset:56
	buffer_load_dword v102, off, s[0:3], 0 offset:60
	;; [unrolled: 1-line block ×22, first 2 shown]
	ds_read2_b64 v[93:96], v92 offset0:53 offset1:54
	ds_read2_b64 v[97:100], v92 offset0:55 offset1:56
	v_cmp_lt_u32_e32 vcc, 5, v0
	s_waitcnt vmcnt(20) lgkmcnt(1)
	v_fma_f64 v[93:94], v[101:102], v[93:94], 0
	s_waitcnt vmcnt(18)
	v_fma_f64 v[93:94], v[103:104], v[95:96], v[93:94]
	buffer_load_dword v102, off, s[0:3], 0 offset:148
	buffer_load_dword v103, off, s[0:3], 0 offset:168
	;; [unrolled: 1-line block ×7, first 2 shown]
	s_waitcnt vmcnt(23) lgkmcnt(0)
	v_fma_f64 v[93:94], v[105:106], v[97:98], v[93:94]
	s_waitcnt vmcnt(21)
	v_fma_f64 v[104:105], v[107:108], v[99:100], v[93:94]
	ds_read2_b64 v[93:96], v92 offset0:57 offset1:58
	ds_read2_b64 v[97:100], v92 offset0:59 offset1:60
	s_waitcnt vmcnt(19) lgkmcnt(1)
	v_fma_f64 v[93:94], v[109:110], v[93:94], v[104:105]
	buffer_load_dword v104, off, s[0:3], 0 offset:172
	s_waitcnt vmcnt(18)
	v_fma_f64 v[93:94], v[111:112], v[95:96], v[93:94]
	buffer_load_dword v106, off, s[0:3], 0 offset:180
	buffer_load_dword v107, off, s[0:3], 0 offset:200
	;; [unrolled: 1-line block ×8, first 2 shown]
	s_waitcnt vmcnt(24) lgkmcnt(0)
	v_fma_f64 v[93:94], v[113:114], v[97:98], v[93:94]
	s_waitcnt vmcnt(19)
	v_fma_f64 v[113:114], v[115:116], v[99:100], v[93:94]
	ds_read2_b64 v[93:96], v92 offset0:61 offset1:62
	ds_read2_b64 v[97:100], v92 offset0:63 offset1:64
	s_waitcnt vmcnt(18) lgkmcnt(1)
	v_fma_f64 v[93:94], v[121:122], v[93:94], v[113:114]
	s_waitcnt vmcnt(17)
	v_fma_f64 v[93:94], v[119:120], v[95:96], v[93:94]
	buffer_load_dword v114, off, s[0:3], 0 offset:212
	buffer_load_dword v115, off, s[0:3], 0 offset:232
	;; [unrolled: 1-line block ×8, first 2 shown]
	s_waitcnt vmcnt(24) lgkmcnt(0)
	v_fma_f64 v[93:94], v[117:118], v[97:98], v[93:94]
	s_waitcnt vmcnt(19)
	v_fma_f64 v[101:102], v[101:102], v[99:100], v[93:94]
	ds_read2_b64 v[93:96], v92 offset0:65 offset1:66
	ds_read2_b64 v[97:100], v92 offset0:67 offset1:68
	s_waitcnt vmcnt(18) lgkmcnt(1)
	v_fma_f64 v[93:94], v[125:126], v[93:94], v[101:102]
	s_waitcnt vmcnt(17)
	v_fma_f64 v[93:94], v[123:124], v[95:96], v[93:94]
	buffer_load_dword v102, off, s[0:3], 0 offset:244
	buffer_load_dword v117, off, s[0:3], 0 offset:264
	;; [unrolled: 1-line block ×7, first 2 shown]
	s_waitcnt vmcnt(23) lgkmcnt(0)
	v_fma_f64 v[93:94], v[103:104], v[97:98], v[93:94]
	s_waitcnt vmcnt(18)
	v_fma_f64 v[103:104], v[105:106], v[99:100], v[93:94]
	ds_read2_b64 v[93:96], v92 offset0:69 offset1:70
	ds_read2_b64 v[97:100], v92 offset0:71 offset1:72
	buffer_load_dword v118, off, s[0:3], 0 offset:268
	s_waitcnt vmcnt(18) lgkmcnt(1)
	v_fma_f64 v[93:94], v[111:112], v[93:94], v[103:104]
	s_waitcnt vmcnt(17)
	v_fma_f64 v[93:94], v[109:110], v[95:96], v[93:94]
	buffer_load_dword v104, off, s[0:3], 0 offset:276
	buffer_load_dword v105, off, s[0:3], 0 offset:296
	buffer_load_dword v109, off, s[0:3], 0 offset:288
	buffer_load_dword v111, off, s[0:3], 0 offset:280
	buffer_load_dword v103, off, s[0:3], 0 offset:272
	buffer_load_dword v112, off, s[0:3], 0 offset:284
	buffer_load_dword v110, off, s[0:3], 0 offset:292
	s_waitcnt vmcnt(23) lgkmcnt(0)
	v_fma_f64 v[93:94], v[107:108], v[97:98], v[93:94]
	s_waitcnt vmcnt(18)
	v_fma_f64 v[106:107], v[113:114], v[99:100], v[93:94]
	ds_read2_b64 v[93:96], v92 offset0:73 offset1:74
	ds_read2_b64 v[97:100], v92 offset0:75 offset1:76
	s_waitcnt vmcnt(17) lgkmcnt(1)
	v_fma_f64 v[93:94], v[121:122], v[93:94], v[106:107]
	buffer_load_dword v106, off, s[0:3], 0 offset:300
	s_waitcnt vmcnt(17)
	v_fma_f64 v[93:94], v[119:120], v[95:96], v[93:94]
	buffer_load_dword v108, off, s[0:3], 0 offset:308
	buffer_load_dword v113, off, s[0:3], 0 offset:328
	;; [unrolled: 1-line block ×8, first 2 shown]
	s_waitcnt vmcnt(24) lgkmcnt(0)
	v_fma_f64 v[93:94], v[115:116], v[97:98], v[93:94]
	s_waitcnt vmcnt(19)
	v_fma_f64 v[101:102], v[101:102], v[99:100], v[93:94]
	ds_read2_b64 v[93:96], v92 offset0:77 offset1:78
	ds_read2_b64 v[97:100], v92 offset0:79 offset1:80
	s_waitcnt vmcnt(18) lgkmcnt(1)
	v_fma_f64 v[93:94], v[125:126], v[93:94], v[101:102]
	s_waitcnt vmcnt(17)
	v_fma_f64 v[93:94], v[123:124], v[95:96], v[93:94]
	buffer_load_dword v102, off, s[0:3], 0 offset:340
	buffer_load_dword v115, off, s[0:3], 0 offset:352
	;; [unrolled: 1-line block ×6, first 2 shown]
	s_waitcnt vmcnt(22) lgkmcnt(0)
	v_fma_f64 v[93:94], v[117:118], v[97:98], v[93:94]
	s_waitcnt vmcnt(17)
	v_fma_f64 v[103:104], v[103:104], v[99:100], v[93:94]
	ds_read2_b64 v[93:96], v92 offset0:81 offset1:82
	buffer_load_dword v117, off, s[0:3], 0 offset:48
	buffer_load_dword v118, off, s[0:3], 0 offset:52
	ds_read2_b64 v[97:100], v92 offset0:83 offset1:84
	s_waitcnt vmcnt(18) lgkmcnt(1)
	v_fma_f64 v[93:94], v[111:112], v[93:94], v[103:104]
	s_waitcnt vmcnt(17)
	v_fma_f64 v[93:94], v[109:110], v[95:96], v[93:94]
	s_waitcnt vmcnt(16) lgkmcnt(0)
	v_fma_f64 v[93:94], v[105:106], v[97:98], v[93:94]
	s_waitcnt vmcnt(11)
	v_fma_f64 v[103:104], v[107:108], v[99:100], v[93:94]
	ds_read2_b64 v[93:96], v92 offset0:85 offset1:86
	ds_read2_b64 v[97:100], v92 offset0:87 offset1:88
	s_waitcnt vmcnt(10) lgkmcnt(1)
	v_fma_f64 v[93:94], v[121:122], v[93:94], v[103:104]
	s_waitcnt vmcnt(9)
	v_fma_f64 v[93:94], v[119:120], v[95:96], v[93:94]
	s_waitcnt vmcnt(8) lgkmcnt(0)
	v_fma_f64 v[93:94], v[113:114], v[97:98], v[93:94]
	s_waitcnt vmcnt(4)
	v_fma_f64 v[96:97], v[101:102], v[99:100], v[93:94]
	ds_read2_b64 v[92:95], v92 offset0:89 offset1:90
	s_waitcnt vmcnt(3) lgkmcnt(0)
	v_fma_f64 v[92:93], v[123:124], v[92:93], v[96:97]
	s_waitcnt vmcnt(2)
	v_fma_f64 v[92:93], v[115:116], v[94:95], v[92:93]
	s_waitcnt vmcnt(0)
	v_add_f64 v[92:93], v[117:118], -v[92:93]
	buffer_store_dword v93, off, s[0:3], 0 offset:52
	buffer_store_dword v92, off, s[0:3], 0 offset:48
	s_and_saveexec_b64 s[4:5], vcc
	s_cbranch_execz .LBB44_267
; %bb.266:
	buffer_load_dword v92, off, s[0:3], 0 offset:40
	buffer_load_dword v93, off, s[0:3], 0 offset:44
	v_mov_b32_e32 v94, 0
	buffer_store_dword v94, off, s[0:3], 0 offset:40
	buffer_store_dword v94, off, s[0:3], 0 offset:44
	s_waitcnt vmcnt(2)
	ds_write_b64 v91, v[92:93]
.LBB44_267:
	s_or_b64 exec, exec, s[4:5]
	s_waitcnt lgkmcnt(0)
	; wave barrier
	buffer_load_dword v101, off, s[0:3], 0 offset:48
	buffer_load_dword v102, off, s[0:3], 0 offset:52
	;; [unrolled: 1-line block ×22, first 2 shown]
	v_mov_b32_e32 v92, 0
	ds_read_b128 v[93:96], v92 offset:416
	ds_read_b128 v[97:100], v92 offset:432
	v_cmp_lt_u32_e32 vcc, 4, v0
	s_waitcnt vmcnt(20) lgkmcnt(1)
	v_fma_f64 v[93:94], v[101:102], v[93:94], 0
	s_waitcnt vmcnt(18)
	v_fma_f64 v[93:94], v[103:104], v[95:96], v[93:94]
	buffer_load_dword v102, off, s[0:3], 0 offset:140
	buffer_load_dword v103, off, s[0:3], 0 offset:160
	;; [unrolled: 1-line block ×7, first 2 shown]
	s_waitcnt vmcnt(23) lgkmcnt(0)
	v_fma_f64 v[93:94], v[105:106], v[97:98], v[93:94]
	s_waitcnt vmcnt(21)
	v_fma_f64 v[104:105], v[107:108], v[99:100], v[93:94]
	ds_read_b128 v[93:96], v92 offset:448
	ds_read_b128 v[97:100], v92 offset:464
	s_waitcnt vmcnt(19) lgkmcnt(1)
	v_fma_f64 v[93:94], v[109:110], v[93:94], v[104:105]
	buffer_load_dword v104, off, s[0:3], 0 offset:164
	s_waitcnt vmcnt(18)
	v_fma_f64 v[93:94], v[111:112], v[95:96], v[93:94]
	buffer_load_dword v106, off, s[0:3], 0 offset:172
	buffer_load_dword v107, off, s[0:3], 0 offset:192
	;; [unrolled: 1-line block ×8, first 2 shown]
	s_waitcnt vmcnt(24) lgkmcnt(0)
	v_fma_f64 v[93:94], v[113:114], v[97:98], v[93:94]
	s_waitcnt vmcnt(19)
	v_fma_f64 v[113:114], v[115:116], v[99:100], v[93:94]
	ds_read_b128 v[93:96], v92 offset:480
	ds_read_b128 v[97:100], v92 offset:496
	s_waitcnt vmcnt(18) lgkmcnt(1)
	v_fma_f64 v[93:94], v[121:122], v[93:94], v[113:114]
	s_waitcnt vmcnt(17)
	v_fma_f64 v[93:94], v[119:120], v[95:96], v[93:94]
	buffer_load_dword v114, off, s[0:3], 0 offset:204
	buffer_load_dword v115, off, s[0:3], 0 offset:224
	buffer_load_dword v119, off, s[0:3], 0 offset:216
	buffer_load_dword v121, off, s[0:3], 0 offset:208
	buffer_load_dword v113, off, s[0:3], 0 offset:200
	buffer_load_dword v122, off, s[0:3], 0 offset:212
	buffer_load_dword v120, off, s[0:3], 0 offset:220
	buffer_load_dword v116, off, s[0:3], 0 offset:228
	s_waitcnt vmcnt(24) lgkmcnt(0)
	v_fma_f64 v[93:94], v[117:118], v[97:98], v[93:94]
	s_waitcnt vmcnt(19)
	v_fma_f64 v[101:102], v[101:102], v[99:100], v[93:94]
	ds_read_b128 v[93:96], v92 offset:512
	ds_read_b128 v[97:100], v92 offset:528
	s_waitcnt vmcnt(18) lgkmcnt(1)
	v_fma_f64 v[93:94], v[125:126], v[93:94], v[101:102]
	s_waitcnt vmcnt(17)
	v_fma_f64 v[93:94], v[123:124], v[95:96], v[93:94]
	buffer_load_dword v102, off, s[0:3], 0 offset:236
	buffer_load_dword v117, off, s[0:3], 0 offset:256
	;; [unrolled: 1-line block ×7, first 2 shown]
	s_waitcnt vmcnt(23) lgkmcnt(0)
	v_fma_f64 v[93:94], v[103:104], v[97:98], v[93:94]
	s_waitcnt vmcnt(18)
	v_fma_f64 v[103:104], v[105:106], v[99:100], v[93:94]
	ds_read_b128 v[93:96], v92 offset:544
	ds_read_b128 v[97:100], v92 offset:560
	buffer_load_dword v118, off, s[0:3], 0 offset:260
	s_waitcnt vmcnt(18) lgkmcnt(1)
	v_fma_f64 v[93:94], v[111:112], v[93:94], v[103:104]
	s_waitcnt vmcnt(17)
	v_fma_f64 v[93:94], v[109:110], v[95:96], v[93:94]
	buffer_load_dword v104, off, s[0:3], 0 offset:268
	buffer_load_dword v105, off, s[0:3], 0 offset:288
	;; [unrolled: 1-line block ×7, first 2 shown]
	s_waitcnt vmcnt(23) lgkmcnt(0)
	v_fma_f64 v[93:94], v[107:108], v[97:98], v[93:94]
	s_waitcnt vmcnt(18)
	v_fma_f64 v[106:107], v[113:114], v[99:100], v[93:94]
	ds_read_b128 v[93:96], v92 offset:576
	ds_read_b128 v[97:100], v92 offset:592
	s_waitcnt vmcnt(17) lgkmcnt(1)
	v_fma_f64 v[93:94], v[121:122], v[93:94], v[106:107]
	buffer_load_dword v106, off, s[0:3], 0 offset:292
	s_waitcnt vmcnt(17)
	v_fma_f64 v[93:94], v[119:120], v[95:96], v[93:94]
	buffer_load_dword v108, off, s[0:3], 0 offset:300
	buffer_load_dword v113, off, s[0:3], 0 offset:320
	;; [unrolled: 1-line block ×8, first 2 shown]
	s_waitcnt vmcnt(24) lgkmcnt(0)
	v_fma_f64 v[93:94], v[115:116], v[97:98], v[93:94]
	s_waitcnt vmcnt(19)
	v_fma_f64 v[101:102], v[101:102], v[99:100], v[93:94]
	ds_read_b128 v[93:96], v92 offset:608
	ds_read_b128 v[97:100], v92 offset:624
	s_waitcnt vmcnt(18) lgkmcnt(1)
	v_fma_f64 v[93:94], v[125:126], v[93:94], v[101:102]
	s_waitcnt vmcnt(17)
	v_fma_f64 v[93:94], v[123:124], v[95:96], v[93:94]
	buffer_load_dword v102, off, s[0:3], 0 offset:332
	buffer_load_dword v115, off, s[0:3], 0 offset:352
	;; [unrolled: 1-line block ×8, first 2 shown]
	s_waitcnt vmcnt(24) lgkmcnt(0)
	v_fma_f64 v[93:94], v[117:118], v[97:98], v[93:94]
	s_waitcnt vmcnt(19)
	v_fma_f64 v[103:104], v[103:104], v[99:100], v[93:94]
	ds_read_b128 v[93:96], v92 offset:640
	ds_read_b128 v[97:100], v92 offset:656
	s_waitcnt vmcnt(18) lgkmcnt(1)
	v_fma_f64 v[93:94], v[111:112], v[93:94], v[103:104]
	buffer_load_dword v103, off, s[0:3], 0 offset:40
	buffer_load_dword v104, off, s[0:3], 0 offset:44
	s_waitcnt vmcnt(19)
	v_fma_f64 v[93:94], v[109:110], v[95:96], v[93:94]
	s_waitcnt vmcnt(18) lgkmcnt(0)
	v_fma_f64 v[93:94], v[105:106], v[97:98], v[93:94]
	s_waitcnt vmcnt(13)
	v_fma_f64 v[105:106], v[107:108], v[99:100], v[93:94]
	ds_read_b128 v[93:96], v92 offset:672
	ds_read_b128 v[97:100], v92 offset:688
	s_waitcnt vmcnt(12) lgkmcnt(1)
	v_fma_f64 v[93:94], v[121:122], v[93:94], v[105:106]
	s_waitcnt vmcnt(11)
	v_fma_f64 v[93:94], v[119:120], v[95:96], v[93:94]
	s_waitcnt vmcnt(10) lgkmcnt(0)
	v_fma_f64 v[93:94], v[113:114], v[97:98], v[93:94]
	s_waitcnt vmcnt(5)
	v_fma_f64 v[97:98], v[101:102], v[99:100], v[93:94]
	ds_read_b128 v[93:96], v92 offset:704
	ds_read_b64 v[99:100], v92 offset:720
	s_waitcnt vmcnt(4) lgkmcnt(1)
	v_fma_f64 v[93:94], v[125:126], v[93:94], v[97:98]
	s_waitcnt vmcnt(3)
	v_fma_f64 v[93:94], v[123:124], v[95:96], v[93:94]
	s_waitcnt vmcnt(2) lgkmcnt(0)
	v_fma_f64 v[93:94], v[115:116], v[99:100], v[93:94]
	s_waitcnt vmcnt(0)
	v_add_f64 v[93:94], v[103:104], -v[93:94]
	buffer_store_dword v94, off, s[0:3], 0 offset:44
	buffer_store_dword v93, off, s[0:3], 0 offset:40
	s_and_saveexec_b64 s[4:5], vcc
	s_cbranch_execz .LBB44_269
; %bb.268:
	buffer_load_dword v93, off, s[0:3], 0 offset:32
	buffer_load_dword v94, off, s[0:3], 0 offset:36
	s_waitcnt vmcnt(0)
	ds_write_b64 v91, v[93:94]
	buffer_store_dword v92, off, s[0:3], 0 offset:32
	buffer_store_dword v92, off, s[0:3], 0 offset:36
.LBB44_269:
	s_or_b64 exec, exec, s[4:5]
	s_waitcnt lgkmcnt(0)
	; wave barrier
	buffer_load_dword v101, off, s[0:3], 0 offset:40
	buffer_load_dword v102, off, s[0:3], 0 offset:44
	;; [unrolled: 1-line block ×22, first 2 shown]
	ds_read2_b64 v[93:96], v92 offset0:51 offset1:52
	ds_read2_b64 v[97:100], v92 offset0:53 offset1:54
	v_cmp_lt_u32_e32 vcc, 3, v0
	s_waitcnt vmcnt(20) lgkmcnt(1)
	v_fma_f64 v[93:94], v[101:102], v[93:94], 0
	s_waitcnt vmcnt(18)
	v_fma_f64 v[93:94], v[103:104], v[95:96], v[93:94]
	buffer_load_dword v102, off, s[0:3], 0 offset:132
	buffer_load_dword v103, off, s[0:3], 0 offset:152
	;; [unrolled: 1-line block ×7, first 2 shown]
	s_waitcnt vmcnt(23) lgkmcnt(0)
	v_fma_f64 v[93:94], v[105:106], v[97:98], v[93:94]
	s_waitcnt vmcnt(21)
	v_fma_f64 v[104:105], v[107:108], v[99:100], v[93:94]
	ds_read2_b64 v[93:96], v92 offset0:55 offset1:56
	ds_read2_b64 v[97:100], v92 offset0:57 offset1:58
	s_waitcnt vmcnt(19) lgkmcnt(1)
	v_fma_f64 v[93:94], v[109:110], v[93:94], v[104:105]
	buffer_load_dword v104, off, s[0:3], 0 offset:156
	s_waitcnt vmcnt(18)
	v_fma_f64 v[93:94], v[111:112], v[95:96], v[93:94]
	buffer_load_dword v106, off, s[0:3], 0 offset:164
	buffer_load_dword v107, off, s[0:3], 0 offset:184
	;; [unrolled: 1-line block ×8, first 2 shown]
	s_waitcnt vmcnt(24) lgkmcnt(0)
	v_fma_f64 v[93:94], v[113:114], v[97:98], v[93:94]
	s_waitcnt vmcnt(19)
	v_fma_f64 v[113:114], v[115:116], v[99:100], v[93:94]
	ds_read2_b64 v[93:96], v92 offset0:59 offset1:60
	ds_read2_b64 v[97:100], v92 offset0:61 offset1:62
	s_waitcnt vmcnt(18) lgkmcnt(1)
	v_fma_f64 v[93:94], v[121:122], v[93:94], v[113:114]
	s_waitcnt vmcnt(17)
	v_fma_f64 v[93:94], v[119:120], v[95:96], v[93:94]
	buffer_load_dword v114, off, s[0:3], 0 offset:196
	buffer_load_dword v115, off, s[0:3], 0 offset:216
	;; [unrolled: 1-line block ×8, first 2 shown]
	s_waitcnt vmcnt(24) lgkmcnt(0)
	v_fma_f64 v[93:94], v[117:118], v[97:98], v[93:94]
	s_waitcnt vmcnt(19)
	v_fma_f64 v[101:102], v[101:102], v[99:100], v[93:94]
	ds_read2_b64 v[93:96], v92 offset0:63 offset1:64
	ds_read2_b64 v[97:100], v92 offset0:65 offset1:66
	s_waitcnt vmcnt(18) lgkmcnt(1)
	v_fma_f64 v[93:94], v[125:126], v[93:94], v[101:102]
	s_waitcnt vmcnt(17)
	v_fma_f64 v[93:94], v[123:124], v[95:96], v[93:94]
	buffer_load_dword v102, off, s[0:3], 0 offset:228
	buffer_load_dword v117, off, s[0:3], 0 offset:248
	;; [unrolled: 1-line block ×7, first 2 shown]
	s_waitcnt vmcnt(23) lgkmcnt(0)
	v_fma_f64 v[93:94], v[103:104], v[97:98], v[93:94]
	s_waitcnt vmcnt(18)
	v_fma_f64 v[103:104], v[105:106], v[99:100], v[93:94]
	ds_read2_b64 v[93:96], v92 offset0:67 offset1:68
	ds_read2_b64 v[97:100], v92 offset0:69 offset1:70
	buffer_load_dword v118, off, s[0:3], 0 offset:252
	s_waitcnt vmcnt(18) lgkmcnt(1)
	v_fma_f64 v[93:94], v[111:112], v[93:94], v[103:104]
	s_waitcnt vmcnt(17)
	v_fma_f64 v[93:94], v[109:110], v[95:96], v[93:94]
	buffer_load_dword v104, off, s[0:3], 0 offset:260
	buffer_load_dword v105, off, s[0:3], 0 offset:280
	;; [unrolled: 1-line block ×7, first 2 shown]
	s_waitcnt vmcnt(23) lgkmcnt(0)
	v_fma_f64 v[93:94], v[107:108], v[97:98], v[93:94]
	s_waitcnt vmcnt(18)
	v_fma_f64 v[106:107], v[113:114], v[99:100], v[93:94]
	ds_read2_b64 v[93:96], v92 offset0:71 offset1:72
	ds_read2_b64 v[97:100], v92 offset0:73 offset1:74
	s_waitcnt vmcnt(17) lgkmcnt(1)
	v_fma_f64 v[93:94], v[121:122], v[93:94], v[106:107]
	buffer_load_dword v106, off, s[0:3], 0 offset:284
	s_waitcnt vmcnt(17)
	v_fma_f64 v[93:94], v[119:120], v[95:96], v[93:94]
	buffer_load_dword v108, off, s[0:3], 0 offset:292
	buffer_load_dword v113, off, s[0:3], 0 offset:312
	buffer_load_dword v119, off, s[0:3], 0 offset:304
	buffer_load_dword v121, off, s[0:3], 0 offset:296
	buffer_load_dword v107, off, s[0:3], 0 offset:288
	buffer_load_dword v122, off, s[0:3], 0 offset:300
	buffer_load_dword v120, off, s[0:3], 0 offset:308
	buffer_load_dword v114, off, s[0:3], 0 offset:316
	s_waitcnt vmcnt(24) lgkmcnt(0)
	v_fma_f64 v[93:94], v[115:116], v[97:98], v[93:94]
	s_waitcnt vmcnt(19)
	v_fma_f64 v[101:102], v[101:102], v[99:100], v[93:94]
	ds_read2_b64 v[93:96], v92 offset0:75 offset1:76
	ds_read2_b64 v[97:100], v92 offset0:77 offset1:78
	s_waitcnt vmcnt(18) lgkmcnt(1)
	v_fma_f64 v[93:94], v[125:126], v[93:94], v[101:102]
	s_waitcnt vmcnt(17)
	v_fma_f64 v[93:94], v[123:124], v[95:96], v[93:94]
	buffer_load_dword v102, off, s[0:3], 0 offset:324
	buffer_load_dword v115, off, s[0:3], 0 offset:344
	;; [unrolled: 1-line block ×8, first 2 shown]
	s_waitcnt vmcnt(24) lgkmcnt(0)
	v_fma_f64 v[93:94], v[117:118], v[97:98], v[93:94]
	s_waitcnt vmcnt(19)
	v_fma_f64 v[103:104], v[103:104], v[99:100], v[93:94]
	ds_read2_b64 v[93:96], v92 offset0:79 offset1:80
	ds_read2_b64 v[97:100], v92 offset0:81 offset1:82
	s_waitcnt vmcnt(18) lgkmcnt(1)
	v_fma_f64 v[93:94], v[111:112], v[93:94], v[103:104]
	buffer_load_dword v104, off, s[0:3], 0 offset:356
	buffer_load_dword v103, off, s[0:3], 0 offset:352
	s_waitcnt vmcnt(19)
	v_fma_f64 v[93:94], v[109:110], v[95:96], v[93:94]
	buffer_load_dword v109, off, s[0:3], 0 offset:32
	buffer_load_dword v110, off, s[0:3], 0 offset:36
	s_waitcnt vmcnt(20) lgkmcnt(0)
	v_fma_f64 v[93:94], v[105:106], v[97:98], v[93:94]
	s_waitcnt vmcnt(15)
	v_fma_f64 v[105:106], v[107:108], v[99:100], v[93:94]
	ds_read2_b64 v[93:96], v92 offset0:83 offset1:84
	ds_read2_b64 v[97:100], v92 offset0:85 offset1:86
	s_waitcnt vmcnt(14) lgkmcnt(1)
	v_fma_f64 v[93:94], v[121:122], v[93:94], v[105:106]
	s_waitcnt vmcnt(13)
	v_fma_f64 v[93:94], v[119:120], v[95:96], v[93:94]
	s_waitcnt vmcnt(12) lgkmcnt(0)
	v_fma_f64 v[93:94], v[113:114], v[97:98], v[93:94]
	s_waitcnt vmcnt(7)
	v_fma_f64 v[101:102], v[101:102], v[99:100], v[93:94]
	ds_read2_b64 v[93:96], v92 offset0:87 offset1:88
	ds_read2_b64 v[97:100], v92 offset0:89 offset1:90
	s_waitcnt vmcnt(6) lgkmcnt(1)
	v_fma_f64 v[92:93], v[125:126], v[93:94], v[101:102]
	s_waitcnt vmcnt(5)
	v_fma_f64 v[92:93], v[123:124], v[95:96], v[92:93]
	s_waitcnt vmcnt(4) lgkmcnt(0)
	v_fma_f64 v[92:93], v[115:116], v[97:98], v[92:93]
	s_waitcnt vmcnt(2)
	v_fma_f64 v[92:93], v[103:104], v[99:100], v[92:93]
	s_waitcnt vmcnt(0)
	v_add_f64 v[92:93], v[109:110], -v[92:93]
	buffer_store_dword v93, off, s[0:3], 0 offset:36
	buffer_store_dword v92, off, s[0:3], 0 offset:32
	s_and_saveexec_b64 s[4:5], vcc
	s_cbranch_execz .LBB44_271
; %bb.270:
	buffer_load_dword v92, off, s[0:3], 0 offset:24
	buffer_load_dword v93, off, s[0:3], 0 offset:28
	v_mov_b32_e32 v94, 0
	buffer_store_dword v94, off, s[0:3], 0 offset:24
	buffer_store_dword v94, off, s[0:3], 0 offset:28
	s_waitcnt vmcnt(2)
	ds_write_b64 v91, v[92:93]
.LBB44_271:
	s_or_b64 exec, exec, s[4:5]
	s_waitcnt lgkmcnt(0)
	; wave barrier
	buffer_load_dword v101, off, s[0:3], 0 offset:32
	buffer_load_dword v102, off, s[0:3], 0 offset:36
	;; [unrolled: 1-line block ×22, first 2 shown]
	v_mov_b32_e32 v92, 0
	ds_read_b128 v[93:96], v92 offset:400
	ds_read_b128 v[97:100], v92 offset:416
	v_cmp_lt_u32_e32 vcc, 2, v0
	s_waitcnt vmcnt(20) lgkmcnt(1)
	v_fma_f64 v[93:94], v[101:102], v[93:94], 0
	s_waitcnt vmcnt(18)
	v_fma_f64 v[93:94], v[103:104], v[95:96], v[93:94]
	buffer_load_dword v102, off, s[0:3], 0 offset:124
	buffer_load_dword v103, off, s[0:3], 0 offset:144
	;; [unrolled: 1-line block ×7, first 2 shown]
	s_waitcnt vmcnt(23) lgkmcnt(0)
	v_fma_f64 v[93:94], v[105:106], v[97:98], v[93:94]
	s_waitcnt vmcnt(21)
	v_fma_f64 v[104:105], v[107:108], v[99:100], v[93:94]
	ds_read_b128 v[93:96], v92 offset:432
	ds_read_b128 v[97:100], v92 offset:448
	s_waitcnt vmcnt(19) lgkmcnt(1)
	v_fma_f64 v[93:94], v[109:110], v[93:94], v[104:105]
	buffer_load_dword v104, off, s[0:3], 0 offset:148
	s_waitcnt vmcnt(18)
	v_fma_f64 v[93:94], v[111:112], v[95:96], v[93:94]
	buffer_load_dword v106, off, s[0:3], 0 offset:156
	buffer_load_dword v107, off, s[0:3], 0 offset:176
	;; [unrolled: 1-line block ×7, first 2 shown]
	s_waitcnt vmcnt(23) lgkmcnt(0)
	v_fma_f64 v[93:94], v[113:114], v[97:98], v[93:94]
	s_waitcnt vmcnt(18)
	v_fma_f64 v[113:114], v[115:116], v[99:100], v[93:94]
	ds_read_b128 v[93:96], v92 offset:464
	ds_read_b128 v[97:100], v92 offset:480
	buffer_load_dword v108, off, s[0:3], 0 offset:180
	s_waitcnt vmcnt(18) lgkmcnt(1)
	v_fma_f64 v[93:94], v[121:122], v[93:94], v[113:114]
	s_waitcnt vmcnt(17)
	v_fma_f64 v[93:94], v[119:120], v[95:96], v[93:94]
	buffer_load_dword v114, off, s[0:3], 0 offset:188
	buffer_load_dword v115, off, s[0:3], 0 offset:208
	;; [unrolled: 1-line block ×8, first 2 shown]
	s_waitcnt vmcnt(24) lgkmcnt(0)
	v_fma_f64 v[93:94], v[117:118], v[97:98], v[93:94]
	s_waitcnt vmcnt(19)
	v_fma_f64 v[101:102], v[101:102], v[99:100], v[93:94]
	ds_read_b128 v[93:96], v92 offset:496
	ds_read_b128 v[97:100], v92 offset:512
	s_waitcnt vmcnt(18) lgkmcnt(1)
	v_fma_f64 v[93:94], v[125:126], v[93:94], v[101:102]
	s_waitcnt vmcnt(17)
	v_fma_f64 v[93:94], v[123:124], v[95:96], v[93:94]
	buffer_load_dword v102, off, s[0:3], 0 offset:220
	buffer_load_dword v117, off, s[0:3], 0 offset:240
	buffer_load_dword v123, off, s[0:3], 0 offset:232
	buffer_load_dword v125, off, s[0:3], 0 offset:224
	buffer_load_dword v101, off, s[0:3], 0 offset:216
	buffer_load_dword v126, off, s[0:3], 0 offset:228
	buffer_load_dword v124, off, s[0:3], 0 offset:236
	s_waitcnt vmcnt(23) lgkmcnt(0)
	v_fma_f64 v[93:94], v[103:104], v[97:98], v[93:94]
	s_waitcnt vmcnt(18)
	v_fma_f64 v[103:104], v[105:106], v[99:100], v[93:94]
	ds_read_b128 v[93:96], v92 offset:528
	ds_read_b128 v[97:100], v92 offset:544
	buffer_load_dword v118, off, s[0:3], 0 offset:244
	s_waitcnt vmcnt(18) lgkmcnt(1)
	v_fma_f64 v[93:94], v[111:112], v[93:94], v[103:104]
	s_waitcnt vmcnt(17)
	v_fma_f64 v[93:94], v[109:110], v[95:96], v[93:94]
	buffer_load_dword v104, off, s[0:3], 0 offset:252
	buffer_load_dword v105, off, s[0:3], 0 offset:272
	;; [unrolled: 1-line block ×7, first 2 shown]
	s_waitcnt vmcnt(23) lgkmcnt(0)
	v_fma_f64 v[93:94], v[107:108], v[97:98], v[93:94]
	s_waitcnt vmcnt(18)
	v_fma_f64 v[106:107], v[113:114], v[99:100], v[93:94]
	ds_read_b128 v[93:96], v92 offset:560
	ds_read_b128 v[97:100], v92 offset:576
	s_waitcnt vmcnt(17) lgkmcnt(1)
	v_fma_f64 v[93:94], v[121:122], v[93:94], v[106:107]
	buffer_load_dword v106, off, s[0:3], 0 offset:276
	s_waitcnt vmcnt(17)
	v_fma_f64 v[93:94], v[119:120], v[95:96], v[93:94]
	buffer_load_dword v108, off, s[0:3], 0 offset:284
	buffer_load_dword v113, off, s[0:3], 0 offset:304
	;; [unrolled: 1-line block ×8, first 2 shown]
	s_waitcnt vmcnt(24) lgkmcnt(0)
	v_fma_f64 v[93:94], v[115:116], v[97:98], v[93:94]
	s_waitcnt vmcnt(19)
	v_fma_f64 v[101:102], v[101:102], v[99:100], v[93:94]
	ds_read_b128 v[93:96], v92 offset:592
	ds_read_b128 v[97:100], v92 offset:608
	s_waitcnt vmcnt(18) lgkmcnt(1)
	v_fma_f64 v[93:94], v[125:126], v[93:94], v[101:102]
	s_waitcnt vmcnt(17)
	v_fma_f64 v[93:94], v[123:124], v[95:96], v[93:94]
	buffer_load_dword v102, off, s[0:3], 0 offset:316
	buffer_load_dword v115, off, s[0:3], 0 offset:336
	;; [unrolled: 1-line block ×7, first 2 shown]
	s_waitcnt vmcnt(23) lgkmcnt(0)
	v_fma_f64 v[93:94], v[117:118], v[97:98], v[93:94]
	s_waitcnt vmcnt(18)
	v_fma_f64 v[103:104], v[103:104], v[99:100], v[93:94]
	ds_read_b128 v[93:96], v92 offset:624
	ds_read_b128 v[97:100], v92 offset:640
	buffer_load_dword v116, off, s[0:3], 0 offset:340
	s_waitcnt vmcnt(18) lgkmcnt(1)
	v_fma_f64 v[93:94], v[111:112], v[93:94], v[103:104]
	s_waitcnt vmcnt(17)
	v_fma_f64 v[93:94], v[109:110], v[95:96], v[93:94]
	buffer_load_dword v104, off, s[0:3], 0 offset:348
	buffer_load_dword v109, off, s[0:3], 0 offset:352
	;; [unrolled: 1-line block ×4, first 2 shown]
	s_waitcnt vmcnt(20) lgkmcnt(0)
	v_fma_f64 v[93:94], v[105:106], v[97:98], v[93:94]
	buffer_load_dword v105, off, s[0:3], 0 offset:24
	buffer_load_dword v106, off, s[0:3], 0 offset:28
	s_waitcnt vmcnt(17)
	v_fma_f64 v[107:108], v[107:108], v[99:100], v[93:94]
	ds_read_b128 v[93:96], v92 offset:656
	ds_read_b128 v[97:100], v92 offset:672
	s_waitcnt vmcnt(16) lgkmcnt(1)
	v_fma_f64 v[93:94], v[121:122], v[93:94], v[107:108]
	s_waitcnt vmcnt(15)
	v_fma_f64 v[93:94], v[119:120], v[95:96], v[93:94]
	s_waitcnt vmcnt(14) lgkmcnt(0)
	v_fma_f64 v[93:94], v[113:114], v[97:98], v[93:94]
	s_waitcnt vmcnt(9)
	v_fma_f64 v[101:102], v[101:102], v[99:100], v[93:94]
	ds_read_b128 v[93:96], v92 offset:688
	ds_read_b128 v[97:100], v92 offset:704
	s_waitcnt vmcnt(8) lgkmcnt(1)
	v_fma_f64 v[93:94], v[125:126], v[93:94], v[101:102]
	s_waitcnt vmcnt(7)
	v_fma_f64 v[93:94], v[123:124], v[95:96], v[93:94]
	ds_read_b64 v[95:96], v92 offset:720
	s_waitcnt vmcnt(6) lgkmcnt(1)
	v_fma_f64 v[93:94], v[115:116], v[97:98], v[93:94]
	s_waitcnt vmcnt(3)
	v_fma_f64 v[93:94], v[103:104], v[99:100], v[93:94]
	s_waitcnt vmcnt(2) lgkmcnt(0)
	v_fma_f64 v[93:94], v[109:110], v[95:96], v[93:94]
	s_waitcnt vmcnt(0)
	v_add_f64 v[93:94], v[105:106], -v[93:94]
	buffer_store_dword v94, off, s[0:3], 0 offset:28
	buffer_store_dword v93, off, s[0:3], 0 offset:24
	s_and_saveexec_b64 s[4:5], vcc
	s_cbranch_execz .LBB44_273
; %bb.272:
	buffer_load_dword v93, off, s[0:3], 0 offset:16
	buffer_load_dword v94, off, s[0:3], 0 offset:20
	s_waitcnt vmcnt(0)
	ds_write_b64 v91, v[93:94]
	buffer_store_dword v92, off, s[0:3], 0 offset:16
	buffer_store_dword v92, off, s[0:3], 0 offset:20
.LBB44_273:
	s_or_b64 exec, exec, s[4:5]
	s_waitcnt lgkmcnt(0)
	; wave barrier
	buffer_load_dword v101, off, s[0:3], 0 offset:24
	buffer_load_dword v102, off, s[0:3], 0 offset:28
	;; [unrolled: 1-line block ×22, first 2 shown]
	ds_read2_b64 v[93:96], v92 offset0:49 offset1:50
	ds_read2_b64 v[97:100], v92 offset0:51 offset1:52
	v_cmp_lt_u32_e32 vcc, 1, v0
	s_waitcnt vmcnt(20) lgkmcnt(1)
	v_fma_f64 v[93:94], v[101:102], v[93:94], 0
	s_waitcnt vmcnt(18)
	v_fma_f64 v[93:94], v[103:104], v[95:96], v[93:94]
	buffer_load_dword v102, off, s[0:3], 0 offset:116
	buffer_load_dword v103, off, s[0:3], 0 offset:136
	;; [unrolled: 1-line block ×7, first 2 shown]
	s_waitcnt vmcnt(23) lgkmcnt(0)
	v_fma_f64 v[93:94], v[105:106], v[97:98], v[93:94]
	s_waitcnt vmcnt(21)
	v_fma_f64 v[104:105], v[107:108], v[99:100], v[93:94]
	ds_read2_b64 v[93:96], v92 offset0:53 offset1:54
	ds_read2_b64 v[97:100], v92 offset0:55 offset1:56
	s_waitcnt vmcnt(19) lgkmcnt(1)
	v_fma_f64 v[93:94], v[109:110], v[93:94], v[104:105]
	buffer_load_dword v104, off, s[0:3], 0 offset:140
	s_waitcnt vmcnt(18)
	v_fma_f64 v[93:94], v[111:112], v[95:96], v[93:94]
	buffer_load_dword v106, off, s[0:3], 0 offset:148
	buffer_load_dword v107, off, s[0:3], 0 offset:168
	;; [unrolled: 1-line block ×7, first 2 shown]
	s_waitcnt vmcnt(23) lgkmcnt(0)
	v_fma_f64 v[93:94], v[113:114], v[97:98], v[93:94]
	s_waitcnt vmcnt(18)
	v_fma_f64 v[113:114], v[115:116], v[99:100], v[93:94]
	ds_read2_b64 v[93:96], v92 offset0:57 offset1:58
	ds_read2_b64 v[97:100], v92 offset0:59 offset1:60
	buffer_load_dword v108, off, s[0:3], 0 offset:172
	s_waitcnt vmcnt(18) lgkmcnt(1)
	v_fma_f64 v[93:94], v[121:122], v[93:94], v[113:114]
	s_waitcnt vmcnt(17)
	v_fma_f64 v[93:94], v[119:120], v[95:96], v[93:94]
	buffer_load_dword v114, off, s[0:3], 0 offset:180
	buffer_load_dword v115, off, s[0:3], 0 offset:200
	;; [unrolled: 1-line block ×8, first 2 shown]
	s_waitcnt vmcnt(24) lgkmcnt(0)
	v_fma_f64 v[93:94], v[117:118], v[97:98], v[93:94]
	s_waitcnt vmcnt(19)
	v_fma_f64 v[101:102], v[101:102], v[99:100], v[93:94]
	ds_read2_b64 v[93:96], v92 offset0:61 offset1:62
	ds_read2_b64 v[97:100], v92 offset0:63 offset1:64
	s_waitcnt vmcnt(18) lgkmcnt(1)
	v_fma_f64 v[93:94], v[125:126], v[93:94], v[101:102]
	s_waitcnt vmcnt(17)
	v_fma_f64 v[93:94], v[123:124], v[95:96], v[93:94]
	buffer_load_dword v102, off, s[0:3], 0 offset:212
	buffer_load_dword v117, off, s[0:3], 0 offset:232
	buffer_load_dword v123, off, s[0:3], 0 offset:224
	buffer_load_dword v125, off, s[0:3], 0 offset:216
	buffer_load_dword v101, off, s[0:3], 0 offset:208
	buffer_load_dword v126, off, s[0:3], 0 offset:220
	buffer_load_dword v124, off, s[0:3], 0 offset:228
	buffer_load_dword v118, off, s[0:3], 0 offset:236
	s_waitcnt vmcnt(24) lgkmcnt(0)
	v_fma_f64 v[93:94], v[103:104], v[97:98], v[93:94]
	s_waitcnt vmcnt(19)
	v_fma_f64 v[103:104], v[105:106], v[99:100], v[93:94]
	ds_read2_b64 v[93:96], v92 offset0:65 offset1:66
	ds_read2_b64 v[97:100], v92 offset0:67 offset1:68
	s_waitcnt vmcnt(18) lgkmcnt(1)
	v_fma_f64 v[93:94], v[111:112], v[93:94], v[103:104]
	s_waitcnt vmcnt(17)
	v_fma_f64 v[93:94], v[109:110], v[95:96], v[93:94]
	buffer_load_dword v104, off, s[0:3], 0 offset:244
	buffer_load_dword v105, off, s[0:3], 0 offset:264
	;; [unrolled: 1-line block ×7, first 2 shown]
	s_waitcnt vmcnt(23) lgkmcnt(0)
	v_fma_f64 v[93:94], v[107:108], v[97:98], v[93:94]
	s_waitcnt vmcnt(18)
	v_fma_f64 v[106:107], v[113:114], v[99:100], v[93:94]
	ds_read2_b64 v[93:96], v92 offset0:69 offset1:70
	ds_read2_b64 v[97:100], v92 offset0:71 offset1:72
	s_waitcnt vmcnt(17) lgkmcnt(1)
	v_fma_f64 v[93:94], v[121:122], v[93:94], v[106:107]
	buffer_load_dword v106, off, s[0:3], 0 offset:268
	s_waitcnt vmcnt(17)
	v_fma_f64 v[93:94], v[119:120], v[95:96], v[93:94]
	buffer_load_dword v108, off, s[0:3], 0 offset:276
	buffer_load_dword v113, off, s[0:3], 0 offset:296
	buffer_load_dword v119, off, s[0:3], 0 offset:288
	buffer_load_dword v121, off, s[0:3], 0 offset:280
	buffer_load_dword v107, off, s[0:3], 0 offset:272
	buffer_load_dword v122, off, s[0:3], 0 offset:284
	buffer_load_dword v120, off, s[0:3], 0 offset:292
	buffer_load_dword v114, off, s[0:3], 0 offset:300
	s_waitcnt vmcnt(24) lgkmcnt(0)
	v_fma_f64 v[93:94], v[115:116], v[97:98], v[93:94]
	s_waitcnt vmcnt(19)
	v_fma_f64 v[101:102], v[101:102], v[99:100], v[93:94]
	ds_read2_b64 v[93:96], v92 offset0:73 offset1:74
	ds_read2_b64 v[97:100], v92 offset0:75 offset1:76
	s_waitcnt vmcnt(18) lgkmcnt(1)
	v_fma_f64 v[93:94], v[125:126], v[93:94], v[101:102]
	s_waitcnt vmcnt(17)
	v_fma_f64 v[93:94], v[123:124], v[95:96], v[93:94]
	buffer_load_dword v102, off, s[0:3], 0 offset:308
	buffer_load_dword v115, off, s[0:3], 0 offset:328
	;; [unrolled: 1-line block ×8, first 2 shown]
	s_waitcnt vmcnt(24) lgkmcnt(0)
	v_fma_f64 v[93:94], v[117:118], v[97:98], v[93:94]
	s_waitcnt vmcnt(19)
	v_fma_f64 v[103:104], v[103:104], v[99:100], v[93:94]
	ds_read2_b64 v[93:96], v92 offset0:77 offset1:78
	ds_read2_b64 v[97:100], v92 offset0:79 offset1:80
	s_waitcnt vmcnt(18) lgkmcnt(1)
	v_fma_f64 v[93:94], v[111:112], v[93:94], v[103:104]
	s_waitcnt vmcnt(17)
	v_fma_f64 v[93:94], v[109:110], v[95:96], v[93:94]
	buffer_load_dword v104, off, s[0:3], 0 offset:340
	buffer_load_dword v109, off, s[0:3], 0 offset:352
	buffer_load_dword v111, off, s[0:3], 0 offset:344
	buffer_load_dword v103, off, s[0:3], 0 offset:336
	buffer_load_dword v112, off, s[0:3], 0 offset:348
	buffer_load_dword v110, off, s[0:3], 0 offset:356
	s_waitcnt vmcnt(22) lgkmcnt(0)
	v_fma_f64 v[93:94], v[105:106], v[97:98], v[93:94]
	s_waitcnt vmcnt(17)
	v_fma_f64 v[105:106], v[107:108], v[99:100], v[93:94]
	ds_read2_b64 v[93:96], v92 offset0:81 offset1:82
	buffer_load_dword v107, off, s[0:3], 0 offset:16
	buffer_load_dword v108, off, s[0:3], 0 offset:20
	ds_read2_b64 v[97:100], v92 offset0:83 offset1:84
	s_waitcnt vmcnt(18) lgkmcnt(1)
	v_fma_f64 v[93:94], v[121:122], v[93:94], v[105:106]
	s_waitcnt vmcnt(17)
	v_fma_f64 v[93:94], v[119:120], v[95:96], v[93:94]
	s_waitcnt vmcnt(16) lgkmcnt(0)
	v_fma_f64 v[93:94], v[113:114], v[97:98], v[93:94]
	s_waitcnt vmcnt(11)
	v_fma_f64 v[101:102], v[101:102], v[99:100], v[93:94]
	ds_read2_b64 v[93:96], v92 offset0:85 offset1:86
	ds_read2_b64 v[97:100], v92 offset0:87 offset1:88
	s_waitcnt vmcnt(10) lgkmcnt(1)
	v_fma_f64 v[93:94], v[125:126], v[93:94], v[101:102]
	s_waitcnt vmcnt(9)
	v_fma_f64 v[93:94], v[123:124], v[95:96], v[93:94]
	s_waitcnt vmcnt(8) lgkmcnt(0)
	v_fma_f64 v[93:94], v[115:116], v[97:98], v[93:94]
	s_waitcnt vmcnt(4)
	v_fma_f64 v[96:97], v[103:104], v[99:100], v[93:94]
	ds_read2_b64 v[92:95], v92 offset0:89 offset1:90
	s_waitcnt vmcnt(3) lgkmcnt(0)
	v_fma_f64 v[92:93], v[111:112], v[92:93], v[96:97]
	s_waitcnt vmcnt(2)
	v_fma_f64 v[92:93], v[109:110], v[94:95], v[92:93]
	s_waitcnt vmcnt(0)
	v_add_f64 v[92:93], v[107:108], -v[92:93]
	buffer_store_dword v93, off, s[0:3], 0 offset:20
	buffer_store_dword v92, off, s[0:3], 0 offset:16
	s_and_saveexec_b64 s[4:5], vcc
	s_cbranch_execz .LBB44_275
; %bb.274:
	buffer_load_dword v92, off, s[0:3], 0 offset:8
	buffer_load_dword v93, off, s[0:3], 0 offset:12
	v_mov_b32_e32 v94, 0
	buffer_store_dword v94, off, s[0:3], 0 offset:8
	buffer_store_dword v94, off, s[0:3], 0 offset:12
	s_waitcnt vmcnt(2)
	ds_write_b64 v91, v[92:93]
.LBB44_275:
	s_or_b64 exec, exec, s[4:5]
	s_waitcnt lgkmcnt(0)
	; wave barrier
	buffer_load_dword v101, off, s[0:3], 0 offset:16
	buffer_load_dword v102, off, s[0:3], 0 offset:20
	;; [unrolled: 1-line block ×22, first 2 shown]
	v_mov_b32_e32 v92, 0
	ds_read_b128 v[93:96], v92 offset:384
	ds_read_b128 v[97:100], v92 offset:400
	v_cmp_ne_u32_e32 vcc, 0, v0
	s_waitcnt vmcnt(20) lgkmcnt(1)
	v_fma_f64 v[93:94], v[101:102], v[93:94], 0
	s_waitcnt vmcnt(18)
	v_fma_f64 v[93:94], v[103:104], v[95:96], v[93:94]
	buffer_load_dword v102, off, s[0:3], 0 offset:108
	buffer_load_dword v103, off, s[0:3], 0 offset:128
	;; [unrolled: 1-line block ×7, first 2 shown]
	s_waitcnt vmcnt(23) lgkmcnt(0)
	v_fma_f64 v[93:94], v[105:106], v[97:98], v[93:94]
	s_waitcnt vmcnt(21)
	v_fma_f64 v[104:105], v[107:108], v[99:100], v[93:94]
	ds_read_b128 v[93:96], v92 offset:416
	ds_read_b128 v[97:100], v92 offset:432
	s_waitcnt vmcnt(19) lgkmcnt(1)
	v_fma_f64 v[93:94], v[109:110], v[93:94], v[104:105]
	buffer_load_dword v104, off, s[0:3], 0 offset:132
	s_waitcnt vmcnt(18)
	v_fma_f64 v[93:94], v[111:112], v[95:96], v[93:94]
	buffer_load_dword v106, off, s[0:3], 0 offset:140
	buffer_load_dword v107, off, s[0:3], 0 offset:160
	;; [unrolled: 1-line block ×7, first 2 shown]
	s_waitcnt vmcnt(23) lgkmcnt(0)
	v_fma_f64 v[93:94], v[113:114], v[97:98], v[93:94]
	s_waitcnt vmcnt(18)
	v_fma_f64 v[113:114], v[115:116], v[99:100], v[93:94]
	ds_read_b128 v[93:96], v92 offset:448
	ds_read_b128 v[97:100], v92 offset:464
	buffer_load_dword v108, off, s[0:3], 0 offset:164
	s_waitcnt vmcnt(18) lgkmcnt(1)
	v_fma_f64 v[93:94], v[121:122], v[93:94], v[113:114]
	s_waitcnt vmcnt(17)
	v_fma_f64 v[93:94], v[119:120], v[95:96], v[93:94]
	buffer_load_dword v114, off, s[0:3], 0 offset:172
	buffer_load_dword v115, off, s[0:3], 0 offset:192
	;; [unrolled: 1-line block ×8, first 2 shown]
	s_waitcnt vmcnt(24) lgkmcnt(0)
	v_fma_f64 v[93:94], v[117:118], v[97:98], v[93:94]
	s_waitcnt vmcnt(19)
	v_fma_f64 v[101:102], v[101:102], v[99:100], v[93:94]
	ds_read_b128 v[93:96], v92 offset:480
	ds_read_b128 v[97:100], v92 offset:496
	s_waitcnt vmcnt(18) lgkmcnt(1)
	v_fma_f64 v[93:94], v[125:126], v[93:94], v[101:102]
	s_waitcnt vmcnt(17)
	v_fma_f64 v[93:94], v[123:124], v[95:96], v[93:94]
	buffer_load_dword v102, off, s[0:3], 0 offset:204
	buffer_load_dword v117, off, s[0:3], 0 offset:224
	;; [unrolled: 1-line block ×8, first 2 shown]
	s_waitcnt vmcnt(24) lgkmcnt(0)
	v_fma_f64 v[93:94], v[103:104], v[97:98], v[93:94]
	s_waitcnt vmcnt(19)
	v_fma_f64 v[103:104], v[105:106], v[99:100], v[93:94]
	ds_read_b128 v[93:96], v92 offset:512
	ds_read_b128 v[97:100], v92 offset:528
	s_waitcnt vmcnt(18) lgkmcnt(1)
	v_fma_f64 v[93:94], v[111:112], v[93:94], v[103:104]
	s_waitcnt vmcnt(17)
	v_fma_f64 v[93:94], v[109:110], v[95:96], v[93:94]
	buffer_load_dword v104, off, s[0:3], 0 offset:236
	buffer_load_dword v105, off, s[0:3], 0 offset:256
	;; [unrolled: 1-line block ×7, first 2 shown]
	s_waitcnt vmcnt(23) lgkmcnt(0)
	v_fma_f64 v[93:94], v[107:108], v[97:98], v[93:94]
	s_waitcnt vmcnt(18)
	v_fma_f64 v[106:107], v[113:114], v[99:100], v[93:94]
	ds_read_b128 v[93:96], v92 offset:544
	ds_read_b128 v[97:100], v92 offset:560
	s_waitcnt vmcnt(17) lgkmcnt(1)
	v_fma_f64 v[93:94], v[121:122], v[93:94], v[106:107]
	buffer_load_dword v106, off, s[0:3], 0 offset:260
	s_waitcnt vmcnt(17)
	v_fma_f64 v[93:94], v[119:120], v[95:96], v[93:94]
	buffer_load_dword v108, off, s[0:3], 0 offset:268
	buffer_load_dword v113, off, s[0:3], 0 offset:288
	buffer_load_dword v119, off, s[0:3], 0 offset:280
	buffer_load_dword v121, off, s[0:3], 0 offset:272
	buffer_load_dword v107, off, s[0:3], 0 offset:264
	buffer_load_dword v122, off, s[0:3], 0 offset:276
	buffer_load_dword v120, off, s[0:3], 0 offset:284
	buffer_load_dword v114, off, s[0:3], 0 offset:292
	s_waitcnt vmcnt(24) lgkmcnt(0)
	v_fma_f64 v[93:94], v[115:116], v[97:98], v[93:94]
	s_waitcnt vmcnt(19)
	v_fma_f64 v[101:102], v[101:102], v[99:100], v[93:94]
	ds_read_b128 v[93:96], v92 offset:576
	ds_read_b128 v[97:100], v92 offset:592
	s_waitcnt vmcnt(18) lgkmcnt(1)
	v_fma_f64 v[93:94], v[125:126], v[93:94], v[101:102]
	s_waitcnt vmcnt(17)
	v_fma_f64 v[93:94], v[123:124], v[95:96], v[93:94]
	buffer_load_dword v102, off, s[0:3], 0 offset:300
	buffer_load_dword v115, off, s[0:3], 0 offset:320
	buffer_load_dword v123, off, s[0:3], 0 offset:312
	buffer_load_dword v125, off, s[0:3], 0 offset:304
	buffer_load_dword v101, off, s[0:3], 0 offset:296
	buffer_load_dword v126, off, s[0:3], 0 offset:308
	buffer_load_dword v124, off, s[0:3], 0 offset:316
	buffer_load_dword v116, off, s[0:3], 0 offset:324
	s_waitcnt vmcnt(24) lgkmcnt(0)
	v_fma_f64 v[93:94], v[117:118], v[97:98], v[93:94]
	s_waitcnt vmcnt(19)
	v_fma_f64 v[103:104], v[103:104], v[99:100], v[93:94]
	ds_read_b128 v[93:96], v92 offset:608
	ds_read_b128 v[97:100], v92 offset:624
	s_waitcnt vmcnt(18) lgkmcnt(1)
	v_fma_f64 v[93:94], v[111:112], v[93:94], v[103:104]
	;; [unrolled: 18-line block ×3, first 2 shown]
	buffer_load_dword v105, off, s[0:3], 0 offset:8
	buffer_load_dword v106, off, s[0:3], 0 offset:12
	s_waitcnt vmcnt(19)
	v_fma_f64 v[93:94], v[119:120], v[95:96], v[93:94]
	s_waitcnt vmcnt(18) lgkmcnt(0)
	v_fma_f64 v[93:94], v[113:114], v[97:98], v[93:94]
	s_waitcnt vmcnt(13)
	v_fma_f64 v[101:102], v[101:102], v[99:100], v[93:94]
	ds_read_b128 v[93:96], v92 offset:672
	ds_read_b128 v[97:100], v92 offset:688
	s_waitcnt vmcnt(12) lgkmcnt(1)
	v_fma_f64 v[93:94], v[125:126], v[93:94], v[101:102]
	s_waitcnt vmcnt(11)
	v_fma_f64 v[93:94], v[123:124], v[95:96], v[93:94]
	s_waitcnt vmcnt(10) lgkmcnt(0)
	v_fma_f64 v[93:94], v[115:116], v[97:98], v[93:94]
	s_waitcnt vmcnt(5)
	v_fma_f64 v[97:98], v[103:104], v[99:100], v[93:94]
	ds_read_b128 v[93:96], v92 offset:704
	ds_read_b64 v[99:100], v92 offset:720
	s_waitcnt vmcnt(4) lgkmcnt(1)
	v_fma_f64 v[93:94], v[117:118], v[93:94], v[97:98]
	s_waitcnt vmcnt(3)
	v_fma_f64 v[93:94], v[111:112], v[95:96], v[93:94]
	s_waitcnt vmcnt(2) lgkmcnt(0)
	v_fma_f64 v[93:94], v[109:110], v[99:100], v[93:94]
	s_waitcnt vmcnt(0)
	v_add_f64 v[93:94], v[105:106], -v[93:94]
	buffer_store_dword v94, off, s[0:3], 0 offset:12
	buffer_store_dword v93, off, s[0:3], 0 offset:8
	s_and_saveexec_b64 s[4:5], vcc
	s_cbranch_execz .LBB44_277
; %bb.276:
	buffer_load_dword v93, off, s[0:3], 0
	buffer_load_dword v94, off, s[0:3], 0 offset:4
	s_waitcnt vmcnt(0)
	ds_write_b64 v91, v[93:94]
	buffer_store_dword v92, off, s[0:3], 0
	buffer_store_dword v92, off, s[0:3], 0 offset:4
.LBB44_277:
	s_or_b64 exec, exec, s[4:5]
	s_waitcnt lgkmcnt(0)
	; wave barrier
	buffer_load_dword v101, off, s[0:3], 0 offset:8
	buffer_load_dword v102, off, s[0:3], 0 offset:12
	;; [unrolled: 1-line block ×22, first 2 shown]
	ds_read2_b64 v[93:96], v92 offset0:47 offset1:48
	ds_read2_b64 v[97:100], v92 offset0:49 offset1:50
	s_and_b64 vcc, exec, s[22:23]
	s_waitcnt vmcnt(20) lgkmcnt(1)
	v_fma_f64 v[93:94], v[101:102], v[93:94], 0
	s_waitcnt vmcnt(18)
	v_fma_f64 v[93:94], v[103:104], v[95:96], v[93:94]
	buffer_load_dword v102, off, s[0:3], 0 offset:100
	buffer_load_dword v103, off, s[0:3], 0 offset:120
	;; [unrolled: 1-line block ×7, first 2 shown]
	s_waitcnt vmcnt(23) lgkmcnt(0)
	v_fma_f64 v[93:94], v[105:106], v[97:98], v[93:94]
	s_waitcnt vmcnt(21)
	v_fma_f64 v[104:105], v[107:108], v[99:100], v[93:94]
	ds_read2_b64 v[93:96], v92 offset0:51 offset1:52
	ds_read2_b64 v[97:100], v92 offset0:53 offset1:54
	s_waitcnt vmcnt(19) lgkmcnt(1)
	v_fma_f64 v[93:94], v[109:110], v[93:94], v[104:105]
	buffer_load_dword v104, off, s[0:3], 0 offset:124
	s_waitcnt vmcnt(18)
	v_fma_f64 v[93:94], v[111:112], v[95:96], v[93:94]
	buffer_load_dword v106, off, s[0:3], 0 offset:132
	buffer_load_dword v107, off, s[0:3], 0 offset:152
	;; [unrolled: 1-line block ×7, first 2 shown]
	s_waitcnt vmcnt(23) lgkmcnt(0)
	v_fma_f64 v[93:94], v[113:114], v[97:98], v[93:94]
	s_waitcnt vmcnt(18)
	v_fma_f64 v[113:114], v[115:116], v[99:100], v[93:94]
	ds_read2_b64 v[93:96], v92 offset0:55 offset1:56
	ds_read2_b64 v[97:100], v92 offset0:57 offset1:58
	buffer_load_dword v108, off, s[0:3], 0 offset:156
	s_waitcnt vmcnt(18) lgkmcnt(1)
	v_fma_f64 v[93:94], v[121:122], v[93:94], v[113:114]
	s_waitcnt vmcnt(17)
	v_fma_f64 v[93:94], v[119:120], v[95:96], v[93:94]
	buffer_load_dword v114, off, s[0:3], 0 offset:164
	buffer_load_dword v115, off, s[0:3], 0 offset:184
	;; [unrolled: 1-line block ×8, first 2 shown]
	s_waitcnt vmcnt(24) lgkmcnt(0)
	v_fma_f64 v[93:94], v[117:118], v[97:98], v[93:94]
	s_waitcnt vmcnt(19)
	v_fma_f64 v[101:102], v[101:102], v[99:100], v[93:94]
	ds_read2_b64 v[93:96], v92 offset0:59 offset1:60
	ds_read2_b64 v[97:100], v92 offset0:61 offset1:62
	s_waitcnt vmcnt(18) lgkmcnt(1)
	v_fma_f64 v[93:94], v[125:126], v[93:94], v[101:102]
	s_waitcnt vmcnt(17)
	v_fma_f64 v[93:94], v[123:124], v[95:96], v[93:94]
	buffer_load_dword v102, off, s[0:3], 0 offset:196
	buffer_load_dword v117, off, s[0:3], 0 offset:216
	buffer_load_dword v123, off, s[0:3], 0 offset:208
	buffer_load_dword v125, off, s[0:3], 0 offset:200
	buffer_load_dword v101, off, s[0:3], 0 offset:192
	buffer_load_dword v126, off, s[0:3], 0 offset:204
	buffer_load_dword v124, off, s[0:3], 0 offset:212
	buffer_load_dword v118, off, s[0:3], 0 offset:220
	s_waitcnt vmcnt(24) lgkmcnt(0)
	v_fma_f64 v[93:94], v[103:104], v[97:98], v[93:94]
	s_waitcnt vmcnt(19)
	v_fma_f64 v[103:104], v[105:106], v[99:100], v[93:94]
	ds_read2_b64 v[93:96], v92 offset0:63 offset1:64
	ds_read2_b64 v[97:100], v92 offset0:65 offset1:66
	s_waitcnt vmcnt(18) lgkmcnt(1)
	v_fma_f64 v[93:94], v[111:112], v[93:94], v[103:104]
	s_waitcnt vmcnt(17)
	v_fma_f64 v[93:94], v[109:110], v[95:96], v[93:94]
	buffer_load_dword v104, off, s[0:3], 0 offset:228
	buffer_load_dword v105, off, s[0:3], 0 offset:248
	;; [unrolled: 1-line block ×7, first 2 shown]
	s_waitcnt vmcnt(23) lgkmcnt(0)
	v_fma_f64 v[93:94], v[107:108], v[97:98], v[93:94]
	s_waitcnt vmcnt(18)
	v_fma_f64 v[106:107], v[113:114], v[99:100], v[93:94]
	ds_read2_b64 v[93:96], v92 offset0:67 offset1:68
	ds_read2_b64 v[97:100], v92 offset0:69 offset1:70
	s_waitcnt vmcnt(17) lgkmcnt(1)
	v_fma_f64 v[93:94], v[121:122], v[93:94], v[106:107]
	buffer_load_dword v106, off, s[0:3], 0 offset:252
	s_waitcnt vmcnt(17)
	v_fma_f64 v[93:94], v[119:120], v[95:96], v[93:94]
	buffer_load_dword v108, off, s[0:3], 0 offset:260
	buffer_load_dword v113, off, s[0:3], 0 offset:280
	;; [unrolled: 1-line block ×8, first 2 shown]
	s_waitcnt vmcnt(24) lgkmcnt(0)
	v_fma_f64 v[93:94], v[115:116], v[97:98], v[93:94]
	s_waitcnt vmcnt(19)
	v_fma_f64 v[101:102], v[101:102], v[99:100], v[93:94]
	ds_read2_b64 v[93:96], v92 offset0:71 offset1:72
	ds_read2_b64 v[97:100], v92 offset0:73 offset1:74
	s_waitcnt vmcnt(18) lgkmcnt(1)
	v_fma_f64 v[93:94], v[125:126], v[93:94], v[101:102]
	s_waitcnt vmcnt(17)
	v_fma_f64 v[93:94], v[123:124], v[95:96], v[93:94]
	buffer_load_dword v116, off, s[0:3], 0 offset:292
	buffer_load_dword v123, off, s[0:3], 0 offset:312
	;; [unrolled: 1-line block ×8, first 2 shown]
	s_waitcnt vmcnt(24) lgkmcnt(0)
	v_fma_f64 v[93:94], v[117:118], v[97:98], v[93:94]
	s_waitcnt vmcnt(19)
	v_fma_f64 v[101:102], v[103:104], v[99:100], v[93:94]
	ds_read2_b64 v[93:96], v92 offset0:75 offset1:76
	ds_read2_b64 v[97:100], v92 offset0:77 offset1:78
	s_waitcnt vmcnt(18) lgkmcnt(1)
	v_fma_f64 v[93:94], v[111:112], v[93:94], v[101:102]
	s_waitcnt vmcnt(17)
	v_fma_f64 v[94:95], v[109:110], v[95:96], v[93:94]
	buffer_load_dword v104, off, s[0:3], 0 offset:324
	buffer_load_dword v93, off, s[0:3], 0 offset:344
	;; [unrolled: 1-line block ×7, first 2 shown]
	s_waitcnt vmcnt(23) lgkmcnt(0)
	v_fma_f64 v[94:95], v[105:106], v[97:98], v[94:95]
	s_waitcnt vmcnt(18)
	v_fma_f64 v[105:106], v[107:108], v[99:100], v[94:95]
	ds_read2_b64 v[95:98], v92 offset0:79 offset1:80
	ds_read2_b64 v[99:102], v92 offset0:81 offset1:82
	buffer_load_dword v94, off, s[0:3], 0 offset:348
	s_waitcnt vmcnt(18) lgkmcnt(1)
	v_fma_f64 v[95:96], v[121:122], v[95:96], v[105:106]
	buffer_load_dword v106, off, s[0:3], 0 offset:356
	buffer_load_dword v105, off, s[0:3], 0 offset:352
	buffer_load_dword v107, off, s[0:3], 0
	buffer_load_dword v108, off, s[0:3], 0 offset:4
	s_waitcnt vmcnt(21)
	v_fma_f64 v[95:96], v[119:120], v[97:98], v[95:96]
	s_waitcnt vmcnt(20) lgkmcnt(0)
	v_fma_f64 v[95:96], v[113:114], v[99:100], v[95:96]
	s_waitcnt vmcnt(15)
	v_fma_f64 v[113:114], v[115:116], v[101:102], v[95:96]
	ds_read2_b64 v[95:98], v92 offset0:83 offset1:84
	ds_read2_b64 v[99:102], v92 offset0:85 offset1:86
	s_waitcnt vmcnt(14) lgkmcnt(1)
	v_fma_f64 v[95:96], v[127:128], v[95:96], v[113:114]
	s_waitcnt vmcnt(13)
	v_fma_f64 v[95:96], v[125:126], v[97:98], v[95:96]
	s_waitcnt vmcnt(12) lgkmcnt(0)
	v_fma_f64 v[95:96], v[123:124], v[99:100], v[95:96]
	s_waitcnt vmcnt(7)
	v_fma_f64 v[103:104], v[103:104], v[101:102], v[95:96]
	ds_read2_b64 v[95:98], v92 offset0:87 offset1:88
	ds_read2_b64 v[99:102], v92 offset0:89 offset1:90
	s_waitcnt vmcnt(6) lgkmcnt(1)
	v_fma_f64 v[91:92], v[111:112], v[95:96], v[103:104]
	s_waitcnt vmcnt(5)
	v_fma_f64 v[91:92], v[109:110], v[97:98], v[91:92]
	s_waitcnt vmcnt(4) lgkmcnt(0)
	v_fma_f64 v[91:92], v[93:94], v[99:100], v[91:92]
	s_waitcnt vmcnt(2)
	v_fma_f64 v[91:92], v[105:106], v[101:102], v[91:92]
	s_waitcnt vmcnt(0)
	v_add_f64 v[91:92], v[107:108], -v[91:92]
	buffer_store_dword v92, off, s[0:3], 0 offset:4
	buffer_store_dword v91, off, s[0:3], 0
	s_cbranch_vccz .LBB44_366
; %bb.278:
	v_mov_b32_e32 v0, 0
	global_load_dword v91, v0, s[20:21] offset:172
	s_waitcnt vmcnt(0)
	v_add_u32_e32 v91, -1, v91
	v_cmp_ne_u32_e32 vcc, 43, v91
	s_cbranch_vccz .LBB44_280
; %bb.279:
	v_lshlrev_b32_e32 v91, 3, v91
	buffer_load_dword v92, v91, s[0:3], 0 offen
	buffer_load_dword v95, v91, s[0:3], 0 offen offset:4
	s_waitcnt vmcnt(1)
	buffer_store_dword v92, off, s[0:3], 0 offset:344
	s_waitcnt vmcnt(1)
	buffer_store_dword v95, off, s[0:3], 0 offset:348
	buffer_store_dword v93, v91, s[0:3], 0 offen
	buffer_store_dword v94, v91, s[0:3], 0 offen offset:4
.LBB44_280:
	global_load_dword v0, v0, s[20:21] offset:168
	s_waitcnt vmcnt(0)
	v_add_u32_e32 v0, -1, v0
	v_cmp_eq_u32_e32 vcc, 42, v0
	s_cbranch_vccnz .LBB44_282
; %bb.281:
	v_lshlrev_b32_e32 v0, 3, v0
	buffer_load_dword v91, v0, s[0:3], 0 offen
	buffer_load_dword v92, v0, s[0:3], 0 offen offset:4
	buffer_load_dword v93, off, s[0:3], 0 offset:340
	buffer_load_dword v94, off, s[0:3], 0 offset:336
	s_waitcnt vmcnt(3)
	buffer_store_dword v91, off, s[0:3], 0 offset:336
	s_waitcnt vmcnt(3)
	buffer_store_dword v92, off, s[0:3], 0 offset:340
	s_waitcnt vmcnt(3)
	buffer_store_dword v93, v0, s[0:3], 0 offen offset:4
	s_waitcnt vmcnt(3)
	buffer_store_dword v94, v0, s[0:3], 0 offen
.LBB44_282:
	v_mov_b32_e32 v0, 0
	global_load_dword v91, v0, s[20:21] offset:164
	s_waitcnt vmcnt(0)
	v_add_u32_e32 v91, -1, v91
	v_cmp_eq_u32_e32 vcc, 41, v91
	s_cbranch_vccnz .LBB44_284
; %bb.283:
	v_lshlrev_b32_e32 v91, 3, v91
	buffer_load_dword v92, v91, s[0:3], 0 offen
	buffer_load_dword v93, v91, s[0:3], 0 offen offset:4
	buffer_load_dword v94, off, s[0:3], 0 offset:328
	buffer_load_dword v95, off, s[0:3], 0 offset:332
	s_waitcnt vmcnt(3)
	buffer_store_dword v92, off, s[0:3], 0 offset:328
	s_waitcnt vmcnt(3)
	buffer_store_dword v93, off, s[0:3], 0 offset:332
	s_waitcnt vmcnt(3)
	buffer_store_dword v94, v91, s[0:3], 0 offen
	s_waitcnt vmcnt(3)
	buffer_store_dword v95, v91, s[0:3], 0 offen offset:4
.LBB44_284:
	global_load_dword v0, v0, s[20:21] offset:160
	s_waitcnt vmcnt(0)
	v_add_u32_e32 v0, -1, v0
	v_cmp_eq_u32_e32 vcc, 40, v0
	s_cbranch_vccnz .LBB44_286
; %bb.285:
	v_lshlrev_b32_e32 v0, 3, v0
	buffer_load_dword v91, v0, s[0:3], 0 offen
	buffer_load_dword v92, v0, s[0:3], 0 offen offset:4
	buffer_load_dword v93, off, s[0:3], 0 offset:324
	buffer_load_dword v94, off, s[0:3], 0 offset:320
	s_waitcnt vmcnt(3)
	buffer_store_dword v91, off, s[0:3], 0 offset:320
	s_waitcnt vmcnt(3)
	buffer_store_dword v92, off, s[0:3], 0 offset:324
	s_waitcnt vmcnt(3)
	buffer_store_dword v93, v0, s[0:3], 0 offen offset:4
	s_waitcnt vmcnt(3)
	buffer_store_dword v94, v0, s[0:3], 0 offen
.LBB44_286:
	v_mov_b32_e32 v0, 0
	global_load_dword v91, v0, s[20:21] offset:156
	s_waitcnt vmcnt(0)
	v_add_u32_e32 v91, -1, v91
	v_cmp_eq_u32_e32 vcc, 39, v91
	s_cbranch_vccnz .LBB44_288
; %bb.287:
	v_lshlrev_b32_e32 v91, 3, v91
	buffer_load_dword v92, v91, s[0:3], 0 offen
	buffer_load_dword v93, v91, s[0:3], 0 offen offset:4
	buffer_load_dword v94, off, s[0:3], 0 offset:312
	buffer_load_dword v95, off, s[0:3], 0 offset:316
	s_waitcnt vmcnt(3)
	buffer_store_dword v92, off, s[0:3], 0 offset:312
	s_waitcnt vmcnt(3)
	buffer_store_dword v93, off, s[0:3], 0 offset:316
	s_waitcnt vmcnt(3)
	buffer_store_dword v94, v91, s[0:3], 0 offen
	s_waitcnt vmcnt(3)
	buffer_store_dword v95, v91, s[0:3], 0 offen offset:4
.LBB44_288:
	;; [unrolled: 41-line block ×21, first 2 shown]
	global_load_dword v0, v0, s[20:21]
	s_nop 0
	buffer_load_dword v91, off, s[0:3], 0
	buffer_load_dword v92, off, s[0:3], 0 offset:4
	s_waitcnt vmcnt(2)
	v_add_u32_e32 v0, -1, v0
	v_cmp_eq_u32_e32 vcc, 0, v0
	s_cbranch_vccnz .LBB44_366
; %bb.365:
	v_lshlrev_b32_e32 v0, 3, v0
	buffer_load_dword v93, v0, s[0:3], 0 offen offset:4
	buffer_load_dword v94, v0, s[0:3], 0 offen
	s_waitcnt vmcnt(1)
	buffer_store_dword v93, off, s[0:3], 0 offset:4
	s_waitcnt vmcnt(1)
	buffer_store_dword v94, off, s[0:3], 0
	buffer_store_dword v92, v0, s[0:3], 0 offen offset:4
	buffer_store_dword v91, v0, s[0:3], 0 offen
	buffer_load_dword v91, off, s[0:3], 0
	s_nop 0
	buffer_load_dword v92, off, s[0:3], 0 offset:4
.LBB44_366:
	buffer_load_dword v93, off, s[0:3], 0 offset:8
	buffer_load_dword v94, off, s[0:3], 0 offset:12
	;; [unrolled: 1-line block ×26, first 2 shown]
	s_waitcnt vmcnt(26)
	global_store_dwordx2 v[89:90], v[91:92], off
	buffer_load_dword v89, off, s[0:3], 0 offset:112
	s_nop 0
	buffer_load_dword v90, off, s[0:3], 0 offset:116
	buffer_load_dword v91, off, s[0:3], 0 offset:120
	;; [unrolled: 1-line block ×5, first 2 shown]
	s_waitcnt vmcnt(31)
	global_store_dwordx2 v[87:88], v[93:94], off
	buffer_load_dword v87, off, s[0:3], 0 offset:136
	s_nop 0
	buffer_load_dword v88, off, s[0:3], 0 offset:140
	buffer_load_dword v93, off, s[0:3], 0 offset:144
	;; [unrolled: 1-line block ×7, first 2 shown]
	s_waitcnt vmcnt(38)
	global_store_dwordx2 v[1:2], v[95:96], off
	s_waitcnt vmcnt(37)
	global_store_dwordx2 v[7:8], v[97:98], off
	buffer_load_dword v0, off, s[0:3], 0 offset:168
	buffer_load_dword v1, off, s[0:3], 0 offset:172
	s_nop 0
	buffer_load_dword v7, off, s[0:3], 0 offset:176
	buffer_load_dword v8, off, s[0:3], 0 offset:180
	buffer_load_dword v95, off, s[0:3], 0 offset:184
	buffer_load_dword v96, off, s[0:3], 0 offset:188
	buffer_load_dword v97, off, s[0:3], 0 offset:192
	buffer_load_dword v98, off, s[0:3], 0 offset:196
	s_waitcnt vmcnt(44)
	global_store_dwordx2 v[3:4], v[99:100], off
	s_waitcnt vmcnt(43)
	global_store_dwordx2 v[11:12], v[101:102], off
	buffer_load_dword v2, off, s[0:3], 0 offset:200
	buffer_load_dword v3, off, s[0:3], 0 offset:204
	s_nop 0
	buffer_load_dword v11, off, s[0:3], 0 offset:208
	buffer_load_dword v12, off, s[0:3], 0 offset:212
	buffer_load_dword v99, off, s[0:3], 0 offset:216
	buffer_load_dword v100, off, s[0:3], 0 offset:220
	buffer_load_dword v101, off, s[0:3], 0 offset:224
	buffer_load_dword v102, off, s[0:3], 0 offset:228
	;; [unrolled: 13-line block ×3, first 2 shown]
	s_waitcnt vmcnt(56)
	global_store_dwordx2 v[9:10], v[107:108], off
	s_waitcnt vmcnt(55)
	global_store_dwordx2 v[15:16], v[109:110], off
	;; [unrolled: 2-line block ×6, first 2 shown]
	buffer_load_dword v9, off, s[0:3], 0 offset:264
	buffer_load_dword v10, off, s[0:3], 0 offset:268
	;; [unrolled: 1-line block ×24, first 2 shown]
	s_waitcnt vmcnt(62)
	global_store_dwordx2 v[17:18], v[89:90], off
	global_store_dwordx2 v[21:22], v[91:92], off
	;; [unrolled: 1-line block ×6, first 2 shown]
	s_waitcnt vmcnt(62)
	global_store_dwordx2 v[37:38], v[123:124], off
	global_store_dwordx2 v[39:40], v[0:1], off
	s_waitcnt vmcnt(62)
	global_store_dwordx2 v[41:42], v[7:8], off
	s_waitcnt vmcnt(61)
	;; [unrolled: 2-line block ×23, first 2 shown]
	global_store_dwordx2 v[85:86], v[117:118], off
	s_endpgm
	.section	.rodata,"a",@progbits
	.p2align	6, 0x0
	.amdhsa_kernel _ZN9rocsolver6v33100L18getri_kernel_smallILi45EdPdEEvT1_iilPiilS4_bb
		.amdhsa_group_segment_fixed_size 728
		.amdhsa_private_segment_fixed_size 368
		.amdhsa_kernarg_size 60
		.amdhsa_user_sgpr_count 6
		.amdhsa_user_sgpr_private_segment_buffer 1
		.amdhsa_user_sgpr_dispatch_ptr 0
		.amdhsa_user_sgpr_queue_ptr 0
		.amdhsa_user_sgpr_kernarg_segment_ptr 1
		.amdhsa_user_sgpr_dispatch_id 0
		.amdhsa_user_sgpr_flat_scratch_init 0
		.amdhsa_user_sgpr_private_segment_size 0
		.amdhsa_uses_dynamic_stack 0
		.amdhsa_system_sgpr_private_segment_wavefront_offset 1
		.amdhsa_system_sgpr_workgroup_id_x 1
		.amdhsa_system_sgpr_workgroup_id_y 0
		.amdhsa_system_sgpr_workgroup_id_z 0
		.amdhsa_system_sgpr_workgroup_info 0
		.amdhsa_system_vgpr_workitem_id 0
		.amdhsa_next_free_vgpr 129
		.amdhsa_next_free_sgpr 24
		.amdhsa_reserve_vcc 1
		.amdhsa_reserve_flat_scratch 0
		.amdhsa_float_round_mode_32 0
		.amdhsa_float_round_mode_16_64 0
		.amdhsa_float_denorm_mode_32 3
		.amdhsa_float_denorm_mode_16_64 3
		.amdhsa_dx10_clamp 1
		.amdhsa_ieee_mode 1
		.amdhsa_fp16_overflow 0
		.amdhsa_exception_fp_ieee_invalid_op 0
		.amdhsa_exception_fp_denorm_src 0
		.amdhsa_exception_fp_ieee_div_zero 0
		.amdhsa_exception_fp_ieee_overflow 0
		.amdhsa_exception_fp_ieee_underflow 0
		.amdhsa_exception_fp_ieee_inexact 0
		.amdhsa_exception_int_div_zero 0
	.end_amdhsa_kernel
	.section	.text._ZN9rocsolver6v33100L18getri_kernel_smallILi45EdPdEEvT1_iilPiilS4_bb,"axG",@progbits,_ZN9rocsolver6v33100L18getri_kernel_smallILi45EdPdEEvT1_iilPiilS4_bb,comdat
.Lfunc_end44:
	.size	_ZN9rocsolver6v33100L18getri_kernel_smallILi45EdPdEEvT1_iilPiilS4_bb, .Lfunc_end44-_ZN9rocsolver6v33100L18getri_kernel_smallILi45EdPdEEvT1_iilPiilS4_bb
                                        ; -- End function
	.set _ZN9rocsolver6v33100L18getri_kernel_smallILi45EdPdEEvT1_iilPiilS4_bb.num_vgpr, 129
	.set _ZN9rocsolver6v33100L18getri_kernel_smallILi45EdPdEEvT1_iilPiilS4_bb.num_agpr, 0
	.set _ZN9rocsolver6v33100L18getri_kernel_smallILi45EdPdEEvT1_iilPiilS4_bb.numbered_sgpr, 24
	.set _ZN9rocsolver6v33100L18getri_kernel_smallILi45EdPdEEvT1_iilPiilS4_bb.num_named_barrier, 0
	.set _ZN9rocsolver6v33100L18getri_kernel_smallILi45EdPdEEvT1_iilPiilS4_bb.private_seg_size, 368
	.set _ZN9rocsolver6v33100L18getri_kernel_smallILi45EdPdEEvT1_iilPiilS4_bb.uses_vcc, 1
	.set _ZN9rocsolver6v33100L18getri_kernel_smallILi45EdPdEEvT1_iilPiilS4_bb.uses_flat_scratch, 0
	.set _ZN9rocsolver6v33100L18getri_kernel_smallILi45EdPdEEvT1_iilPiilS4_bb.has_dyn_sized_stack, 0
	.set _ZN9rocsolver6v33100L18getri_kernel_smallILi45EdPdEEvT1_iilPiilS4_bb.has_recursion, 0
	.set _ZN9rocsolver6v33100L18getri_kernel_smallILi45EdPdEEvT1_iilPiilS4_bb.has_indirect_call, 0
	.section	.AMDGPU.csdata,"",@progbits
; Kernel info:
; codeLenInByte = 53940
; TotalNumSgprs: 28
; NumVgprs: 129
; ScratchSize: 368
; MemoryBound: 1
; FloatMode: 240
; IeeeMode: 1
; LDSByteSize: 728 bytes/workgroup (compile time only)
; SGPRBlocks: 3
; VGPRBlocks: 32
; NumSGPRsForWavesPerEU: 28
; NumVGPRsForWavesPerEU: 129
; Occupancy: 1
; WaveLimiterHint : 1
; COMPUTE_PGM_RSRC2:SCRATCH_EN: 1
; COMPUTE_PGM_RSRC2:USER_SGPR: 6
; COMPUTE_PGM_RSRC2:TRAP_HANDLER: 0
; COMPUTE_PGM_RSRC2:TGID_X_EN: 1
; COMPUTE_PGM_RSRC2:TGID_Y_EN: 0
; COMPUTE_PGM_RSRC2:TGID_Z_EN: 0
; COMPUTE_PGM_RSRC2:TIDIG_COMP_CNT: 0
	.section	.text._ZN9rocsolver6v33100L18getri_kernel_smallILi46EdPdEEvT1_iilPiilS4_bb,"axG",@progbits,_ZN9rocsolver6v33100L18getri_kernel_smallILi46EdPdEEvT1_iilPiilS4_bb,comdat
	.globl	_ZN9rocsolver6v33100L18getri_kernel_smallILi46EdPdEEvT1_iilPiilS4_bb ; -- Begin function _ZN9rocsolver6v33100L18getri_kernel_smallILi46EdPdEEvT1_iilPiilS4_bb
	.p2align	8
	.type	_ZN9rocsolver6v33100L18getri_kernel_smallILi46EdPdEEvT1_iilPiilS4_bb,@function
_ZN9rocsolver6v33100L18getri_kernel_smallILi46EdPdEEvT1_iilPiilS4_bb: ; @_ZN9rocsolver6v33100L18getri_kernel_smallILi46EdPdEEvT1_iilPiilS4_bb
; %bb.0:
	s_add_u32 s0, s0, s7
	s_addc_u32 s1, s1, 0
	v_cmp_gt_u32_e32 vcc, 46, v0
	s_and_saveexec_b64 s[8:9], vcc
	s_cbranch_execz .LBB45_192
; %bb.1:
	s_load_dword s12, s[4:5], 0x38
	s_load_dwordx4 s[16:19], s[4:5], 0x10
	s_load_dwordx4 s[8:11], s[4:5], 0x28
                                        ; implicit-def: $sgpr20_sgpr21
	s_waitcnt lgkmcnt(0)
	s_bitcmp1_b32 s12, 8
	s_cselect_b64 s[22:23], -1, 0
	s_ashr_i32 s7, s6, 31
	s_bfe_u32 s12, s12, 0x10008
	s_cmp_eq_u32 s12, 0
	s_cbranch_scc1 .LBB45_3
; %bb.2:
	s_load_dword s12, s[4:5], 0x20
	s_mul_i32 s13, s8, s7
	s_mul_hi_u32 s14, s8, s6
	s_mul_i32 s9, s9, s6
	s_add_i32 s14, s14, s13
	s_add_i32 s9, s14, s9
	s_mul_i32 s8, s8, s6
	s_waitcnt lgkmcnt(0)
	s_ashr_i32 s13, s12, 31
	s_lshl_b64 s[8:9], s[8:9], 2
	s_add_u32 s14, s18, s8
	s_addc_u32 s15, s19, s9
	s_lshl_b64 s[8:9], s[12:13], 2
	s_add_u32 s20, s14, s8
	s_addc_u32 s21, s15, s9
.LBB45_3:
	s_load_dwordx4 s[12:15], s[4:5], 0x0
	s_load_dword s8, s[4:5], 0x38
	s_mul_i32 s9, s16, s7
	s_mul_hi_u32 s18, s16, s6
	s_add_i32 s9, s18, s9
	s_waitcnt lgkmcnt(0)
	s_ashr_i32 s5, s14, 31
	s_mov_b32 s4, s14
	s_mul_i32 s14, s17, s6
	s_add_i32 s17, s9, s14
	s_mul_i32 s16, s16, s6
	s_lshl_b64 s[16:17], s[16:17], 3
	s_add_u32 s9, s12, s16
	s_addc_u32 s12, s13, s17
	s_lshl_b64 s[4:5], s[4:5], 3
	s_add_u32 s4, s9, s4
	s_addc_u32 s5, s12, s5
	s_add_i32 s9, s15, s15
	v_add_u32_e32 v3, s9, v0
	v_ashrrev_i32_e32 v4, 31, v3
	v_lshlrev_b64 v[1:2], 3, v[3:4]
	v_add_u32_e32 v5, s15, v3
	v_mov_b32_e32 v4, s5
	v_add_co_u32_e32 v1, vcc, s4, v1
	v_ashrrev_i32_e32 v6, 31, v5
	v_addc_co_u32_e32 v2, vcc, v4, v2, vcc
	v_lshlrev_b64 v[3:4], 3, v[5:6]
	v_add_u32_e32 v7, s15, v5
	v_mov_b32_e32 v6, s5
	v_add_co_u32_e32 v3, vcc, s4, v3
	v_ashrrev_i32_e32 v8, 31, v7
	v_addc_co_u32_e32 v4, vcc, v6, v4, vcc
	;; [unrolled: 6-line block ×8, first 2 shown]
	v_lshlrev_b64 v[17:18], 3, v[19:20]
	v_mov_b32_e32 v21, s5
	v_add_co_u32_e32 v17, vcc, s4, v17
	v_addc_co_u32_e32 v18, vcc, v21, v18, vcc
	v_add_u32_e32 v21, s15, v19
	v_ashrrev_i32_e32 v22, 31, v21
	v_lshlrev_b64 v[19:20], 3, v[21:22]
	v_mov_b32_e32 v23, s5
	v_add_co_u32_e32 v19, vcc, s4, v19
	v_addc_co_u32_e32 v20, vcc, v23, v20, vcc
	v_add_u32_e32 v23, s15, v21
	v_ashrrev_i32_e32 v24, 31, v23
	;; [unrolled: 6-line block ×3, first 2 shown]
	v_lshlrev_b64 v[23:24], 3, v[25:26]
	v_add_u32_e32 v25, s15, v25
	v_mov_b32_e32 v27, s5
	v_add_co_u32_e32 v23, vcc, s4, v23
	v_ashrrev_i32_e32 v26, 31, v25
	v_addc_co_u32_e32 v24, vcc, v27, v24, vcc
	v_lshlrev_b64 v[27:28], 3, v[25:26]
	v_mov_b32_e32 v29, s5
	v_add_co_u32_e32 v27, vcc, s4, v27
	v_addc_co_u32_e32 v28, vcc, v29, v28, vcc
	v_add_u32_e32 v29, s15, v25
	v_ashrrev_i32_e32 v30, 31, v29
	v_lshlrev_b64 v[25:26], 3, v[29:30]
	v_mov_b32_e32 v31, s5
	v_add_co_u32_e32 v25, vcc, s4, v25
	v_addc_co_u32_e32 v26, vcc, v31, v26, vcc
	v_add_u32_e32 v31, s15, v29
	v_ashrrev_i32_e32 v32, 31, v31
	;; [unrolled: 6-line block ×18, first 2 shown]
	v_lshlrev_b64 v[61:62], 3, v[63:64]
	v_lshlrev_b32_e32 v95, 3, v0
	v_mov_b32_e32 v65, s5
	v_add_co_u32_e32 v61, vcc, s4, v61
	global_load_dwordx2 v[93:94], v95, s[4:5]
	v_addc_co_u32_e32 v62, vcc, v65, v62, vcc
	v_add_u32_e32 v65, s15, v63
	v_ashrrev_i32_e32 v66, 31, v65
	v_lshlrev_b64 v[63:64], 3, v[65:66]
	v_mov_b32_e32 v67, s5
	v_add_co_u32_e32 v63, vcc, s4, v63
	v_addc_co_u32_e32 v64, vcc, v67, v64, vcc
	v_add_u32_e32 v67, s15, v65
	v_ashrrev_i32_e32 v68, 31, v67
	v_lshlrev_b64 v[65:66], 3, v[67:68]
	v_mov_b32_e32 v69, s5
	v_add_co_u32_e32 v65, vcc, s4, v65
	;; [unrolled: 6-line block ×10, first 2 shown]
	s_ashr_i32 s13, s15, 31
	s_mov_b32 s12, s15
	v_addc_co_u32_e32 v90, vcc, 0, v84, vcc
	s_lshl_b64 s[12:13], s[12:13], 3
	v_mov_b32_e32 v84, s13
	v_add_co_u32_e32 v91, vcc, s12, v89
	v_addc_co_u32_e32 v92, vcc, v90, v84, vcc
	global_load_dwordx2 v[96:97], v[91:92], off
	global_load_dwordx2 v[98:99], v[1:2], off
	;; [unrolled: 1-line block ×8, first 2 shown]
	v_mov_b32_e32 v85, s5
	v_add_co_u32_e32 v81, vcc, s4, v81
	v_addc_co_u32_e32 v82, vcc, v85, v82, vcc
	v_add_u32_e32 v85, s15, v83
	v_ashrrev_i32_e32 v86, 31, v85
	v_lshlrev_b64 v[83:84], 3, v[85:86]
	v_mov_b32_e32 v87, s5
	v_add_co_u32_e32 v83, vcc, s4, v83
	v_addc_co_u32_e32 v84, vcc, v87, v84, vcc
	v_add_u32_e32 v87, s15, v85
	v_ashrrev_i32_e32 v88, 31, v87
	v_lshlrev_b64 v[85:86], 3, v[87:88]
	global_load_dwordx2 v[112:113], v[15:16], off
	global_load_dwordx2 v[114:115], v[17:18], off
	v_mov_b32_e32 v116, s5
	v_add_co_u32_e32 v85, vcc, s4, v85
	v_addc_co_u32_e32 v86, vcc, v116, v86, vcc
	v_add_u32_e32 v87, s15, v87
	global_load_dwordx2 v[116:117], v[19:20], off
	global_load_dwordx2 v[118:119], v[21:22], off
	v_ashrrev_i32_e32 v88, 31, v87
	v_lshlrev_b64 v[87:88], 3, v[87:88]
	v_mov_b32_e32 v120, s5
	v_add_co_u32_e32 v87, vcc, s4, v87
	v_addc_co_u32_e32 v88, vcc, v120, v88, vcc
	global_load_dwordx2 v[120:121], v[23:24], off
	global_load_dwordx2 v[122:123], v[27:28], off
	s_waitcnt vmcnt(14)
	buffer_store_dword v94, off, s[0:3], 0 offset:4
	buffer_store_dword v93, off, s[0:3], 0
	global_load_dwordx2 v[93:94], v[25:26], off
	s_waitcnt vmcnt(16)
	buffer_store_dword v97, off, s[0:3], 0 offset:12
	buffer_store_dword v96, off, s[0:3], 0 offset:8
	s_waitcnt vmcnt(17)
	buffer_store_dword v99, off, s[0:3], 0 offset:20
	buffer_store_dword v98, off, s[0:3], 0 offset:16
	;; [unrolled: 3-line block ×4, first 2 shown]
	s_waitcnt vmcnt(20)
	buffer_store_dword v105, off, s[0:3], 0 offset:44
	global_load_dwordx2 v[96:97], v[29:30], off
	global_load_dwordx2 v[98:99], v[31:32], off
	;; [unrolled: 1-line block ×4, first 2 shown]
	s_bitcmp0_b32 s8, 0
	buffer_store_dword v104, off, s[0:3], 0 offset:40
	global_load_dwordx2 v[104:105], v[37:38], off
	s_mov_b64 s[8:9], -1
	s_waitcnt vmcnt(26)
	buffer_store_dword v107, off, s[0:3], 0 offset:52
	buffer_store_dword v106, off, s[0:3], 0 offset:48
	global_load_dwordx2 v[106:107], v[39:40], off
	s_waitcnt vmcnt(28)
	buffer_store_dword v109, off, s[0:3], 0 offset:60
	buffer_store_dword v108, off, s[0:3], 0 offset:56
	global_load_dwordx2 v[108:109], v[41:42], off
	;; [unrolled: 4-line block ×10, first 2 shown]
	s_waitcnt vmcnt(35)
	buffer_store_dword v96, off, s[0:3], 0 offset:128
	buffer_store_dword v97, off, s[0:3], 0 offset:132
	s_waitcnt vmcnt(36)
	buffer_store_dword v98, off, s[0:3], 0 offset:136
	buffer_store_dword v99, off, s[0:3], 0 offset:140
	;; [unrolled: 3-line block ×8, first 2 shown]
	global_load_dwordx2 v[96:97], v[59:60], off
	global_load_dwordx2 v[98:99], v[61:62], off
	;; [unrolled: 1-line block ×8, first 2 shown]
	s_waitcnt vmcnt(42)
	buffer_store_dword v112, off, s[0:3], 0 offset:192
	buffer_store_dword v113, off, s[0:3], 0 offset:196
	global_load_dwordx2 v[112:113], v[75:76], off
	s_waitcnt vmcnt(42)
	buffer_store_dword v115, off, s[0:3], 0 offset:204
	buffer_store_dword v114, off, s[0:3], 0 offset:200
	global_load_dwordx2 v[114:115], v[77:78], off
	;; [unrolled: 4-line block ×7, first 2 shown]
	s_waitcnt vmcnt(28)
	buffer_store_dword v97, off, s[0:3], 0 offset:252
	buffer_store_dword v96, off, s[0:3], 0 offset:248
	s_waitcnt vmcnt(29)
	buffer_store_dword v99, off, s[0:3], 0 offset:260
	buffer_store_dword v98, off, s[0:3], 0 offset:256
	;; [unrolled: 3-line block ×15, first 2 shown]
	s_cbranch_scc1 .LBB45_190
; %bb.4:
	v_cmp_eq_u32_e64 s[4:5], 0, v0
	s_and_saveexec_b64 s[8:9], s[4:5]
; %bb.5:
	v_mov_b32_e32 v93, 0
	ds_write_b32 v93, v93 offset:736
; %bb.6:
	s_or_b64 exec, exec, s[8:9]
	v_mov_b32_e32 v93, 0
	v_lshl_add_u32 v93, v0, 3, v93
	s_waitcnt lgkmcnt(0)
	; wave barrier
	buffer_load_dword v96, v93, s[0:3], 0 offen
	buffer_load_dword v97, v93, s[0:3], 0 offen offset:4
	s_waitcnt vmcnt(0)
	v_cmp_eq_f64_e32 vcc, 0, v[96:97]
	s_and_saveexec_b64 s[12:13], vcc
	s_cbranch_execz .LBB45_10
; %bb.7:
	v_mov_b32_e32 v94, 0
	ds_read_b32 v97, v94 offset:736
	v_add_u32_e32 v96, 1, v0
	s_waitcnt lgkmcnt(0)
	v_readfirstlane_b32 s8, v97
	s_cmp_eq_u32 s8, 0
	s_cselect_b64 s[14:15], -1, 0
	v_cmp_gt_i32_e32 vcc, s8, v96
	s_or_b64 s[14:15], s[14:15], vcc
	s_and_b64 exec, exec, s[14:15]
	s_cbranch_execz .LBB45_10
; %bb.8:
	s_mov_b64 s[14:15], 0
	v_mov_b32_e32 v97, s8
.LBB45_9:                               ; =>This Inner Loop Header: Depth=1
	ds_cmpst_rtn_b32 v97, v94, v97, v96 offset:736
	s_waitcnt lgkmcnt(0)
	v_cmp_ne_u32_e32 vcc, 0, v97
	v_cmp_le_i32_e64 s[8:9], v97, v96
	s_and_b64 s[8:9], vcc, s[8:9]
	s_and_b64 s[8:9], exec, s[8:9]
	s_or_b64 s[14:15], s[8:9], s[14:15]
	s_andn2_b64 exec, exec, s[14:15]
	s_cbranch_execnz .LBB45_9
.LBB45_10:
	s_or_b64 exec, exec, s[12:13]
	v_mov_b32_e32 v96, 0
	; wave barrier
	ds_read_b32 v94, v96 offset:736
	s_and_saveexec_b64 s[8:9], s[4:5]
	s_cbranch_execz .LBB45_12
; %bb.11:
	s_lshl_b64 s[12:13], s[6:7], 2
	s_add_u32 s12, s10, s12
	s_addc_u32 s13, s11, s13
	s_waitcnt lgkmcnt(0)
	global_store_dword v96, v94, s[12:13]
.LBB45_12:
	s_or_b64 exec, exec, s[8:9]
	s_waitcnt lgkmcnt(0)
	v_cmp_ne_u32_e32 vcc, 0, v94
	s_mov_b64 s[8:9], 0
	s_cbranch_vccnz .LBB45_190
; %bb.13:
	buffer_load_dword v96, v93, s[0:3], 0 offen
	buffer_load_dword v97, v93, s[0:3], 0 offen offset:4
	s_waitcnt vmcnt(0)
	v_div_scale_f64 v[98:99], s[8:9], v[96:97], v[96:97], 1.0
	v_rcp_f64_e32 v[100:101], v[98:99]
	v_fma_f64 v[102:103], -v[98:99], v[100:101], 1.0
	v_fma_f64 v[100:101], v[100:101], v[102:103], v[100:101]
	v_div_scale_f64 v[102:103], vcc, 1.0, v[96:97], 1.0
	v_fma_f64 v[104:105], -v[98:99], v[100:101], 1.0
	v_fma_f64 v[100:101], v[100:101], v[104:105], v[100:101]
	v_mul_f64 v[104:105], v[102:103], v[100:101]
	v_fma_f64 v[98:99], -v[98:99], v[104:105], v[102:103]
	v_div_fmas_f64 v[98:99], v[98:99], v[100:101], v[104:105]
	v_div_fixup_f64 v[97:98], v[98:99], v[96:97], 1.0
	v_add_u32_e32 v96, 0x170, v95
	buffer_store_dword v98, v93, s[0:3], 0 offen offset:4
	buffer_store_dword v97, v93, s[0:3], 0 offen
	buffer_load_dword v100, off, s[0:3], 0 offset:12
	buffer_load_dword v99, off, s[0:3], 0 offset:8
	v_xor_b32_e32 v98, 0x80000000, v98
	s_waitcnt vmcnt(0)
	ds_write2_b64 v95, v[97:98], v[99:100] offset1:46
	s_waitcnt lgkmcnt(0)
	; wave barrier
	s_and_saveexec_b64 s[8:9], s[4:5]
	s_cbranch_execz .LBB45_15
; %bb.14:
	buffer_load_dword v97, v93, s[0:3], 0 offen
	buffer_load_dword v98, v93, s[0:3], 0 offen offset:4
	ds_read_b64 v[99:100], v96
	v_mov_b32_e32 v94, 0
	ds_read_b64 v[101:102], v94 offset:8
	s_waitcnt vmcnt(0) lgkmcnt(1)
	v_fma_f64 v[97:98], v[97:98], v[99:100], 0
	s_waitcnt lgkmcnt(0)
	v_mul_f64 v[97:98], v[97:98], v[101:102]
	buffer_store_dword v97, off, s[0:3], 0 offset:8
	buffer_store_dword v98, off, s[0:3], 0 offset:12
.LBB45_15:
	s_or_b64 exec, exec, s[8:9]
	; wave barrier
	buffer_load_dword v97, off, s[0:3], 0 offset:16
	buffer_load_dword v98, off, s[0:3], 0 offset:20
	v_cmp_gt_u32_e32 vcc, 2, v0
	s_waitcnt vmcnt(0)
	ds_write_b64 v96, v[97:98]
	s_waitcnt lgkmcnt(0)
	; wave barrier
	s_and_saveexec_b64 s[8:9], vcc
	s_cbranch_execz .LBB45_17
; %bb.16:
	buffer_load_dword v97, v93, s[0:3], 0 offen
	buffer_load_dword v98, v93, s[0:3], 0 offen offset:4
                                        ; kill: killed $vgpr93
	s_nop 0
	buffer_load_dword v93, off, s[0:3], 0 offset:8
	buffer_load_dword v94, off, s[0:3], 0 offset:12
	ds_read_b64 v[99:100], v96
	s_waitcnt vmcnt(2) lgkmcnt(0)
	v_fma_f64 v[101:102], v[97:98], v[99:100], 0
	v_mov_b32_e32 v97, 0
	ds_read2_b64 v[97:100], v97 offset0:2 offset1:47
	s_waitcnt vmcnt(0) lgkmcnt(0)
	v_fma_f64 v[93:94], v[93:94], v[99:100], v[101:102]
	v_cndmask_b32_e64 v94, v102, v94, s[4:5]
	v_cndmask_b32_e64 v93, v101, v93, s[4:5]
	v_mul_f64 v[93:94], v[93:94], v[97:98]
	buffer_store_dword v94, off, s[0:3], 0 offset:20
	buffer_store_dword v93, off, s[0:3], 0 offset:16
.LBB45_17:
	s_or_b64 exec, exec, s[8:9]
	; wave barrier
	buffer_load_dword v93, off, s[0:3], 0 offset:24
	buffer_load_dword v94, off, s[0:3], 0 offset:28
	v_cmp_gt_u32_e32 vcc, 3, v0
	v_add_u32_e32 v97, -1, v0
	s_waitcnt vmcnt(0)
	ds_write_b64 v96, v[93:94]
	s_waitcnt lgkmcnt(0)
	; wave barrier
	s_and_saveexec_b64 s[4:5], vcc
	s_cbranch_execz .LBB45_21
; %bb.18:
	v_mov_b32_e32 v93, 0
	v_add_u32_e32 v98, -1, v0
	v_add_u32_e32 v99, 0x170, v95
	v_mov_b32_e32 v100, v95
	v_mov_b32_e32 v94, 0
	s_mov_b64 s[8:9], 0
.LBB45_19:                              ; =>This Inner Loop Header: Depth=1
	buffer_load_dword v101, v100, s[0:3], 0 offen
	buffer_load_dword v102, v100, s[0:3], 0 offen offset:4
	ds_read_b64 v[103:104], v99
	v_add_u32_e32 v98, 1, v98
	v_cmp_lt_u32_e32 vcc, 1, v98
	v_add_u32_e32 v99, 8, v99
	s_or_b64 s[8:9], vcc, s[8:9]
	v_add_u32_e32 v100, 8, v100
	s_waitcnt vmcnt(0) lgkmcnt(0)
	v_fma_f64 v[93:94], v[101:102], v[103:104], v[93:94]
	s_andn2_b64 exec, exec, s[8:9]
	s_cbranch_execnz .LBB45_19
; %bb.20:
	s_or_b64 exec, exec, s[8:9]
	v_mov_b32_e32 v98, 0
	ds_read_b64 v[98:99], v98 offset:24
	s_waitcnt lgkmcnt(0)
	v_mul_f64 v[93:94], v[93:94], v[98:99]
	buffer_store_dword v94, off, s[0:3], 0 offset:28
	buffer_store_dword v93, off, s[0:3], 0 offset:24
.LBB45_21:
	s_or_b64 exec, exec, s[4:5]
	; wave barrier
	buffer_load_dword v93, off, s[0:3], 0 offset:32
	buffer_load_dword v94, off, s[0:3], 0 offset:36
	v_cmp_gt_u32_e32 vcc, 4, v0
	s_waitcnt vmcnt(0)
	ds_write_b64 v96, v[93:94]
	s_waitcnt lgkmcnt(0)
	; wave barrier
	s_and_saveexec_b64 s[4:5], vcc
	s_cbranch_execz .LBB45_25
; %bb.22:
	v_mov_b32_e32 v93, 0
	v_add_u32_e32 v98, -1, v0
	v_add_u32_e32 v99, 0x170, v95
	v_mov_b32_e32 v100, v95
	v_mov_b32_e32 v94, 0
	s_mov_b64 s[8:9], 0
.LBB45_23:                              ; =>This Inner Loop Header: Depth=1
	buffer_load_dword v101, v100, s[0:3], 0 offen
	buffer_load_dword v102, v100, s[0:3], 0 offen offset:4
	ds_read_b64 v[103:104], v99
	v_add_u32_e32 v98, 1, v98
	v_cmp_lt_u32_e32 vcc, 2, v98
	v_add_u32_e32 v99, 8, v99
	s_or_b64 s[8:9], vcc, s[8:9]
	v_add_u32_e32 v100, 8, v100
	s_waitcnt vmcnt(0) lgkmcnt(0)
	v_fma_f64 v[93:94], v[101:102], v[103:104], v[93:94]
	s_andn2_b64 exec, exec, s[8:9]
	s_cbranch_execnz .LBB45_23
; %bb.24:
	s_or_b64 exec, exec, s[8:9]
	v_mov_b32_e32 v98, 0
	ds_read_b64 v[98:99], v98 offset:32
	s_waitcnt lgkmcnt(0)
	v_mul_f64 v[93:94], v[93:94], v[98:99]
	buffer_store_dword v94, off, s[0:3], 0 offset:36
	buffer_store_dword v93, off, s[0:3], 0 offset:32
.LBB45_25:
	s_or_b64 exec, exec, s[4:5]
	; wave barrier
	buffer_load_dword v93, off, s[0:3], 0 offset:40
	buffer_load_dword v94, off, s[0:3], 0 offset:44
	v_cmp_gt_u32_e32 vcc, 5, v0
	;; [unrolled: 40-line block ×21, first 2 shown]
	s_waitcnt vmcnt(0)
	ds_write_b64 v96, v[93:94]
	s_waitcnt lgkmcnt(0)
	; wave barrier
	s_and_saveexec_b64 s[4:5], vcc
	s_cbranch_execz .LBB45_105
; %bb.102:
	v_mov_b32_e32 v93, 0
	v_add_u32_e32 v98, -1, v0
	v_add_u32_e32 v99, 0x170, v95
	v_mov_b32_e32 v100, v95
	v_mov_b32_e32 v94, 0
	s_mov_b64 s[8:9], 0
.LBB45_103:                             ; =>This Inner Loop Header: Depth=1
	buffer_load_dword v101, v100, s[0:3], 0 offen
	buffer_load_dword v102, v100, s[0:3], 0 offen offset:4
	ds_read_b64 v[103:104], v99
	v_add_u32_e32 v98, 1, v98
	v_cmp_lt_u32_e32 vcc, 22, v98
	v_add_u32_e32 v99, 8, v99
	s_or_b64 s[8:9], vcc, s[8:9]
	v_add_u32_e32 v100, 8, v100
	s_waitcnt vmcnt(0) lgkmcnt(0)
	v_fma_f64 v[93:94], v[101:102], v[103:104], v[93:94]
	s_andn2_b64 exec, exec, s[8:9]
	s_cbranch_execnz .LBB45_103
; %bb.104:
	s_or_b64 exec, exec, s[8:9]
	v_mov_b32_e32 v98, 0
	ds_read_b64 v[98:99], v98 offset:192
	s_waitcnt lgkmcnt(0)
	v_mul_f64 v[93:94], v[93:94], v[98:99]
	buffer_store_dword v94, off, s[0:3], 0 offset:196
	buffer_store_dword v93, off, s[0:3], 0 offset:192
.LBB45_105:
	s_or_b64 exec, exec, s[4:5]
	; wave barrier
	buffer_load_dword v93, off, s[0:3], 0 offset:200
	buffer_load_dword v94, off, s[0:3], 0 offset:204
	v_cmp_gt_u32_e32 vcc, 25, v0
	s_waitcnt vmcnt(0)
	ds_write_b64 v96, v[93:94]
	s_waitcnt lgkmcnt(0)
	; wave barrier
	s_and_saveexec_b64 s[4:5], vcc
	s_cbranch_execz .LBB45_109
; %bb.106:
	v_mov_b32_e32 v93, 0
	v_add_u32_e32 v98, -1, v0
	v_add_u32_e32 v99, 0x170, v95
	v_mov_b32_e32 v100, v95
	v_mov_b32_e32 v94, 0
	s_mov_b64 s[8:9], 0
.LBB45_107:                             ; =>This Inner Loop Header: Depth=1
	buffer_load_dword v101, v100, s[0:3], 0 offen
	buffer_load_dword v102, v100, s[0:3], 0 offen offset:4
	ds_read_b64 v[103:104], v99
	v_add_u32_e32 v98, 1, v98
	v_cmp_lt_u32_e32 vcc, 23, v98
	v_add_u32_e32 v99, 8, v99
	s_or_b64 s[8:9], vcc, s[8:9]
	v_add_u32_e32 v100, 8, v100
	s_waitcnt vmcnt(0) lgkmcnt(0)
	v_fma_f64 v[93:94], v[101:102], v[103:104], v[93:94]
	s_andn2_b64 exec, exec, s[8:9]
	s_cbranch_execnz .LBB45_107
; %bb.108:
	s_or_b64 exec, exec, s[8:9]
	v_mov_b32_e32 v98, 0
	ds_read_b64 v[98:99], v98 offset:200
	s_waitcnt lgkmcnt(0)
	v_mul_f64 v[93:94], v[93:94], v[98:99]
	buffer_store_dword v94, off, s[0:3], 0 offset:204
	buffer_store_dword v93, off, s[0:3], 0 offset:200
.LBB45_109:
	s_or_b64 exec, exec, s[4:5]
	; wave barrier
	buffer_load_dword v93, off, s[0:3], 0 offset:208
	buffer_load_dword v94, off, s[0:3], 0 offset:212
	v_cmp_gt_u32_e32 vcc, 26, v0
	;; [unrolled: 40-line block ×20, first 2 shown]
	s_waitcnt vmcnt(0)
	ds_write_b64 v96, v[93:94]
	s_waitcnt lgkmcnt(0)
	; wave barrier
	s_and_saveexec_b64 s[4:5], vcc
	s_cbranch_execz .LBB45_185
; %bb.182:
	v_mov_b32_e32 v93, 0
	v_add_u32_e32 v98, -1, v0
	v_add_u32_e32 v99, 0x170, v95
	v_mov_b32_e32 v100, v95
	v_mov_b32_e32 v94, 0
	s_mov_b64 s[8:9], 0
.LBB45_183:                             ; =>This Inner Loop Header: Depth=1
	buffer_load_dword v101, v100, s[0:3], 0 offen
	buffer_load_dword v102, v100, s[0:3], 0 offen offset:4
	ds_read_b64 v[103:104], v99
	v_add_u32_e32 v98, 1, v98
	v_cmp_lt_u32_e32 vcc, 42, v98
	v_add_u32_e32 v99, 8, v99
	s_or_b64 s[8:9], vcc, s[8:9]
	v_add_u32_e32 v100, 8, v100
	s_waitcnt vmcnt(0) lgkmcnt(0)
	v_fma_f64 v[93:94], v[101:102], v[103:104], v[93:94]
	s_andn2_b64 exec, exec, s[8:9]
	s_cbranch_execnz .LBB45_183
; %bb.184:
	s_or_b64 exec, exec, s[8:9]
	v_mov_b32_e32 v98, 0
	ds_read_b64 v[98:99], v98 offset:352
	s_waitcnt lgkmcnt(0)
	v_mul_f64 v[93:94], v[93:94], v[98:99]
	buffer_store_dword v94, off, s[0:3], 0 offset:356
	buffer_store_dword v93, off, s[0:3], 0 offset:352
.LBB45_185:
	s_or_b64 exec, exec, s[4:5]
	; wave barrier
	buffer_load_dword v93, off, s[0:3], 0 offset:360
	buffer_load_dword v94, off, s[0:3], 0 offset:364
	v_cmp_ne_u32_e32 vcc, 45, v0
	s_waitcnt vmcnt(0)
	ds_write_b64 v96, v[93:94]
	s_waitcnt lgkmcnt(0)
	; wave barrier
	s_and_saveexec_b64 s[4:5], vcc
	s_cbranch_execz .LBB45_189
; %bb.186:
	v_mov_b32_e32 v93, 0
	v_add_u32_e32 v96, 0x170, v95
	v_mov_b32_e32 v94, 0
	s_mov_b64 s[8:9], 0
.LBB45_187:                             ; =>This Inner Loop Header: Depth=1
	buffer_load_dword v98, v95, s[0:3], 0 offen
	buffer_load_dword v99, v95, s[0:3], 0 offen offset:4
	ds_read_b64 v[100:101], v96
	v_add_u32_e32 v97, 1, v97
	v_cmp_lt_u32_e32 vcc, 43, v97
	v_add_u32_e32 v96, 8, v96
	s_or_b64 s[8:9], vcc, s[8:9]
	v_add_u32_e32 v95, 8, v95
	s_waitcnt vmcnt(0) lgkmcnt(0)
	v_fma_f64 v[93:94], v[98:99], v[100:101], v[93:94]
	s_andn2_b64 exec, exec, s[8:9]
	s_cbranch_execnz .LBB45_187
; %bb.188:
	s_or_b64 exec, exec, s[8:9]
	v_mov_b32_e32 v95, 0
	ds_read_b64 v[95:96], v95 offset:360
	s_waitcnt lgkmcnt(0)
	v_mul_f64 v[93:94], v[93:94], v[95:96]
	buffer_store_dword v94, off, s[0:3], 0 offset:364
	buffer_store_dword v93, off, s[0:3], 0 offset:360
.LBB45_189:
	s_or_b64 exec, exec, s[4:5]
	s_mov_b64 s[8:9], -1
	; wave barrier
.LBB45_190:
	s_and_b64 vcc, exec, s[8:9]
	s_cbranch_vccz .LBB45_192
; %bb.191:
	s_lshl_b64 s[4:5], s[6:7], 2
	s_add_u32 s4, s10, s4
	s_addc_u32 s5, s11, s5
	v_mov_b32_e32 v93, 0
	global_load_dword v93, v93, s[4:5]
	s_waitcnt vmcnt(0)
	v_cmp_ne_u32_e32 vcc, 0, v93
	s_cbranch_vccz .LBB45_193
.LBB45_192:
	s_endpgm
.LBB45_193:
	v_mov_b32_e32 v93, 0x170
	v_lshl_add_u32 v93, v0, 3, v93
	v_cmp_eq_u32_e32 vcc, 45, v0
	s_and_saveexec_b64 s[4:5], vcc
	s_cbranch_execz .LBB45_195
; %bb.194:
	buffer_load_dword v94, off, s[0:3], 0 offset:352
	buffer_load_dword v95, off, s[0:3], 0 offset:356
	v_mov_b32_e32 v96, 0
	buffer_store_dword v96, off, s[0:3], 0 offset:352
	buffer_store_dword v96, off, s[0:3], 0 offset:356
	s_waitcnt vmcnt(2)
	ds_write_b64 v93, v[94:95]
.LBB45_195:
	s_or_b64 exec, exec, s[4:5]
	s_waitcnt lgkmcnt(0)
	; wave barrier
	buffer_load_dword v95, off, s[0:3], 0 offset:360
	buffer_load_dword v96, off, s[0:3], 0 offset:364
	;; [unrolled: 1-line block ×4, first 2 shown]
	v_mov_b32_e32 v94, 0
	ds_read_b64 v[99:100], v94 offset:728
	v_cmp_lt_u32_e32 vcc, 43, v0
	s_waitcnt vmcnt(2) lgkmcnt(0)
	v_fma_f64 v[95:96], v[95:96], v[99:100], 0
	s_waitcnt vmcnt(0)
	v_add_f64 v[95:96], v[97:98], -v[95:96]
	buffer_store_dword v95, off, s[0:3], 0 offset:352
	buffer_store_dword v96, off, s[0:3], 0 offset:356
	s_and_saveexec_b64 s[4:5], vcc
	s_cbranch_execz .LBB45_197
; %bb.196:
	buffer_load_dword v95, off, s[0:3], 0 offset:344
	buffer_load_dword v96, off, s[0:3], 0 offset:348
	s_waitcnt vmcnt(0)
	ds_write_b64 v93, v[95:96]
	buffer_store_dword v94, off, s[0:3], 0 offset:344
	buffer_store_dword v94, off, s[0:3], 0 offset:348
.LBB45_197:
	s_or_b64 exec, exec, s[4:5]
	s_waitcnt lgkmcnt(0)
	; wave barrier
	buffer_load_dword v98, off, s[0:3], 0 offset:352
	buffer_load_dword v99, off, s[0:3], 0 offset:356
	;; [unrolled: 1-line block ×6, first 2 shown]
	ds_read_b128 v[94:97], v94 offset:720
	v_cmp_lt_u32_e32 vcc, 42, v0
	s_waitcnt vmcnt(4) lgkmcnt(0)
	v_fma_f64 v[94:95], v[98:99], v[94:95], 0
	s_waitcnt vmcnt(2)
	v_fma_f64 v[94:95], v[100:101], v[96:97], v[94:95]
	s_waitcnt vmcnt(0)
	v_add_f64 v[94:95], v[102:103], -v[94:95]
	buffer_store_dword v94, off, s[0:3], 0 offset:344
	buffer_store_dword v95, off, s[0:3], 0 offset:348
	s_and_saveexec_b64 s[4:5], vcc
	s_cbranch_execz .LBB45_199
; %bb.198:
	buffer_load_dword v94, off, s[0:3], 0 offset:336
	buffer_load_dword v95, off, s[0:3], 0 offset:340
	v_mov_b32_e32 v96, 0
	buffer_store_dword v96, off, s[0:3], 0 offset:336
	buffer_store_dword v96, off, s[0:3], 0 offset:340
	s_waitcnt vmcnt(2)
	ds_write_b64 v93, v[94:95]
.LBB45_199:
	s_or_b64 exec, exec, s[4:5]
	s_waitcnt lgkmcnt(0)
	; wave barrier
	buffer_load_dword v99, off, s[0:3], 0 offset:344
	buffer_load_dword v100, off, s[0:3], 0 offset:348
	;; [unrolled: 1-line block ×8, first 2 shown]
	v_mov_b32_e32 v94, 0
	ds_read2_b64 v[95:98], v94 offset0:89 offset1:90
	ds_read_b64 v[107:108], v94 offset:728
	v_cmp_lt_u32_e32 vcc, 41, v0
	s_waitcnt vmcnt(6) lgkmcnt(1)
	v_fma_f64 v[95:96], v[99:100], v[95:96], 0
	s_waitcnt vmcnt(4)
	v_fma_f64 v[95:96], v[101:102], v[97:98], v[95:96]
	s_waitcnt vmcnt(2) lgkmcnt(0)
	v_fma_f64 v[95:96], v[103:104], v[107:108], v[95:96]
	s_waitcnt vmcnt(0)
	v_add_f64 v[95:96], v[105:106], -v[95:96]
	buffer_store_dword v95, off, s[0:3], 0 offset:336
	buffer_store_dword v96, off, s[0:3], 0 offset:340
	s_and_saveexec_b64 s[4:5], vcc
	s_cbranch_execz .LBB45_201
; %bb.200:
	buffer_load_dword v95, off, s[0:3], 0 offset:328
	buffer_load_dword v96, off, s[0:3], 0 offset:332
	s_waitcnt vmcnt(0)
	ds_write_b64 v93, v[95:96]
	buffer_store_dword v94, off, s[0:3], 0 offset:328
	buffer_store_dword v94, off, s[0:3], 0 offset:332
.LBB45_201:
	s_or_b64 exec, exec, s[4:5]
	s_waitcnt lgkmcnt(0)
	; wave barrier
	buffer_load_dword v103, off, s[0:3], 0 offset:336
	buffer_load_dword v104, off, s[0:3], 0 offset:340
	;; [unrolled: 1-line block ×10, first 2 shown]
	ds_read_b128 v[95:98], v94 offset:704
	ds_read_b128 v[99:102], v94 offset:720
	v_cmp_lt_u32_e32 vcc, 40, v0
	s_waitcnt vmcnt(8) lgkmcnt(1)
	v_fma_f64 v[94:95], v[103:104], v[95:96], 0
	s_waitcnt vmcnt(6)
	v_fma_f64 v[94:95], v[105:106], v[97:98], v[94:95]
	s_waitcnt vmcnt(4) lgkmcnt(0)
	v_fma_f64 v[94:95], v[107:108], v[99:100], v[94:95]
	s_waitcnt vmcnt(2)
	v_fma_f64 v[94:95], v[109:110], v[101:102], v[94:95]
	s_waitcnt vmcnt(0)
	v_add_f64 v[94:95], v[111:112], -v[94:95]
	buffer_store_dword v94, off, s[0:3], 0 offset:328
	buffer_store_dword v95, off, s[0:3], 0 offset:332
	s_and_saveexec_b64 s[4:5], vcc
	s_cbranch_execz .LBB45_203
; %bb.202:
	buffer_load_dword v94, off, s[0:3], 0 offset:320
	buffer_load_dword v95, off, s[0:3], 0 offset:324
	v_mov_b32_e32 v96, 0
	buffer_store_dword v96, off, s[0:3], 0 offset:320
	buffer_store_dword v96, off, s[0:3], 0 offset:324
	s_waitcnt vmcnt(2)
	ds_write_b64 v93, v[94:95]
.LBB45_203:
	s_or_b64 exec, exec, s[4:5]
	s_waitcnt lgkmcnt(0)
	; wave barrier
	buffer_load_dword v103, off, s[0:3], 0 offset:328
	buffer_load_dword v104, off, s[0:3], 0 offset:332
	;; [unrolled: 1-line block ×12, first 2 shown]
	v_mov_b32_e32 v94, 0
	ds_read2_b64 v[95:98], v94 offset0:87 offset1:88
	ds_read2_b64 v[99:102], v94 offset0:89 offset1:90
	v_cmp_lt_u32_e32 vcc, 39, v0
	s_waitcnt vmcnt(10) lgkmcnt(1)
	v_fma_f64 v[95:96], v[103:104], v[95:96], 0
	s_waitcnt vmcnt(8)
	v_fma_f64 v[95:96], v[105:106], v[97:98], v[95:96]
	ds_read_b64 v[97:98], v94 offset:728
	s_waitcnt vmcnt(6) lgkmcnt(1)
	v_fma_f64 v[95:96], v[107:108], v[99:100], v[95:96]
	s_waitcnt vmcnt(4)
	v_fma_f64 v[95:96], v[109:110], v[101:102], v[95:96]
	s_waitcnt vmcnt(2) lgkmcnt(0)
	v_fma_f64 v[95:96], v[111:112], v[97:98], v[95:96]
	s_waitcnt vmcnt(0)
	v_add_f64 v[95:96], v[113:114], -v[95:96]
	buffer_store_dword v95, off, s[0:3], 0 offset:320
	buffer_store_dword v96, off, s[0:3], 0 offset:324
	s_and_saveexec_b64 s[4:5], vcc
	s_cbranch_execz .LBB45_205
; %bb.204:
	buffer_load_dword v95, off, s[0:3], 0 offset:312
	buffer_load_dword v96, off, s[0:3], 0 offset:316
	s_waitcnt vmcnt(0)
	ds_write_b64 v93, v[95:96]
	buffer_store_dword v94, off, s[0:3], 0 offset:312
	buffer_store_dword v94, off, s[0:3], 0 offset:316
.LBB45_205:
	s_or_b64 exec, exec, s[4:5]
	s_waitcnt lgkmcnt(0)
	; wave barrier
	buffer_load_dword v103, off, s[0:3], 0 offset:320
	buffer_load_dword v104, off, s[0:3], 0 offset:324
	;; [unrolled: 1-line block ×14, first 2 shown]
	ds_read_b128 v[95:98], v94 offset:688
	ds_read_b128 v[99:102], v94 offset:704
	v_cmp_lt_u32_e32 vcc, 38, v0
	s_waitcnt vmcnt(12) lgkmcnt(1)
	v_fma_f64 v[95:96], v[103:104], v[95:96], 0
	s_waitcnt vmcnt(10)
	v_fma_f64 v[95:96], v[105:106], v[97:98], v[95:96]
	s_waitcnt vmcnt(8) lgkmcnt(0)
	v_fma_f64 v[95:96], v[107:108], v[99:100], v[95:96]
	s_waitcnt vmcnt(6)
	v_fma_f64 v[98:99], v[109:110], v[101:102], v[95:96]
	ds_read_b128 v[94:97], v94 offset:720
	s_waitcnt vmcnt(4) lgkmcnt(0)
	v_fma_f64 v[94:95], v[111:112], v[94:95], v[98:99]
	s_waitcnt vmcnt(2)
	v_fma_f64 v[94:95], v[113:114], v[96:97], v[94:95]
	s_waitcnt vmcnt(0)
	v_add_f64 v[94:95], v[115:116], -v[94:95]
	buffer_store_dword v94, off, s[0:3], 0 offset:312
	buffer_store_dword v95, off, s[0:3], 0 offset:316
	s_and_saveexec_b64 s[4:5], vcc
	s_cbranch_execz .LBB45_207
; %bb.206:
	buffer_load_dword v94, off, s[0:3], 0 offset:304
	buffer_load_dword v95, off, s[0:3], 0 offset:308
	v_mov_b32_e32 v96, 0
	buffer_store_dword v96, off, s[0:3], 0 offset:304
	buffer_store_dword v96, off, s[0:3], 0 offset:308
	s_waitcnt vmcnt(2)
	ds_write_b64 v93, v[94:95]
.LBB45_207:
	s_or_b64 exec, exec, s[4:5]
	s_waitcnt lgkmcnt(0)
	; wave barrier
	buffer_load_dword v103, off, s[0:3], 0 offset:312
	buffer_load_dword v104, off, s[0:3], 0 offset:316
	;; [unrolled: 1-line block ×16, first 2 shown]
	v_mov_b32_e32 v94, 0
	ds_read2_b64 v[95:98], v94 offset0:85 offset1:86
	ds_read2_b64 v[99:102], v94 offset0:87 offset1:88
	v_cmp_lt_u32_e32 vcc, 37, v0
	s_waitcnt vmcnt(14) lgkmcnt(1)
	v_fma_f64 v[95:96], v[103:104], v[95:96], 0
	s_waitcnt vmcnt(12)
	v_fma_f64 v[95:96], v[105:106], v[97:98], v[95:96]
	s_waitcnt vmcnt(10) lgkmcnt(0)
	v_fma_f64 v[95:96], v[107:108], v[99:100], v[95:96]
	s_waitcnt vmcnt(8)
	v_fma_f64 v[99:100], v[109:110], v[101:102], v[95:96]
	ds_read2_b64 v[95:98], v94 offset0:89 offset1:90
	ds_read_b64 v[101:102], v94 offset:728
	s_waitcnt vmcnt(6) lgkmcnt(1)
	v_fma_f64 v[95:96], v[111:112], v[95:96], v[99:100]
	s_waitcnt vmcnt(4)
	v_fma_f64 v[95:96], v[113:114], v[97:98], v[95:96]
	s_waitcnt vmcnt(2) lgkmcnt(0)
	v_fma_f64 v[95:96], v[115:116], v[101:102], v[95:96]
	s_waitcnt vmcnt(0)
	v_add_f64 v[95:96], v[117:118], -v[95:96]
	buffer_store_dword v95, off, s[0:3], 0 offset:304
	buffer_store_dword v96, off, s[0:3], 0 offset:308
	s_and_saveexec_b64 s[4:5], vcc
	s_cbranch_execz .LBB45_209
; %bb.208:
	buffer_load_dword v95, off, s[0:3], 0 offset:296
	buffer_load_dword v96, off, s[0:3], 0 offset:300
	s_waitcnt vmcnt(0)
	ds_write_b64 v93, v[95:96]
	buffer_store_dword v94, off, s[0:3], 0 offset:296
	buffer_store_dword v94, off, s[0:3], 0 offset:300
.LBB45_209:
	s_or_b64 exec, exec, s[4:5]
	s_waitcnt lgkmcnt(0)
	; wave barrier
	buffer_load_dword v103, off, s[0:3], 0 offset:304
	buffer_load_dword v104, off, s[0:3], 0 offset:308
	;; [unrolled: 1-line block ×18, first 2 shown]
	ds_read_b128 v[95:98], v94 offset:672
	ds_read_b128 v[99:102], v94 offset:688
	v_cmp_lt_u32_e32 vcc, 36, v0
	s_waitcnt vmcnt(16) lgkmcnt(1)
	v_fma_f64 v[95:96], v[103:104], v[95:96], 0
	s_waitcnt vmcnt(14)
	v_fma_f64 v[95:96], v[105:106], v[97:98], v[95:96]
	s_waitcnt vmcnt(12) lgkmcnt(0)
	v_fma_f64 v[95:96], v[107:108], v[99:100], v[95:96]
	s_waitcnt vmcnt(10)
	v_fma_f64 v[103:104], v[109:110], v[101:102], v[95:96]
	ds_read_b128 v[95:98], v94 offset:704
	ds_read_b128 v[99:102], v94 offset:720
	s_waitcnt vmcnt(8) lgkmcnt(1)
	v_fma_f64 v[94:95], v[111:112], v[95:96], v[103:104]
	s_waitcnt vmcnt(6)
	v_fma_f64 v[94:95], v[113:114], v[97:98], v[94:95]
	s_waitcnt vmcnt(4) lgkmcnt(0)
	v_fma_f64 v[94:95], v[115:116], v[99:100], v[94:95]
	s_waitcnt vmcnt(2)
	v_fma_f64 v[94:95], v[117:118], v[101:102], v[94:95]
	s_waitcnt vmcnt(0)
	v_add_f64 v[94:95], v[119:120], -v[94:95]
	buffer_store_dword v94, off, s[0:3], 0 offset:296
	buffer_store_dword v95, off, s[0:3], 0 offset:300
	s_and_saveexec_b64 s[4:5], vcc
	s_cbranch_execz .LBB45_211
; %bb.210:
	buffer_load_dword v94, off, s[0:3], 0 offset:288
	buffer_load_dword v95, off, s[0:3], 0 offset:292
	v_mov_b32_e32 v96, 0
	buffer_store_dword v96, off, s[0:3], 0 offset:288
	buffer_store_dword v96, off, s[0:3], 0 offset:292
	s_waitcnt vmcnt(2)
	ds_write_b64 v93, v[94:95]
.LBB45_211:
	s_or_b64 exec, exec, s[4:5]
	s_waitcnt lgkmcnt(0)
	; wave barrier
	buffer_load_dword v103, off, s[0:3], 0 offset:296
	buffer_load_dword v104, off, s[0:3], 0 offset:300
	buffer_load_dword v105, off, s[0:3], 0 offset:304
	buffer_load_dword v106, off, s[0:3], 0 offset:308
	buffer_load_dword v107, off, s[0:3], 0 offset:312
	buffer_load_dword v108, off, s[0:3], 0 offset:316
	buffer_load_dword v109, off, s[0:3], 0 offset:320
	buffer_load_dword v110, off, s[0:3], 0 offset:324
	buffer_load_dword v111, off, s[0:3], 0 offset:328
	buffer_load_dword v112, off, s[0:3], 0 offset:332
	buffer_load_dword v113, off, s[0:3], 0 offset:336
	buffer_load_dword v114, off, s[0:3], 0 offset:340
	buffer_load_dword v115, off, s[0:3], 0 offset:344
	buffer_load_dword v116, off, s[0:3], 0 offset:348
	buffer_load_dword v118, off, s[0:3], 0 offset:356
	buffer_load_dword v119, off, s[0:3], 0 offset:360
	buffer_load_dword v117, off, s[0:3], 0 offset:352
	buffer_load_dword v120, off, s[0:3], 0 offset:364
	buffer_load_dword v121, off, s[0:3], 0 offset:288
	buffer_load_dword v122, off, s[0:3], 0 offset:292
	v_mov_b32_e32 v94, 0
	ds_read2_b64 v[95:98], v94 offset0:83 offset1:84
	ds_read2_b64 v[99:102], v94 offset0:85 offset1:86
	v_cmp_lt_u32_e32 vcc, 35, v0
	s_waitcnt vmcnt(18) lgkmcnt(1)
	v_fma_f64 v[95:96], v[103:104], v[95:96], 0
	s_waitcnt vmcnt(16)
	v_fma_f64 v[95:96], v[105:106], v[97:98], v[95:96]
	s_waitcnt vmcnt(14) lgkmcnt(0)
	v_fma_f64 v[95:96], v[107:108], v[99:100], v[95:96]
	s_waitcnt vmcnt(12)
	v_fma_f64 v[103:104], v[109:110], v[101:102], v[95:96]
	ds_read2_b64 v[95:98], v94 offset0:87 offset1:88
	ds_read2_b64 v[99:102], v94 offset0:89 offset1:90
	s_waitcnt vmcnt(10) lgkmcnt(1)
	v_fma_f64 v[95:96], v[111:112], v[95:96], v[103:104]
	s_waitcnt vmcnt(8)
	v_fma_f64 v[95:96], v[113:114], v[97:98], v[95:96]
	ds_read_b64 v[97:98], v94 offset:728
	s_waitcnt vmcnt(6) lgkmcnt(1)
	v_fma_f64 v[95:96], v[115:116], v[99:100], v[95:96]
	s_waitcnt vmcnt(3)
	v_fma_f64 v[95:96], v[117:118], v[101:102], v[95:96]
	s_waitcnt vmcnt(2) lgkmcnt(0)
	v_fma_f64 v[95:96], v[119:120], v[97:98], v[95:96]
	s_waitcnt vmcnt(0)
	v_add_f64 v[95:96], v[121:122], -v[95:96]
	buffer_store_dword v95, off, s[0:3], 0 offset:288
	buffer_store_dword v96, off, s[0:3], 0 offset:292
	s_and_saveexec_b64 s[4:5], vcc
	s_cbranch_execz .LBB45_213
; %bb.212:
	buffer_load_dword v95, off, s[0:3], 0 offset:280
	buffer_load_dword v96, off, s[0:3], 0 offset:284
	s_waitcnt vmcnt(0)
	ds_write_b64 v93, v[95:96]
	buffer_store_dword v94, off, s[0:3], 0 offset:280
	buffer_store_dword v94, off, s[0:3], 0 offset:284
.LBB45_213:
	s_or_b64 exec, exec, s[4:5]
	s_waitcnt lgkmcnt(0)
	; wave barrier
	buffer_load_dword v103, off, s[0:3], 0 offset:288
	buffer_load_dword v104, off, s[0:3], 0 offset:292
	;; [unrolled: 1-line block ×20, first 2 shown]
	ds_read_b128 v[95:98], v94 offset:656
	buffer_load_dword v123, off, s[0:3], 0 offset:280
	buffer_load_dword v124, off, s[0:3], 0 offset:284
	ds_read_b128 v[99:102], v94 offset:672
	v_cmp_lt_u32_e32 vcc, 34, v0
	s_waitcnt vmcnt(20) lgkmcnt(1)
	v_fma_f64 v[95:96], v[103:104], v[95:96], 0
	s_waitcnt vmcnt(18)
	v_fma_f64 v[95:96], v[105:106], v[97:98], v[95:96]
	s_waitcnt vmcnt(16) lgkmcnt(0)
	v_fma_f64 v[95:96], v[107:108], v[99:100], v[95:96]
	s_waitcnt vmcnt(14)
	v_fma_f64 v[103:104], v[109:110], v[101:102], v[95:96]
	ds_read_b128 v[95:98], v94 offset:688
	ds_read_b128 v[99:102], v94 offset:704
	s_waitcnt vmcnt(12) lgkmcnt(1)
	v_fma_f64 v[95:96], v[111:112], v[95:96], v[103:104]
	s_waitcnt vmcnt(10)
	v_fma_f64 v[95:96], v[113:114], v[97:98], v[95:96]
	s_waitcnt vmcnt(8) lgkmcnt(0)
	v_fma_f64 v[95:96], v[115:116], v[99:100], v[95:96]
	s_waitcnt vmcnt(4)
	v_fma_f64 v[98:99], v[117:118], v[101:102], v[95:96]
	ds_read_b128 v[94:97], v94 offset:720
	s_waitcnt vmcnt(3) lgkmcnt(0)
	v_fma_f64 v[94:95], v[121:122], v[94:95], v[98:99]
	s_waitcnt vmcnt(2)
	v_fma_f64 v[94:95], v[119:120], v[96:97], v[94:95]
	s_waitcnt vmcnt(0)
	v_add_f64 v[94:95], v[123:124], -v[94:95]
	buffer_store_dword v94, off, s[0:3], 0 offset:280
	buffer_store_dword v95, off, s[0:3], 0 offset:284
	s_and_saveexec_b64 s[4:5], vcc
	s_cbranch_execz .LBB45_215
; %bb.214:
	buffer_load_dword v94, off, s[0:3], 0 offset:272
	buffer_load_dword v95, off, s[0:3], 0 offset:276
	v_mov_b32_e32 v96, 0
	buffer_store_dword v96, off, s[0:3], 0 offset:272
	buffer_store_dword v96, off, s[0:3], 0 offset:276
	s_waitcnt vmcnt(2)
	ds_write_b64 v93, v[94:95]
.LBB45_215:
	s_or_b64 exec, exec, s[4:5]
	s_waitcnt lgkmcnt(0)
	; wave barrier
	buffer_load_dword v103, off, s[0:3], 0 offset:280
	buffer_load_dword v104, off, s[0:3], 0 offset:284
	;; [unrolled: 1-line block ×21, first 2 shown]
	v_mov_b32_e32 v94, 0
	ds_read2_b64 v[95:98], v94 offset0:81 offset1:82
	ds_read2_b64 v[99:102], v94 offset0:83 offset1:84
	buffer_load_dword v120, off, s[0:3], 0 offset:364
	v_cmp_lt_u32_e32 vcc, 33, v0
	s_waitcnt vmcnt(20) lgkmcnt(1)
	v_fma_f64 v[95:96], v[103:104], v[95:96], 0
	buffer_load_dword v103, off, s[0:3], 0 offset:272
	buffer_load_dword v104, off, s[0:3], 0 offset:276
	s_waitcnt vmcnt(20)
	v_fma_f64 v[95:96], v[105:106], v[97:98], v[95:96]
	s_waitcnt vmcnt(18) lgkmcnt(0)
	v_fma_f64 v[95:96], v[107:108], v[99:100], v[95:96]
	s_waitcnt vmcnt(16)
	v_fma_f64 v[105:106], v[109:110], v[101:102], v[95:96]
	ds_read2_b64 v[95:98], v94 offset0:85 offset1:86
	ds_read2_b64 v[99:102], v94 offset0:87 offset1:88
	s_waitcnt vmcnt(14) lgkmcnt(1)
	v_fma_f64 v[95:96], v[111:112], v[95:96], v[105:106]
	s_waitcnt vmcnt(12)
	v_fma_f64 v[95:96], v[113:114], v[97:98], v[95:96]
	s_waitcnt vmcnt(10) lgkmcnt(0)
	v_fma_f64 v[95:96], v[115:116], v[99:100], v[95:96]
	s_waitcnt vmcnt(5)
	v_fma_f64 v[99:100], v[117:118], v[101:102], v[95:96]
	ds_read2_b64 v[95:98], v94 offset0:89 offset1:90
	ds_read_b64 v[101:102], v94 offset:728
	s_waitcnt vmcnt(4) lgkmcnt(1)
	v_fma_f64 v[95:96], v[123:124], v[95:96], v[99:100]
	s_waitcnt vmcnt(3)
	v_fma_f64 v[95:96], v[121:122], v[97:98], v[95:96]
	s_waitcnt vmcnt(2) lgkmcnt(0)
	v_fma_f64 v[95:96], v[119:120], v[101:102], v[95:96]
	s_waitcnt vmcnt(0)
	v_add_f64 v[95:96], v[103:104], -v[95:96]
	buffer_store_dword v96, off, s[0:3], 0 offset:276
	buffer_store_dword v95, off, s[0:3], 0 offset:272
	s_and_saveexec_b64 s[4:5], vcc
	s_cbranch_execz .LBB45_217
; %bb.216:
	buffer_load_dword v95, off, s[0:3], 0 offset:264
	buffer_load_dword v96, off, s[0:3], 0 offset:268
	s_waitcnt vmcnt(0)
	ds_write_b64 v93, v[95:96]
	buffer_store_dword v94, off, s[0:3], 0 offset:264
	buffer_store_dword v94, off, s[0:3], 0 offset:268
.LBB45_217:
	s_or_b64 exec, exec, s[4:5]
	s_waitcnt lgkmcnt(0)
	; wave barrier
	buffer_load_dword v103, off, s[0:3], 0 offset:272
	buffer_load_dword v104, off, s[0:3], 0 offset:276
	;; [unrolled: 1-line block ×21, first 2 shown]
	ds_read_b128 v[95:98], v94 offset:640
	ds_read_b128 v[99:102], v94 offset:656
	buffer_load_dword v120, off, s[0:3], 0 offset:356
	v_cmp_lt_u32_e32 vcc, 32, v0
	s_waitcnt vmcnt(20) lgkmcnt(1)
	v_fma_f64 v[95:96], v[103:104], v[95:96], 0
	buffer_load_dword v104, off, s[0:3], 0 offset:364
	buffer_load_dword v103, off, s[0:3], 0 offset:360
	s_waitcnt vmcnt(20)
	v_fma_f64 v[95:96], v[105:106], v[97:98], v[95:96]
	buffer_load_dword v105, off, s[0:3], 0 offset:264
	buffer_load_dword v106, off, s[0:3], 0 offset:268
	s_waitcnt vmcnt(20) lgkmcnt(0)
	v_fma_f64 v[95:96], v[107:108], v[99:100], v[95:96]
	s_waitcnt vmcnt(18)
	v_fma_f64 v[107:108], v[109:110], v[101:102], v[95:96]
	ds_read_b128 v[95:98], v94 offset:672
	ds_read_b128 v[99:102], v94 offset:688
	s_waitcnt vmcnt(16) lgkmcnt(1)
	v_fma_f64 v[95:96], v[111:112], v[95:96], v[107:108]
	s_waitcnt vmcnt(14)
	v_fma_f64 v[95:96], v[113:114], v[97:98], v[95:96]
	s_waitcnt vmcnt(12) lgkmcnt(0)
	v_fma_f64 v[95:96], v[115:116], v[99:100], v[95:96]
	s_waitcnt vmcnt(7)
	v_fma_f64 v[107:108], v[117:118], v[101:102], v[95:96]
	ds_read_b128 v[95:98], v94 offset:704
	ds_read_b128 v[99:102], v94 offset:720
	s_waitcnt vmcnt(6) lgkmcnt(1)
	v_fma_f64 v[94:95], v[123:124], v[95:96], v[107:108]
	s_waitcnt vmcnt(5)
	v_fma_f64 v[94:95], v[121:122], v[97:98], v[94:95]
	s_waitcnt vmcnt(4) lgkmcnt(0)
	v_fma_f64 v[94:95], v[119:120], v[99:100], v[94:95]
	s_waitcnt vmcnt(2)
	v_fma_f64 v[94:95], v[103:104], v[101:102], v[94:95]
	s_waitcnt vmcnt(0)
	v_add_f64 v[94:95], v[105:106], -v[94:95]
	buffer_store_dword v95, off, s[0:3], 0 offset:268
	buffer_store_dword v94, off, s[0:3], 0 offset:264
	s_and_saveexec_b64 s[4:5], vcc
	s_cbranch_execz .LBB45_219
; %bb.218:
	buffer_load_dword v94, off, s[0:3], 0 offset:256
	buffer_load_dword v95, off, s[0:3], 0 offset:260
	v_mov_b32_e32 v96, 0
	buffer_store_dword v96, off, s[0:3], 0 offset:256
	buffer_store_dword v96, off, s[0:3], 0 offset:260
	s_waitcnt vmcnt(2)
	ds_write_b64 v93, v[94:95]
.LBB45_219:
	s_or_b64 exec, exec, s[4:5]
	s_waitcnt lgkmcnt(0)
	; wave barrier
	buffer_load_dword v103, off, s[0:3], 0 offset:264
	buffer_load_dword v104, off, s[0:3], 0 offset:268
	buffer_load_dword v105, off, s[0:3], 0 offset:272
	buffer_load_dword v106, off, s[0:3], 0 offset:276
	buffer_load_dword v107, off, s[0:3], 0 offset:280
	buffer_load_dword v108, off, s[0:3], 0 offset:284
	buffer_load_dword v109, off, s[0:3], 0 offset:288
	buffer_load_dword v110, off, s[0:3], 0 offset:292
	buffer_load_dword v111, off, s[0:3], 0 offset:296
	buffer_load_dword v112, off, s[0:3], 0 offset:300
	buffer_load_dword v113, off, s[0:3], 0 offset:304
	buffer_load_dword v114, off, s[0:3], 0 offset:308
	buffer_load_dword v115, off, s[0:3], 0 offset:312
	buffer_load_dword v116, off, s[0:3], 0 offset:316
	buffer_load_dword v118, off, s[0:3], 0 offset:324
	buffer_load_dword v119, off, s[0:3], 0 offset:344
	buffer_load_dword v121, off, s[0:3], 0 offset:336
	buffer_load_dword v123, off, s[0:3], 0 offset:328
	buffer_load_dword v117, off, s[0:3], 0 offset:320
	buffer_load_dword v124, off, s[0:3], 0 offset:332
	buffer_load_dword v122, off, s[0:3], 0 offset:340
	v_mov_b32_e32 v94, 0
	ds_read2_b64 v[95:98], v94 offset0:79 offset1:80
	ds_read2_b64 v[99:102], v94 offset0:81 offset1:82
	buffer_load_dword v120, off, s[0:3], 0 offset:348
	v_cmp_lt_u32_e32 vcc, 31, v0
	s_waitcnt vmcnt(20) lgkmcnt(1)
	v_fma_f64 v[95:96], v[103:104], v[95:96], 0
	s_waitcnt vmcnt(18)
	v_fma_f64 v[95:96], v[105:106], v[97:98], v[95:96]
	buffer_load_dword v104, off, s[0:3], 0 offset:356
	buffer_load_dword v105, off, s[0:3], 0 offset:360
	;; [unrolled: 1-line block ×4, first 2 shown]
	s_waitcnt vmcnt(20) lgkmcnt(0)
	v_fma_f64 v[95:96], v[107:108], v[99:100], v[95:96]
	buffer_load_dword v107, off, s[0:3], 0 offset:256
	buffer_load_dword v108, off, s[0:3], 0 offset:260
	s_waitcnt vmcnt(20)
	v_fma_f64 v[109:110], v[109:110], v[101:102], v[95:96]
	ds_read2_b64 v[95:98], v94 offset0:83 offset1:84
	ds_read2_b64 v[99:102], v94 offset0:85 offset1:86
	s_waitcnt vmcnt(18) lgkmcnt(1)
	v_fma_f64 v[95:96], v[111:112], v[95:96], v[109:110]
	s_waitcnt vmcnt(16)
	v_fma_f64 v[95:96], v[113:114], v[97:98], v[95:96]
	s_waitcnt vmcnt(14) lgkmcnt(0)
	v_fma_f64 v[95:96], v[115:116], v[99:100], v[95:96]
	s_waitcnt vmcnt(9)
	v_fma_f64 v[109:110], v[117:118], v[101:102], v[95:96]
	ds_read2_b64 v[95:98], v94 offset0:87 offset1:88
	ds_read2_b64 v[99:102], v94 offset0:89 offset1:90
	s_waitcnt vmcnt(8) lgkmcnt(1)
	v_fma_f64 v[95:96], v[123:124], v[95:96], v[109:110]
	s_waitcnt vmcnt(7)
	v_fma_f64 v[95:96], v[121:122], v[97:98], v[95:96]
	ds_read_b64 v[97:98], v94 offset:728
	s_waitcnt vmcnt(6) lgkmcnt(1)
	v_fma_f64 v[95:96], v[119:120], v[99:100], v[95:96]
	s_waitcnt vmcnt(3)
	v_fma_f64 v[95:96], v[103:104], v[101:102], v[95:96]
	s_waitcnt vmcnt(2) lgkmcnt(0)
	v_fma_f64 v[95:96], v[105:106], v[97:98], v[95:96]
	s_waitcnt vmcnt(0)
	v_add_f64 v[95:96], v[107:108], -v[95:96]
	buffer_store_dword v96, off, s[0:3], 0 offset:260
	buffer_store_dword v95, off, s[0:3], 0 offset:256
	s_and_saveexec_b64 s[4:5], vcc
	s_cbranch_execz .LBB45_221
; %bb.220:
	buffer_load_dword v95, off, s[0:3], 0 offset:248
	buffer_load_dword v96, off, s[0:3], 0 offset:252
	s_waitcnt vmcnt(0)
	ds_write_b64 v93, v[95:96]
	buffer_store_dword v94, off, s[0:3], 0 offset:248
	buffer_store_dword v94, off, s[0:3], 0 offset:252
.LBB45_221:
	s_or_b64 exec, exec, s[4:5]
	s_waitcnt lgkmcnt(0)
	; wave barrier
	buffer_load_dword v99, off, s[0:3], 0 offset:256
	buffer_load_dword v100, off, s[0:3], 0 offset:260
	;; [unrolled: 1-line block ×20, first 2 shown]
	ds_read_b128 v[95:98], v94 offset:624
	buffer_load_dword v119, off, s[0:3], 0 offset:336
	buffer_load_dword v120, off, s[0:3], 0 offset:340
	v_cmp_lt_u32_e32 vcc, 30, v0
	s_waitcnt vmcnt(20) lgkmcnt(0)
	v_fma_f64 v[95:96], v[99:100], v[95:96], 0
	buffer_load_dword v100, off, s[0:3], 0 offset:348
	buffer_load_dword v99, off, s[0:3], 0 offset:344
	s_waitcnt vmcnt(20)
	v_fma_f64 v[101:102], v[101:102], v[97:98], v[95:96]
	ds_read_b128 v[95:98], v94 offset:640
	buffer_load_dword v121, off, s[0:3], 0 offset:352
	buffer_load_dword v122, off, s[0:3], 0 offset:356
	s_waitcnt vmcnt(20) lgkmcnt(0)
	v_fma_f64 v[95:96], v[103:104], v[95:96], v[101:102]
	buffer_load_dword v101, off, s[0:3], 0 offset:360
	buffer_load_dword v102, off, s[0:3], 0 offset:364
	s_waitcnt vmcnt(20)
	v_fma_f64 v[103:104], v[105:106], v[97:98], v[95:96]
	ds_read_b128 v[95:98], v94 offset:656
	buffer_load_dword v105, off, s[0:3], 0 offset:248
	buffer_load_dword v106, off, s[0:3], 0 offset:252
	s_waitcnt vmcnt(20) lgkmcnt(0)
	v_fma_f64 v[95:96], v[107:108], v[95:96], v[103:104]
	s_waitcnt vmcnt(18)
	v_fma_f64 v[103:104], v[109:110], v[97:98], v[95:96]
	ds_read_b128 v[95:98], v94 offset:672
	s_waitcnt vmcnt(16) lgkmcnt(0)
	v_fma_f64 v[95:96], v[111:112], v[95:96], v[103:104]
	s_waitcnt vmcnt(14)
	v_fma_f64 v[103:104], v[113:114], v[97:98], v[95:96]
	ds_read_b128 v[95:98], v94 offset:688
	;; [unrolled: 5-line block ×4, first 2 shown]
	s_waitcnt vmcnt(4) lgkmcnt(0)
	v_fma_f64 v[94:95], v[121:122], v[94:95], v[98:99]
	s_waitcnt vmcnt(2)
	v_fma_f64 v[94:95], v[101:102], v[96:97], v[94:95]
	s_waitcnt vmcnt(0)
	v_add_f64 v[94:95], v[105:106], -v[94:95]
	buffer_store_dword v95, off, s[0:3], 0 offset:252
	buffer_store_dword v94, off, s[0:3], 0 offset:248
	s_and_saveexec_b64 s[4:5], vcc
	s_cbranch_execz .LBB45_223
; %bb.222:
	buffer_load_dword v94, off, s[0:3], 0 offset:240
	buffer_load_dword v95, off, s[0:3], 0 offset:244
	v_mov_b32_e32 v96, 0
	buffer_store_dword v96, off, s[0:3], 0 offset:240
	buffer_store_dword v96, off, s[0:3], 0 offset:244
	s_waitcnt vmcnt(2)
	ds_write_b64 v93, v[94:95]
.LBB45_223:
	s_or_b64 exec, exec, s[4:5]
	s_waitcnt lgkmcnt(0)
	; wave barrier
	buffer_load_dword v99, off, s[0:3], 0 offset:248
	buffer_load_dword v100, off, s[0:3], 0 offset:252
	;; [unrolled: 1-line block ×20, first 2 shown]
	v_mov_b32_e32 v94, 0
	ds_read2_b64 v[95:98], v94 offset0:77 offset1:78
	buffer_load_dword v119, off, s[0:3], 0 offset:328
	buffer_load_dword v120, off, s[0:3], 0 offset:332
	v_cmp_lt_u32_e32 vcc, 29, v0
	s_waitcnt vmcnt(20) lgkmcnt(0)
	v_fma_f64 v[95:96], v[99:100], v[95:96], 0
	buffer_load_dword v100, off, s[0:3], 0 offset:340
	buffer_load_dword v99, off, s[0:3], 0 offset:336
	s_waitcnt vmcnt(20)
	v_fma_f64 v[101:102], v[101:102], v[97:98], v[95:96]
	ds_read2_b64 v[95:98], v94 offset0:79 offset1:80
	buffer_load_dword v121, off, s[0:3], 0 offset:344
	buffer_load_dword v122, off, s[0:3], 0 offset:348
	s_waitcnt vmcnt(20) lgkmcnt(0)
	v_fma_f64 v[95:96], v[103:104], v[95:96], v[101:102]
	buffer_load_dword v101, off, s[0:3], 0 offset:352
	buffer_load_dword v102, off, s[0:3], 0 offset:356
	s_waitcnt vmcnt(20)
	v_fma_f64 v[103:104], v[105:106], v[97:98], v[95:96]
	ds_read2_b64 v[95:98], v94 offset0:81 offset1:82
	buffer_load_dword v105, off, s[0:3], 0 offset:360
	buffer_load_dword v106, off, s[0:3], 0 offset:364
	s_waitcnt vmcnt(20) lgkmcnt(0)
	v_fma_f64 v[95:96], v[107:108], v[95:96], v[103:104]
	buffer_load_dword v103, off, s[0:3], 0 offset:240
	buffer_load_dword v104, off, s[0:3], 0 offset:244
	s_waitcnt vmcnt(20)
	v_fma_f64 v[107:108], v[109:110], v[97:98], v[95:96]
	ds_read2_b64 v[95:98], v94 offset0:83 offset1:84
	s_waitcnt vmcnt(18) lgkmcnt(0)
	v_fma_f64 v[95:96], v[111:112], v[95:96], v[107:108]
	s_waitcnt vmcnt(16)
	v_fma_f64 v[107:108], v[113:114], v[97:98], v[95:96]
	ds_read2_b64 v[95:98], v94 offset0:85 offset1:86
	s_waitcnt vmcnt(14) lgkmcnt(0)
	v_fma_f64 v[95:96], v[115:116], v[95:96], v[107:108]
	;; [unrolled: 5-line block ×4, first 2 shown]
	s_waitcnt vmcnt(4)
	v_fma_f64 v[95:96], v[101:102], v[97:98], v[95:96]
	ds_read_b64 v[97:98], v94 offset:728
	s_waitcnt vmcnt(2) lgkmcnt(0)
	v_fma_f64 v[95:96], v[105:106], v[97:98], v[95:96]
	s_waitcnt vmcnt(0)
	v_add_f64 v[95:96], v[103:104], -v[95:96]
	buffer_store_dword v96, off, s[0:3], 0 offset:244
	buffer_store_dword v95, off, s[0:3], 0 offset:240
	s_and_saveexec_b64 s[4:5], vcc
	s_cbranch_execz .LBB45_225
; %bb.224:
	buffer_load_dword v95, off, s[0:3], 0 offset:232
	buffer_load_dword v96, off, s[0:3], 0 offset:236
	s_waitcnt vmcnt(0)
	ds_write_b64 v93, v[95:96]
	buffer_store_dword v94, off, s[0:3], 0 offset:232
	buffer_store_dword v94, off, s[0:3], 0 offset:236
.LBB45_225:
	s_or_b64 exec, exec, s[4:5]
	s_waitcnt lgkmcnt(0)
	; wave barrier
	buffer_load_dword v99, off, s[0:3], 0 offset:240
	buffer_load_dword v100, off, s[0:3], 0 offset:244
	;; [unrolled: 1-line block ×20, first 2 shown]
	ds_read_b128 v[95:98], v94 offset:608
	buffer_load_dword v119, off, s[0:3], 0 offset:320
	buffer_load_dword v120, off, s[0:3], 0 offset:324
	v_cmp_lt_u32_e32 vcc, 28, v0
	s_waitcnt vmcnt(20) lgkmcnt(0)
	v_fma_f64 v[95:96], v[99:100], v[95:96], 0
	buffer_load_dword v100, off, s[0:3], 0 offset:332
	buffer_load_dword v99, off, s[0:3], 0 offset:328
	s_waitcnt vmcnt(20)
	v_fma_f64 v[101:102], v[101:102], v[97:98], v[95:96]
	ds_read_b128 v[95:98], v94 offset:624
	buffer_load_dword v121, off, s[0:3], 0 offset:336
	buffer_load_dword v122, off, s[0:3], 0 offset:340
	s_waitcnt vmcnt(20) lgkmcnt(0)
	v_fma_f64 v[95:96], v[103:104], v[95:96], v[101:102]
	buffer_load_dword v101, off, s[0:3], 0 offset:344
	buffer_load_dword v102, off, s[0:3], 0 offset:348
	s_waitcnt vmcnt(20)
	v_fma_f64 v[103:104], v[105:106], v[97:98], v[95:96]
	ds_read_b128 v[95:98], v94 offset:640
	buffer_load_dword v105, off, s[0:3], 0 offset:352
	buffer_load_dword v106, off, s[0:3], 0 offset:356
	;; [unrolled: 9-line block ×3, first 2 shown]
	s_waitcnt vmcnt(20) lgkmcnt(0)
	v_fma_f64 v[95:96], v[111:112], v[95:96], v[107:108]
	s_waitcnt vmcnt(18)
	v_fma_f64 v[107:108], v[113:114], v[97:98], v[95:96]
	ds_read_b128 v[95:98], v94 offset:672
	s_waitcnt vmcnt(16) lgkmcnt(0)
	v_fma_f64 v[95:96], v[115:116], v[95:96], v[107:108]
	s_waitcnt vmcnt(14)
	v_fma_f64 v[107:108], v[117:118], v[97:98], v[95:96]
	ds_read_b128 v[95:98], v94 offset:688
	;; [unrolled: 5-line block ×4, first 2 shown]
	s_waitcnt vmcnt(4) lgkmcnt(0)
	v_fma_f64 v[94:95], v[105:106], v[94:95], v[98:99]
	s_waitcnt vmcnt(2)
	v_fma_f64 v[94:95], v[103:104], v[96:97], v[94:95]
	s_waitcnt vmcnt(0)
	v_add_f64 v[94:95], v[109:110], -v[94:95]
	buffer_store_dword v95, off, s[0:3], 0 offset:236
	buffer_store_dword v94, off, s[0:3], 0 offset:232
	s_and_saveexec_b64 s[4:5], vcc
	s_cbranch_execz .LBB45_227
; %bb.226:
	buffer_load_dword v94, off, s[0:3], 0 offset:224
	buffer_load_dword v95, off, s[0:3], 0 offset:228
	v_mov_b32_e32 v96, 0
	buffer_store_dword v96, off, s[0:3], 0 offset:224
	buffer_store_dword v96, off, s[0:3], 0 offset:228
	s_waitcnt vmcnt(2)
	ds_write_b64 v93, v[94:95]
.LBB45_227:
	s_or_b64 exec, exec, s[4:5]
	s_waitcnt lgkmcnt(0)
	; wave barrier
	buffer_load_dword v103, off, s[0:3], 0 offset:232
	buffer_load_dword v104, off, s[0:3], 0 offset:236
	;; [unrolled: 1-line block ×22, first 2 shown]
	v_mov_b32_e32 v94, 0
	ds_read2_b64 v[95:98], v94 offset0:75 offset1:76
	ds_read2_b64 v[99:102], v94 offset0:77 offset1:78
	v_cmp_lt_u32_e32 vcc, 27, v0
	s_waitcnt vmcnt(20) lgkmcnt(1)
	v_fma_f64 v[95:96], v[103:104], v[95:96], 0
	s_waitcnt vmcnt(18)
	v_fma_f64 v[95:96], v[105:106], v[97:98], v[95:96]
	buffer_load_dword v104, off, s[0:3], 0 offset:324
	buffer_load_dword v105, off, s[0:3], 0 offset:344
	;; [unrolled: 1-line block ×7, first 2 shown]
	s_waitcnt vmcnt(23) lgkmcnt(0)
	v_fma_f64 v[95:96], v[107:108], v[99:100], v[95:96]
	s_waitcnt vmcnt(21)
	v_fma_f64 v[106:107], v[109:110], v[101:102], v[95:96]
	ds_read2_b64 v[95:98], v94 offset0:79 offset1:80
	ds_read2_b64 v[99:102], v94 offset0:81 offset1:82
	s_waitcnt vmcnt(19) lgkmcnt(1)
	v_fma_f64 v[95:96], v[111:112], v[95:96], v[106:107]
	buffer_load_dword v106, off, s[0:3], 0 offset:348
	buffer_load_dword v108, off, s[0:3], 0 offset:356
	;; [unrolled: 1-line block ×7, first 2 shown]
	s_waitcnt vmcnt(24)
	v_fma_f64 v[95:96], v[113:114], v[97:98], v[95:96]
	s_waitcnt vmcnt(22) lgkmcnt(0)
	v_fma_f64 v[95:96], v[115:116], v[99:100], v[95:96]
	s_waitcnt vmcnt(17)
	v_fma_f64 v[113:114], v[117:118], v[101:102], v[95:96]
	ds_read2_b64 v[95:98], v94 offset0:83 offset1:84
	ds_read2_b64 v[99:102], v94 offset0:85 offset1:86
	s_waitcnt vmcnt(16) lgkmcnt(1)
	v_fma_f64 v[95:96], v[123:124], v[95:96], v[113:114]
	s_waitcnt vmcnt(15)
	v_fma_f64 v[95:96], v[121:122], v[97:98], v[95:96]
	s_waitcnt vmcnt(14) lgkmcnt(0)
	v_fma_f64 v[95:96], v[119:120], v[99:100], v[95:96]
	s_waitcnt vmcnt(9)
	v_fma_f64 v[103:104], v[103:104], v[101:102], v[95:96]
	ds_read2_b64 v[95:98], v94 offset0:87 offset1:88
	ds_read2_b64 v[99:102], v94 offset0:89 offset1:90
	s_waitcnt vmcnt(8) lgkmcnt(1)
	v_fma_f64 v[95:96], v[127:128], v[95:96], v[103:104]
	s_waitcnt vmcnt(7)
	v_fma_f64 v[95:96], v[125:126], v[97:98], v[95:96]
	ds_read_b64 v[97:98], v94 offset:728
	s_waitcnt vmcnt(6) lgkmcnt(1)
	v_fma_f64 v[95:96], v[105:106], v[99:100], v[95:96]
	s_waitcnt vmcnt(3)
	v_fma_f64 v[95:96], v[107:108], v[101:102], v[95:96]
	s_waitcnt vmcnt(2) lgkmcnt(0)
	v_fma_f64 v[95:96], v[109:110], v[97:98], v[95:96]
	s_waitcnt vmcnt(0)
	v_add_f64 v[95:96], v[111:112], -v[95:96]
	buffer_store_dword v96, off, s[0:3], 0 offset:228
	buffer_store_dword v95, off, s[0:3], 0 offset:224
	s_and_saveexec_b64 s[4:5], vcc
	s_cbranch_execz .LBB45_229
; %bb.228:
	buffer_load_dword v95, off, s[0:3], 0 offset:216
	buffer_load_dword v96, off, s[0:3], 0 offset:220
	s_waitcnt vmcnt(0)
	ds_write_b64 v93, v[95:96]
	buffer_store_dword v94, off, s[0:3], 0 offset:216
	buffer_store_dword v94, off, s[0:3], 0 offset:220
.LBB45_229:
	s_or_b64 exec, exec, s[4:5]
	s_waitcnt lgkmcnt(0)
	; wave barrier
	buffer_load_dword v99, off, s[0:3], 0 offset:224
	buffer_load_dword v100, off, s[0:3], 0 offset:228
	;; [unrolled: 1-line block ×20, first 2 shown]
	ds_read_b128 v[95:98], v94 offset:592
	buffer_load_dword v119, off, s[0:3], 0 offset:304
	buffer_load_dword v120, off, s[0:3], 0 offset:308
	v_cmp_lt_u32_e32 vcc, 26, v0
	s_waitcnt vmcnt(20) lgkmcnt(0)
	v_fma_f64 v[95:96], v[99:100], v[95:96], 0
	buffer_load_dword v100, off, s[0:3], 0 offset:316
	buffer_load_dword v99, off, s[0:3], 0 offset:312
	s_waitcnt vmcnt(20)
	v_fma_f64 v[101:102], v[101:102], v[97:98], v[95:96]
	ds_read_b128 v[95:98], v94 offset:608
	buffer_load_dword v121, off, s[0:3], 0 offset:320
	buffer_load_dword v122, off, s[0:3], 0 offset:324
	s_waitcnt vmcnt(20) lgkmcnt(0)
	v_fma_f64 v[95:96], v[103:104], v[95:96], v[101:102]
	buffer_load_dword v101, off, s[0:3], 0 offset:328
	buffer_load_dword v102, off, s[0:3], 0 offset:332
	s_waitcnt vmcnt(20)
	v_fma_f64 v[103:104], v[105:106], v[97:98], v[95:96]
	ds_read_b128 v[95:98], v94 offset:624
	buffer_load_dword v105, off, s[0:3], 0 offset:336
	buffer_load_dword v106, off, s[0:3], 0 offset:340
	s_waitcnt vmcnt(20) lgkmcnt(0)
	v_fma_f64 v[95:96], v[107:108], v[95:96], v[103:104]
	buffer_load_dword v104, off, s[0:3], 0 offset:348
	buffer_load_dword v103, off, s[0:3], 0 offset:344
	s_waitcnt vmcnt(20)
	v_fma_f64 v[107:108], v[109:110], v[97:98], v[95:96]
	ds_read_b128 v[95:98], v94 offset:640
	buffer_load_dword v109, off, s[0:3], 0 offset:352
	buffer_load_dword v110, off, s[0:3], 0 offset:356
	s_waitcnt vmcnt(20) lgkmcnt(0)
	v_fma_f64 v[95:96], v[111:112], v[95:96], v[107:108]
	buffer_load_dword v107, off, s[0:3], 0 offset:360
	buffer_load_dword v108, off, s[0:3], 0 offset:364
	s_waitcnt vmcnt(20)
	v_fma_f64 v[111:112], v[113:114], v[97:98], v[95:96]
	ds_read_b128 v[95:98], v94 offset:656
	buffer_load_dword v113, off, s[0:3], 0 offset:216
	buffer_load_dword v114, off, s[0:3], 0 offset:220
	s_waitcnt vmcnt(20) lgkmcnt(0)
	v_fma_f64 v[95:96], v[115:116], v[95:96], v[111:112]
	s_waitcnt vmcnt(18)
	v_fma_f64 v[111:112], v[117:118], v[97:98], v[95:96]
	ds_read_b128 v[95:98], v94 offset:672
	s_waitcnt vmcnt(16) lgkmcnt(0)
	v_fma_f64 v[95:96], v[119:120], v[95:96], v[111:112]
	s_waitcnt vmcnt(14)
	v_fma_f64 v[99:100], v[99:100], v[97:98], v[95:96]
	ds_read_b128 v[95:98], v94 offset:688
	;; [unrolled: 5-line block ×4, first 2 shown]
	s_waitcnt vmcnt(4) lgkmcnt(0)
	v_fma_f64 v[94:95], v[109:110], v[94:95], v[98:99]
	s_waitcnt vmcnt(2)
	v_fma_f64 v[94:95], v[107:108], v[96:97], v[94:95]
	s_waitcnt vmcnt(0)
	v_add_f64 v[94:95], v[113:114], -v[94:95]
	buffer_store_dword v95, off, s[0:3], 0 offset:220
	buffer_store_dword v94, off, s[0:3], 0 offset:216
	s_and_saveexec_b64 s[4:5], vcc
	s_cbranch_execz .LBB45_231
; %bb.230:
	buffer_load_dword v94, off, s[0:3], 0 offset:208
	buffer_load_dword v95, off, s[0:3], 0 offset:212
	v_mov_b32_e32 v96, 0
	buffer_store_dword v96, off, s[0:3], 0 offset:208
	buffer_store_dword v96, off, s[0:3], 0 offset:212
	s_waitcnt vmcnt(2)
	ds_write_b64 v93, v[94:95]
.LBB45_231:
	s_or_b64 exec, exec, s[4:5]
	s_waitcnt lgkmcnt(0)
	; wave barrier
	buffer_load_dword v99, off, s[0:3], 0 offset:216
	buffer_load_dword v100, off, s[0:3], 0 offset:220
	;; [unrolled: 1-line block ×20, first 2 shown]
	v_mov_b32_e32 v94, 0
	ds_read2_b64 v[95:98], v94 offset0:73 offset1:74
	buffer_load_dword v119, off, s[0:3], 0 offset:296
	buffer_load_dword v120, off, s[0:3], 0 offset:300
	v_cmp_lt_u32_e32 vcc, 25, v0
	s_waitcnt vmcnt(20) lgkmcnt(0)
	v_fma_f64 v[95:96], v[99:100], v[95:96], 0
	buffer_load_dword v100, off, s[0:3], 0 offset:308
	buffer_load_dword v99, off, s[0:3], 0 offset:304
	s_waitcnt vmcnt(20)
	v_fma_f64 v[101:102], v[101:102], v[97:98], v[95:96]
	ds_read2_b64 v[95:98], v94 offset0:75 offset1:76
	buffer_load_dword v121, off, s[0:3], 0 offset:312
	buffer_load_dword v122, off, s[0:3], 0 offset:316
	s_waitcnt vmcnt(20) lgkmcnt(0)
	v_fma_f64 v[95:96], v[103:104], v[95:96], v[101:102]
	buffer_load_dword v101, off, s[0:3], 0 offset:320
	buffer_load_dword v102, off, s[0:3], 0 offset:324
	s_waitcnt vmcnt(20)
	v_fma_f64 v[103:104], v[105:106], v[97:98], v[95:96]
	ds_read2_b64 v[95:98], v94 offset0:77 offset1:78
	buffer_load_dword v105, off, s[0:3], 0 offset:328
	buffer_load_dword v106, off, s[0:3], 0 offset:332
	;; [unrolled: 9-line block ×4, first 2 shown]
	s_waitcnt vmcnt(20) lgkmcnt(0)
	v_fma_f64 v[95:96], v[115:116], v[95:96], v[111:112]
	buffer_load_dword v111, off, s[0:3], 0 offset:208
	buffer_load_dword v112, off, s[0:3], 0 offset:212
	s_waitcnt vmcnt(20)
	v_fma_f64 v[115:116], v[117:118], v[97:98], v[95:96]
	ds_read2_b64 v[95:98], v94 offset0:83 offset1:84
	s_waitcnt vmcnt(18) lgkmcnt(0)
	v_fma_f64 v[95:96], v[119:120], v[95:96], v[115:116]
	s_waitcnt vmcnt(16)
	v_fma_f64 v[99:100], v[99:100], v[97:98], v[95:96]
	ds_read2_b64 v[95:98], v94 offset0:85 offset1:86
	s_waitcnt vmcnt(14) lgkmcnt(0)
	v_fma_f64 v[95:96], v[121:122], v[95:96], v[99:100]
	;; [unrolled: 5-line block ×4, first 2 shown]
	s_waitcnt vmcnt(4)
	v_fma_f64 v[95:96], v[107:108], v[97:98], v[95:96]
	ds_read_b64 v[97:98], v94 offset:728
	s_waitcnt vmcnt(2) lgkmcnt(0)
	v_fma_f64 v[95:96], v[113:114], v[97:98], v[95:96]
	s_waitcnt vmcnt(0)
	v_add_f64 v[95:96], v[111:112], -v[95:96]
	buffer_store_dword v96, off, s[0:3], 0 offset:212
	buffer_store_dword v95, off, s[0:3], 0 offset:208
	s_and_saveexec_b64 s[4:5], vcc
	s_cbranch_execz .LBB45_233
; %bb.232:
	buffer_load_dword v95, off, s[0:3], 0 offset:200
	buffer_load_dword v96, off, s[0:3], 0 offset:204
	s_waitcnt vmcnt(0)
	ds_write_b64 v93, v[95:96]
	buffer_store_dword v94, off, s[0:3], 0 offset:200
	buffer_store_dword v94, off, s[0:3], 0 offset:204
.LBB45_233:
	s_or_b64 exec, exec, s[4:5]
	s_waitcnt lgkmcnt(0)
	; wave barrier
	buffer_load_dword v99, off, s[0:3], 0 offset:208
	buffer_load_dword v100, off, s[0:3], 0 offset:212
	;; [unrolled: 1-line block ×20, first 2 shown]
	ds_read_b128 v[95:98], v94 offset:576
	buffer_load_dword v119, off, s[0:3], 0 offset:288
	buffer_load_dword v120, off, s[0:3], 0 offset:292
	v_cmp_lt_u32_e32 vcc, 24, v0
	s_waitcnt vmcnt(20) lgkmcnt(0)
	v_fma_f64 v[95:96], v[99:100], v[95:96], 0
	buffer_load_dword v100, off, s[0:3], 0 offset:300
	buffer_load_dword v99, off, s[0:3], 0 offset:296
	s_waitcnt vmcnt(20)
	v_fma_f64 v[101:102], v[101:102], v[97:98], v[95:96]
	ds_read_b128 v[95:98], v94 offset:592
	buffer_load_dword v121, off, s[0:3], 0 offset:304
	buffer_load_dword v122, off, s[0:3], 0 offset:308
	s_waitcnt vmcnt(20) lgkmcnt(0)
	v_fma_f64 v[95:96], v[103:104], v[95:96], v[101:102]
	buffer_load_dword v101, off, s[0:3], 0 offset:312
	buffer_load_dword v102, off, s[0:3], 0 offset:316
	s_waitcnt vmcnt(20)
	v_fma_f64 v[103:104], v[105:106], v[97:98], v[95:96]
	ds_read_b128 v[95:98], v94 offset:608
	buffer_load_dword v105, off, s[0:3], 0 offset:320
	buffer_load_dword v106, off, s[0:3], 0 offset:324
	;; [unrolled: 9-line block ×5, first 2 shown]
	s_waitcnt vmcnt(20) lgkmcnt(0)
	v_fma_f64 v[95:96], v[119:120], v[95:96], v[115:116]
	s_waitcnt vmcnt(18)
	v_fma_f64 v[99:100], v[99:100], v[97:98], v[95:96]
	ds_read_b128 v[95:98], v94 offset:672
	s_waitcnt vmcnt(16) lgkmcnt(0)
	v_fma_f64 v[95:96], v[121:122], v[95:96], v[99:100]
	s_waitcnt vmcnt(14)
	v_fma_f64 v[99:100], v[101:102], v[97:98], v[95:96]
	ds_read_b128 v[95:98], v94 offset:688
	;; [unrolled: 5-line block ×4, first 2 shown]
	s_waitcnt vmcnt(4) lgkmcnt(0)
	v_fma_f64 v[94:95], v[113:114], v[94:95], v[98:99]
	s_waitcnt vmcnt(2)
	v_fma_f64 v[94:95], v[111:112], v[96:97], v[94:95]
	s_waitcnt vmcnt(0)
	v_add_f64 v[94:95], v[117:118], -v[94:95]
	buffer_store_dword v95, off, s[0:3], 0 offset:204
	buffer_store_dword v94, off, s[0:3], 0 offset:200
	s_and_saveexec_b64 s[4:5], vcc
	s_cbranch_execz .LBB45_235
; %bb.234:
	buffer_load_dword v94, off, s[0:3], 0 offset:192
	buffer_load_dword v95, off, s[0:3], 0 offset:196
	v_mov_b32_e32 v96, 0
	buffer_store_dword v96, off, s[0:3], 0 offset:192
	buffer_store_dword v96, off, s[0:3], 0 offset:196
	s_waitcnt vmcnt(2)
	ds_write_b64 v93, v[94:95]
.LBB45_235:
	s_or_b64 exec, exec, s[4:5]
	s_waitcnt lgkmcnt(0)
	; wave barrier
	buffer_load_dword v103, off, s[0:3], 0 offset:200
	buffer_load_dword v104, off, s[0:3], 0 offset:204
	;; [unrolled: 1-line block ×21, first 2 shown]
	v_mov_b32_e32 v94, 0
	ds_read2_b64 v[95:98], v94 offset0:71 offset1:72
	ds_read2_b64 v[99:102], v94 offset0:73 offset1:74
	buffer_load_dword v120, off, s[0:3], 0 offset:284
	v_cmp_lt_u32_e32 vcc, 23, v0
	s_waitcnt vmcnt(20) lgkmcnt(1)
	v_fma_f64 v[95:96], v[103:104], v[95:96], 0
	s_waitcnt vmcnt(18)
	v_fma_f64 v[95:96], v[105:106], v[97:98], v[95:96]
	buffer_load_dword v104, off, s[0:3], 0 offset:292
	buffer_load_dword v105, off, s[0:3], 0 offset:312
	;; [unrolled: 1-line block ×7, first 2 shown]
	s_waitcnt vmcnt(23) lgkmcnt(0)
	v_fma_f64 v[95:96], v[107:108], v[99:100], v[95:96]
	s_waitcnt vmcnt(21)
	v_fma_f64 v[106:107], v[109:110], v[101:102], v[95:96]
	ds_read2_b64 v[95:98], v94 offset0:75 offset1:76
	ds_read2_b64 v[99:102], v94 offset0:77 offset1:78
	s_waitcnt vmcnt(19) lgkmcnt(1)
	v_fma_f64 v[95:96], v[111:112], v[95:96], v[106:107]
	buffer_load_dword v106, off, s[0:3], 0 offset:316
	s_waitcnt vmcnt(18)
	v_fma_f64 v[95:96], v[113:114], v[97:98], v[95:96]
	buffer_load_dword v108, off, s[0:3], 0 offset:324
	buffer_load_dword v109, off, s[0:3], 0 offset:344
	;; [unrolled: 1-line block ×7, first 2 shown]
	s_waitcnt vmcnt(23) lgkmcnt(0)
	v_fma_f64 v[95:96], v[115:116], v[99:100], v[95:96]
	s_waitcnt vmcnt(18)
	v_fma_f64 v[115:116], v[117:118], v[101:102], v[95:96]
	ds_read2_b64 v[95:98], v94 offset0:79 offset1:80
	ds_read2_b64 v[99:102], v94 offset0:81 offset1:82
	buffer_load_dword v110, off, s[0:3], 0 offset:348
	s_waitcnt vmcnt(18) lgkmcnt(1)
	v_fma_f64 v[95:96], v[123:124], v[95:96], v[115:116]
	buffer_load_dword v116, off, s[0:3], 0 offset:356
	buffer_load_dword v117, off, s[0:3], 0 offset:360
	;; [unrolled: 1-line block ×4, first 2 shown]
	s_waitcnt vmcnt(21)
	v_fma_f64 v[95:96], v[121:122], v[97:98], v[95:96]
	s_waitcnt vmcnt(20) lgkmcnt(0)
	v_fma_f64 v[95:96], v[119:120], v[99:100], v[95:96]
	buffer_load_dword v119, off, s[0:3], 0 offset:192
	buffer_load_dword v120, off, s[0:3], 0 offset:196
	s_waitcnt vmcnt(17)
	v_fma_f64 v[103:104], v[103:104], v[101:102], v[95:96]
	ds_read2_b64 v[95:98], v94 offset0:83 offset1:84
	ds_read2_b64 v[99:102], v94 offset0:85 offset1:86
	s_waitcnt vmcnt(16) lgkmcnt(1)
	v_fma_f64 v[95:96], v[127:128], v[95:96], v[103:104]
	s_waitcnt vmcnt(15)
	v_fma_f64 v[95:96], v[125:126], v[97:98], v[95:96]
	s_waitcnt vmcnt(14) lgkmcnt(0)
	v_fma_f64 v[95:96], v[105:106], v[99:100], v[95:96]
	s_waitcnt vmcnt(9)
	v_fma_f64 v[103:104], v[107:108], v[101:102], v[95:96]
	ds_read2_b64 v[95:98], v94 offset0:87 offset1:88
	ds_read2_b64 v[99:102], v94 offset0:89 offset1:90
	s_waitcnt vmcnt(8) lgkmcnt(1)
	v_fma_f64 v[95:96], v[113:114], v[95:96], v[103:104]
	s_waitcnt vmcnt(7)
	v_fma_f64 v[95:96], v[111:112], v[97:98], v[95:96]
	ds_read_b64 v[97:98], v94 offset:728
	s_waitcnt vmcnt(6) lgkmcnt(1)
	v_fma_f64 v[95:96], v[109:110], v[99:100], v[95:96]
	s_waitcnt vmcnt(3)
	v_fma_f64 v[95:96], v[115:116], v[101:102], v[95:96]
	s_waitcnt vmcnt(2) lgkmcnt(0)
	v_fma_f64 v[95:96], v[117:118], v[97:98], v[95:96]
	s_waitcnt vmcnt(0)
	v_add_f64 v[95:96], v[119:120], -v[95:96]
	buffer_store_dword v96, off, s[0:3], 0 offset:196
	buffer_store_dword v95, off, s[0:3], 0 offset:192
	s_and_saveexec_b64 s[4:5], vcc
	s_cbranch_execz .LBB45_237
; %bb.236:
	buffer_load_dword v95, off, s[0:3], 0 offset:184
	buffer_load_dword v96, off, s[0:3], 0 offset:188
	s_waitcnt vmcnt(0)
	ds_write_b64 v93, v[95:96]
	buffer_store_dword v94, off, s[0:3], 0 offset:184
	buffer_store_dword v94, off, s[0:3], 0 offset:188
.LBB45_237:
	s_or_b64 exec, exec, s[4:5]
	s_waitcnt lgkmcnt(0)
	; wave barrier
	buffer_load_dword v99, off, s[0:3], 0 offset:192
	buffer_load_dword v100, off, s[0:3], 0 offset:196
	;; [unrolled: 1-line block ×20, first 2 shown]
	ds_read_b128 v[95:98], v94 offset:560
	buffer_load_dword v119, off, s[0:3], 0 offset:272
	buffer_load_dword v120, off, s[0:3], 0 offset:276
	v_cmp_lt_u32_e32 vcc, 22, v0
	s_waitcnt vmcnt(20) lgkmcnt(0)
	v_fma_f64 v[95:96], v[99:100], v[95:96], 0
	buffer_load_dword v100, off, s[0:3], 0 offset:284
	buffer_load_dword v99, off, s[0:3], 0 offset:280
	s_waitcnt vmcnt(20)
	v_fma_f64 v[101:102], v[101:102], v[97:98], v[95:96]
	ds_read_b128 v[95:98], v94 offset:576
	buffer_load_dword v121, off, s[0:3], 0 offset:288
	buffer_load_dword v122, off, s[0:3], 0 offset:292
	s_waitcnt vmcnt(20) lgkmcnt(0)
	v_fma_f64 v[95:96], v[103:104], v[95:96], v[101:102]
	buffer_load_dword v101, off, s[0:3], 0 offset:296
	buffer_load_dword v102, off, s[0:3], 0 offset:300
	s_waitcnt vmcnt(20)
	v_fma_f64 v[103:104], v[105:106], v[97:98], v[95:96]
	ds_read_b128 v[95:98], v94 offset:592
	buffer_load_dword v105, off, s[0:3], 0 offset:304
	buffer_load_dword v106, off, s[0:3], 0 offset:308
	;; [unrolled: 9-line block ×6, first 2 shown]
	s_waitcnt vmcnt(20) lgkmcnt(0)
	v_fma_f64 v[95:96], v[121:122], v[95:96], v[99:100]
	s_waitcnt vmcnt(18)
	v_fma_f64 v[99:100], v[101:102], v[97:98], v[95:96]
	ds_read_b128 v[95:98], v94 offset:672
	s_waitcnt vmcnt(16) lgkmcnt(0)
	v_fma_f64 v[95:96], v[105:106], v[95:96], v[99:100]
	s_waitcnt vmcnt(14)
	v_fma_f64 v[99:100], v[103:104], v[97:98], v[95:96]
	ds_read_b128 v[95:98], v94 offset:688
	s_waitcnt vmcnt(12) lgkmcnt(0)
	v_fma_f64 v[95:96], v[109:110], v[95:96], v[99:100]
	s_waitcnt vmcnt(10)
	v_fma_f64 v[99:100], v[107:108], v[97:98], v[95:96]
	ds_read_b128 v[95:98], v94 offset:704
	s_waitcnt vmcnt(8) lgkmcnt(0)
	v_fma_f64 v[95:96], v[113:114], v[95:96], v[99:100]
	s_waitcnt vmcnt(6)
	v_fma_f64 v[98:99], v[111:112], v[97:98], v[95:96]
	ds_read_b128 v[94:97], v94 offset:720
	s_waitcnt vmcnt(4) lgkmcnt(0)
	v_fma_f64 v[94:95], v[117:118], v[94:95], v[98:99]
	s_waitcnt vmcnt(2)
	v_fma_f64 v[94:95], v[115:116], v[96:97], v[94:95]
	s_waitcnt vmcnt(0)
	v_add_f64 v[94:95], v[119:120], -v[94:95]
	buffer_store_dword v95, off, s[0:3], 0 offset:188
	buffer_store_dword v94, off, s[0:3], 0 offset:184
	s_and_saveexec_b64 s[4:5], vcc
	s_cbranch_execz .LBB45_239
; %bb.238:
	buffer_load_dword v94, off, s[0:3], 0 offset:176
	buffer_load_dword v95, off, s[0:3], 0 offset:180
	v_mov_b32_e32 v96, 0
	buffer_store_dword v96, off, s[0:3], 0 offset:176
	buffer_store_dword v96, off, s[0:3], 0 offset:180
	s_waitcnt vmcnt(2)
	ds_write_b64 v93, v[94:95]
.LBB45_239:
	s_or_b64 exec, exec, s[4:5]
	s_waitcnt lgkmcnt(0)
	; wave barrier
	buffer_load_dword v99, off, s[0:3], 0 offset:184
	buffer_load_dword v100, off, s[0:3], 0 offset:188
	;; [unrolled: 1-line block ×20, first 2 shown]
	v_mov_b32_e32 v94, 0
	ds_read2_b64 v[95:98], v94 offset0:69 offset1:70
	buffer_load_dword v119, off, s[0:3], 0 offset:264
	buffer_load_dword v120, off, s[0:3], 0 offset:268
	v_cmp_lt_u32_e32 vcc, 21, v0
	s_waitcnt vmcnt(20) lgkmcnt(0)
	v_fma_f64 v[95:96], v[99:100], v[95:96], 0
	buffer_load_dword v100, off, s[0:3], 0 offset:276
	buffer_load_dword v99, off, s[0:3], 0 offset:272
	s_waitcnt vmcnt(20)
	v_fma_f64 v[101:102], v[101:102], v[97:98], v[95:96]
	ds_read2_b64 v[95:98], v94 offset0:71 offset1:72
	buffer_load_dword v121, off, s[0:3], 0 offset:280
	buffer_load_dword v122, off, s[0:3], 0 offset:284
	s_waitcnt vmcnt(20) lgkmcnt(0)
	v_fma_f64 v[95:96], v[103:104], v[95:96], v[101:102]
	buffer_load_dword v101, off, s[0:3], 0 offset:288
	buffer_load_dword v102, off, s[0:3], 0 offset:292
	s_waitcnt vmcnt(20)
	v_fma_f64 v[103:104], v[105:106], v[97:98], v[95:96]
	ds_read2_b64 v[95:98], v94 offset0:73 offset1:74
	buffer_load_dword v105, off, s[0:3], 0 offset:296
	buffer_load_dword v106, off, s[0:3], 0 offset:300
	;; [unrolled: 9-line block ×6, first 2 shown]
	s_waitcnt vmcnt(20) lgkmcnt(0)
	v_fma_f64 v[95:96], v[121:122], v[95:96], v[99:100]
	buffer_load_dword v99, off, s[0:3], 0 offset:176
	buffer_load_dword v100, off, s[0:3], 0 offset:180
	s_waitcnt vmcnt(20)
	v_fma_f64 v[101:102], v[101:102], v[97:98], v[95:96]
	ds_read2_b64 v[95:98], v94 offset0:83 offset1:84
	s_waitcnt vmcnt(18) lgkmcnt(0)
	v_fma_f64 v[95:96], v[105:106], v[95:96], v[101:102]
	s_waitcnt vmcnt(16)
	v_fma_f64 v[101:102], v[103:104], v[97:98], v[95:96]
	ds_read2_b64 v[95:98], v94 offset0:85 offset1:86
	s_waitcnt vmcnt(14) lgkmcnt(0)
	v_fma_f64 v[95:96], v[109:110], v[95:96], v[101:102]
	;; [unrolled: 5-line block ×4, first 2 shown]
	s_waitcnt vmcnt(4)
	v_fma_f64 v[95:96], v[115:116], v[97:98], v[95:96]
	ds_read_b64 v[97:98], v94 offset:728
	s_waitcnt vmcnt(2) lgkmcnt(0)
	v_fma_f64 v[95:96], v[119:120], v[97:98], v[95:96]
	s_waitcnt vmcnt(0)
	v_add_f64 v[95:96], v[99:100], -v[95:96]
	buffer_store_dword v96, off, s[0:3], 0 offset:180
	buffer_store_dword v95, off, s[0:3], 0 offset:176
	s_and_saveexec_b64 s[4:5], vcc
	s_cbranch_execz .LBB45_241
; %bb.240:
	buffer_load_dword v95, off, s[0:3], 0 offset:168
	buffer_load_dword v96, off, s[0:3], 0 offset:172
	s_waitcnt vmcnt(0)
	ds_write_b64 v93, v[95:96]
	buffer_store_dword v94, off, s[0:3], 0 offset:168
	buffer_store_dword v94, off, s[0:3], 0 offset:172
.LBB45_241:
	s_or_b64 exec, exec, s[4:5]
	s_waitcnt lgkmcnt(0)
	; wave barrier
	buffer_load_dword v99, off, s[0:3], 0 offset:176
	buffer_load_dword v100, off, s[0:3], 0 offset:180
	buffer_load_dword v101, off, s[0:3], 0 offset:184
	buffer_load_dword v102, off, s[0:3], 0 offset:188
	buffer_load_dword v103, off, s[0:3], 0 offset:192
	buffer_load_dword v104, off, s[0:3], 0 offset:196
	buffer_load_dword v105, off, s[0:3], 0 offset:200
	buffer_load_dword v106, off, s[0:3], 0 offset:204
	buffer_load_dword v107, off, s[0:3], 0 offset:208
	buffer_load_dword v108, off, s[0:3], 0 offset:212
	buffer_load_dword v109, off, s[0:3], 0 offset:216
	buffer_load_dword v110, off, s[0:3], 0 offset:220
	buffer_load_dword v111, off, s[0:3], 0 offset:224
	buffer_load_dword v112, off, s[0:3], 0 offset:228
	buffer_load_dword v114, off, s[0:3], 0 offset:236
	buffer_load_dword v113, off, s[0:3], 0 offset:232
	buffer_load_dword v115, off, s[0:3], 0 offset:240
	buffer_load_dword v116, off, s[0:3], 0 offset:244
	buffer_load_dword v117, off, s[0:3], 0 offset:248
	buffer_load_dword v118, off, s[0:3], 0 offset:252
	ds_read_b128 v[95:98], v94 offset:544
	buffer_load_dword v119, off, s[0:3], 0 offset:256
	buffer_load_dword v120, off, s[0:3], 0 offset:260
	v_cmp_lt_u32_e32 vcc, 20, v0
	s_waitcnt vmcnt(20) lgkmcnt(0)
	v_fma_f64 v[95:96], v[99:100], v[95:96], 0
	buffer_load_dword v100, off, s[0:3], 0 offset:268
	buffer_load_dword v99, off, s[0:3], 0 offset:264
	s_waitcnt vmcnt(20)
	v_fma_f64 v[101:102], v[101:102], v[97:98], v[95:96]
	ds_read_b128 v[95:98], v94 offset:560
	buffer_load_dword v121, off, s[0:3], 0 offset:272
	buffer_load_dword v122, off, s[0:3], 0 offset:276
	s_waitcnt vmcnt(20) lgkmcnt(0)
	v_fma_f64 v[95:96], v[103:104], v[95:96], v[101:102]
	buffer_load_dword v101, off, s[0:3], 0 offset:280
	buffer_load_dword v102, off, s[0:3], 0 offset:284
	s_waitcnt vmcnt(20)
	v_fma_f64 v[103:104], v[105:106], v[97:98], v[95:96]
	ds_read_b128 v[95:98], v94 offset:576
	buffer_load_dword v105, off, s[0:3], 0 offset:288
	buffer_load_dword v106, off, s[0:3], 0 offset:292
	;; [unrolled: 9-line block ×7, first 2 shown]
	s_waitcnt vmcnt(20) lgkmcnt(0)
	v_fma_f64 v[95:96], v[105:106], v[95:96], v[101:102]
	s_waitcnt vmcnt(18)
	v_fma_f64 v[101:102], v[103:104], v[97:98], v[95:96]
	ds_read_b128 v[95:98], v94 offset:672
	s_waitcnt vmcnt(16) lgkmcnt(0)
	v_fma_f64 v[95:96], v[109:110], v[95:96], v[101:102]
	s_waitcnt vmcnt(14)
	v_fma_f64 v[101:102], v[107:108], v[97:98], v[95:96]
	ds_read_b128 v[95:98], v94 offset:688
	;; [unrolled: 5-line block ×4, first 2 shown]
	s_waitcnt vmcnt(4) lgkmcnt(0)
	v_fma_f64 v[94:95], v[119:120], v[94:95], v[101:102]
	s_waitcnt vmcnt(2)
	v_fma_f64 v[94:95], v[99:100], v[96:97], v[94:95]
	s_waitcnt vmcnt(0)
	v_add_f64 v[94:95], v[121:122], -v[94:95]
	buffer_store_dword v95, off, s[0:3], 0 offset:172
	buffer_store_dword v94, off, s[0:3], 0 offset:168
	s_and_saveexec_b64 s[4:5], vcc
	s_cbranch_execz .LBB45_243
; %bb.242:
	buffer_load_dword v94, off, s[0:3], 0 offset:160
	buffer_load_dword v95, off, s[0:3], 0 offset:164
	v_mov_b32_e32 v96, 0
	buffer_store_dword v96, off, s[0:3], 0 offset:160
	buffer_store_dword v96, off, s[0:3], 0 offset:164
	s_waitcnt vmcnt(2)
	ds_write_b64 v93, v[94:95]
.LBB45_243:
	s_or_b64 exec, exec, s[4:5]
	s_waitcnt lgkmcnt(0)
	; wave barrier
	buffer_load_dword v103, off, s[0:3], 0 offset:168
	buffer_load_dword v104, off, s[0:3], 0 offset:172
	;; [unrolled: 1-line block ×21, first 2 shown]
	v_mov_b32_e32 v94, 0
	ds_read2_b64 v[95:98], v94 offset0:67 offset1:68
	ds_read2_b64 v[99:102], v94 offset0:69 offset1:70
	buffer_load_dword v120, off, s[0:3], 0 offset:252
	v_cmp_lt_u32_e32 vcc, 19, v0
	s_waitcnt vmcnt(20) lgkmcnt(1)
	v_fma_f64 v[95:96], v[103:104], v[95:96], 0
	s_waitcnt vmcnt(18)
	v_fma_f64 v[95:96], v[105:106], v[97:98], v[95:96]
	buffer_load_dword v104, off, s[0:3], 0 offset:260
	buffer_load_dword v105, off, s[0:3], 0 offset:280
	;; [unrolled: 1-line block ×7, first 2 shown]
	s_waitcnt vmcnt(23) lgkmcnt(0)
	v_fma_f64 v[95:96], v[107:108], v[99:100], v[95:96]
	s_waitcnt vmcnt(21)
	v_fma_f64 v[106:107], v[109:110], v[101:102], v[95:96]
	ds_read2_b64 v[95:98], v94 offset0:71 offset1:72
	ds_read2_b64 v[99:102], v94 offset0:73 offset1:74
	s_waitcnt vmcnt(19) lgkmcnt(1)
	v_fma_f64 v[95:96], v[111:112], v[95:96], v[106:107]
	buffer_load_dword v106, off, s[0:3], 0 offset:284
	s_waitcnt vmcnt(18)
	v_fma_f64 v[95:96], v[113:114], v[97:98], v[95:96]
	buffer_load_dword v108, off, s[0:3], 0 offset:292
	buffer_load_dword v109, off, s[0:3], 0 offset:312
	;; [unrolled: 1-line block ×8, first 2 shown]
	s_waitcnt vmcnt(24) lgkmcnt(0)
	v_fma_f64 v[95:96], v[115:116], v[99:100], v[95:96]
	s_waitcnt vmcnt(19)
	v_fma_f64 v[115:116], v[117:118], v[101:102], v[95:96]
	ds_read2_b64 v[95:98], v94 offset0:75 offset1:76
	ds_read2_b64 v[99:102], v94 offset0:77 offset1:78
	s_waitcnt vmcnt(18) lgkmcnt(1)
	v_fma_f64 v[95:96], v[123:124], v[95:96], v[115:116]
	s_waitcnt vmcnt(17)
	v_fma_f64 v[95:96], v[121:122], v[97:98], v[95:96]
	buffer_load_dword v116, off, s[0:3], 0 offset:324
	buffer_load_dword v117, off, s[0:3], 0 offset:344
	;; [unrolled: 1-line block ×7, first 2 shown]
	s_waitcnt vmcnt(23) lgkmcnt(0)
	v_fma_f64 v[95:96], v[119:120], v[99:100], v[95:96]
	s_waitcnt vmcnt(18)
	v_fma_f64 v[103:104], v[103:104], v[101:102], v[95:96]
	ds_read2_b64 v[95:98], v94 offset0:79 offset1:80
	ds_read2_b64 v[99:102], v94 offset0:81 offset1:82
	buffer_load_dword v118, off, s[0:3], 0 offset:348
	s_waitcnt vmcnt(18) lgkmcnt(1)
	v_fma_f64 v[95:96], v[127:128], v[95:96], v[103:104]
	buffer_load_dword v104, off, s[0:3], 0 offset:356
	buffer_load_dword v119, off, s[0:3], 0 offset:360
	;; [unrolled: 1-line block ×4, first 2 shown]
	s_waitcnt vmcnt(21)
	v_fma_f64 v[95:96], v[125:126], v[97:98], v[95:96]
	s_waitcnt vmcnt(20) lgkmcnt(0)
	v_fma_f64 v[95:96], v[105:106], v[99:100], v[95:96]
	buffer_load_dword v105, off, s[0:3], 0 offset:160
	buffer_load_dword v106, off, s[0:3], 0 offset:164
	s_waitcnt vmcnt(17)
	v_fma_f64 v[107:108], v[107:108], v[101:102], v[95:96]
	ds_read2_b64 v[95:98], v94 offset0:83 offset1:84
	ds_read2_b64 v[99:102], v94 offset0:85 offset1:86
	s_waitcnt vmcnt(16) lgkmcnt(1)
	v_fma_f64 v[95:96], v[113:114], v[95:96], v[107:108]
	s_waitcnt vmcnt(15)
	v_fma_f64 v[95:96], v[111:112], v[97:98], v[95:96]
	s_waitcnt vmcnt(14) lgkmcnt(0)
	v_fma_f64 v[95:96], v[109:110], v[99:100], v[95:96]
	s_waitcnt vmcnt(9)
	v_fma_f64 v[107:108], v[115:116], v[101:102], v[95:96]
	ds_read2_b64 v[95:98], v94 offset0:87 offset1:88
	ds_read2_b64 v[99:102], v94 offset0:89 offset1:90
	s_waitcnt vmcnt(8) lgkmcnt(1)
	v_fma_f64 v[95:96], v[123:124], v[95:96], v[107:108]
	s_waitcnt vmcnt(7)
	v_fma_f64 v[95:96], v[121:122], v[97:98], v[95:96]
	ds_read_b64 v[97:98], v94 offset:728
	s_waitcnt vmcnt(6) lgkmcnt(1)
	v_fma_f64 v[95:96], v[117:118], v[99:100], v[95:96]
	s_waitcnt vmcnt(3)
	v_fma_f64 v[95:96], v[103:104], v[101:102], v[95:96]
	s_waitcnt vmcnt(2) lgkmcnt(0)
	v_fma_f64 v[95:96], v[119:120], v[97:98], v[95:96]
	s_waitcnt vmcnt(0)
	v_add_f64 v[95:96], v[105:106], -v[95:96]
	buffer_store_dword v96, off, s[0:3], 0 offset:164
	buffer_store_dword v95, off, s[0:3], 0 offset:160
	s_and_saveexec_b64 s[4:5], vcc
	s_cbranch_execz .LBB45_245
; %bb.244:
	buffer_load_dword v95, off, s[0:3], 0 offset:152
	buffer_load_dword v96, off, s[0:3], 0 offset:156
	s_waitcnt vmcnt(0)
	ds_write_b64 v93, v[95:96]
	buffer_store_dword v94, off, s[0:3], 0 offset:152
	buffer_store_dword v94, off, s[0:3], 0 offset:156
.LBB45_245:
	s_or_b64 exec, exec, s[4:5]
	s_waitcnt lgkmcnt(0)
	; wave barrier
	buffer_load_dword v99, off, s[0:3], 0 offset:160
	buffer_load_dword v100, off, s[0:3], 0 offset:164
	;; [unrolled: 1-line block ×20, first 2 shown]
	ds_read_b128 v[95:98], v94 offset:528
	buffer_load_dword v119, off, s[0:3], 0 offset:240
	buffer_load_dword v120, off, s[0:3], 0 offset:244
	v_cmp_lt_u32_e32 vcc, 18, v0
	s_waitcnt vmcnt(20) lgkmcnt(0)
	v_fma_f64 v[95:96], v[99:100], v[95:96], 0
	buffer_load_dword v100, off, s[0:3], 0 offset:252
	buffer_load_dword v99, off, s[0:3], 0 offset:248
	s_waitcnt vmcnt(20)
	v_fma_f64 v[101:102], v[101:102], v[97:98], v[95:96]
	ds_read_b128 v[95:98], v94 offset:544
	buffer_load_dword v121, off, s[0:3], 0 offset:256
	buffer_load_dword v122, off, s[0:3], 0 offset:260
	s_waitcnt vmcnt(20) lgkmcnt(0)
	v_fma_f64 v[95:96], v[103:104], v[95:96], v[101:102]
	buffer_load_dword v101, off, s[0:3], 0 offset:264
	buffer_load_dword v102, off, s[0:3], 0 offset:268
	s_waitcnt vmcnt(20)
	v_fma_f64 v[103:104], v[105:106], v[97:98], v[95:96]
	ds_read_b128 v[95:98], v94 offset:560
	buffer_load_dword v105, off, s[0:3], 0 offset:272
	buffer_load_dword v106, off, s[0:3], 0 offset:276
	;; [unrolled: 9-line block ×8, first 2 shown]
	s_waitcnt vmcnt(20) lgkmcnt(0)
	v_fma_f64 v[95:96], v[109:110], v[95:96], v[103:104]
	s_waitcnt vmcnt(18)
	v_fma_f64 v[103:104], v[107:108], v[97:98], v[95:96]
	ds_read_b128 v[95:98], v94 offset:672
	s_waitcnt vmcnt(16) lgkmcnt(0)
	v_fma_f64 v[95:96], v[113:114], v[95:96], v[103:104]
	s_waitcnt vmcnt(14)
	v_fma_f64 v[103:104], v[111:112], v[97:98], v[95:96]
	ds_read_b128 v[95:98], v94 offset:688
	;; [unrolled: 5-line block ×4, first 2 shown]
	s_waitcnt vmcnt(4) lgkmcnt(0)
	v_fma_f64 v[94:95], v[121:122], v[94:95], v[98:99]
	s_waitcnt vmcnt(2)
	v_fma_f64 v[94:95], v[101:102], v[96:97], v[94:95]
	s_waitcnt vmcnt(0)
	v_add_f64 v[94:95], v[105:106], -v[94:95]
	buffer_store_dword v95, off, s[0:3], 0 offset:156
	buffer_store_dword v94, off, s[0:3], 0 offset:152
	s_and_saveexec_b64 s[4:5], vcc
	s_cbranch_execz .LBB45_247
; %bb.246:
	buffer_load_dword v94, off, s[0:3], 0 offset:144
	buffer_load_dword v95, off, s[0:3], 0 offset:148
	v_mov_b32_e32 v96, 0
	buffer_store_dword v96, off, s[0:3], 0 offset:144
	buffer_store_dword v96, off, s[0:3], 0 offset:148
	s_waitcnt vmcnt(2)
	ds_write_b64 v93, v[94:95]
.LBB45_247:
	s_or_b64 exec, exec, s[4:5]
	s_waitcnt lgkmcnt(0)
	; wave barrier
	buffer_load_dword v99, off, s[0:3], 0 offset:152
	buffer_load_dword v100, off, s[0:3], 0 offset:156
	;; [unrolled: 1-line block ×20, first 2 shown]
	v_mov_b32_e32 v94, 0
	ds_read2_b64 v[95:98], v94 offset0:65 offset1:66
	buffer_load_dword v119, off, s[0:3], 0 offset:232
	buffer_load_dword v120, off, s[0:3], 0 offset:236
	v_cmp_lt_u32_e32 vcc, 17, v0
	s_waitcnt vmcnt(20) lgkmcnt(0)
	v_fma_f64 v[95:96], v[99:100], v[95:96], 0
	buffer_load_dword v100, off, s[0:3], 0 offset:244
	buffer_load_dword v99, off, s[0:3], 0 offset:240
	s_waitcnt vmcnt(20)
	v_fma_f64 v[101:102], v[101:102], v[97:98], v[95:96]
	ds_read2_b64 v[95:98], v94 offset0:67 offset1:68
	buffer_load_dword v121, off, s[0:3], 0 offset:248
	buffer_load_dword v122, off, s[0:3], 0 offset:252
	s_waitcnt vmcnt(20) lgkmcnt(0)
	v_fma_f64 v[95:96], v[103:104], v[95:96], v[101:102]
	buffer_load_dword v101, off, s[0:3], 0 offset:256
	buffer_load_dword v102, off, s[0:3], 0 offset:260
	s_waitcnt vmcnt(20)
	v_fma_f64 v[103:104], v[105:106], v[97:98], v[95:96]
	ds_read2_b64 v[95:98], v94 offset0:69 offset1:70
	buffer_load_dword v105, off, s[0:3], 0 offset:264
	buffer_load_dword v106, off, s[0:3], 0 offset:268
	;; [unrolled: 9-line block ×8, first 2 shown]
	s_waitcnt vmcnt(20) lgkmcnt(0)
	v_fma_f64 v[95:96], v[109:110], v[95:96], v[103:104]
	buffer_load_dword v103, off, s[0:3], 0 offset:144
	buffer_load_dword v104, off, s[0:3], 0 offset:148
	s_waitcnt vmcnt(20)
	v_fma_f64 v[107:108], v[107:108], v[97:98], v[95:96]
	ds_read2_b64 v[95:98], v94 offset0:83 offset1:84
	s_waitcnt vmcnt(18) lgkmcnt(0)
	v_fma_f64 v[95:96], v[113:114], v[95:96], v[107:108]
	s_waitcnt vmcnt(16)
	v_fma_f64 v[107:108], v[111:112], v[97:98], v[95:96]
	ds_read2_b64 v[95:98], v94 offset0:85 offset1:86
	s_waitcnt vmcnt(14) lgkmcnt(0)
	v_fma_f64 v[95:96], v[117:118], v[95:96], v[107:108]
	;; [unrolled: 5-line block ×4, first 2 shown]
	s_waitcnt vmcnt(4)
	v_fma_f64 v[95:96], v[101:102], v[97:98], v[95:96]
	ds_read_b64 v[97:98], v94 offset:728
	s_waitcnt vmcnt(2) lgkmcnt(0)
	v_fma_f64 v[95:96], v[105:106], v[97:98], v[95:96]
	s_waitcnt vmcnt(0)
	v_add_f64 v[95:96], v[103:104], -v[95:96]
	buffer_store_dword v96, off, s[0:3], 0 offset:148
	buffer_store_dword v95, off, s[0:3], 0 offset:144
	s_and_saveexec_b64 s[4:5], vcc
	s_cbranch_execz .LBB45_249
; %bb.248:
	buffer_load_dword v95, off, s[0:3], 0 offset:136
	buffer_load_dword v96, off, s[0:3], 0 offset:140
	s_waitcnt vmcnt(0)
	ds_write_b64 v93, v[95:96]
	buffer_store_dword v94, off, s[0:3], 0 offset:136
	buffer_store_dword v94, off, s[0:3], 0 offset:140
.LBB45_249:
	s_or_b64 exec, exec, s[4:5]
	s_waitcnt lgkmcnt(0)
	; wave barrier
	buffer_load_dword v99, off, s[0:3], 0 offset:144
	buffer_load_dword v100, off, s[0:3], 0 offset:148
	;; [unrolled: 1-line block ×20, first 2 shown]
	ds_read_b128 v[95:98], v94 offset:512
	buffer_load_dword v119, off, s[0:3], 0 offset:224
	buffer_load_dword v120, off, s[0:3], 0 offset:228
	v_cmp_lt_u32_e32 vcc, 16, v0
	s_waitcnt vmcnt(20) lgkmcnt(0)
	v_fma_f64 v[95:96], v[99:100], v[95:96], 0
	buffer_load_dword v100, off, s[0:3], 0 offset:236
	buffer_load_dword v99, off, s[0:3], 0 offset:232
	s_waitcnt vmcnt(20)
	v_fma_f64 v[101:102], v[101:102], v[97:98], v[95:96]
	ds_read_b128 v[95:98], v94 offset:528
	buffer_load_dword v121, off, s[0:3], 0 offset:240
	buffer_load_dword v122, off, s[0:3], 0 offset:244
	s_waitcnt vmcnt(20) lgkmcnt(0)
	v_fma_f64 v[95:96], v[103:104], v[95:96], v[101:102]
	buffer_load_dword v101, off, s[0:3], 0 offset:248
	buffer_load_dword v102, off, s[0:3], 0 offset:252
	s_waitcnt vmcnt(20)
	v_fma_f64 v[103:104], v[105:106], v[97:98], v[95:96]
	ds_read_b128 v[95:98], v94 offset:544
	buffer_load_dword v105, off, s[0:3], 0 offset:256
	buffer_load_dword v106, off, s[0:3], 0 offset:260
	;; [unrolled: 9-line block ×9, first 2 shown]
	s_waitcnt vmcnt(20) lgkmcnt(0)
	v_fma_f64 v[95:96], v[113:114], v[95:96], v[107:108]
	s_waitcnt vmcnt(18)
	v_fma_f64 v[107:108], v[111:112], v[97:98], v[95:96]
	ds_read_b128 v[95:98], v94 offset:672
	s_waitcnt vmcnt(16) lgkmcnt(0)
	v_fma_f64 v[95:96], v[117:118], v[95:96], v[107:108]
	s_waitcnt vmcnt(14)
	v_fma_f64 v[107:108], v[115:116], v[97:98], v[95:96]
	ds_read_b128 v[95:98], v94 offset:688
	;; [unrolled: 5-line block ×4, first 2 shown]
	s_waitcnt vmcnt(4) lgkmcnt(0)
	v_fma_f64 v[94:95], v[105:106], v[94:95], v[98:99]
	s_waitcnt vmcnt(2)
	v_fma_f64 v[94:95], v[103:104], v[96:97], v[94:95]
	s_waitcnt vmcnt(0)
	v_add_f64 v[94:95], v[109:110], -v[94:95]
	buffer_store_dword v95, off, s[0:3], 0 offset:140
	buffer_store_dword v94, off, s[0:3], 0 offset:136
	s_and_saveexec_b64 s[4:5], vcc
	s_cbranch_execz .LBB45_251
; %bb.250:
	buffer_load_dword v94, off, s[0:3], 0 offset:128
	buffer_load_dword v95, off, s[0:3], 0 offset:132
	v_mov_b32_e32 v96, 0
	buffer_store_dword v96, off, s[0:3], 0 offset:128
	buffer_store_dword v96, off, s[0:3], 0 offset:132
	s_waitcnt vmcnt(2)
	ds_write_b64 v93, v[94:95]
.LBB45_251:
	s_or_b64 exec, exec, s[4:5]
	s_waitcnt lgkmcnt(0)
	; wave barrier
	buffer_load_dword v103, off, s[0:3], 0 offset:136
	buffer_load_dword v104, off, s[0:3], 0 offset:140
	;; [unrolled: 1-line block ×22, first 2 shown]
	v_mov_b32_e32 v94, 0
	ds_read2_b64 v[95:98], v94 offset0:63 offset1:64
	ds_read2_b64 v[99:102], v94 offset0:65 offset1:66
	v_cmp_lt_u32_e32 vcc, 15, v0
	s_waitcnt vmcnt(20) lgkmcnt(1)
	v_fma_f64 v[95:96], v[103:104], v[95:96], 0
	s_waitcnt vmcnt(18)
	v_fma_f64 v[95:96], v[105:106], v[97:98], v[95:96]
	buffer_load_dword v104, off, s[0:3], 0 offset:228
	buffer_load_dword v105, off, s[0:3], 0 offset:248
	;; [unrolled: 1-line block ×7, first 2 shown]
	s_waitcnt vmcnt(23) lgkmcnt(0)
	v_fma_f64 v[95:96], v[107:108], v[99:100], v[95:96]
	s_waitcnt vmcnt(21)
	v_fma_f64 v[106:107], v[109:110], v[101:102], v[95:96]
	ds_read2_b64 v[95:98], v94 offset0:67 offset1:68
	ds_read2_b64 v[99:102], v94 offset0:69 offset1:70
	s_waitcnt vmcnt(19) lgkmcnt(1)
	v_fma_f64 v[95:96], v[111:112], v[95:96], v[106:107]
	buffer_load_dword v106, off, s[0:3], 0 offset:252
	s_waitcnt vmcnt(18)
	v_fma_f64 v[95:96], v[113:114], v[97:98], v[95:96]
	buffer_load_dword v108, off, s[0:3], 0 offset:260
	buffer_load_dword v109, off, s[0:3], 0 offset:280
	;; [unrolled: 1-line block ×7, first 2 shown]
	s_waitcnt vmcnt(23) lgkmcnt(0)
	v_fma_f64 v[95:96], v[115:116], v[99:100], v[95:96]
	s_waitcnt vmcnt(18)
	v_fma_f64 v[115:116], v[117:118], v[101:102], v[95:96]
	ds_read2_b64 v[95:98], v94 offset0:71 offset1:72
	ds_read2_b64 v[99:102], v94 offset0:73 offset1:74
	buffer_load_dword v110, off, s[0:3], 0 offset:284
	s_waitcnt vmcnt(18) lgkmcnt(1)
	v_fma_f64 v[95:96], v[123:124], v[95:96], v[115:116]
	s_waitcnt vmcnt(17)
	v_fma_f64 v[95:96], v[121:122], v[97:98], v[95:96]
	buffer_load_dword v116, off, s[0:3], 0 offset:292
	buffer_load_dword v117, off, s[0:3], 0 offset:312
	;; [unrolled: 1-line block ×8, first 2 shown]
	s_waitcnt vmcnt(24) lgkmcnt(0)
	v_fma_f64 v[95:96], v[119:120], v[99:100], v[95:96]
	s_waitcnt vmcnt(19)
	v_fma_f64 v[103:104], v[103:104], v[101:102], v[95:96]
	ds_read2_b64 v[95:98], v94 offset0:75 offset1:76
	ds_read2_b64 v[99:102], v94 offset0:77 offset1:78
	s_waitcnt vmcnt(18) lgkmcnt(1)
	v_fma_f64 v[95:96], v[127:128], v[95:96], v[103:104]
	s_waitcnt vmcnt(17)
	v_fma_f64 v[95:96], v[125:126], v[97:98], v[95:96]
	buffer_load_dword v104, off, s[0:3], 0 offset:324
	buffer_load_dword v119, off, s[0:3], 0 offset:344
	;; [unrolled: 1-line block ×7, first 2 shown]
	s_waitcnt vmcnt(23) lgkmcnt(0)
	v_fma_f64 v[95:96], v[105:106], v[99:100], v[95:96]
	s_waitcnt vmcnt(18)
	v_fma_f64 v[105:106], v[107:108], v[101:102], v[95:96]
	ds_read2_b64 v[95:98], v94 offset0:79 offset1:80
	ds_read2_b64 v[99:102], v94 offset0:81 offset1:82
	buffer_load_dword v120, off, s[0:3], 0 offset:348
	s_waitcnt vmcnt(18) lgkmcnt(1)
	v_fma_f64 v[95:96], v[113:114], v[95:96], v[105:106]
	buffer_load_dword v106, off, s[0:3], 0 offset:356
	buffer_load_dword v107, off, s[0:3], 0 offset:360
	;; [unrolled: 1-line block ×4, first 2 shown]
	s_waitcnt vmcnt(21)
	v_fma_f64 v[95:96], v[111:112], v[97:98], v[95:96]
	s_waitcnt vmcnt(20) lgkmcnt(0)
	v_fma_f64 v[95:96], v[109:110], v[99:100], v[95:96]
	buffer_load_dword v109, off, s[0:3], 0 offset:128
	buffer_load_dword v110, off, s[0:3], 0 offset:132
	s_waitcnt vmcnt(17)
	v_fma_f64 v[111:112], v[115:116], v[101:102], v[95:96]
	ds_read2_b64 v[95:98], v94 offset0:83 offset1:84
	ds_read2_b64 v[99:102], v94 offset0:85 offset1:86
	s_waitcnt vmcnt(16) lgkmcnt(1)
	v_fma_f64 v[95:96], v[123:124], v[95:96], v[111:112]
	s_waitcnt vmcnt(15)
	v_fma_f64 v[95:96], v[121:122], v[97:98], v[95:96]
	s_waitcnt vmcnt(14) lgkmcnt(0)
	v_fma_f64 v[95:96], v[117:118], v[99:100], v[95:96]
	s_waitcnt vmcnt(9)
	v_fma_f64 v[103:104], v[103:104], v[101:102], v[95:96]
	ds_read2_b64 v[95:98], v94 offset0:87 offset1:88
	ds_read2_b64 v[99:102], v94 offset0:89 offset1:90
	s_waitcnt vmcnt(8) lgkmcnt(1)
	v_fma_f64 v[95:96], v[127:128], v[95:96], v[103:104]
	s_waitcnt vmcnt(7)
	v_fma_f64 v[95:96], v[125:126], v[97:98], v[95:96]
	ds_read_b64 v[97:98], v94 offset:728
	s_waitcnt vmcnt(6) lgkmcnt(1)
	v_fma_f64 v[95:96], v[119:120], v[99:100], v[95:96]
	s_waitcnt vmcnt(3)
	v_fma_f64 v[95:96], v[105:106], v[101:102], v[95:96]
	s_waitcnt vmcnt(2) lgkmcnt(0)
	v_fma_f64 v[95:96], v[107:108], v[97:98], v[95:96]
	s_waitcnt vmcnt(0)
	v_add_f64 v[95:96], v[109:110], -v[95:96]
	buffer_store_dword v96, off, s[0:3], 0 offset:132
	buffer_store_dword v95, off, s[0:3], 0 offset:128
	s_and_saveexec_b64 s[4:5], vcc
	s_cbranch_execz .LBB45_253
; %bb.252:
	buffer_load_dword v95, off, s[0:3], 0 offset:120
	buffer_load_dword v96, off, s[0:3], 0 offset:124
	s_waitcnt vmcnt(0)
	ds_write_b64 v93, v[95:96]
	buffer_store_dword v94, off, s[0:3], 0 offset:120
	buffer_store_dword v94, off, s[0:3], 0 offset:124
.LBB45_253:
	s_or_b64 exec, exec, s[4:5]
	s_waitcnt lgkmcnt(0)
	; wave barrier
	buffer_load_dword v99, off, s[0:3], 0 offset:128
	buffer_load_dword v100, off, s[0:3], 0 offset:132
	;; [unrolled: 1-line block ×20, first 2 shown]
	ds_read_b128 v[95:98], v94 offset:496
	buffer_load_dword v119, off, s[0:3], 0 offset:208
	buffer_load_dword v120, off, s[0:3], 0 offset:212
	v_cmp_lt_u32_e32 vcc, 14, v0
	s_waitcnt vmcnt(20) lgkmcnt(0)
	v_fma_f64 v[95:96], v[99:100], v[95:96], 0
	buffer_load_dword v100, off, s[0:3], 0 offset:220
	buffer_load_dword v99, off, s[0:3], 0 offset:216
	s_waitcnt vmcnt(20)
	v_fma_f64 v[101:102], v[101:102], v[97:98], v[95:96]
	ds_read_b128 v[95:98], v94 offset:512
	buffer_load_dword v121, off, s[0:3], 0 offset:224
	buffer_load_dword v122, off, s[0:3], 0 offset:228
	s_waitcnt vmcnt(20) lgkmcnt(0)
	v_fma_f64 v[95:96], v[103:104], v[95:96], v[101:102]
	buffer_load_dword v101, off, s[0:3], 0 offset:232
	buffer_load_dword v102, off, s[0:3], 0 offset:236
	s_waitcnt vmcnt(20)
	v_fma_f64 v[103:104], v[105:106], v[97:98], v[95:96]
	ds_read_b128 v[95:98], v94 offset:528
	buffer_load_dword v105, off, s[0:3], 0 offset:240
	buffer_load_dword v106, off, s[0:3], 0 offset:244
	s_waitcnt vmcnt(20) lgkmcnt(0)
	v_fma_f64 v[95:96], v[107:108], v[95:96], v[103:104]
	buffer_load_dword v104, off, s[0:3], 0 offset:252
	buffer_load_dword v103, off, s[0:3], 0 offset:248
	s_waitcnt vmcnt(20)
	v_fma_f64 v[107:108], v[109:110], v[97:98], v[95:96]
	ds_read_b128 v[95:98], v94 offset:544
	buffer_load_dword v109, off, s[0:3], 0 offset:256
	buffer_load_dword v110, off, s[0:3], 0 offset:260
	s_waitcnt vmcnt(20) lgkmcnt(0)
	v_fma_f64 v[95:96], v[111:112], v[95:96], v[107:108]
	buffer_load_dword v107, off, s[0:3], 0 offset:264
	buffer_load_dword v108, off, s[0:3], 0 offset:268
	s_waitcnt vmcnt(20)
	v_fma_f64 v[111:112], v[113:114], v[97:98], v[95:96]
	ds_read_b128 v[95:98], v94 offset:560
	buffer_load_dword v113, off, s[0:3], 0 offset:272
	buffer_load_dword v114, off, s[0:3], 0 offset:276
	s_waitcnt vmcnt(20) lgkmcnt(0)
	v_fma_f64 v[95:96], v[115:116], v[95:96], v[111:112]
	buffer_load_dword v112, off, s[0:3], 0 offset:284
	buffer_load_dword v111, off, s[0:3], 0 offset:280
	s_waitcnt vmcnt(20)
	v_fma_f64 v[115:116], v[117:118], v[97:98], v[95:96]
	ds_read_b128 v[95:98], v94 offset:576
	buffer_load_dword v117, off, s[0:3], 0 offset:288
	buffer_load_dword v118, off, s[0:3], 0 offset:292
	s_waitcnt vmcnt(20) lgkmcnt(0)
	v_fma_f64 v[95:96], v[119:120], v[95:96], v[115:116]
	buffer_load_dword v115, off, s[0:3], 0 offset:296
	buffer_load_dword v116, off, s[0:3], 0 offset:300
	s_waitcnt vmcnt(20)
	v_fma_f64 v[99:100], v[99:100], v[97:98], v[95:96]
	ds_read_b128 v[95:98], v94 offset:592
	buffer_load_dword v119, off, s[0:3], 0 offset:304
	buffer_load_dword v120, off, s[0:3], 0 offset:308
	s_waitcnt vmcnt(20) lgkmcnt(0)
	v_fma_f64 v[95:96], v[121:122], v[95:96], v[99:100]
	buffer_load_dword v100, off, s[0:3], 0 offset:316
	buffer_load_dword v99, off, s[0:3], 0 offset:312
	s_waitcnt vmcnt(20)
	v_fma_f64 v[101:102], v[101:102], v[97:98], v[95:96]
	ds_read_b128 v[95:98], v94 offset:608
	buffer_load_dword v121, off, s[0:3], 0 offset:320
	buffer_load_dword v122, off, s[0:3], 0 offset:324
	s_waitcnt vmcnt(20) lgkmcnt(0)
	v_fma_f64 v[95:96], v[105:106], v[95:96], v[101:102]
	buffer_load_dword v101, off, s[0:3], 0 offset:328
	buffer_load_dword v102, off, s[0:3], 0 offset:332
	s_waitcnt vmcnt(20)
	v_fma_f64 v[103:104], v[103:104], v[97:98], v[95:96]
	ds_read_b128 v[95:98], v94 offset:624
	buffer_load_dword v105, off, s[0:3], 0 offset:336
	buffer_load_dword v106, off, s[0:3], 0 offset:340
	s_waitcnt vmcnt(20) lgkmcnt(0)
	v_fma_f64 v[95:96], v[109:110], v[95:96], v[103:104]
	buffer_load_dword v104, off, s[0:3], 0 offset:348
	buffer_load_dword v103, off, s[0:3], 0 offset:344
	s_waitcnt vmcnt(20)
	v_fma_f64 v[107:108], v[107:108], v[97:98], v[95:96]
	ds_read_b128 v[95:98], v94 offset:640
	buffer_load_dword v109, off, s[0:3], 0 offset:352
	buffer_load_dword v110, off, s[0:3], 0 offset:356
	s_waitcnt vmcnt(20) lgkmcnt(0)
	v_fma_f64 v[95:96], v[113:114], v[95:96], v[107:108]
	buffer_load_dword v107, off, s[0:3], 0 offset:360
	buffer_load_dword v108, off, s[0:3], 0 offset:364
	s_waitcnt vmcnt(20)
	v_fma_f64 v[111:112], v[111:112], v[97:98], v[95:96]
	ds_read_b128 v[95:98], v94 offset:656
	buffer_load_dword v113, off, s[0:3], 0 offset:120
	buffer_load_dword v114, off, s[0:3], 0 offset:124
	s_waitcnt vmcnt(20) lgkmcnt(0)
	v_fma_f64 v[95:96], v[117:118], v[95:96], v[111:112]
	s_waitcnt vmcnt(18)
	v_fma_f64 v[111:112], v[115:116], v[97:98], v[95:96]
	ds_read_b128 v[95:98], v94 offset:672
	s_waitcnt vmcnt(16) lgkmcnt(0)
	v_fma_f64 v[95:96], v[119:120], v[95:96], v[111:112]
	s_waitcnt vmcnt(14)
	v_fma_f64 v[99:100], v[99:100], v[97:98], v[95:96]
	ds_read_b128 v[95:98], v94 offset:688
	;; [unrolled: 5-line block ×4, first 2 shown]
	s_waitcnt vmcnt(4) lgkmcnt(0)
	v_fma_f64 v[94:95], v[109:110], v[94:95], v[98:99]
	s_waitcnt vmcnt(2)
	v_fma_f64 v[94:95], v[107:108], v[96:97], v[94:95]
	s_waitcnt vmcnt(0)
	v_add_f64 v[94:95], v[113:114], -v[94:95]
	buffer_store_dword v95, off, s[0:3], 0 offset:124
	buffer_store_dword v94, off, s[0:3], 0 offset:120
	s_and_saveexec_b64 s[4:5], vcc
	s_cbranch_execz .LBB45_255
; %bb.254:
	buffer_load_dword v94, off, s[0:3], 0 offset:112
	buffer_load_dword v95, off, s[0:3], 0 offset:116
	v_mov_b32_e32 v96, 0
	buffer_store_dword v96, off, s[0:3], 0 offset:112
	buffer_store_dword v96, off, s[0:3], 0 offset:116
	s_waitcnt vmcnt(2)
	ds_write_b64 v93, v[94:95]
.LBB45_255:
	s_or_b64 exec, exec, s[4:5]
	s_waitcnt lgkmcnt(0)
	; wave barrier
	buffer_load_dword v99, off, s[0:3], 0 offset:120
	buffer_load_dword v100, off, s[0:3], 0 offset:124
	;; [unrolled: 1-line block ×20, first 2 shown]
	v_mov_b32_e32 v94, 0
	ds_read2_b64 v[95:98], v94 offset0:61 offset1:62
	buffer_load_dword v119, off, s[0:3], 0 offset:200
	buffer_load_dword v120, off, s[0:3], 0 offset:204
	v_cmp_lt_u32_e32 vcc, 13, v0
	s_waitcnt vmcnt(20) lgkmcnt(0)
	v_fma_f64 v[95:96], v[99:100], v[95:96], 0
	buffer_load_dword v100, off, s[0:3], 0 offset:212
	buffer_load_dword v99, off, s[0:3], 0 offset:208
	s_waitcnt vmcnt(20)
	v_fma_f64 v[101:102], v[101:102], v[97:98], v[95:96]
	ds_read2_b64 v[95:98], v94 offset0:63 offset1:64
	buffer_load_dword v121, off, s[0:3], 0 offset:216
	buffer_load_dword v122, off, s[0:3], 0 offset:220
	s_waitcnt vmcnt(20) lgkmcnt(0)
	v_fma_f64 v[95:96], v[103:104], v[95:96], v[101:102]
	buffer_load_dword v101, off, s[0:3], 0 offset:224
	buffer_load_dword v102, off, s[0:3], 0 offset:228
	s_waitcnt vmcnt(20)
	v_fma_f64 v[103:104], v[105:106], v[97:98], v[95:96]
	ds_read2_b64 v[95:98], v94 offset0:65 offset1:66
	buffer_load_dword v105, off, s[0:3], 0 offset:232
	buffer_load_dword v106, off, s[0:3], 0 offset:236
	;; [unrolled: 9-line block ×10, first 2 shown]
	s_waitcnt vmcnt(20) lgkmcnt(0)
	v_fma_f64 v[95:96], v[117:118], v[95:96], v[111:112]
	buffer_load_dword v111, off, s[0:3], 0 offset:112
	buffer_load_dword v112, off, s[0:3], 0 offset:116
	s_waitcnt vmcnt(20)
	v_fma_f64 v[115:116], v[115:116], v[97:98], v[95:96]
	ds_read2_b64 v[95:98], v94 offset0:83 offset1:84
	s_waitcnt vmcnt(18) lgkmcnt(0)
	v_fma_f64 v[95:96], v[119:120], v[95:96], v[115:116]
	s_waitcnt vmcnt(16)
	v_fma_f64 v[99:100], v[99:100], v[97:98], v[95:96]
	ds_read2_b64 v[95:98], v94 offset0:85 offset1:86
	s_waitcnt vmcnt(14) lgkmcnt(0)
	v_fma_f64 v[95:96], v[121:122], v[95:96], v[99:100]
	;; [unrolled: 5-line block ×4, first 2 shown]
	s_waitcnt vmcnt(4)
	v_fma_f64 v[95:96], v[107:108], v[97:98], v[95:96]
	ds_read_b64 v[97:98], v94 offset:728
	s_waitcnt vmcnt(2) lgkmcnt(0)
	v_fma_f64 v[95:96], v[113:114], v[97:98], v[95:96]
	s_waitcnt vmcnt(0)
	v_add_f64 v[95:96], v[111:112], -v[95:96]
	buffer_store_dword v96, off, s[0:3], 0 offset:116
	buffer_store_dword v95, off, s[0:3], 0 offset:112
	s_and_saveexec_b64 s[4:5], vcc
	s_cbranch_execz .LBB45_257
; %bb.256:
	buffer_load_dword v95, off, s[0:3], 0 offset:104
	buffer_load_dword v96, off, s[0:3], 0 offset:108
	s_waitcnt vmcnt(0)
	ds_write_b64 v93, v[95:96]
	buffer_store_dword v94, off, s[0:3], 0 offset:104
	buffer_store_dword v94, off, s[0:3], 0 offset:108
.LBB45_257:
	s_or_b64 exec, exec, s[4:5]
	s_waitcnt lgkmcnt(0)
	; wave barrier
	buffer_load_dword v99, off, s[0:3], 0 offset:112
	buffer_load_dword v100, off, s[0:3], 0 offset:116
	;; [unrolled: 1-line block ×20, first 2 shown]
	ds_read_b128 v[95:98], v94 offset:480
	buffer_load_dword v119, off, s[0:3], 0 offset:192
	buffer_load_dword v120, off, s[0:3], 0 offset:196
	v_cmp_lt_u32_e32 vcc, 12, v0
	s_waitcnt vmcnt(20) lgkmcnt(0)
	v_fma_f64 v[95:96], v[99:100], v[95:96], 0
	buffer_load_dword v100, off, s[0:3], 0 offset:204
	buffer_load_dword v99, off, s[0:3], 0 offset:200
	s_waitcnt vmcnt(20)
	v_fma_f64 v[101:102], v[101:102], v[97:98], v[95:96]
	ds_read_b128 v[95:98], v94 offset:496
	buffer_load_dword v121, off, s[0:3], 0 offset:208
	buffer_load_dword v122, off, s[0:3], 0 offset:212
	s_waitcnt vmcnt(20) lgkmcnt(0)
	v_fma_f64 v[95:96], v[103:104], v[95:96], v[101:102]
	buffer_load_dword v101, off, s[0:3], 0 offset:216
	buffer_load_dword v102, off, s[0:3], 0 offset:220
	s_waitcnt vmcnt(20)
	v_fma_f64 v[103:104], v[105:106], v[97:98], v[95:96]
	ds_read_b128 v[95:98], v94 offset:512
	buffer_load_dword v105, off, s[0:3], 0 offset:224
	buffer_load_dword v106, off, s[0:3], 0 offset:228
	;; [unrolled: 9-line block ×11, first 2 shown]
	s_waitcnt vmcnt(20) lgkmcnt(0)
	v_fma_f64 v[95:96], v[119:120], v[95:96], v[115:116]
	s_waitcnt vmcnt(18)
	v_fma_f64 v[99:100], v[99:100], v[97:98], v[95:96]
	ds_read_b128 v[95:98], v94 offset:672
	s_waitcnt vmcnt(16) lgkmcnt(0)
	v_fma_f64 v[95:96], v[121:122], v[95:96], v[99:100]
	s_waitcnt vmcnt(14)
	v_fma_f64 v[99:100], v[101:102], v[97:98], v[95:96]
	ds_read_b128 v[95:98], v94 offset:688
	;; [unrolled: 5-line block ×4, first 2 shown]
	s_waitcnt vmcnt(4) lgkmcnt(0)
	v_fma_f64 v[94:95], v[113:114], v[94:95], v[98:99]
	s_waitcnt vmcnt(2)
	v_fma_f64 v[94:95], v[111:112], v[96:97], v[94:95]
	s_waitcnt vmcnt(0)
	v_add_f64 v[94:95], v[117:118], -v[94:95]
	buffer_store_dword v95, off, s[0:3], 0 offset:108
	buffer_store_dword v94, off, s[0:3], 0 offset:104
	s_and_saveexec_b64 s[4:5], vcc
	s_cbranch_execz .LBB45_259
; %bb.258:
	buffer_load_dword v94, off, s[0:3], 0 offset:96
	buffer_load_dword v95, off, s[0:3], 0 offset:100
	v_mov_b32_e32 v96, 0
	buffer_store_dword v96, off, s[0:3], 0 offset:96
	buffer_store_dword v96, off, s[0:3], 0 offset:100
	s_waitcnt vmcnt(2)
	ds_write_b64 v93, v[94:95]
.LBB45_259:
	s_or_b64 exec, exec, s[4:5]
	s_waitcnt lgkmcnt(0)
	; wave barrier
	buffer_load_dword v103, off, s[0:3], 0 offset:104
	buffer_load_dword v104, off, s[0:3], 0 offset:108
	buffer_load_dword v105, off, s[0:3], 0 offset:112
	buffer_load_dword v106, off, s[0:3], 0 offset:116
	buffer_load_dword v107, off, s[0:3], 0 offset:120
	buffer_load_dword v108, off, s[0:3], 0 offset:124
	buffer_load_dword v109, off, s[0:3], 0 offset:128
	buffer_load_dword v110, off, s[0:3], 0 offset:132
	buffer_load_dword v111, off, s[0:3], 0 offset:136
	buffer_load_dword v112, off, s[0:3], 0 offset:140
	buffer_load_dword v113, off, s[0:3], 0 offset:144
	buffer_load_dword v114, off, s[0:3], 0 offset:148
	buffer_load_dword v115, off, s[0:3], 0 offset:152
	buffer_load_dword v116, off, s[0:3], 0 offset:156
	buffer_load_dword v118, off, s[0:3], 0 offset:164
	buffer_load_dword v119, off, s[0:3], 0 offset:184
	buffer_load_dword v121, off, s[0:3], 0 offset:176
	buffer_load_dword v123, off, s[0:3], 0 offset:168
	buffer_load_dword v117, off, s[0:3], 0 offset:160
	buffer_load_dword v124, off, s[0:3], 0 offset:172
	buffer_load_dword v122, off, s[0:3], 0 offset:180
	v_mov_b32_e32 v94, 0
	ds_read2_b64 v[95:98], v94 offset0:59 offset1:60
	ds_read2_b64 v[99:102], v94 offset0:61 offset1:62
	buffer_load_dword v120, off, s[0:3], 0 offset:188
	v_cmp_lt_u32_e32 vcc, 11, v0
	s_waitcnt vmcnt(20) lgkmcnt(1)
	v_fma_f64 v[95:96], v[103:104], v[95:96], 0
	s_waitcnt vmcnt(18)
	v_fma_f64 v[95:96], v[105:106], v[97:98], v[95:96]
	buffer_load_dword v104, off, s[0:3], 0 offset:196
	buffer_load_dword v105, off, s[0:3], 0 offset:216
	;; [unrolled: 1-line block ×7, first 2 shown]
	s_waitcnt vmcnt(23) lgkmcnt(0)
	v_fma_f64 v[95:96], v[107:108], v[99:100], v[95:96]
	s_waitcnt vmcnt(21)
	v_fma_f64 v[106:107], v[109:110], v[101:102], v[95:96]
	ds_read2_b64 v[95:98], v94 offset0:63 offset1:64
	ds_read2_b64 v[99:102], v94 offset0:65 offset1:66
	s_waitcnt vmcnt(19) lgkmcnt(1)
	v_fma_f64 v[95:96], v[111:112], v[95:96], v[106:107]
	buffer_load_dword v106, off, s[0:3], 0 offset:220
	s_waitcnt vmcnt(18)
	v_fma_f64 v[95:96], v[113:114], v[97:98], v[95:96]
	buffer_load_dword v108, off, s[0:3], 0 offset:228
	buffer_load_dword v109, off, s[0:3], 0 offset:248
	;; [unrolled: 1-line block ×7, first 2 shown]
	s_waitcnt vmcnt(23) lgkmcnt(0)
	v_fma_f64 v[95:96], v[115:116], v[99:100], v[95:96]
	s_waitcnt vmcnt(18)
	v_fma_f64 v[115:116], v[117:118], v[101:102], v[95:96]
	ds_read2_b64 v[95:98], v94 offset0:67 offset1:68
	ds_read2_b64 v[99:102], v94 offset0:69 offset1:70
	buffer_load_dword v110, off, s[0:3], 0 offset:252
	s_waitcnt vmcnt(18) lgkmcnt(1)
	v_fma_f64 v[95:96], v[123:124], v[95:96], v[115:116]
	s_waitcnt vmcnt(17)
	v_fma_f64 v[95:96], v[121:122], v[97:98], v[95:96]
	buffer_load_dword v116, off, s[0:3], 0 offset:260
	buffer_load_dword v117, off, s[0:3], 0 offset:280
	;; [unrolled: 1-line block ×7, first 2 shown]
	s_waitcnt vmcnt(23) lgkmcnt(0)
	v_fma_f64 v[95:96], v[119:120], v[99:100], v[95:96]
	s_waitcnt vmcnt(18)
	v_fma_f64 v[103:104], v[103:104], v[101:102], v[95:96]
	ds_read2_b64 v[95:98], v94 offset0:71 offset1:72
	ds_read2_b64 v[99:102], v94 offset0:73 offset1:74
	buffer_load_dword v118, off, s[0:3], 0 offset:284
	s_waitcnt vmcnt(18) lgkmcnt(1)
	v_fma_f64 v[95:96], v[127:128], v[95:96], v[103:104]
	s_waitcnt vmcnt(17)
	v_fma_f64 v[95:96], v[125:126], v[97:98], v[95:96]
	buffer_load_dword v104, off, s[0:3], 0 offset:292
	buffer_load_dword v119, off, s[0:3], 0 offset:312
	;; [unrolled: 1-line block ×8, first 2 shown]
	s_waitcnt vmcnt(24) lgkmcnt(0)
	v_fma_f64 v[95:96], v[105:106], v[99:100], v[95:96]
	s_waitcnt vmcnt(19)
	v_fma_f64 v[105:106], v[107:108], v[101:102], v[95:96]
	ds_read2_b64 v[95:98], v94 offset0:75 offset1:76
	ds_read2_b64 v[99:102], v94 offset0:77 offset1:78
	s_waitcnt vmcnt(18) lgkmcnt(1)
	v_fma_f64 v[95:96], v[113:114], v[95:96], v[105:106]
	s_waitcnt vmcnt(17)
	v_fma_f64 v[95:96], v[111:112], v[97:98], v[95:96]
	buffer_load_dword v106, off, s[0:3], 0 offset:324
	buffer_load_dword v107, off, s[0:3], 0 offset:344
	;; [unrolled: 1-line block ×7, first 2 shown]
	s_waitcnt vmcnt(23) lgkmcnt(0)
	v_fma_f64 v[95:96], v[109:110], v[99:100], v[95:96]
	s_waitcnt vmcnt(18)
	v_fma_f64 v[108:109], v[115:116], v[101:102], v[95:96]
	ds_read2_b64 v[95:98], v94 offset0:79 offset1:80
	ds_read2_b64 v[99:102], v94 offset0:81 offset1:82
	s_waitcnt vmcnt(17) lgkmcnt(1)
	v_fma_f64 v[95:96], v[123:124], v[95:96], v[108:109]
	buffer_load_dword v108, off, s[0:3], 0 offset:348
	buffer_load_dword v110, off, s[0:3], 0 offset:356
	;; [unrolled: 1-line block ×5, first 2 shown]
	s_waitcnt vmcnt(21)
	v_fma_f64 v[95:96], v[121:122], v[97:98], v[95:96]
	s_waitcnt vmcnt(20) lgkmcnt(0)
	v_fma_f64 v[95:96], v[117:118], v[99:100], v[95:96]
	buffer_load_dword v117, off, s[0:3], 0 offset:96
	buffer_load_dword v118, off, s[0:3], 0 offset:100
	s_waitcnt vmcnt(17)
	v_fma_f64 v[103:104], v[103:104], v[101:102], v[95:96]
	ds_read2_b64 v[95:98], v94 offset0:83 offset1:84
	ds_read2_b64 v[99:102], v94 offset0:85 offset1:86
	s_waitcnt vmcnt(16) lgkmcnt(1)
	v_fma_f64 v[95:96], v[127:128], v[95:96], v[103:104]
	s_waitcnt vmcnt(15)
	v_fma_f64 v[95:96], v[125:126], v[97:98], v[95:96]
	s_waitcnt vmcnt(14) lgkmcnt(0)
	v_fma_f64 v[95:96], v[119:120], v[99:100], v[95:96]
	s_waitcnt vmcnt(9)
	v_fma_f64 v[103:104], v[105:106], v[101:102], v[95:96]
	ds_read2_b64 v[95:98], v94 offset0:87 offset1:88
	ds_read2_b64 v[99:102], v94 offset0:89 offset1:90
	s_waitcnt vmcnt(8) lgkmcnt(1)
	v_fma_f64 v[95:96], v[113:114], v[95:96], v[103:104]
	s_waitcnt vmcnt(7)
	v_fma_f64 v[95:96], v[111:112], v[97:98], v[95:96]
	ds_read_b64 v[97:98], v94 offset:728
	s_waitcnt vmcnt(6) lgkmcnt(1)
	v_fma_f64 v[95:96], v[107:108], v[99:100], v[95:96]
	s_waitcnt vmcnt(3)
	v_fma_f64 v[95:96], v[109:110], v[101:102], v[95:96]
	s_waitcnt vmcnt(2) lgkmcnt(0)
	v_fma_f64 v[95:96], v[115:116], v[97:98], v[95:96]
	s_waitcnt vmcnt(0)
	v_add_f64 v[95:96], v[117:118], -v[95:96]
	buffer_store_dword v96, off, s[0:3], 0 offset:100
	buffer_store_dword v95, off, s[0:3], 0 offset:96
	s_and_saveexec_b64 s[4:5], vcc
	s_cbranch_execz .LBB45_261
; %bb.260:
	buffer_load_dword v95, off, s[0:3], 0 offset:88
	buffer_load_dword v96, off, s[0:3], 0 offset:92
	s_waitcnt vmcnt(0)
	ds_write_b64 v93, v[95:96]
	buffer_store_dword v94, off, s[0:3], 0 offset:88
	buffer_store_dword v94, off, s[0:3], 0 offset:92
.LBB45_261:
	s_or_b64 exec, exec, s[4:5]
	s_waitcnt lgkmcnt(0)
	; wave barrier
	buffer_load_dword v99, off, s[0:3], 0 offset:96
	buffer_load_dword v100, off, s[0:3], 0 offset:100
	;; [unrolled: 1-line block ×20, first 2 shown]
	ds_read_b128 v[95:98], v94 offset:464
	buffer_load_dword v119, off, s[0:3], 0 offset:176
	buffer_load_dword v120, off, s[0:3], 0 offset:180
	v_cmp_lt_u32_e32 vcc, 10, v0
	s_waitcnt vmcnt(20) lgkmcnt(0)
	v_fma_f64 v[95:96], v[99:100], v[95:96], 0
	buffer_load_dword v100, off, s[0:3], 0 offset:188
	buffer_load_dword v99, off, s[0:3], 0 offset:184
	s_waitcnt vmcnt(20)
	v_fma_f64 v[101:102], v[101:102], v[97:98], v[95:96]
	ds_read_b128 v[95:98], v94 offset:480
	buffer_load_dword v121, off, s[0:3], 0 offset:192
	buffer_load_dword v122, off, s[0:3], 0 offset:196
	s_waitcnt vmcnt(20) lgkmcnt(0)
	v_fma_f64 v[95:96], v[103:104], v[95:96], v[101:102]
	buffer_load_dword v101, off, s[0:3], 0 offset:200
	buffer_load_dword v102, off, s[0:3], 0 offset:204
	s_waitcnt vmcnt(20)
	v_fma_f64 v[103:104], v[105:106], v[97:98], v[95:96]
	ds_read_b128 v[95:98], v94 offset:496
	buffer_load_dword v105, off, s[0:3], 0 offset:208
	buffer_load_dword v106, off, s[0:3], 0 offset:212
	;; [unrolled: 9-line block ×12, first 2 shown]
	s_waitcnt vmcnt(20) lgkmcnt(0)
	v_fma_f64 v[95:96], v[121:122], v[95:96], v[99:100]
	s_waitcnt vmcnt(18)
	v_fma_f64 v[99:100], v[101:102], v[97:98], v[95:96]
	ds_read_b128 v[95:98], v94 offset:672
	s_waitcnt vmcnt(16) lgkmcnt(0)
	v_fma_f64 v[95:96], v[105:106], v[95:96], v[99:100]
	s_waitcnt vmcnt(14)
	v_fma_f64 v[99:100], v[103:104], v[97:98], v[95:96]
	ds_read_b128 v[95:98], v94 offset:688
	;; [unrolled: 5-line block ×4, first 2 shown]
	s_waitcnt vmcnt(4) lgkmcnt(0)
	v_fma_f64 v[94:95], v[117:118], v[94:95], v[98:99]
	s_waitcnt vmcnt(2)
	v_fma_f64 v[94:95], v[115:116], v[96:97], v[94:95]
	s_waitcnt vmcnt(0)
	v_add_f64 v[94:95], v[119:120], -v[94:95]
	buffer_store_dword v95, off, s[0:3], 0 offset:92
	buffer_store_dword v94, off, s[0:3], 0 offset:88
	s_and_saveexec_b64 s[4:5], vcc
	s_cbranch_execz .LBB45_263
; %bb.262:
	buffer_load_dword v94, off, s[0:3], 0 offset:80
	buffer_load_dword v95, off, s[0:3], 0 offset:84
	v_mov_b32_e32 v96, 0
	buffer_store_dword v96, off, s[0:3], 0 offset:80
	buffer_store_dword v96, off, s[0:3], 0 offset:84
	s_waitcnt vmcnt(2)
	ds_write_b64 v93, v[94:95]
.LBB45_263:
	s_or_b64 exec, exec, s[4:5]
	s_waitcnt lgkmcnt(0)
	; wave barrier
	buffer_load_dword v99, off, s[0:3], 0 offset:88
	buffer_load_dword v100, off, s[0:3], 0 offset:92
	;; [unrolled: 1-line block ×20, first 2 shown]
	v_mov_b32_e32 v94, 0
	ds_read2_b64 v[95:98], v94 offset0:57 offset1:58
	buffer_load_dword v119, off, s[0:3], 0 offset:168
	buffer_load_dword v120, off, s[0:3], 0 offset:172
	v_cmp_lt_u32_e32 vcc, 9, v0
	s_waitcnt vmcnt(20) lgkmcnt(0)
	v_fma_f64 v[95:96], v[99:100], v[95:96], 0
	buffer_load_dword v100, off, s[0:3], 0 offset:180
	buffer_load_dword v99, off, s[0:3], 0 offset:176
	s_waitcnt vmcnt(20)
	v_fma_f64 v[101:102], v[101:102], v[97:98], v[95:96]
	ds_read2_b64 v[95:98], v94 offset0:59 offset1:60
	buffer_load_dword v121, off, s[0:3], 0 offset:184
	buffer_load_dword v122, off, s[0:3], 0 offset:188
	s_waitcnt vmcnt(20) lgkmcnt(0)
	v_fma_f64 v[95:96], v[103:104], v[95:96], v[101:102]
	buffer_load_dword v101, off, s[0:3], 0 offset:192
	buffer_load_dword v102, off, s[0:3], 0 offset:196
	s_waitcnt vmcnt(20)
	v_fma_f64 v[103:104], v[105:106], v[97:98], v[95:96]
	ds_read2_b64 v[95:98], v94 offset0:61 offset1:62
	buffer_load_dword v105, off, s[0:3], 0 offset:200
	buffer_load_dword v106, off, s[0:3], 0 offset:204
	;; [unrolled: 9-line block ×12, first 2 shown]
	s_waitcnt vmcnt(20) lgkmcnt(0)
	v_fma_f64 v[95:96], v[121:122], v[95:96], v[99:100]
	buffer_load_dword v99, off, s[0:3], 0 offset:80
	buffer_load_dword v100, off, s[0:3], 0 offset:84
	s_waitcnt vmcnt(20)
	v_fma_f64 v[101:102], v[101:102], v[97:98], v[95:96]
	ds_read2_b64 v[95:98], v94 offset0:83 offset1:84
	s_waitcnt vmcnt(18) lgkmcnt(0)
	v_fma_f64 v[95:96], v[105:106], v[95:96], v[101:102]
	s_waitcnt vmcnt(16)
	v_fma_f64 v[101:102], v[103:104], v[97:98], v[95:96]
	ds_read2_b64 v[95:98], v94 offset0:85 offset1:86
	s_waitcnt vmcnt(14) lgkmcnt(0)
	v_fma_f64 v[95:96], v[109:110], v[95:96], v[101:102]
	;; [unrolled: 5-line block ×4, first 2 shown]
	s_waitcnt vmcnt(4)
	v_fma_f64 v[95:96], v[115:116], v[97:98], v[95:96]
	ds_read_b64 v[97:98], v94 offset:728
	s_waitcnt vmcnt(2) lgkmcnt(0)
	v_fma_f64 v[95:96], v[119:120], v[97:98], v[95:96]
	s_waitcnt vmcnt(0)
	v_add_f64 v[95:96], v[99:100], -v[95:96]
	buffer_store_dword v96, off, s[0:3], 0 offset:84
	buffer_store_dword v95, off, s[0:3], 0 offset:80
	s_and_saveexec_b64 s[4:5], vcc
	s_cbranch_execz .LBB45_265
; %bb.264:
	buffer_load_dword v95, off, s[0:3], 0 offset:72
	buffer_load_dword v96, off, s[0:3], 0 offset:76
	s_waitcnt vmcnt(0)
	ds_write_b64 v93, v[95:96]
	buffer_store_dword v94, off, s[0:3], 0 offset:72
	buffer_store_dword v94, off, s[0:3], 0 offset:76
.LBB45_265:
	s_or_b64 exec, exec, s[4:5]
	s_waitcnt lgkmcnt(0)
	; wave barrier
	buffer_load_dword v99, off, s[0:3], 0 offset:80
	buffer_load_dword v100, off, s[0:3], 0 offset:84
	buffer_load_dword v101, off, s[0:3], 0 offset:88
	buffer_load_dword v102, off, s[0:3], 0 offset:92
	buffer_load_dword v103, off, s[0:3], 0 offset:96
	buffer_load_dword v104, off, s[0:3], 0 offset:100
	buffer_load_dword v105, off, s[0:3], 0 offset:104
	buffer_load_dword v106, off, s[0:3], 0 offset:108
	buffer_load_dword v107, off, s[0:3], 0 offset:112
	buffer_load_dword v108, off, s[0:3], 0 offset:116
	buffer_load_dword v109, off, s[0:3], 0 offset:120
	buffer_load_dword v110, off, s[0:3], 0 offset:124
	buffer_load_dword v111, off, s[0:3], 0 offset:128
	buffer_load_dword v112, off, s[0:3], 0 offset:132
	buffer_load_dword v114, off, s[0:3], 0 offset:140
	buffer_load_dword v113, off, s[0:3], 0 offset:136
	buffer_load_dword v115, off, s[0:3], 0 offset:144
	buffer_load_dword v116, off, s[0:3], 0 offset:148
	buffer_load_dword v117, off, s[0:3], 0 offset:152
	buffer_load_dword v118, off, s[0:3], 0 offset:156
	ds_read_b128 v[95:98], v94 offset:448
	buffer_load_dword v119, off, s[0:3], 0 offset:160
	buffer_load_dword v120, off, s[0:3], 0 offset:164
	v_cmp_lt_u32_e32 vcc, 8, v0
	s_waitcnt vmcnt(20) lgkmcnt(0)
	v_fma_f64 v[95:96], v[99:100], v[95:96], 0
	buffer_load_dword v100, off, s[0:3], 0 offset:172
	buffer_load_dword v99, off, s[0:3], 0 offset:168
	s_waitcnt vmcnt(20)
	v_fma_f64 v[101:102], v[101:102], v[97:98], v[95:96]
	ds_read_b128 v[95:98], v94 offset:464
	buffer_load_dword v121, off, s[0:3], 0 offset:176
	buffer_load_dword v122, off, s[0:3], 0 offset:180
	s_waitcnt vmcnt(20) lgkmcnt(0)
	v_fma_f64 v[95:96], v[103:104], v[95:96], v[101:102]
	buffer_load_dword v101, off, s[0:3], 0 offset:184
	buffer_load_dword v102, off, s[0:3], 0 offset:188
	s_waitcnt vmcnt(20)
	v_fma_f64 v[103:104], v[105:106], v[97:98], v[95:96]
	ds_read_b128 v[95:98], v94 offset:480
	buffer_load_dword v105, off, s[0:3], 0 offset:192
	buffer_load_dword v106, off, s[0:3], 0 offset:196
	;; [unrolled: 9-line block ×13, first 2 shown]
	s_waitcnt vmcnt(20) lgkmcnt(0)
	v_fma_f64 v[95:96], v[105:106], v[95:96], v[101:102]
	s_waitcnt vmcnt(18)
	v_fma_f64 v[101:102], v[103:104], v[97:98], v[95:96]
	ds_read_b128 v[95:98], v94 offset:672
	s_waitcnt vmcnt(16) lgkmcnt(0)
	v_fma_f64 v[95:96], v[109:110], v[95:96], v[101:102]
	s_waitcnt vmcnt(14)
	v_fma_f64 v[101:102], v[107:108], v[97:98], v[95:96]
	ds_read_b128 v[95:98], v94 offset:688
	;; [unrolled: 5-line block ×4, first 2 shown]
	s_waitcnt vmcnt(4) lgkmcnt(0)
	v_fma_f64 v[94:95], v[119:120], v[94:95], v[101:102]
	s_waitcnt vmcnt(2)
	v_fma_f64 v[94:95], v[99:100], v[96:97], v[94:95]
	s_waitcnt vmcnt(0)
	v_add_f64 v[94:95], v[121:122], -v[94:95]
	buffer_store_dword v95, off, s[0:3], 0 offset:76
	buffer_store_dword v94, off, s[0:3], 0 offset:72
	s_and_saveexec_b64 s[4:5], vcc
	s_cbranch_execz .LBB45_267
; %bb.266:
	buffer_load_dword v94, off, s[0:3], 0 offset:64
	buffer_load_dword v95, off, s[0:3], 0 offset:68
	v_mov_b32_e32 v96, 0
	buffer_store_dword v96, off, s[0:3], 0 offset:64
	buffer_store_dword v96, off, s[0:3], 0 offset:68
	s_waitcnt vmcnt(2)
	ds_write_b64 v93, v[94:95]
.LBB45_267:
	s_or_b64 exec, exec, s[4:5]
	s_waitcnt lgkmcnt(0)
	; wave barrier
	buffer_load_dword v103, off, s[0:3], 0 offset:72
	buffer_load_dword v104, off, s[0:3], 0 offset:76
	;; [unrolled: 1-line block ×21, first 2 shown]
	v_mov_b32_e32 v94, 0
	ds_read2_b64 v[95:98], v94 offset0:55 offset1:56
	ds_read2_b64 v[99:102], v94 offset0:57 offset1:58
	buffer_load_dword v120, off, s[0:3], 0 offset:156
	v_cmp_lt_u32_e32 vcc, 7, v0
	s_waitcnt vmcnt(20) lgkmcnt(1)
	v_fma_f64 v[95:96], v[103:104], v[95:96], 0
	s_waitcnt vmcnt(18)
	v_fma_f64 v[95:96], v[105:106], v[97:98], v[95:96]
	buffer_load_dword v104, off, s[0:3], 0 offset:164
	buffer_load_dword v105, off, s[0:3], 0 offset:184
	;; [unrolled: 1-line block ×7, first 2 shown]
	s_waitcnt vmcnt(23) lgkmcnt(0)
	v_fma_f64 v[95:96], v[107:108], v[99:100], v[95:96]
	s_waitcnt vmcnt(21)
	v_fma_f64 v[106:107], v[109:110], v[101:102], v[95:96]
	ds_read2_b64 v[95:98], v94 offset0:59 offset1:60
	ds_read2_b64 v[99:102], v94 offset0:61 offset1:62
	s_waitcnt vmcnt(19) lgkmcnt(1)
	v_fma_f64 v[95:96], v[111:112], v[95:96], v[106:107]
	buffer_load_dword v106, off, s[0:3], 0 offset:188
	s_waitcnt vmcnt(18)
	v_fma_f64 v[95:96], v[113:114], v[97:98], v[95:96]
	buffer_load_dword v108, off, s[0:3], 0 offset:196
	buffer_load_dword v109, off, s[0:3], 0 offset:216
	;; [unrolled: 1-line block ×8, first 2 shown]
	s_waitcnt vmcnt(24) lgkmcnt(0)
	v_fma_f64 v[95:96], v[115:116], v[99:100], v[95:96]
	s_waitcnt vmcnt(19)
	v_fma_f64 v[115:116], v[117:118], v[101:102], v[95:96]
	ds_read2_b64 v[95:98], v94 offset0:63 offset1:64
	ds_read2_b64 v[99:102], v94 offset0:65 offset1:66
	s_waitcnt vmcnt(18) lgkmcnt(1)
	v_fma_f64 v[95:96], v[123:124], v[95:96], v[115:116]
	s_waitcnt vmcnt(17)
	v_fma_f64 v[95:96], v[121:122], v[97:98], v[95:96]
	buffer_load_dword v116, off, s[0:3], 0 offset:228
	buffer_load_dword v117, off, s[0:3], 0 offset:248
	;; [unrolled: 1-line block ×7, first 2 shown]
	s_waitcnt vmcnt(23) lgkmcnt(0)
	v_fma_f64 v[95:96], v[119:120], v[99:100], v[95:96]
	s_waitcnt vmcnt(18)
	v_fma_f64 v[103:104], v[103:104], v[101:102], v[95:96]
	ds_read2_b64 v[95:98], v94 offset0:67 offset1:68
	ds_read2_b64 v[99:102], v94 offset0:69 offset1:70
	buffer_load_dword v118, off, s[0:3], 0 offset:252
	s_waitcnt vmcnt(18) lgkmcnt(1)
	v_fma_f64 v[95:96], v[127:128], v[95:96], v[103:104]
	s_waitcnt vmcnt(17)
	v_fma_f64 v[95:96], v[125:126], v[97:98], v[95:96]
	buffer_load_dword v104, off, s[0:3], 0 offset:260
	buffer_load_dword v119, off, s[0:3], 0 offset:280
	;; [unrolled: 1-line block ×7, first 2 shown]
	s_waitcnt vmcnt(23) lgkmcnt(0)
	v_fma_f64 v[95:96], v[105:106], v[99:100], v[95:96]
	s_waitcnt vmcnt(18)
	v_fma_f64 v[105:106], v[107:108], v[101:102], v[95:96]
	ds_read2_b64 v[95:98], v94 offset0:71 offset1:72
	ds_read2_b64 v[99:102], v94 offset0:73 offset1:74
	buffer_load_dword v120, off, s[0:3], 0 offset:284
	s_waitcnt vmcnt(18) lgkmcnt(1)
	v_fma_f64 v[95:96], v[113:114], v[95:96], v[105:106]
	s_waitcnt vmcnt(17)
	v_fma_f64 v[95:96], v[111:112], v[97:98], v[95:96]
	buffer_load_dword v106, off, s[0:3], 0 offset:292
	buffer_load_dword v107, off, s[0:3], 0 offset:312
	;; [unrolled: 1-line block ×7, first 2 shown]
	s_waitcnt vmcnt(23) lgkmcnt(0)
	v_fma_f64 v[95:96], v[109:110], v[99:100], v[95:96]
	s_waitcnt vmcnt(18)
	v_fma_f64 v[108:109], v[115:116], v[101:102], v[95:96]
	ds_read2_b64 v[95:98], v94 offset0:75 offset1:76
	ds_read2_b64 v[99:102], v94 offset0:77 offset1:78
	s_waitcnt vmcnt(17) lgkmcnt(1)
	v_fma_f64 v[95:96], v[123:124], v[95:96], v[108:109]
	buffer_load_dword v108, off, s[0:3], 0 offset:316
	s_waitcnt vmcnt(17)
	v_fma_f64 v[95:96], v[121:122], v[97:98], v[95:96]
	buffer_load_dword v110, off, s[0:3], 0 offset:324
	buffer_load_dword v115, off, s[0:3], 0 offset:344
	;; [unrolled: 1-line block ×7, first 2 shown]
	s_waitcnt vmcnt(23) lgkmcnt(0)
	v_fma_f64 v[95:96], v[117:118], v[99:100], v[95:96]
	s_waitcnt vmcnt(18)
	v_fma_f64 v[103:104], v[103:104], v[101:102], v[95:96]
	ds_read2_b64 v[95:98], v94 offset0:79 offset1:80
	ds_read2_b64 v[99:102], v94 offset0:81 offset1:82
	buffer_load_dword v116, off, s[0:3], 0 offset:348
	s_waitcnt vmcnt(18) lgkmcnt(1)
	v_fma_f64 v[95:96], v[127:128], v[95:96], v[103:104]
	buffer_load_dword v104, off, s[0:3], 0 offset:356
	buffer_load_dword v117, off, s[0:3], 0 offset:360
	;; [unrolled: 1-line block ×4, first 2 shown]
	s_waitcnt vmcnt(21)
	v_fma_f64 v[95:96], v[125:126], v[97:98], v[95:96]
	s_waitcnt vmcnt(20) lgkmcnt(0)
	v_fma_f64 v[95:96], v[119:120], v[99:100], v[95:96]
	buffer_load_dword v119, off, s[0:3], 0 offset:64
	buffer_load_dword v120, off, s[0:3], 0 offset:68
	s_waitcnt vmcnt(17)
	v_fma_f64 v[105:106], v[105:106], v[101:102], v[95:96]
	ds_read2_b64 v[95:98], v94 offset0:83 offset1:84
	ds_read2_b64 v[99:102], v94 offset0:85 offset1:86
	s_waitcnt vmcnt(16) lgkmcnt(1)
	v_fma_f64 v[95:96], v[113:114], v[95:96], v[105:106]
	s_waitcnt vmcnt(15)
	v_fma_f64 v[95:96], v[111:112], v[97:98], v[95:96]
	s_waitcnt vmcnt(14) lgkmcnt(0)
	v_fma_f64 v[95:96], v[107:108], v[99:100], v[95:96]
	s_waitcnt vmcnt(9)
	v_fma_f64 v[105:106], v[109:110], v[101:102], v[95:96]
	ds_read2_b64 v[95:98], v94 offset0:87 offset1:88
	ds_read2_b64 v[99:102], v94 offset0:89 offset1:90
	s_waitcnt vmcnt(8) lgkmcnt(1)
	v_fma_f64 v[95:96], v[123:124], v[95:96], v[105:106]
	s_waitcnt vmcnt(7)
	v_fma_f64 v[95:96], v[121:122], v[97:98], v[95:96]
	ds_read_b64 v[97:98], v94 offset:728
	s_waitcnt vmcnt(6) lgkmcnt(1)
	v_fma_f64 v[95:96], v[115:116], v[99:100], v[95:96]
	s_waitcnt vmcnt(3)
	v_fma_f64 v[95:96], v[103:104], v[101:102], v[95:96]
	s_waitcnt vmcnt(2) lgkmcnt(0)
	v_fma_f64 v[95:96], v[117:118], v[97:98], v[95:96]
	s_waitcnt vmcnt(0)
	v_add_f64 v[95:96], v[119:120], -v[95:96]
	buffer_store_dword v96, off, s[0:3], 0 offset:68
	buffer_store_dword v95, off, s[0:3], 0 offset:64
	s_and_saveexec_b64 s[4:5], vcc
	s_cbranch_execz .LBB45_269
; %bb.268:
	buffer_load_dword v95, off, s[0:3], 0 offset:56
	buffer_load_dword v96, off, s[0:3], 0 offset:60
	s_waitcnt vmcnt(0)
	ds_write_b64 v93, v[95:96]
	buffer_store_dword v94, off, s[0:3], 0 offset:56
	buffer_store_dword v94, off, s[0:3], 0 offset:60
.LBB45_269:
	s_or_b64 exec, exec, s[4:5]
	s_waitcnt lgkmcnt(0)
	; wave barrier
	buffer_load_dword v99, off, s[0:3], 0 offset:64
	buffer_load_dword v100, off, s[0:3], 0 offset:68
	;; [unrolled: 1-line block ×20, first 2 shown]
	ds_read_b128 v[95:98], v94 offset:432
	buffer_load_dword v119, off, s[0:3], 0 offset:144
	buffer_load_dword v120, off, s[0:3], 0 offset:148
	v_cmp_lt_u32_e32 vcc, 6, v0
	s_waitcnt vmcnt(20) lgkmcnt(0)
	v_fma_f64 v[95:96], v[99:100], v[95:96], 0
	buffer_load_dword v100, off, s[0:3], 0 offset:156
	buffer_load_dword v99, off, s[0:3], 0 offset:152
	s_waitcnt vmcnt(20)
	v_fma_f64 v[101:102], v[101:102], v[97:98], v[95:96]
	ds_read_b128 v[95:98], v94 offset:448
	buffer_load_dword v121, off, s[0:3], 0 offset:160
	buffer_load_dword v122, off, s[0:3], 0 offset:164
	s_waitcnt vmcnt(20) lgkmcnt(0)
	v_fma_f64 v[95:96], v[103:104], v[95:96], v[101:102]
	buffer_load_dword v101, off, s[0:3], 0 offset:168
	buffer_load_dword v102, off, s[0:3], 0 offset:172
	s_waitcnt vmcnt(20)
	v_fma_f64 v[103:104], v[105:106], v[97:98], v[95:96]
	ds_read_b128 v[95:98], v94 offset:464
	buffer_load_dword v105, off, s[0:3], 0 offset:176
	buffer_load_dword v106, off, s[0:3], 0 offset:180
	;; [unrolled: 9-line block ×14, first 2 shown]
	s_waitcnt vmcnt(20) lgkmcnt(0)
	v_fma_f64 v[95:96], v[109:110], v[95:96], v[103:104]
	s_waitcnt vmcnt(18)
	v_fma_f64 v[103:104], v[107:108], v[97:98], v[95:96]
	ds_read_b128 v[95:98], v94 offset:672
	s_waitcnt vmcnt(16) lgkmcnt(0)
	v_fma_f64 v[95:96], v[113:114], v[95:96], v[103:104]
	s_waitcnt vmcnt(14)
	v_fma_f64 v[103:104], v[111:112], v[97:98], v[95:96]
	ds_read_b128 v[95:98], v94 offset:688
	;; [unrolled: 5-line block ×4, first 2 shown]
	s_waitcnt vmcnt(4) lgkmcnt(0)
	v_fma_f64 v[94:95], v[121:122], v[94:95], v[98:99]
	s_waitcnt vmcnt(2)
	v_fma_f64 v[94:95], v[101:102], v[96:97], v[94:95]
	s_waitcnt vmcnt(0)
	v_add_f64 v[94:95], v[105:106], -v[94:95]
	buffer_store_dword v95, off, s[0:3], 0 offset:60
	buffer_store_dword v94, off, s[0:3], 0 offset:56
	s_and_saveexec_b64 s[4:5], vcc
	s_cbranch_execz .LBB45_271
; %bb.270:
	buffer_load_dword v94, off, s[0:3], 0 offset:48
	buffer_load_dword v95, off, s[0:3], 0 offset:52
	v_mov_b32_e32 v96, 0
	buffer_store_dword v96, off, s[0:3], 0 offset:48
	buffer_store_dword v96, off, s[0:3], 0 offset:52
	s_waitcnt vmcnt(2)
	ds_write_b64 v93, v[94:95]
.LBB45_271:
	s_or_b64 exec, exec, s[4:5]
	s_waitcnt lgkmcnt(0)
	; wave barrier
	buffer_load_dword v99, off, s[0:3], 0 offset:56
	buffer_load_dword v100, off, s[0:3], 0 offset:60
	;; [unrolled: 1-line block ×20, first 2 shown]
	v_mov_b32_e32 v94, 0
	ds_read2_b64 v[95:98], v94 offset0:53 offset1:54
	buffer_load_dword v119, off, s[0:3], 0 offset:136
	buffer_load_dword v120, off, s[0:3], 0 offset:140
	v_cmp_lt_u32_e32 vcc, 5, v0
	s_waitcnt vmcnt(20) lgkmcnt(0)
	v_fma_f64 v[95:96], v[99:100], v[95:96], 0
	buffer_load_dword v100, off, s[0:3], 0 offset:148
	buffer_load_dword v99, off, s[0:3], 0 offset:144
	s_waitcnt vmcnt(20)
	v_fma_f64 v[101:102], v[101:102], v[97:98], v[95:96]
	ds_read2_b64 v[95:98], v94 offset0:55 offset1:56
	buffer_load_dword v121, off, s[0:3], 0 offset:152
	buffer_load_dword v122, off, s[0:3], 0 offset:156
	s_waitcnt vmcnt(20) lgkmcnt(0)
	v_fma_f64 v[95:96], v[103:104], v[95:96], v[101:102]
	buffer_load_dword v101, off, s[0:3], 0 offset:160
	buffer_load_dword v102, off, s[0:3], 0 offset:164
	s_waitcnt vmcnt(20)
	v_fma_f64 v[103:104], v[105:106], v[97:98], v[95:96]
	ds_read2_b64 v[95:98], v94 offset0:57 offset1:58
	buffer_load_dword v105, off, s[0:3], 0 offset:168
	buffer_load_dword v106, off, s[0:3], 0 offset:172
	;; [unrolled: 9-line block ×14, first 2 shown]
	s_waitcnt vmcnt(20) lgkmcnt(0)
	v_fma_f64 v[95:96], v[109:110], v[95:96], v[103:104]
	buffer_load_dword v103, off, s[0:3], 0 offset:48
	buffer_load_dword v104, off, s[0:3], 0 offset:52
	s_waitcnt vmcnt(20)
	v_fma_f64 v[107:108], v[107:108], v[97:98], v[95:96]
	ds_read2_b64 v[95:98], v94 offset0:83 offset1:84
	s_waitcnt vmcnt(18) lgkmcnt(0)
	v_fma_f64 v[95:96], v[113:114], v[95:96], v[107:108]
	s_waitcnt vmcnt(16)
	v_fma_f64 v[107:108], v[111:112], v[97:98], v[95:96]
	ds_read2_b64 v[95:98], v94 offset0:85 offset1:86
	s_waitcnt vmcnt(14) lgkmcnt(0)
	v_fma_f64 v[95:96], v[117:118], v[95:96], v[107:108]
	;; [unrolled: 5-line block ×4, first 2 shown]
	s_waitcnt vmcnt(4)
	v_fma_f64 v[95:96], v[101:102], v[97:98], v[95:96]
	ds_read_b64 v[97:98], v94 offset:728
	s_waitcnt vmcnt(2) lgkmcnt(0)
	v_fma_f64 v[95:96], v[105:106], v[97:98], v[95:96]
	s_waitcnt vmcnt(0)
	v_add_f64 v[95:96], v[103:104], -v[95:96]
	buffer_store_dword v96, off, s[0:3], 0 offset:52
	buffer_store_dword v95, off, s[0:3], 0 offset:48
	s_and_saveexec_b64 s[4:5], vcc
	s_cbranch_execz .LBB45_273
; %bb.272:
	buffer_load_dword v95, off, s[0:3], 0 offset:40
	buffer_load_dword v96, off, s[0:3], 0 offset:44
	s_waitcnt vmcnt(0)
	ds_write_b64 v93, v[95:96]
	buffer_store_dword v94, off, s[0:3], 0 offset:40
	buffer_store_dword v94, off, s[0:3], 0 offset:44
.LBB45_273:
	s_or_b64 exec, exec, s[4:5]
	s_waitcnt lgkmcnt(0)
	; wave barrier
	buffer_load_dword v99, off, s[0:3], 0 offset:48
	buffer_load_dword v100, off, s[0:3], 0 offset:52
	;; [unrolled: 1-line block ×20, first 2 shown]
	ds_read_b128 v[95:98], v94 offset:416
	buffer_load_dword v119, off, s[0:3], 0 offset:128
	buffer_load_dword v120, off, s[0:3], 0 offset:132
	v_cmp_lt_u32_e32 vcc, 4, v0
	s_waitcnt vmcnt(20) lgkmcnt(0)
	v_fma_f64 v[95:96], v[99:100], v[95:96], 0
	buffer_load_dword v100, off, s[0:3], 0 offset:140
	buffer_load_dword v99, off, s[0:3], 0 offset:136
	s_waitcnt vmcnt(20)
	v_fma_f64 v[101:102], v[101:102], v[97:98], v[95:96]
	ds_read_b128 v[95:98], v94 offset:432
	buffer_load_dword v121, off, s[0:3], 0 offset:144
	buffer_load_dword v122, off, s[0:3], 0 offset:148
	s_waitcnt vmcnt(20) lgkmcnt(0)
	v_fma_f64 v[95:96], v[103:104], v[95:96], v[101:102]
	buffer_load_dword v101, off, s[0:3], 0 offset:152
	buffer_load_dword v102, off, s[0:3], 0 offset:156
	s_waitcnt vmcnt(20)
	v_fma_f64 v[103:104], v[105:106], v[97:98], v[95:96]
	ds_read_b128 v[95:98], v94 offset:448
	buffer_load_dword v105, off, s[0:3], 0 offset:160
	buffer_load_dword v106, off, s[0:3], 0 offset:164
	;; [unrolled: 9-line block ×15, first 2 shown]
	s_waitcnt vmcnt(20) lgkmcnt(0)
	v_fma_f64 v[95:96], v[113:114], v[95:96], v[107:108]
	s_waitcnt vmcnt(18)
	v_fma_f64 v[107:108], v[111:112], v[97:98], v[95:96]
	ds_read_b128 v[95:98], v94 offset:672
	s_waitcnt vmcnt(16) lgkmcnt(0)
	v_fma_f64 v[95:96], v[117:118], v[95:96], v[107:108]
	s_waitcnt vmcnt(14)
	v_fma_f64 v[107:108], v[115:116], v[97:98], v[95:96]
	ds_read_b128 v[95:98], v94 offset:688
	;; [unrolled: 5-line block ×4, first 2 shown]
	s_waitcnt vmcnt(4) lgkmcnt(0)
	v_fma_f64 v[94:95], v[105:106], v[94:95], v[98:99]
	s_waitcnt vmcnt(2)
	v_fma_f64 v[94:95], v[103:104], v[96:97], v[94:95]
	s_waitcnt vmcnt(0)
	v_add_f64 v[94:95], v[109:110], -v[94:95]
	buffer_store_dword v95, off, s[0:3], 0 offset:44
	buffer_store_dword v94, off, s[0:3], 0 offset:40
	s_and_saveexec_b64 s[4:5], vcc
	s_cbranch_execz .LBB45_275
; %bb.274:
	buffer_load_dword v94, off, s[0:3], 0 offset:32
	buffer_load_dword v95, off, s[0:3], 0 offset:36
	v_mov_b32_e32 v96, 0
	buffer_store_dword v96, off, s[0:3], 0 offset:32
	buffer_store_dword v96, off, s[0:3], 0 offset:36
	s_waitcnt vmcnt(2)
	ds_write_b64 v93, v[94:95]
.LBB45_275:
	s_or_b64 exec, exec, s[4:5]
	s_waitcnt lgkmcnt(0)
	; wave barrier
	buffer_load_dword v103, off, s[0:3], 0 offset:40
	buffer_load_dword v104, off, s[0:3], 0 offset:44
	;; [unrolled: 1-line block ×22, first 2 shown]
	v_mov_b32_e32 v94, 0
	ds_read2_b64 v[95:98], v94 offset0:51 offset1:52
	ds_read2_b64 v[99:102], v94 offset0:53 offset1:54
	v_cmp_lt_u32_e32 vcc, 3, v0
	s_waitcnt vmcnt(20) lgkmcnt(1)
	v_fma_f64 v[95:96], v[103:104], v[95:96], 0
	s_waitcnt vmcnt(18)
	v_fma_f64 v[95:96], v[105:106], v[97:98], v[95:96]
	buffer_load_dword v104, off, s[0:3], 0 offset:132
	buffer_load_dword v105, off, s[0:3], 0 offset:152
	;; [unrolled: 1-line block ×7, first 2 shown]
	s_waitcnt vmcnt(23) lgkmcnt(0)
	v_fma_f64 v[95:96], v[107:108], v[99:100], v[95:96]
	s_waitcnt vmcnt(21)
	v_fma_f64 v[106:107], v[109:110], v[101:102], v[95:96]
	ds_read2_b64 v[95:98], v94 offset0:55 offset1:56
	ds_read2_b64 v[99:102], v94 offset0:57 offset1:58
	s_waitcnt vmcnt(19) lgkmcnt(1)
	v_fma_f64 v[95:96], v[111:112], v[95:96], v[106:107]
	buffer_load_dword v106, off, s[0:3], 0 offset:156
	s_waitcnt vmcnt(18)
	v_fma_f64 v[95:96], v[113:114], v[97:98], v[95:96]
	buffer_load_dword v108, off, s[0:3], 0 offset:164
	buffer_load_dword v109, off, s[0:3], 0 offset:184
	;; [unrolled: 1-line block ×7, first 2 shown]
	s_waitcnt vmcnt(23) lgkmcnt(0)
	v_fma_f64 v[95:96], v[115:116], v[99:100], v[95:96]
	s_waitcnt vmcnt(18)
	v_fma_f64 v[115:116], v[117:118], v[101:102], v[95:96]
	ds_read2_b64 v[95:98], v94 offset0:59 offset1:60
	ds_read2_b64 v[99:102], v94 offset0:61 offset1:62
	buffer_load_dword v110, off, s[0:3], 0 offset:188
	s_waitcnt vmcnt(18) lgkmcnt(1)
	v_fma_f64 v[95:96], v[123:124], v[95:96], v[115:116]
	s_waitcnt vmcnt(17)
	v_fma_f64 v[95:96], v[121:122], v[97:98], v[95:96]
	buffer_load_dword v116, off, s[0:3], 0 offset:196
	buffer_load_dword v117, off, s[0:3], 0 offset:216
	;; [unrolled: 1-line block ×8, first 2 shown]
	s_waitcnt vmcnt(24) lgkmcnt(0)
	v_fma_f64 v[95:96], v[119:120], v[99:100], v[95:96]
	s_waitcnt vmcnt(19)
	v_fma_f64 v[103:104], v[103:104], v[101:102], v[95:96]
	ds_read2_b64 v[95:98], v94 offset0:63 offset1:64
	ds_read2_b64 v[99:102], v94 offset0:65 offset1:66
	s_waitcnt vmcnt(18) lgkmcnt(1)
	v_fma_f64 v[95:96], v[127:128], v[95:96], v[103:104]
	s_waitcnt vmcnt(17)
	v_fma_f64 v[95:96], v[125:126], v[97:98], v[95:96]
	buffer_load_dword v104, off, s[0:3], 0 offset:228
	buffer_load_dword v119, off, s[0:3], 0 offset:248
	;; [unrolled: 1-line block ×7, first 2 shown]
	s_waitcnt vmcnt(23) lgkmcnt(0)
	v_fma_f64 v[95:96], v[105:106], v[99:100], v[95:96]
	s_waitcnt vmcnt(18)
	v_fma_f64 v[105:106], v[107:108], v[101:102], v[95:96]
	ds_read2_b64 v[95:98], v94 offset0:67 offset1:68
	ds_read2_b64 v[99:102], v94 offset0:69 offset1:70
	buffer_load_dword v120, off, s[0:3], 0 offset:252
	s_waitcnt vmcnt(18) lgkmcnt(1)
	v_fma_f64 v[95:96], v[113:114], v[95:96], v[105:106]
	s_waitcnt vmcnt(17)
	v_fma_f64 v[95:96], v[111:112], v[97:98], v[95:96]
	buffer_load_dword v106, off, s[0:3], 0 offset:260
	buffer_load_dword v107, off, s[0:3], 0 offset:280
	;; [unrolled: 1-line block ×7, first 2 shown]
	s_waitcnt vmcnt(23) lgkmcnt(0)
	v_fma_f64 v[95:96], v[109:110], v[99:100], v[95:96]
	s_waitcnt vmcnt(18)
	v_fma_f64 v[108:109], v[115:116], v[101:102], v[95:96]
	ds_read2_b64 v[95:98], v94 offset0:71 offset1:72
	ds_read2_b64 v[99:102], v94 offset0:73 offset1:74
	s_waitcnt vmcnt(17) lgkmcnt(1)
	v_fma_f64 v[95:96], v[123:124], v[95:96], v[108:109]
	buffer_load_dword v108, off, s[0:3], 0 offset:284
	s_waitcnt vmcnt(17)
	v_fma_f64 v[95:96], v[121:122], v[97:98], v[95:96]
	buffer_load_dword v110, off, s[0:3], 0 offset:292
	buffer_load_dword v115, off, s[0:3], 0 offset:312
	;; [unrolled: 1-line block ×8, first 2 shown]
	s_waitcnt vmcnt(24) lgkmcnt(0)
	v_fma_f64 v[95:96], v[117:118], v[99:100], v[95:96]
	s_waitcnt vmcnt(19)
	v_fma_f64 v[103:104], v[103:104], v[101:102], v[95:96]
	ds_read2_b64 v[95:98], v94 offset0:75 offset1:76
	ds_read2_b64 v[99:102], v94 offset0:77 offset1:78
	s_waitcnt vmcnt(18) lgkmcnt(1)
	v_fma_f64 v[95:96], v[127:128], v[95:96], v[103:104]
	s_waitcnt vmcnt(17)
	v_fma_f64 v[95:96], v[125:126], v[97:98], v[95:96]
	buffer_load_dword v104, off, s[0:3], 0 offset:324
	buffer_load_dword v117, off, s[0:3], 0 offset:344
	;; [unrolled: 1-line block ×7, first 2 shown]
	s_waitcnt vmcnt(23) lgkmcnt(0)
	v_fma_f64 v[95:96], v[119:120], v[99:100], v[95:96]
	s_waitcnt vmcnt(18)
	v_fma_f64 v[105:106], v[105:106], v[101:102], v[95:96]
	ds_read2_b64 v[95:98], v94 offset0:79 offset1:80
	ds_read2_b64 v[99:102], v94 offset0:81 offset1:82
	buffer_load_dword v118, off, s[0:3], 0 offset:348
	s_waitcnt vmcnt(18) lgkmcnt(1)
	v_fma_f64 v[95:96], v[113:114], v[95:96], v[105:106]
	s_waitcnt vmcnt(17)
	v_fma_f64 v[95:96], v[111:112], v[97:98], v[95:96]
	buffer_load_dword v106, off, s[0:3], 0 offset:356
	buffer_load_dword v111, off, s[0:3], 0 offset:360
	;; [unrolled: 1-line block ×4, first 2 shown]
	s_waitcnt vmcnt(20) lgkmcnt(0)
	v_fma_f64 v[95:96], v[107:108], v[99:100], v[95:96]
	buffer_load_dword v107, off, s[0:3], 0 offset:32
	buffer_load_dword v108, off, s[0:3], 0 offset:36
	s_waitcnt vmcnt(17)
	v_fma_f64 v[109:110], v[109:110], v[101:102], v[95:96]
	ds_read2_b64 v[95:98], v94 offset0:83 offset1:84
	ds_read2_b64 v[99:102], v94 offset0:85 offset1:86
	s_waitcnt vmcnt(16) lgkmcnt(1)
	v_fma_f64 v[95:96], v[123:124], v[95:96], v[109:110]
	s_waitcnt vmcnt(15)
	v_fma_f64 v[95:96], v[121:122], v[97:98], v[95:96]
	s_waitcnt vmcnt(14) lgkmcnt(0)
	v_fma_f64 v[95:96], v[115:116], v[99:100], v[95:96]
	s_waitcnt vmcnt(9)
	v_fma_f64 v[103:104], v[103:104], v[101:102], v[95:96]
	ds_read2_b64 v[95:98], v94 offset0:87 offset1:88
	ds_read2_b64 v[99:102], v94 offset0:89 offset1:90
	s_waitcnt vmcnt(8) lgkmcnt(1)
	v_fma_f64 v[95:96], v[127:128], v[95:96], v[103:104]
	s_waitcnt vmcnt(7)
	v_fma_f64 v[95:96], v[125:126], v[97:98], v[95:96]
	ds_read_b64 v[97:98], v94 offset:728
	s_waitcnt vmcnt(6) lgkmcnt(1)
	v_fma_f64 v[95:96], v[117:118], v[99:100], v[95:96]
	s_waitcnt vmcnt(3)
	v_fma_f64 v[95:96], v[105:106], v[101:102], v[95:96]
	s_waitcnt vmcnt(2) lgkmcnt(0)
	v_fma_f64 v[95:96], v[111:112], v[97:98], v[95:96]
	s_waitcnt vmcnt(0)
	v_add_f64 v[95:96], v[107:108], -v[95:96]
	buffer_store_dword v96, off, s[0:3], 0 offset:36
	buffer_store_dword v95, off, s[0:3], 0 offset:32
	s_and_saveexec_b64 s[4:5], vcc
	s_cbranch_execz .LBB45_277
; %bb.276:
	buffer_load_dword v95, off, s[0:3], 0 offset:24
	buffer_load_dword v96, off, s[0:3], 0 offset:28
	s_waitcnt vmcnt(0)
	ds_write_b64 v93, v[95:96]
	buffer_store_dword v94, off, s[0:3], 0 offset:24
	buffer_store_dword v94, off, s[0:3], 0 offset:28
.LBB45_277:
	s_or_b64 exec, exec, s[4:5]
	s_waitcnt lgkmcnt(0)
	; wave barrier
	buffer_load_dword v99, off, s[0:3], 0 offset:32
	buffer_load_dword v100, off, s[0:3], 0 offset:36
	;; [unrolled: 1-line block ×20, first 2 shown]
	ds_read_b128 v[95:98], v94 offset:400
	buffer_load_dword v119, off, s[0:3], 0 offset:112
	buffer_load_dword v120, off, s[0:3], 0 offset:116
	v_cmp_lt_u32_e32 vcc, 2, v0
	s_waitcnt vmcnt(20) lgkmcnt(0)
	v_fma_f64 v[95:96], v[99:100], v[95:96], 0
	buffer_load_dword v100, off, s[0:3], 0 offset:124
	buffer_load_dword v99, off, s[0:3], 0 offset:120
	s_waitcnt vmcnt(20)
	v_fma_f64 v[101:102], v[101:102], v[97:98], v[95:96]
	ds_read_b128 v[95:98], v94 offset:416
	buffer_load_dword v121, off, s[0:3], 0 offset:128
	buffer_load_dword v122, off, s[0:3], 0 offset:132
	s_waitcnt vmcnt(20) lgkmcnt(0)
	v_fma_f64 v[95:96], v[103:104], v[95:96], v[101:102]
	buffer_load_dword v101, off, s[0:3], 0 offset:136
	buffer_load_dword v102, off, s[0:3], 0 offset:140
	s_waitcnt vmcnt(20)
	v_fma_f64 v[103:104], v[105:106], v[97:98], v[95:96]
	ds_read_b128 v[95:98], v94 offset:432
	buffer_load_dword v105, off, s[0:3], 0 offset:144
	buffer_load_dword v106, off, s[0:3], 0 offset:148
	;; [unrolled: 9-line block ×16, first 2 shown]
	s_waitcnt vmcnt(20) lgkmcnt(0)
	v_fma_f64 v[95:96], v[117:118], v[95:96], v[111:112]
	s_waitcnt vmcnt(18)
	v_fma_f64 v[111:112], v[115:116], v[97:98], v[95:96]
	ds_read_b128 v[95:98], v94 offset:672
	s_waitcnt vmcnt(16) lgkmcnt(0)
	v_fma_f64 v[95:96], v[119:120], v[95:96], v[111:112]
	s_waitcnt vmcnt(14)
	v_fma_f64 v[99:100], v[99:100], v[97:98], v[95:96]
	ds_read_b128 v[95:98], v94 offset:688
	;; [unrolled: 5-line block ×4, first 2 shown]
	s_waitcnt vmcnt(4) lgkmcnt(0)
	v_fma_f64 v[94:95], v[109:110], v[94:95], v[98:99]
	s_waitcnt vmcnt(2)
	v_fma_f64 v[94:95], v[107:108], v[96:97], v[94:95]
	s_waitcnt vmcnt(0)
	v_add_f64 v[94:95], v[113:114], -v[94:95]
	buffer_store_dword v95, off, s[0:3], 0 offset:28
	buffer_store_dword v94, off, s[0:3], 0 offset:24
	s_and_saveexec_b64 s[4:5], vcc
	s_cbranch_execz .LBB45_279
; %bb.278:
	buffer_load_dword v94, off, s[0:3], 0 offset:16
	buffer_load_dword v95, off, s[0:3], 0 offset:20
	v_mov_b32_e32 v96, 0
	buffer_store_dword v96, off, s[0:3], 0 offset:16
	buffer_store_dword v96, off, s[0:3], 0 offset:20
	s_waitcnt vmcnt(2)
	ds_write_b64 v93, v[94:95]
.LBB45_279:
	s_or_b64 exec, exec, s[4:5]
	s_waitcnt lgkmcnt(0)
	; wave barrier
	buffer_load_dword v99, off, s[0:3], 0 offset:24
	buffer_load_dword v100, off, s[0:3], 0 offset:28
	;; [unrolled: 1-line block ×20, first 2 shown]
	v_mov_b32_e32 v94, 0
	ds_read2_b64 v[95:98], v94 offset0:49 offset1:50
	buffer_load_dword v119, off, s[0:3], 0 offset:104
	buffer_load_dword v120, off, s[0:3], 0 offset:108
	v_cmp_lt_u32_e32 vcc, 1, v0
	s_waitcnt vmcnt(20) lgkmcnt(0)
	v_fma_f64 v[95:96], v[99:100], v[95:96], 0
	buffer_load_dword v100, off, s[0:3], 0 offset:116
	buffer_load_dword v99, off, s[0:3], 0 offset:112
	s_waitcnt vmcnt(20)
	v_fma_f64 v[101:102], v[101:102], v[97:98], v[95:96]
	ds_read2_b64 v[95:98], v94 offset0:51 offset1:52
	buffer_load_dword v121, off, s[0:3], 0 offset:120
	buffer_load_dword v122, off, s[0:3], 0 offset:124
	s_waitcnt vmcnt(20) lgkmcnt(0)
	v_fma_f64 v[95:96], v[103:104], v[95:96], v[101:102]
	buffer_load_dword v101, off, s[0:3], 0 offset:128
	buffer_load_dword v102, off, s[0:3], 0 offset:132
	s_waitcnt vmcnt(20)
	v_fma_f64 v[103:104], v[105:106], v[97:98], v[95:96]
	ds_read2_b64 v[95:98], v94 offset0:53 offset1:54
	buffer_load_dword v105, off, s[0:3], 0 offset:136
	buffer_load_dword v106, off, s[0:3], 0 offset:140
	;; [unrolled: 9-line block ×16, first 2 shown]
	s_waitcnt vmcnt(20) lgkmcnt(0)
	v_fma_f64 v[95:96], v[117:118], v[95:96], v[111:112]
	buffer_load_dword v111, off, s[0:3], 0 offset:16
	buffer_load_dword v112, off, s[0:3], 0 offset:20
	s_waitcnt vmcnt(20)
	v_fma_f64 v[115:116], v[115:116], v[97:98], v[95:96]
	ds_read2_b64 v[95:98], v94 offset0:83 offset1:84
	s_waitcnt vmcnt(18) lgkmcnt(0)
	v_fma_f64 v[95:96], v[119:120], v[95:96], v[115:116]
	s_waitcnt vmcnt(16)
	v_fma_f64 v[99:100], v[99:100], v[97:98], v[95:96]
	ds_read2_b64 v[95:98], v94 offset0:85 offset1:86
	s_waitcnt vmcnt(14) lgkmcnt(0)
	v_fma_f64 v[95:96], v[121:122], v[95:96], v[99:100]
	;; [unrolled: 5-line block ×4, first 2 shown]
	s_waitcnt vmcnt(4)
	v_fma_f64 v[95:96], v[107:108], v[97:98], v[95:96]
	ds_read_b64 v[97:98], v94 offset:728
	s_waitcnt vmcnt(2) lgkmcnt(0)
	v_fma_f64 v[95:96], v[113:114], v[97:98], v[95:96]
	s_waitcnt vmcnt(0)
	v_add_f64 v[95:96], v[111:112], -v[95:96]
	buffer_store_dword v96, off, s[0:3], 0 offset:20
	buffer_store_dword v95, off, s[0:3], 0 offset:16
	s_and_saveexec_b64 s[4:5], vcc
	s_cbranch_execz .LBB45_281
; %bb.280:
	buffer_load_dword v95, off, s[0:3], 0 offset:8
	buffer_load_dword v96, off, s[0:3], 0 offset:12
	s_waitcnt vmcnt(0)
	ds_write_b64 v93, v[95:96]
	buffer_store_dword v94, off, s[0:3], 0 offset:8
	buffer_store_dword v94, off, s[0:3], 0 offset:12
.LBB45_281:
	s_or_b64 exec, exec, s[4:5]
	s_waitcnt lgkmcnt(0)
	; wave barrier
	buffer_load_dword v99, off, s[0:3], 0 offset:16
	buffer_load_dword v100, off, s[0:3], 0 offset:20
	;; [unrolled: 1-line block ×20, first 2 shown]
	ds_read_b128 v[95:98], v94 offset:384
	buffer_load_dword v119, off, s[0:3], 0 offset:96
	buffer_load_dword v120, off, s[0:3], 0 offset:100
	v_cmp_ne_u32_e32 vcc, 0, v0
	s_waitcnt vmcnt(20) lgkmcnt(0)
	v_fma_f64 v[95:96], v[99:100], v[95:96], 0
	buffer_load_dword v100, off, s[0:3], 0 offset:108
	buffer_load_dword v99, off, s[0:3], 0 offset:104
	s_waitcnt vmcnt(20)
	v_fma_f64 v[101:102], v[101:102], v[97:98], v[95:96]
	ds_read_b128 v[95:98], v94 offset:400
	buffer_load_dword v121, off, s[0:3], 0 offset:112
	buffer_load_dword v122, off, s[0:3], 0 offset:116
	s_waitcnt vmcnt(20) lgkmcnt(0)
	v_fma_f64 v[95:96], v[103:104], v[95:96], v[101:102]
	buffer_load_dword v101, off, s[0:3], 0 offset:120
	buffer_load_dword v102, off, s[0:3], 0 offset:124
	s_waitcnt vmcnt(20)
	v_fma_f64 v[103:104], v[105:106], v[97:98], v[95:96]
	ds_read_b128 v[95:98], v94 offset:416
	buffer_load_dword v105, off, s[0:3], 0 offset:128
	buffer_load_dword v106, off, s[0:3], 0 offset:132
	s_waitcnt vmcnt(20) lgkmcnt(0)
	v_fma_f64 v[95:96], v[107:108], v[95:96], v[103:104]
	buffer_load_dword v104, off, s[0:3], 0 offset:140
	buffer_load_dword v103, off, s[0:3], 0 offset:136
	s_waitcnt vmcnt(20)
	v_fma_f64 v[107:108], v[109:110], v[97:98], v[95:96]
	ds_read_b128 v[95:98], v94 offset:432
	buffer_load_dword v109, off, s[0:3], 0 offset:144
	buffer_load_dword v110, off, s[0:3], 0 offset:148
	s_waitcnt vmcnt(20) lgkmcnt(0)
	v_fma_f64 v[95:96], v[111:112], v[95:96], v[107:108]
	buffer_load_dword v107, off, s[0:3], 0 offset:152
	buffer_load_dword v108, off, s[0:3], 0 offset:156
	s_waitcnt vmcnt(20)
	v_fma_f64 v[111:112], v[113:114], v[97:98], v[95:96]
	ds_read_b128 v[95:98], v94 offset:448
	buffer_load_dword v113, off, s[0:3], 0 offset:160
	buffer_load_dword v114, off, s[0:3], 0 offset:164
	s_waitcnt vmcnt(20) lgkmcnt(0)
	v_fma_f64 v[95:96], v[115:116], v[95:96], v[111:112]
	buffer_load_dword v112, off, s[0:3], 0 offset:172
	buffer_load_dword v111, off, s[0:3], 0 offset:168
	s_waitcnt vmcnt(20)
	v_fma_f64 v[115:116], v[117:118], v[97:98], v[95:96]
	ds_read_b128 v[95:98], v94 offset:464
	buffer_load_dword v117, off, s[0:3], 0 offset:176
	buffer_load_dword v118, off, s[0:3], 0 offset:180
	s_waitcnt vmcnt(20) lgkmcnt(0)
	v_fma_f64 v[95:96], v[119:120], v[95:96], v[115:116]
	buffer_load_dword v115, off, s[0:3], 0 offset:184
	buffer_load_dword v116, off, s[0:3], 0 offset:188
	s_waitcnt vmcnt(20)
	v_fma_f64 v[99:100], v[99:100], v[97:98], v[95:96]
	ds_read_b128 v[95:98], v94 offset:480
	buffer_load_dword v119, off, s[0:3], 0 offset:192
	buffer_load_dword v120, off, s[0:3], 0 offset:196
	s_waitcnt vmcnt(20) lgkmcnt(0)
	v_fma_f64 v[95:96], v[121:122], v[95:96], v[99:100]
	buffer_load_dword v100, off, s[0:3], 0 offset:204
	buffer_load_dword v99, off, s[0:3], 0 offset:200
	s_waitcnt vmcnt(20)
	v_fma_f64 v[101:102], v[101:102], v[97:98], v[95:96]
	ds_read_b128 v[95:98], v94 offset:496
	buffer_load_dword v121, off, s[0:3], 0 offset:208
	buffer_load_dword v122, off, s[0:3], 0 offset:212
	s_waitcnt vmcnt(20) lgkmcnt(0)
	v_fma_f64 v[95:96], v[105:106], v[95:96], v[101:102]
	buffer_load_dword v101, off, s[0:3], 0 offset:216
	buffer_load_dword v102, off, s[0:3], 0 offset:220
	s_waitcnt vmcnt(20)
	v_fma_f64 v[103:104], v[103:104], v[97:98], v[95:96]
	ds_read_b128 v[95:98], v94 offset:512
	buffer_load_dword v105, off, s[0:3], 0 offset:224
	buffer_load_dword v106, off, s[0:3], 0 offset:228
	s_waitcnt vmcnt(20) lgkmcnt(0)
	v_fma_f64 v[95:96], v[109:110], v[95:96], v[103:104]
	buffer_load_dword v104, off, s[0:3], 0 offset:236
	buffer_load_dword v103, off, s[0:3], 0 offset:232
	s_waitcnt vmcnt(20)
	v_fma_f64 v[107:108], v[107:108], v[97:98], v[95:96]
	ds_read_b128 v[95:98], v94 offset:528
	buffer_load_dword v109, off, s[0:3], 0 offset:240
	buffer_load_dword v110, off, s[0:3], 0 offset:244
	s_waitcnt vmcnt(20) lgkmcnt(0)
	v_fma_f64 v[95:96], v[113:114], v[95:96], v[107:108]
	buffer_load_dword v107, off, s[0:3], 0 offset:248
	buffer_load_dword v108, off, s[0:3], 0 offset:252
	s_waitcnt vmcnt(20)
	v_fma_f64 v[111:112], v[111:112], v[97:98], v[95:96]
	ds_read_b128 v[95:98], v94 offset:544
	buffer_load_dword v113, off, s[0:3], 0 offset:256
	buffer_load_dword v114, off, s[0:3], 0 offset:260
	s_waitcnt vmcnt(20) lgkmcnt(0)
	v_fma_f64 v[95:96], v[117:118], v[95:96], v[111:112]
	buffer_load_dword v112, off, s[0:3], 0 offset:268
	buffer_load_dword v111, off, s[0:3], 0 offset:264
	s_waitcnt vmcnt(20)
	v_fma_f64 v[115:116], v[115:116], v[97:98], v[95:96]
	ds_read_b128 v[95:98], v94 offset:560
	buffer_load_dword v117, off, s[0:3], 0 offset:272
	buffer_load_dword v118, off, s[0:3], 0 offset:276
	s_waitcnt vmcnt(20) lgkmcnt(0)
	v_fma_f64 v[95:96], v[119:120], v[95:96], v[115:116]
	buffer_load_dword v115, off, s[0:3], 0 offset:280
	buffer_load_dword v116, off, s[0:3], 0 offset:284
	s_waitcnt vmcnt(20)
	v_fma_f64 v[99:100], v[99:100], v[97:98], v[95:96]
	ds_read_b128 v[95:98], v94 offset:576
	buffer_load_dword v119, off, s[0:3], 0 offset:288
	buffer_load_dword v120, off, s[0:3], 0 offset:292
	s_waitcnt vmcnt(20) lgkmcnt(0)
	v_fma_f64 v[95:96], v[121:122], v[95:96], v[99:100]
	buffer_load_dword v100, off, s[0:3], 0 offset:300
	buffer_load_dword v99, off, s[0:3], 0 offset:296
	s_waitcnt vmcnt(20)
	v_fma_f64 v[101:102], v[101:102], v[97:98], v[95:96]
	ds_read_b128 v[95:98], v94 offset:592
	buffer_load_dword v121, off, s[0:3], 0 offset:304
	buffer_load_dword v122, off, s[0:3], 0 offset:308
	s_waitcnt vmcnt(20) lgkmcnt(0)
	v_fma_f64 v[95:96], v[105:106], v[95:96], v[101:102]
	buffer_load_dword v101, off, s[0:3], 0 offset:312
	buffer_load_dword v102, off, s[0:3], 0 offset:316
	s_waitcnt vmcnt(20)
	v_fma_f64 v[103:104], v[103:104], v[97:98], v[95:96]
	ds_read_b128 v[95:98], v94 offset:608
	buffer_load_dword v105, off, s[0:3], 0 offset:320
	buffer_load_dword v106, off, s[0:3], 0 offset:324
	s_waitcnt vmcnt(20) lgkmcnt(0)
	v_fma_f64 v[95:96], v[109:110], v[95:96], v[103:104]
	buffer_load_dword v104, off, s[0:3], 0 offset:332
	buffer_load_dword v103, off, s[0:3], 0 offset:328
	s_waitcnt vmcnt(20)
	v_fma_f64 v[107:108], v[107:108], v[97:98], v[95:96]
	ds_read_b128 v[95:98], v94 offset:624
	buffer_load_dword v109, off, s[0:3], 0 offset:336
	buffer_load_dword v110, off, s[0:3], 0 offset:340
	s_waitcnt vmcnt(20) lgkmcnt(0)
	v_fma_f64 v[95:96], v[113:114], v[95:96], v[107:108]
	buffer_load_dword v107, off, s[0:3], 0 offset:344
	buffer_load_dword v108, off, s[0:3], 0 offset:348
	s_waitcnt vmcnt(20)
	v_fma_f64 v[111:112], v[111:112], v[97:98], v[95:96]
	ds_read_b128 v[95:98], v94 offset:640
	buffer_load_dword v113, off, s[0:3], 0 offset:352
	buffer_load_dword v114, off, s[0:3], 0 offset:356
	s_waitcnt vmcnt(20) lgkmcnt(0)
	v_fma_f64 v[95:96], v[117:118], v[95:96], v[111:112]
	buffer_load_dword v112, off, s[0:3], 0 offset:364
	buffer_load_dword v111, off, s[0:3], 0 offset:360
	s_waitcnt vmcnt(20)
	v_fma_f64 v[115:116], v[115:116], v[97:98], v[95:96]
	ds_read_b128 v[95:98], v94 offset:656
	buffer_load_dword v117, off, s[0:3], 0 offset:8
	buffer_load_dword v118, off, s[0:3], 0 offset:12
	s_waitcnt vmcnt(20) lgkmcnt(0)
	v_fma_f64 v[95:96], v[119:120], v[95:96], v[115:116]
	s_waitcnt vmcnt(18)
	v_fma_f64 v[99:100], v[99:100], v[97:98], v[95:96]
	ds_read_b128 v[95:98], v94 offset:672
	s_waitcnt vmcnt(16) lgkmcnt(0)
	v_fma_f64 v[95:96], v[121:122], v[95:96], v[99:100]
	s_waitcnt vmcnt(14)
	v_fma_f64 v[99:100], v[101:102], v[97:98], v[95:96]
	ds_read_b128 v[95:98], v94 offset:688
	;; [unrolled: 5-line block ×4, first 2 shown]
	s_waitcnt vmcnt(4) lgkmcnt(0)
	v_fma_f64 v[94:95], v[113:114], v[94:95], v[98:99]
	s_waitcnt vmcnt(2)
	v_fma_f64 v[94:95], v[111:112], v[96:97], v[94:95]
	s_waitcnt vmcnt(0)
	v_add_f64 v[94:95], v[117:118], -v[94:95]
	buffer_store_dword v95, off, s[0:3], 0 offset:12
	buffer_store_dword v94, off, s[0:3], 0 offset:8
	s_and_saveexec_b64 s[4:5], vcc
	s_cbranch_execz .LBB45_283
; %bb.282:
	buffer_load_dword v94, off, s[0:3], 0
	buffer_load_dword v95, off, s[0:3], 0 offset:4
	v_mov_b32_e32 v0, 0
	buffer_store_dword v0, off, s[0:3], 0
	buffer_store_dword v0, off, s[0:3], 0 offset:4
	s_waitcnt vmcnt(2)
	ds_write_b64 v93, v[94:95]
.LBB45_283:
	s_or_b64 exec, exec, s[4:5]
	s_waitcnt lgkmcnt(0)
	; wave barrier
	buffer_load_dword v101, off, s[0:3], 0 offset:8
	buffer_load_dword v102, off, s[0:3], 0 offset:12
	;; [unrolled: 1-line block ×21, first 2 shown]
	v_mov_b32_e32 v0, 0
	ds_read2_b64 v[93:96], v0 offset0:47 offset1:48
	ds_read2_b64 v[97:100], v0 offset0:49 offset1:50
	buffer_load_dword v118, off, s[0:3], 0 offset:92
	s_and_b64 vcc, exec, s[22:23]
	s_waitcnt vmcnt(20) lgkmcnt(1)
	v_fma_f64 v[93:94], v[101:102], v[93:94], 0
	s_waitcnt vmcnt(18)
	v_fma_f64 v[93:94], v[103:104], v[95:96], v[93:94]
	buffer_load_dword v102, off, s[0:3], 0 offset:100
	buffer_load_dword v103, off, s[0:3], 0 offset:120
	;; [unrolled: 1-line block ×7, first 2 shown]
	s_waitcnt vmcnt(23) lgkmcnt(0)
	v_fma_f64 v[93:94], v[105:106], v[97:98], v[93:94]
	s_waitcnt vmcnt(21)
	v_fma_f64 v[104:105], v[107:108], v[99:100], v[93:94]
	ds_read2_b64 v[93:96], v0 offset0:51 offset1:52
	ds_read2_b64 v[97:100], v0 offset0:53 offset1:54
	s_waitcnt vmcnt(19) lgkmcnt(1)
	v_fma_f64 v[93:94], v[109:110], v[93:94], v[104:105]
	buffer_load_dword v104, off, s[0:3], 0 offset:124
	s_waitcnt vmcnt(18)
	v_fma_f64 v[93:94], v[111:112], v[95:96], v[93:94]
	buffer_load_dword v106, off, s[0:3], 0 offset:132
	buffer_load_dword v107, off, s[0:3], 0 offset:152
	;; [unrolled: 1-line block ×7, first 2 shown]
	s_waitcnt vmcnt(23) lgkmcnt(0)
	v_fma_f64 v[93:94], v[113:114], v[97:98], v[93:94]
	s_waitcnt vmcnt(18)
	v_fma_f64 v[113:114], v[115:116], v[99:100], v[93:94]
	ds_read2_b64 v[93:96], v0 offset0:55 offset1:56
	ds_read2_b64 v[97:100], v0 offset0:57 offset1:58
	buffer_load_dword v108, off, s[0:3], 0 offset:156
	s_waitcnt vmcnt(18) lgkmcnt(1)
	v_fma_f64 v[93:94], v[121:122], v[93:94], v[113:114]
	s_waitcnt vmcnt(17)
	v_fma_f64 v[93:94], v[119:120], v[95:96], v[93:94]
	buffer_load_dword v114, off, s[0:3], 0 offset:164
	buffer_load_dword v115, off, s[0:3], 0 offset:184
	;; [unrolled: 1-line block ×7, first 2 shown]
	s_waitcnt vmcnt(23) lgkmcnt(0)
	v_fma_f64 v[93:94], v[117:118], v[97:98], v[93:94]
	s_waitcnt vmcnt(18)
	v_fma_f64 v[101:102], v[101:102], v[99:100], v[93:94]
	ds_read2_b64 v[93:96], v0 offset0:59 offset1:60
	ds_read2_b64 v[97:100], v0 offset0:61 offset1:62
	buffer_load_dword v116, off, s[0:3], 0 offset:188
	s_waitcnt vmcnt(18) lgkmcnt(1)
	v_fma_f64 v[93:94], v[125:126], v[93:94], v[101:102]
	s_waitcnt vmcnt(17)
	v_fma_f64 v[93:94], v[123:124], v[95:96], v[93:94]
	buffer_load_dword v102, off, s[0:3], 0 offset:196
	buffer_load_dword v117, off, s[0:3], 0 offset:216
	;; [unrolled: 1-line block ×8, first 2 shown]
	s_waitcnt vmcnt(24) lgkmcnt(0)
	v_fma_f64 v[93:94], v[103:104], v[97:98], v[93:94]
	s_waitcnt vmcnt(19)
	v_fma_f64 v[103:104], v[105:106], v[99:100], v[93:94]
	ds_read2_b64 v[93:96], v0 offset0:63 offset1:64
	ds_read2_b64 v[97:100], v0 offset0:65 offset1:66
	s_waitcnt vmcnt(18) lgkmcnt(1)
	v_fma_f64 v[93:94], v[111:112], v[93:94], v[103:104]
	s_waitcnt vmcnt(17)
	v_fma_f64 v[93:94], v[109:110], v[95:96], v[93:94]
	buffer_load_dword v104, off, s[0:3], 0 offset:228
	buffer_load_dword v105, off, s[0:3], 0 offset:248
	;; [unrolled: 1-line block ×7, first 2 shown]
	s_waitcnt vmcnt(23) lgkmcnt(0)
	v_fma_f64 v[93:94], v[107:108], v[97:98], v[93:94]
	s_waitcnt vmcnt(18)
	v_fma_f64 v[106:107], v[113:114], v[99:100], v[93:94]
	ds_read2_b64 v[93:96], v0 offset0:67 offset1:68
	ds_read2_b64 v[97:100], v0 offset0:69 offset1:70
	s_waitcnt vmcnt(17) lgkmcnt(1)
	v_fma_f64 v[93:94], v[121:122], v[93:94], v[106:107]
	buffer_load_dword v106, off, s[0:3], 0 offset:252
	s_waitcnt vmcnt(17)
	v_fma_f64 v[93:94], v[119:120], v[95:96], v[93:94]
	buffer_load_dword v108, off, s[0:3], 0 offset:260
	buffer_load_dword v113, off, s[0:3], 0 offset:280
	;; [unrolled: 1-line block ×7, first 2 shown]
	s_waitcnt vmcnt(23) lgkmcnt(0)
	v_fma_f64 v[93:94], v[115:116], v[97:98], v[93:94]
	s_waitcnt vmcnt(18)
	v_fma_f64 v[101:102], v[101:102], v[99:100], v[93:94]
	ds_read2_b64 v[93:96], v0 offset0:71 offset1:72
	ds_read2_b64 v[97:100], v0 offset0:73 offset1:74
	buffer_load_dword v114, off, s[0:3], 0 offset:284
	s_waitcnt vmcnt(18) lgkmcnt(1)
	v_fma_f64 v[93:94], v[125:126], v[93:94], v[101:102]
	s_waitcnt vmcnt(17)
	v_fma_f64 v[93:94], v[123:124], v[95:96], v[93:94]
	buffer_load_dword v102, off, s[0:3], 0 offset:292
	buffer_load_dword v115, off, s[0:3], 0 offset:312
	;; [unrolled: 1-line block ×8, first 2 shown]
	s_waitcnt vmcnt(24) lgkmcnt(0)
	v_fma_f64 v[93:94], v[117:118], v[97:98], v[93:94]
	s_waitcnt vmcnt(19)
	v_fma_f64 v[103:104], v[103:104], v[99:100], v[93:94]
	ds_read2_b64 v[93:96], v0 offset0:75 offset1:76
	ds_read2_b64 v[97:100], v0 offset0:77 offset1:78
	s_waitcnt vmcnt(18) lgkmcnt(1)
	v_fma_f64 v[93:94], v[111:112], v[93:94], v[103:104]
	s_waitcnt vmcnt(17)
	v_fma_f64 v[93:94], v[109:110], v[95:96], v[93:94]
	buffer_load_dword v110, off, s[0:3], 0 offset:324
	buffer_load_dword v111, off, s[0:3], 0 offset:344
	;; [unrolled: 1-line block ×7, first 2 shown]
	s_waitcnt vmcnt(23) lgkmcnt(0)
	v_fma_f64 v[93:94], v[105:106], v[97:98], v[93:94]
	s_waitcnt vmcnt(18)
	v_fma_f64 v[103:104], v[107:108], v[99:100], v[93:94]
	ds_read2_b64 v[93:96], v0 offset0:79 offset1:80
	ds_read2_b64 v[97:100], v0 offset0:81 offset1:82
	buffer_load_dword v112, off, s[0:3], 0 offset:348
	s_waitcnt vmcnt(18) lgkmcnt(1)
	v_fma_f64 v[93:94], v[121:122], v[93:94], v[103:104]
	s_waitcnt vmcnt(17)
	v_fma_f64 v[93:94], v[119:120], v[95:96], v[93:94]
	buffer_load_dword v96, off, s[0:3], 0 offset:356
	buffer_load_dword v105, off, s[0:3], 0 offset:360
	;; [unrolled: 1-line block ×4, first 2 shown]
	buffer_load_dword v107, off, s[0:3], 0
	buffer_load_dword v108, off, s[0:3], 0 offset:4
	s_waitcnt vmcnt(22) lgkmcnt(0)
	v_fma_f64 v[93:94], v[113:114], v[97:98], v[93:94]
	s_waitcnt vmcnt(17)
	v_fma_f64 v[93:94], v[101:102], v[99:100], v[93:94]
	ds_read2_b64 v[97:100], v0 offset0:83 offset1:84
	ds_read2_b64 v[101:104], v0 offset0:85 offset1:86
	s_waitcnt vmcnt(16) lgkmcnt(1)
	v_fma_f64 v[93:94], v[125:126], v[97:98], v[93:94]
	s_waitcnt vmcnt(15)
	v_fma_f64 v[93:94], v[123:124], v[99:100], v[93:94]
	s_waitcnt vmcnt(14) lgkmcnt(0)
	v_fma_f64 v[93:94], v[115:116], v[101:102], v[93:94]
	s_waitcnt vmcnt(9)
	v_fma_f64 v[93:94], v[109:110], v[103:104], v[93:94]
	ds_read2_b64 v[97:100], v0 offset0:87 offset1:88
	ds_read2_b64 v[101:104], v0 offset0:89 offset1:90
	s_waitcnt vmcnt(8) lgkmcnt(1)
	v_fma_f64 v[93:94], v[127:128], v[97:98], v[93:94]
	ds_read_b64 v[97:98], v0 offset:728
	s_waitcnt vmcnt(7)
	v_fma_f64 v[93:94], v[117:118], v[99:100], v[93:94]
	s_waitcnt vmcnt(6) lgkmcnt(1)
	v_fma_f64 v[93:94], v[111:112], v[101:102], v[93:94]
	s_waitcnt vmcnt(3)
	v_fma_f64 v[93:94], v[95:96], v[103:104], v[93:94]
	s_waitcnt vmcnt(2) lgkmcnt(0)
	v_fma_f64 v[93:94], v[105:106], v[97:98], v[93:94]
	s_waitcnt vmcnt(0)
	v_add_f64 v[93:94], v[107:108], -v[93:94]
	buffer_store_dword v94, off, s[0:3], 0 offset:4
	buffer_store_dword v93, off, s[0:3], 0
	s_cbranch_vccz .LBB45_374
; %bb.284:
	global_load_dword v0, v0, s[20:21] offset:176
	s_waitcnt vmcnt(0)
	v_add_u32_e32 v0, -1, v0
	v_cmp_ne_u32_e32 vcc, 44, v0
	s_cbranch_vccz .LBB45_286
; %bb.285:
	v_lshlrev_b32_e32 v0, 3, v0
	buffer_load_dword v93, v0, s[0:3], 0 offen offset:4
	buffer_load_dword v94, v0, s[0:3], 0 offen
	s_waitcnt vmcnt(1)
	buffer_store_dword v93, off, s[0:3], 0 offset:356
	s_waitcnt vmcnt(1)
	buffer_store_dword v94, off, s[0:3], 0 offset:352
	buffer_store_dword v96, v0, s[0:3], 0 offen offset:4
	buffer_store_dword v95, v0, s[0:3], 0 offen
.LBB45_286:
	v_mov_b32_e32 v0, 0
	global_load_dword v93, v0, s[20:21] offset:172
	s_waitcnt vmcnt(0)
	v_add_u32_e32 v93, -1, v93
	v_cmp_eq_u32_e32 vcc, 43, v93
	s_cbranch_vccnz .LBB45_288
; %bb.287:
	v_lshlrev_b32_e32 v93, 3, v93
	buffer_load_dword v94, v93, s[0:3], 0 offen
	buffer_load_dword v95, v93, s[0:3], 0 offen offset:4
	buffer_load_dword v96, off, s[0:3], 0 offset:344
	buffer_load_dword v97, off, s[0:3], 0 offset:348
	s_waitcnt vmcnt(3)
	buffer_store_dword v94, off, s[0:3], 0 offset:344
	s_waitcnt vmcnt(3)
	buffer_store_dword v95, off, s[0:3], 0 offset:348
	s_waitcnt vmcnt(3)
	buffer_store_dword v96, v93, s[0:3], 0 offen
	s_waitcnt vmcnt(3)
	buffer_store_dword v97, v93, s[0:3], 0 offen offset:4
.LBB45_288:
	global_load_dword v0, v0, s[20:21] offset:168
	s_waitcnt vmcnt(0)
	v_add_u32_e32 v0, -1, v0
	v_cmp_eq_u32_e32 vcc, 42, v0
	s_cbranch_vccnz .LBB45_290
; %bb.289:
	v_lshlrev_b32_e32 v0, 3, v0
	buffer_load_dword v93, v0, s[0:3], 0 offen
	buffer_load_dword v94, v0, s[0:3], 0 offen offset:4
	buffer_load_dword v95, off, s[0:3], 0 offset:340
	buffer_load_dword v96, off, s[0:3], 0 offset:336
	s_waitcnt vmcnt(3)
	buffer_store_dword v93, off, s[0:3], 0 offset:336
	s_waitcnt vmcnt(3)
	buffer_store_dword v94, off, s[0:3], 0 offset:340
	s_waitcnt vmcnt(3)
	buffer_store_dword v95, v0, s[0:3], 0 offen offset:4
	s_waitcnt vmcnt(3)
	buffer_store_dword v96, v0, s[0:3], 0 offen
.LBB45_290:
	v_mov_b32_e32 v0, 0
	global_load_dword v93, v0, s[20:21] offset:164
	s_waitcnt vmcnt(0)
	v_add_u32_e32 v93, -1, v93
	v_cmp_eq_u32_e32 vcc, 41, v93
	s_cbranch_vccnz .LBB45_292
; %bb.291:
	v_lshlrev_b32_e32 v93, 3, v93
	buffer_load_dword v94, v93, s[0:3], 0 offen
	buffer_load_dword v95, v93, s[0:3], 0 offen offset:4
	buffer_load_dword v96, off, s[0:3], 0 offset:328
	buffer_load_dword v97, off, s[0:3], 0 offset:332
	s_waitcnt vmcnt(3)
	buffer_store_dword v94, off, s[0:3], 0 offset:328
	s_waitcnt vmcnt(3)
	buffer_store_dword v95, off, s[0:3], 0 offset:332
	s_waitcnt vmcnt(3)
	buffer_store_dword v96, v93, s[0:3], 0 offen
	s_waitcnt vmcnt(3)
	buffer_store_dword v97, v93, s[0:3], 0 offen offset:4
.LBB45_292:
	global_load_dword v0, v0, s[20:21] offset:160
	s_waitcnt vmcnt(0)
	v_add_u32_e32 v0, -1, v0
	v_cmp_eq_u32_e32 vcc, 40, v0
	s_cbranch_vccnz .LBB45_294
; %bb.293:
	v_lshlrev_b32_e32 v0, 3, v0
	buffer_load_dword v93, v0, s[0:3], 0 offen
	buffer_load_dword v94, v0, s[0:3], 0 offen offset:4
	buffer_load_dword v95, off, s[0:3], 0 offset:324
	buffer_load_dword v96, off, s[0:3], 0 offset:320
	s_waitcnt vmcnt(3)
	buffer_store_dword v93, off, s[0:3], 0 offset:320
	s_waitcnt vmcnt(3)
	buffer_store_dword v94, off, s[0:3], 0 offset:324
	s_waitcnt vmcnt(3)
	buffer_store_dword v95, v0, s[0:3], 0 offen offset:4
	s_waitcnt vmcnt(3)
	buffer_store_dword v96, v0, s[0:3], 0 offen
.LBB45_294:
	;; [unrolled: 41-line block ×21, first 2 shown]
	v_mov_b32_e32 v0, 0
	global_load_dword v93, v0, s[20:21] offset:4
	s_waitcnt vmcnt(0)
	v_add_u32_e32 v93, -1, v93
	v_cmp_eq_u32_e32 vcc, 1, v93
	s_cbranch_vccnz .LBB45_372
; %bb.371:
	v_lshlrev_b32_e32 v93, 3, v93
	buffer_load_dword v94, v93, s[0:3], 0 offen
	buffer_load_dword v95, v93, s[0:3], 0 offen offset:4
	buffer_load_dword v96, off, s[0:3], 0 offset:8
	buffer_load_dword v97, off, s[0:3], 0 offset:12
	s_waitcnt vmcnt(3)
	buffer_store_dword v94, off, s[0:3], 0 offset:8
	s_waitcnt vmcnt(3)
	buffer_store_dword v95, off, s[0:3], 0 offset:12
	s_waitcnt vmcnt(3)
	buffer_store_dword v96, v93, s[0:3], 0 offen
	s_waitcnt vmcnt(3)
	buffer_store_dword v97, v93, s[0:3], 0 offen offset:4
.LBB45_372:
	global_load_dword v0, v0, s[20:21]
	s_nop 0
	buffer_load_dword v93, off, s[0:3], 0
	buffer_load_dword v94, off, s[0:3], 0 offset:4
	s_waitcnt vmcnt(2)
	v_add_u32_e32 v0, -1, v0
	v_cmp_eq_u32_e32 vcc, 0, v0
	s_cbranch_vccnz .LBB45_374
; %bb.373:
	v_lshlrev_b32_e32 v0, 3, v0
	buffer_load_dword v95, v0, s[0:3], 0 offen offset:4
	buffer_load_dword v96, v0, s[0:3], 0 offen
	s_waitcnt vmcnt(1)
	buffer_store_dword v95, off, s[0:3], 0 offset:4
	s_waitcnt vmcnt(1)
	buffer_store_dword v96, off, s[0:3], 0
	buffer_store_dword v94, v0, s[0:3], 0 offen offset:4
	buffer_store_dword v93, v0, s[0:3], 0 offen
	buffer_load_dword v93, off, s[0:3], 0
	s_nop 0
	buffer_load_dword v94, off, s[0:3], 0 offset:4
.LBB45_374:
	buffer_load_dword v95, off, s[0:3], 0 offset:8
	buffer_load_dword v96, off, s[0:3], 0 offset:12
	;; [unrolled: 1-line block ×28, first 2 shown]
	s_waitcnt vmcnt(28)
	global_store_dwordx2 v[89:90], v[93:94], off
	buffer_load_dword v89, off, s[0:3], 0 offset:120
	s_nop 0
	buffer_load_dword v90, off, s[0:3], 0 offset:124
	buffer_load_dword v93, off, s[0:3], 0 offset:128
	;; [unrolled: 1-line block ×3, first 2 shown]
	s_waitcnt vmcnt(31)
	global_store_dwordx2 v[91:92], v[95:96], off
	s_waitcnt vmcnt(30)
	global_store_dwordx2 v[1:2], v[97:98], off
	buffer_load_dword v0, off, s[0:3], 0 offset:136
	s_nop 0
	buffer_load_dword v1, off, s[0:3], 0 offset:140
	buffer_load_dword v91, off, s[0:3], 0 offset:144
	;; [unrolled: 1-line block ×7, first 2 shown]
	s_waitcnt vmcnt(37)
	global_store_dwordx2 v[3:4], v[99:100], off
	s_waitcnt vmcnt(36)
	global_store_dwordx2 v[5:6], v[101:102], off
	buffer_load_dword v2, off, s[0:3], 0 offset:168
	buffer_load_dword v3, off, s[0:3], 0 offset:172
	buffer_load_dword v4, off, s[0:3], 0 offset:176
	s_nop 0
	buffer_load_dword v5, off, s[0:3], 0 offset:180
	buffer_load_dword v99, off, s[0:3], 0 offset:184
	buffer_load_dword v100, off, s[0:3], 0 offset:188
	buffer_load_dword v101, off, s[0:3], 0 offset:192
	buffer_load_dword v102, off, s[0:3], 0 offset:196
	s_waitcnt vmcnt(43)
	global_store_dwordx2 v[7:8], v[103:104], off
	s_waitcnt vmcnt(42)
	global_store_dwordx2 v[9:10], v[105:106], off
	buffer_load_dword v6, off, s[0:3], 0 offset:200
	buffer_load_dword v7, off, s[0:3], 0 offset:204
	buffer_load_dword v8, off, s[0:3], 0 offset:208
	s_nop 0
	buffer_load_dword v9, off, s[0:3], 0 offset:212
	buffer_load_dword v103, off, s[0:3], 0 offset:216
	buffer_load_dword v104, off, s[0:3], 0 offset:220
	buffer_load_dword v105, off, s[0:3], 0 offset:224
	buffer_load_dword v106, off, s[0:3], 0 offset:228
	;; [unrolled: 13-line block ×3, first 2 shown]
	s_waitcnt vmcnt(55)
	global_store_dwordx2 v[15:16], v[111:112], off
	s_waitcnt vmcnt(54)
	global_store_dwordx2 v[17:18], v[113:114], off
	s_waitcnt vmcnt(53)
	global_store_dwordx2 v[19:20], v[115:116], off
	s_waitcnt vmcnt(52)
	global_store_dwordx2 v[21:22], v[117:118], off
	buffer_load_dword v14, off, s[0:3], 0 offset:264
	buffer_load_dword v15, off, s[0:3], 0 offset:268
	;; [unrolled: 1-line block ×8, first 2 shown]
	s_waitcnt vmcnt(59)
	global_store_dwordx2 v[23:24], v[119:120], off
	s_waitcnt vmcnt(58)
	global_store_dwordx2 v[27:28], v[121:122], off
	buffer_load_dword v22, off, s[0:3], 0 offset:296
	buffer_load_dword v23, off, s[0:3], 0 offset:300
	s_nop 0
	buffer_load_dword v27, off, s[0:3], 0 offset:304
	buffer_load_dword v28, off, s[0:3], 0 offset:308
	;; [unrolled: 1-line block ×16, first 2 shown]
	s_waitcnt vmcnt(62)
	global_store_dwordx2 v[25:26], v[89:90], off
	global_store_dwordx2 v[29:30], v[93:94], off
	;; [unrolled: 1-line block ×6, first 2 shown]
	s_waitcnt vmcnt(62)
	global_store_dwordx2 v[39:40], v[2:3], off
	global_store_dwordx2 v[41:42], v[4:5], off
	s_waitcnt vmcnt(62)
	global_store_dwordx2 v[43:44], v[99:100], off
	s_waitcnt vmcnt(61)
	;; [unrolled: 2-line block ×23, first 2 shown]
	global_store_dwordx2 v[87:88], v[123:124], off
	s_endpgm
	.section	.rodata,"a",@progbits
	.p2align	6, 0x0
	.amdhsa_kernel _ZN9rocsolver6v33100L18getri_kernel_smallILi46EdPdEEvT1_iilPiilS4_bb
		.amdhsa_group_segment_fixed_size 744
		.amdhsa_private_segment_fixed_size 384
		.amdhsa_kernarg_size 60
		.amdhsa_user_sgpr_count 6
		.amdhsa_user_sgpr_private_segment_buffer 1
		.amdhsa_user_sgpr_dispatch_ptr 0
		.amdhsa_user_sgpr_queue_ptr 0
		.amdhsa_user_sgpr_kernarg_segment_ptr 1
		.amdhsa_user_sgpr_dispatch_id 0
		.amdhsa_user_sgpr_flat_scratch_init 0
		.amdhsa_user_sgpr_private_segment_size 0
		.amdhsa_uses_dynamic_stack 0
		.amdhsa_system_sgpr_private_segment_wavefront_offset 1
		.amdhsa_system_sgpr_workgroup_id_x 1
		.amdhsa_system_sgpr_workgroup_id_y 0
		.amdhsa_system_sgpr_workgroup_id_z 0
		.amdhsa_system_sgpr_workgroup_info 0
		.amdhsa_system_vgpr_workitem_id 0
		.amdhsa_next_free_vgpr 129
		.amdhsa_next_free_sgpr 24
		.amdhsa_reserve_vcc 1
		.amdhsa_reserve_flat_scratch 0
		.amdhsa_float_round_mode_32 0
		.amdhsa_float_round_mode_16_64 0
		.amdhsa_float_denorm_mode_32 3
		.amdhsa_float_denorm_mode_16_64 3
		.amdhsa_dx10_clamp 1
		.amdhsa_ieee_mode 1
		.amdhsa_fp16_overflow 0
		.amdhsa_exception_fp_ieee_invalid_op 0
		.amdhsa_exception_fp_denorm_src 0
		.amdhsa_exception_fp_ieee_div_zero 0
		.amdhsa_exception_fp_ieee_overflow 0
		.amdhsa_exception_fp_ieee_underflow 0
		.amdhsa_exception_fp_ieee_inexact 0
		.amdhsa_exception_int_div_zero 0
	.end_amdhsa_kernel
	.section	.text._ZN9rocsolver6v33100L18getri_kernel_smallILi46EdPdEEvT1_iilPiilS4_bb,"axG",@progbits,_ZN9rocsolver6v33100L18getri_kernel_smallILi46EdPdEEvT1_iilPiilS4_bb,comdat
.Lfunc_end45:
	.size	_ZN9rocsolver6v33100L18getri_kernel_smallILi46EdPdEEvT1_iilPiilS4_bb, .Lfunc_end45-_ZN9rocsolver6v33100L18getri_kernel_smallILi46EdPdEEvT1_iilPiilS4_bb
                                        ; -- End function
	.set _ZN9rocsolver6v33100L18getri_kernel_smallILi46EdPdEEvT1_iilPiilS4_bb.num_vgpr, 129
	.set _ZN9rocsolver6v33100L18getri_kernel_smallILi46EdPdEEvT1_iilPiilS4_bb.num_agpr, 0
	.set _ZN9rocsolver6v33100L18getri_kernel_smallILi46EdPdEEvT1_iilPiilS4_bb.numbered_sgpr, 24
	.set _ZN9rocsolver6v33100L18getri_kernel_smallILi46EdPdEEvT1_iilPiilS4_bb.num_named_barrier, 0
	.set _ZN9rocsolver6v33100L18getri_kernel_smallILi46EdPdEEvT1_iilPiilS4_bb.private_seg_size, 384
	.set _ZN9rocsolver6v33100L18getri_kernel_smallILi46EdPdEEvT1_iilPiilS4_bb.uses_vcc, 1
	.set _ZN9rocsolver6v33100L18getri_kernel_smallILi46EdPdEEvT1_iilPiilS4_bb.uses_flat_scratch, 0
	.set _ZN9rocsolver6v33100L18getri_kernel_smallILi46EdPdEEvT1_iilPiilS4_bb.has_dyn_sized_stack, 0
	.set _ZN9rocsolver6v33100L18getri_kernel_smallILi46EdPdEEvT1_iilPiilS4_bb.has_recursion, 0
	.set _ZN9rocsolver6v33100L18getri_kernel_smallILi46EdPdEEvT1_iilPiilS4_bb.has_indirect_call, 0
	.section	.AMDGPU.csdata,"",@progbits
; Kernel info:
; codeLenInByte = 55916
; TotalNumSgprs: 28
; NumVgprs: 129
; ScratchSize: 384
; MemoryBound: 1
; FloatMode: 240
; IeeeMode: 1
; LDSByteSize: 744 bytes/workgroup (compile time only)
; SGPRBlocks: 3
; VGPRBlocks: 32
; NumSGPRsForWavesPerEU: 28
; NumVGPRsForWavesPerEU: 129
; Occupancy: 1
; WaveLimiterHint : 1
; COMPUTE_PGM_RSRC2:SCRATCH_EN: 1
; COMPUTE_PGM_RSRC2:USER_SGPR: 6
; COMPUTE_PGM_RSRC2:TRAP_HANDLER: 0
; COMPUTE_PGM_RSRC2:TGID_X_EN: 1
; COMPUTE_PGM_RSRC2:TGID_Y_EN: 0
; COMPUTE_PGM_RSRC2:TGID_Z_EN: 0
; COMPUTE_PGM_RSRC2:TIDIG_COMP_CNT: 0
	.section	.text._ZN9rocsolver6v33100L18getri_kernel_smallILi47EdPdEEvT1_iilPiilS4_bb,"axG",@progbits,_ZN9rocsolver6v33100L18getri_kernel_smallILi47EdPdEEvT1_iilPiilS4_bb,comdat
	.globl	_ZN9rocsolver6v33100L18getri_kernel_smallILi47EdPdEEvT1_iilPiilS4_bb ; -- Begin function _ZN9rocsolver6v33100L18getri_kernel_smallILi47EdPdEEvT1_iilPiilS4_bb
	.p2align	8
	.type	_ZN9rocsolver6v33100L18getri_kernel_smallILi47EdPdEEvT1_iilPiilS4_bb,@function
_ZN9rocsolver6v33100L18getri_kernel_smallILi47EdPdEEvT1_iilPiilS4_bb: ; @_ZN9rocsolver6v33100L18getri_kernel_smallILi47EdPdEEvT1_iilPiilS4_bb
; %bb.0:
	s_add_u32 s0, s0, s7
	s_addc_u32 s1, s1, 0
	v_cmp_gt_u32_e32 vcc, 47, v0
	s_and_saveexec_b64 s[8:9], vcc
	s_cbranch_execz .LBB46_196
; %bb.1:
	s_load_dword s12, s[4:5], 0x38
	s_load_dwordx4 s[16:19], s[4:5], 0x10
	s_load_dwordx4 s[8:11], s[4:5], 0x28
                                        ; implicit-def: $sgpr20_sgpr21
	s_waitcnt lgkmcnt(0)
	s_bitcmp1_b32 s12, 8
	s_cselect_b64 s[22:23], -1, 0
	s_ashr_i32 s7, s6, 31
	s_bfe_u32 s12, s12, 0x10008
	s_cmp_eq_u32 s12, 0
	s_cbranch_scc1 .LBB46_3
; %bb.2:
	s_load_dword s12, s[4:5], 0x20
	s_mul_i32 s13, s8, s7
	s_mul_hi_u32 s14, s8, s6
	s_mul_i32 s9, s9, s6
	s_add_i32 s14, s14, s13
	s_add_i32 s9, s14, s9
	s_mul_i32 s8, s8, s6
	s_waitcnt lgkmcnt(0)
	s_ashr_i32 s13, s12, 31
	s_lshl_b64 s[8:9], s[8:9], 2
	s_add_u32 s14, s18, s8
	s_addc_u32 s15, s19, s9
	s_lshl_b64 s[8:9], s[12:13], 2
	s_add_u32 s20, s14, s8
	s_addc_u32 s21, s15, s9
.LBB46_3:
	s_load_dwordx4 s[12:15], s[4:5], 0x0
	s_load_dword s8, s[4:5], 0x38
	s_mul_i32 s9, s16, s7
	s_mul_hi_u32 s18, s16, s6
	s_add_i32 s9, s18, s9
	s_waitcnt lgkmcnt(0)
	s_ashr_i32 s5, s14, 31
	s_mov_b32 s4, s14
	s_mul_i32 s14, s17, s6
	s_add_i32 s17, s9, s14
	s_mul_i32 s16, s16, s6
	s_lshl_b64 s[16:17], s[16:17], 3
	s_add_u32 s9, s12, s16
	s_addc_u32 s12, s13, s17
	s_lshl_b64 s[4:5], s[4:5], 3
	s_add_u32 s4, s9, s4
	s_addc_u32 s5, s12, s5
	s_add_i32 s9, s15, s15
	v_add_u32_e32 v3, s9, v0
	v_ashrrev_i32_e32 v4, 31, v3
	v_lshlrev_b64 v[1:2], 3, v[3:4]
	v_add_u32_e32 v5, s15, v3
	v_mov_b32_e32 v4, s5
	v_add_co_u32_e32 v1, vcc, s4, v1
	v_ashrrev_i32_e32 v6, 31, v5
	v_addc_co_u32_e32 v2, vcc, v4, v2, vcc
	v_lshlrev_b64 v[3:4], 3, v[5:6]
	v_add_u32_e32 v7, s15, v5
	v_mov_b32_e32 v6, s5
	v_add_co_u32_e32 v3, vcc, s4, v3
	v_ashrrev_i32_e32 v8, 31, v7
	v_addc_co_u32_e32 v4, vcc, v6, v4, vcc
	;; [unrolled: 6-line block ×8, first 2 shown]
	v_lshlrev_b64 v[17:18], 3, v[19:20]
	v_mov_b32_e32 v21, s5
	v_add_co_u32_e32 v17, vcc, s4, v17
	v_addc_co_u32_e32 v18, vcc, v21, v18, vcc
	v_add_u32_e32 v21, s15, v19
	v_ashrrev_i32_e32 v22, 31, v21
	v_lshlrev_b64 v[19:20], 3, v[21:22]
	v_mov_b32_e32 v23, s5
	v_add_co_u32_e32 v19, vcc, s4, v19
	v_addc_co_u32_e32 v20, vcc, v23, v20, vcc
	v_add_u32_e32 v23, s15, v21
	v_ashrrev_i32_e32 v24, 31, v23
	v_lshlrev_b64 v[21:22], 3, v[23:24]
	v_mov_b32_e32 v25, s5
	v_add_co_u32_e32 v21, vcc, s4, v21
	v_addc_co_u32_e32 v22, vcc, v25, v22, vcc
	v_add_u32_e32 v25, s15, v23
	v_ashrrev_i32_e32 v26, 31, v25
	v_lshlrev_b64 v[23:24], 3, v[25:26]
	v_mov_b32_e32 v27, s5
	v_add_co_u32_e32 v23, vcc, s4, v23
	v_addc_co_u32_e32 v24, vcc, v27, v24, vcc
	v_add_u32_e32 v27, s15, v25
	v_ashrrev_i32_e32 v28, 31, v27
	v_lshlrev_b64 v[25:26], 3, v[27:28]
	v_mov_b32_e32 v29, s5
	v_add_co_u32_e32 v25, vcc, s4, v25
	v_addc_co_u32_e32 v26, vcc, v29, v26, vcc
	v_add_u32_e32 v29, s15, v27
	v_ashrrev_i32_e32 v30, 31, v29
	v_lshlrev_b64 v[27:28], 3, v[29:30]
	v_mov_b32_e32 v31, s5
	v_add_co_u32_e32 v27, vcc, s4, v27
	v_addc_co_u32_e32 v28, vcc, v31, v28, vcc
	v_add_u32_e32 v31, s15, v29
	v_ashrrev_i32_e32 v32, 31, v31
	v_lshlrev_b64 v[29:30], 3, v[31:32]
	v_mov_b32_e32 v33, s5
	v_add_co_u32_e32 v29, vcc, s4, v29
	v_addc_co_u32_e32 v30, vcc, v33, v30, vcc
	v_add_u32_e32 v33, s15, v31
	v_ashrrev_i32_e32 v34, 31, v33
	v_lshlrev_b64 v[31:32], 3, v[33:34]
	v_mov_b32_e32 v35, s5
	v_add_co_u32_e32 v31, vcc, s4, v31
	v_addc_co_u32_e32 v32, vcc, v35, v32, vcc
	v_add_u32_e32 v35, s15, v33
	v_ashrrev_i32_e32 v36, 31, v35
	v_lshlrev_b64 v[33:34], 3, v[35:36]
	v_mov_b32_e32 v37, s5
	v_add_co_u32_e32 v33, vcc, s4, v33
	v_addc_co_u32_e32 v34, vcc, v37, v34, vcc
	v_add_u32_e32 v37, s15, v35
	v_ashrrev_i32_e32 v38, 31, v37
	v_lshlrev_b64 v[35:36], 3, v[37:38]
	v_mov_b32_e32 v39, s5
	v_add_co_u32_e32 v35, vcc, s4, v35
	v_addc_co_u32_e32 v36, vcc, v39, v36, vcc
	v_add_u32_e32 v39, s15, v37
	v_ashrrev_i32_e32 v40, 31, v39
	v_lshlrev_b64 v[37:38], 3, v[39:40]
	v_mov_b32_e32 v41, s5
	v_add_co_u32_e32 v37, vcc, s4, v37
	v_addc_co_u32_e32 v38, vcc, v41, v38, vcc
	v_add_u32_e32 v41, s15, v39
	v_ashrrev_i32_e32 v42, 31, v41
	v_lshlrev_b64 v[39:40], 3, v[41:42]
	v_mov_b32_e32 v43, s5
	v_add_co_u32_e32 v39, vcc, s4, v39
	v_addc_co_u32_e32 v40, vcc, v43, v40, vcc
	v_add_u32_e32 v43, s15, v41
	v_ashrrev_i32_e32 v44, 31, v43
	v_lshlrev_b64 v[41:42], 3, v[43:44]
	v_mov_b32_e32 v45, s5
	v_add_co_u32_e32 v41, vcc, s4, v41
	v_addc_co_u32_e32 v42, vcc, v45, v42, vcc
	v_add_u32_e32 v45, s15, v43
	v_ashrrev_i32_e32 v46, 31, v45
	v_lshlrev_b64 v[43:44], 3, v[45:46]
	v_mov_b32_e32 v47, s5
	v_add_co_u32_e32 v43, vcc, s4, v43
	v_addc_co_u32_e32 v44, vcc, v47, v44, vcc
	v_add_u32_e32 v47, s15, v45
	v_ashrrev_i32_e32 v48, 31, v47
	v_lshlrev_b64 v[45:46], 3, v[47:48]
	v_mov_b32_e32 v49, s5
	v_add_co_u32_e32 v45, vcc, s4, v45
	v_addc_co_u32_e32 v46, vcc, v49, v46, vcc
	v_add_u32_e32 v49, s15, v47
	v_ashrrev_i32_e32 v50, 31, v49
	v_lshlrev_b64 v[47:48], 3, v[49:50]
	v_mov_b32_e32 v51, s5
	v_add_co_u32_e32 v47, vcc, s4, v47
	v_addc_co_u32_e32 v48, vcc, v51, v48, vcc
	v_add_u32_e32 v51, s15, v49
	v_ashrrev_i32_e32 v52, 31, v51
	v_lshlrev_b64 v[49:50], 3, v[51:52]
	v_mov_b32_e32 v53, s5
	v_add_co_u32_e32 v49, vcc, s4, v49
	v_addc_co_u32_e32 v50, vcc, v53, v50, vcc
	v_add_u32_e32 v53, s15, v51
	v_ashrrev_i32_e32 v54, 31, v53
	v_lshlrev_b64 v[51:52], 3, v[53:54]
	v_mov_b32_e32 v55, s5
	v_add_co_u32_e32 v51, vcc, s4, v51
	v_addc_co_u32_e32 v52, vcc, v55, v52, vcc
	v_add_u32_e32 v55, s15, v53
	v_ashrrev_i32_e32 v56, 31, v55
	v_lshlrev_b64 v[53:54], 3, v[55:56]
	v_mov_b32_e32 v57, s5
	v_add_co_u32_e32 v53, vcc, s4, v53
	v_addc_co_u32_e32 v54, vcc, v57, v54, vcc
	v_add_u32_e32 v57, s15, v55
	v_ashrrev_i32_e32 v58, 31, v57
	v_lshlrev_b64 v[55:56], 3, v[57:58]
	v_mov_b32_e32 v59, s5
	v_add_co_u32_e32 v55, vcc, s4, v55
	v_addc_co_u32_e32 v56, vcc, v59, v56, vcc
	v_add_u32_e32 v59, s15, v57
	v_ashrrev_i32_e32 v60, 31, v59
	v_lshlrev_b64 v[57:58], 3, v[59:60]
	v_mov_b32_e32 v61, s5
	v_add_co_u32_e32 v57, vcc, s4, v57
	v_addc_co_u32_e32 v58, vcc, v61, v58, vcc
	v_add_u32_e32 v61, s15, v59
	v_ashrrev_i32_e32 v62, 31, v61
	v_lshlrev_b64 v[59:60], 3, v[61:62]
	v_mov_b32_e32 v63, s5
	v_add_co_u32_e32 v59, vcc, s4, v59
	v_addc_co_u32_e32 v60, vcc, v63, v60, vcc
	v_add_u32_e32 v63, s15, v61
	v_ashrrev_i32_e32 v64, 31, v63
	v_lshlrev_b64 v[61:62], 3, v[63:64]
	v_mov_b32_e32 v65, s5
	v_add_co_u32_e32 v61, vcc, s4, v61
	v_addc_co_u32_e32 v62, vcc, v65, v62, vcc
	v_add_u32_e32 v65, s15, v63
	v_ashrrev_i32_e32 v66, 31, v65
	v_lshlrev_b64 v[63:64], 3, v[65:66]
	v_mov_b32_e32 v67, s5
	v_add_co_u32_e32 v63, vcc, s4, v63
	v_addc_co_u32_e32 v64, vcc, v67, v64, vcc
	v_add_u32_e32 v67, s15, v65
	v_ashrrev_i32_e32 v68, 31, v67
	v_lshlrev_b64 v[65:66], 3, v[67:68]
	v_mov_b32_e32 v69, s5
	v_add_co_u32_e32 v65, vcc, s4, v65
	v_addc_co_u32_e32 v66, vcc, v69, v66, vcc
	v_add_u32_e32 v69, s15, v67
	v_ashrrev_i32_e32 v70, 31, v69
	v_lshlrev_b64 v[67:68], 3, v[69:70]
	v_mov_b32_e32 v71, s5
	v_add_co_u32_e32 v67, vcc, s4, v67
	v_addc_co_u32_e32 v68, vcc, v71, v68, vcc
	v_add_u32_e32 v71, s15, v69
	v_ashrrev_i32_e32 v72, 31, v71
	v_lshlrev_b64 v[69:70], 3, v[71:72]
	v_mov_b32_e32 v73, s5
	v_add_co_u32_e32 v69, vcc, s4, v69
	v_addc_co_u32_e32 v70, vcc, v73, v70, vcc
	v_add_u32_e32 v73, s15, v71
	v_ashrrev_i32_e32 v74, 31, v73
	v_lshlrev_b64 v[71:72], 3, v[73:74]
	v_mov_b32_e32 v75, s5
	v_add_co_u32_e32 v71, vcc, s4, v71
	v_addc_co_u32_e32 v72, vcc, v75, v72, vcc
	v_add_u32_e32 v75, s15, v73
	v_ashrrev_i32_e32 v76, 31, v75
	v_lshlrev_b64 v[73:74], 3, v[75:76]
	v_mov_b32_e32 v77, s5
	v_add_co_u32_e32 v73, vcc, s4, v73
	v_addc_co_u32_e32 v74, vcc, v77, v74, vcc
	v_add_u32_e32 v77, s15, v75
	v_ashrrev_i32_e32 v78, 31, v77
	v_lshlrev_b32_e32 v97, 3, v0
	v_lshlrev_b64 v[75:76], 3, v[77:78]
	global_load_dwordx2 v[95:96], v97, s[4:5]
	global_load_dwordx2 v[100:101], v[1:2], off
	v_mov_b32_e32 v78, s5
	v_add_co_u32_e32 v91, vcc, s4, v97
	s_ashr_i32 s13, s15, 31
	s_mov_b32 s12, s15
	v_addc_co_u32_e32 v92, vcc, 0, v78, vcc
	s_lshl_b64 s[12:13], s[12:13], 3
	v_mov_b32_e32 v78, s13
	v_add_co_u32_e32 v93, vcc, s12, v91
	v_addc_co_u32_e32 v94, vcc, v92, v78, vcc
	global_load_dwordx2 v[98:99], v[93:94], off
	global_load_dwordx2 v[102:103], v[3:4], off
	;; [unrolled: 1-line block ×3, first 2 shown]
	v_mov_b32_e32 v79, s5
	v_add_co_u32_e32 v75, vcc, s4, v75
	v_addc_co_u32_e32 v76, vcc, v79, v76, vcc
	v_add_u32_e32 v79, s15, v77
	v_ashrrev_i32_e32 v80, 31, v79
	v_lshlrev_b64 v[77:78], 3, v[79:80]
	v_mov_b32_e32 v81, s5
	v_add_co_u32_e32 v77, vcc, s4, v77
	v_addc_co_u32_e32 v78, vcc, v81, v78, vcc
	v_add_u32_e32 v81, s15, v79
	v_ashrrev_i32_e32 v82, 31, v81
	v_lshlrev_b64 v[79:80], 3, v[81:82]
	;; [unrolled: 6-line block ×5, first 2 shown]
	global_load_dwordx2 v[106:107], v[7:8], off
	global_load_dwordx2 v[108:109], v[9:10], off
	;; [unrolled: 1-line block ×5, first 2 shown]
	v_mov_b32_e32 v89, s5
	v_add_co_u32_e32 v85, vcc, s4, v85
	v_addc_co_u32_e32 v86, vcc, v89, v86, vcc
	v_add_u32_e32 v89, s15, v87
	v_ashrrev_i32_e32 v90, 31, v89
	v_lshlrev_b64 v[87:88], 3, v[89:90]
	v_add_u32_e32 v89, s15, v89
	v_ashrrev_i32_e32 v90, 31, v89
	v_mov_b32_e32 v116, s5
	v_add_co_u32_e32 v87, vcc, s4, v87
	v_lshlrev_b64 v[89:90], 3, v[89:90]
	v_addc_co_u32_e32 v88, vcc, v116, v88, vcc
	v_mov_b32_e32 v120, s5
	v_add_co_u32_e32 v89, vcc, s4, v89
	global_load_dwordx2 v[116:117], v[17:18], off
	global_load_dwordx2 v[118:119], v[19:20], off
	v_addc_co_u32_e32 v90, vcc, v120, v90, vcc
	global_load_dwordx2 v[120:121], v[21:22], off
	global_load_dwordx2 v[122:123], v[23:24], off
	s_waitcnt vmcnt(13)
	buffer_store_dword v96, off, s[0:3], 0 offset:4
	buffer_store_dword v95, off, s[0:3], 0
	global_load_dwordx2 v[95:96], v[25:26], off
	s_waitcnt vmcnt(14)
	buffer_store_dword v99, off, s[0:3], 0 offset:12
	buffer_store_dword v98, off, s[0:3], 0 offset:8
	global_load_dwordx2 v[98:99], v[27:28], off
	s_nop 0
	buffer_store_dword v101, off, s[0:3], 0 offset:20
	buffer_store_dword v100, off, s[0:3], 0 offset:16
	global_load_dwordx2 v[100:101], v[29:30], off
	s_waitcnt vmcnt(19)
	buffer_store_dword v103, off, s[0:3], 0 offset:28
	buffer_store_dword v102, off, s[0:3], 0 offset:24
	global_load_dwordx2 v[102:103], v[31:32], off
	s_waitcnt vmcnt(21)
	;; [unrolled: 4-line block ×3, first 2 shown]
	buffer_store_dword v107, off, s[0:3], 0 offset:44
	buffer_store_dword v106, off, s[0:3], 0 offset:40
	s_waitcnt vmcnt(24)
	buffer_store_dword v109, off, s[0:3], 0 offset:52
	buffer_store_dword v108, off, s[0:3], 0 offset:48
	s_waitcnt vmcnt(25)
	;; [unrolled: 3-line block ×4, first 2 shown]
	buffer_store_dword v114, off, s[0:3], 0 offset:72
	global_load_dwordx2 v[106:107], v[35:36], off
	global_load_dwordx2 v[108:109], v[37:38], off
	;; [unrolled: 1-line block ×4, first 2 shown]
	s_bitcmp0_b32 s8, 0
	buffer_store_dword v115, off, s[0:3], 0 offset:76
	global_load_dwordx2 v[114:115], v[43:44], off
	s_mov_b64 s[8:9], -1
	s_waitcnt vmcnt(33)
	buffer_store_dword v116, off, s[0:3], 0 offset:80
	buffer_store_dword v117, off, s[0:3], 0 offset:84
	s_waitcnt vmcnt(34)
	buffer_store_dword v118, off, s[0:3], 0 offset:88
	buffer_store_dword v119, off, s[0:3], 0 offset:92
	global_load_dwordx2 v[116:117], v[45:46], off
	s_nop 0
	global_load_dwordx2 v[118:119], v[47:48], off
	s_waitcnt vmcnt(37)
	buffer_store_dword v120, off, s[0:3], 0 offset:96
	buffer_store_dword v121, off, s[0:3], 0 offset:100
	global_load_dwordx2 v[120:121], v[49:50], off
	s_waitcnt vmcnt(39)
	buffer_store_dword v122, off, s[0:3], 0 offset:104
	buffer_store_dword v123, off, s[0:3], 0 offset:108
	;; [unrolled: 4-line block ×8, first 2 shown]
	s_waitcnt vmcnt(33)
	buffer_store_dword v109, off, s[0:3], 0 offset:164
	buffer_store_dword v108, off, s[0:3], 0 offset:160
	s_waitcnt vmcnt(34)
	buffer_store_dword v110, off, s[0:3], 0 offset:168
	buffer_store_dword v111, off, s[0:3], 0 offset:172
	s_waitcnt vmcnt(35)
	buffer_store_dword v112, off, s[0:3], 0 offset:176
	buffer_store_dword v113, off, s[0:3], 0 offset:180
	s_waitcnt vmcnt(35)
	buffer_store_dword v114, off, s[0:3], 0 offset:184
	buffer_store_dword v115, off, s[0:3], 0 offset:188
	s_waitcnt vmcnt(32)
	buffer_store_dword v116, off, s[0:3], 0 offset:192
	buffer_store_dword v117, off, s[0:3], 0 offset:196
	s_waitcnt vmcnt(33)
	buffer_store_dword v119, off, s[0:3], 0 offset:204
	buffer_store_dword v118, off, s[0:3], 0 offset:200
	s_waitcnt vmcnt(32)
	buffer_store_dword v121, off, s[0:3], 0 offset:212
	global_load_dwordx2 v[106:107], v[63:64], off
	global_load_dwordx2 v[108:109], v[65:66], off
	;; [unrolled: 1-line block ×7, first 2 shown]
	s_nop 0
	buffer_store_dword v120, off, s[0:3], 0 offset:208
	global_load_dwordx2 v[120:121], v[83:84], off
	s_waitcnt vmcnt(39)
	buffer_store_dword v122, off, s[0:3], 0 offset:216
	s_waitcnt vmcnt(37)
	buffer_store_dword v95, off, s[0:3], 0 offset:224
	buffer_store_dword v96, off, s[0:3], 0 offset:228
	global_load_dwordx2 v[95:96], v[73:74], off
	s_nop 0
	buffer_store_dword v123, off, s[0:3], 0 offset:220
	s_waitcnt vmcnt(38)
	buffer_store_dword v98, off, s[0:3], 0 offset:232
	buffer_store_dword v99, off, s[0:3], 0 offset:236
	global_load_dwordx2 v[98:99], v[77:78], off
	s_waitcnt vmcnt(38)
	buffer_store_dword v100, off, s[0:3], 0 offset:240
	buffer_store_dword v101, off, s[0:3], 0 offset:244
	global_load_dwordx2 v[100:101], v[81:82], off
	;; [unrolled: 4-line block ×3, first 2 shown]
	s_nop 0
	global_load_dwordx2 v[122:123], v[87:88], off
	s_waitcnt vmcnt(39)
	buffer_store_dword v105, off, s[0:3], 0 offset:260
	buffer_store_dword v104, off, s[0:3], 0 offset:256
	global_load_dwordx2 v[104:105], v[89:90], off
	s_waitcnt vmcnt(26)
	buffer_store_dword v106, off, s[0:3], 0 offset:264
	buffer_store_dword v107, off, s[0:3], 0 offset:268
	s_waitcnt vmcnt(27)
	buffer_store_dword v108, off, s[0:3], 0 offset:272
	buffer_store_dword v109, off, s[0:3], 0 offset:276
	;; [unrolled: 3-line block ×6, first 2 shown]
	buffer_store_dword v116, off, s[0:3], 0 offset:312
	buffer_store_dword v117, off, s[0:3], 0 offset:316
	s_waitcnt vmcnt(24)
	buffer_store_dword v98, off, s[0:3], 0 offset:320
	buffer_store_dword v99, off, s[0:3], 0 offset:324
	buffer_store_dword v118, off, s[0:3], 0 offset:328
	buffer_store_dword v119, off, s[0:3], 0 offset:332
	s_waitcnt vmcnt(25)
	buffer_store_dword v100, off, s[0:3], 0 offset:336
	buffer_store_dword v101, off, s[0:3], 0 offset:340
	;; [unrolled: 5-line block ×3, first 2 shown]
	s_waitcnt vmcnt(27)
	buffer_store_dword v122, off, s[0:3], 0 offset:360
	buffer_store_dword v123, off, s[0:3], 0 offset:364
	s_waitcnt vmcnt(26)
	buffer_store_dword v104, off, s[0:3], 0 offset:368
	buffer_store_dword v105, off, s[0:3], 0 offset:372
	s_cbranch_scc1 .LBB46_194
; %bb.4:
	v_cmp_eq_u32_e64 s[4:5], 0, v0
	s_and_saveexec_b64 s[8:9], s[4:5]
; %bb.5:
	v_mov_b32_e32 v95, 0
	ds_write_b32 v95, v95 offset:376
; %bb.6:
	s_or_b64 exec, exec, s[8:9]
	v_mov_b32_e32 v95, 0
	v_lshl_add_u32 v95, v0, 3, v95
	s_waitcnt lgkmcnt(0)
	; wave barrier
	buffer_load_dword v98, v95, s[0:3], 0 offen
	buffer_load_dword v99, v95, s[0:3], 0 offen offset:4
	s_waitcnt vmcnt(0)
	v_cmp_eq_f64_e32 vcc, 0, v[98:99]
	s_and_saveexec_b64 s[12:13], vcc
	s_cbranch_execz .LBB46_10
; %bb.7:
	v_mov_b32_e32 v96, 0
	ds_read_b32 v99, v96 offset:376
	v_add_u32_e32 v98, 1, v0
	s_waitcnt lgkmcnt(0)
	v_readfirstlane_b32 s8, v99
	s_cmp_eq_u32 s8, 0
	s_cselect_b64 s[14:15], -1, 0
	v_cmp_gt_i32_e32 vcc, s8, v98
	s_or_b64 s[14:15], s[14:15], vcc
	s_and_b64 exec, exec, s[14:15]
	s_cbranch_execz .LBB46_10
; %bb.8:
	s_mov_b64 s[14:15], 0
	v_mov_b32_e32 v99, s8
.LBB46_9:                               ; =>This Inner Loop Header: Depth=1
	ds_cmpst_rtn_b32 v99, v96, v99, v98 offset:376
	s_waitcnt lgkmcnt(0)
	v_cmp_ne_u32_e32 vcc, 0, v99
	v_cmp_le_i32_e64 s[8:9], v99, v98
	s_and_b64 s[8:9], vcc, s[8:9]
	s_and_b64 s[8:9], exec, s[8:9]
	s_or_b64 s[14:15], s[8:9], s[14:15]
	s_andn2_b64 exec, exec, s[14:15]
	s_cbranch_execnz .LBB46_9
.LBB46_10:
	s_or_b64 exec, exec, s[12:13]
	v_mov_b32_e32 v98, 0
	; wave barrier
	ds_read_b32 v96, v98 offset:376
	s_and_saveexec_b64 s[8:9], s[4:5]
	s_cbranch_execz .LBB46_12
; %bb.11:
	s_lshl_b64 s[12:13], s[6:7], 2
	s_add_u32 s12, s10, s12
	s_addc_u32 s13, s11, s13
	s_waitcnt lgkmcnt(0)
	global_store_dword v98, v96, s[12:13]
.LBB46_12:
	s_or_b64 exec, exec, s[8:9]
	s_waitcnt lgkmcnt(0)
	v_cmp_ne_u32_e32 vcc, 0, v96
	s_mov_b64 s[8:9], 0
	s_cbranch_vccnz .LBB46_194
; %bb.13:
	buffer_load_dword v98, v95, s[0:3], 0 offen
	buffer_load_dword v99, v95, s[0:3], 0 offen offset:4
	s_waitcnt vmcnt(0)
	v_div_scale_f64 v[100:101], s[8:9], v[98:99], v[98:99], 1.0
	v_rcp_f64_e32 v[102:103], v[100:101]
	v_fma_f64 v[104:105], -v[100:101], v[102:103], 1.0
	v_fma_f64 v[102:103], v[102:103], v[104:105], v[102:103]
	v_div_scale_f64 v[104:105], vcc, 1.0, v[98:99], 1.0
	v_fma_f64 v[106:107], -v[100:101], v[102:103], 1.0
	v_fma_f64 v[102:103], v[102:103], v[106:107], v[102:103]
	v_mul_f64 v[106:107], v[104:105], v[102:103]
	v_fma_f64 v[100:101], -v[100:101], v[106:107], v[104:105]
	v_div_fmas_f64 v[100:101], v[100:101], v[102:103], v[106:107]
	v_div_fixup_f64 v[99:100], v[100:101], v[98:99], 1.0
	v_add_u32_e32 v98, 0x180, v97
	buffer_store_dword v100, v95, s[0:3], 0 offen offset:4
	buffer_store_dword v99, v95, s[0:3], 0 offen
	buffer_load_dword v102, off, s[0:3], 0 offset:12
	buffer_load_dword v101, off, s[0:3], 0 offset:8
	v_xor_b32_e32 v100, 0x80000000, v100
	s_waitcnt vmcnt(0)
	ds_write2_b64 v97, v[99:100], v[101:102] offset1:48
	s_waitcnt lgkmcnt(0)
	; wave barrier
	s_and_saveexec_b64 s[8:9], s[4:5]
	s_cbranch_execz .LBB46_15
; %bb.14:
	buffer_load_dword v99, v95, s[0:3], 0 offen
	buffer_load_dword v100, v95, s[0:3], 0 offen offset:4
	ds_read_b64 v[101:102], v98
	v_mov_b32_e32 v96, 0
	ds_read_b64 v[103:104], v96 offset:8
	s_waitcnt vmcnt(0) lgkmcnt(1)
	v_fma_f64 v[99:100], v[99:100], v[101:102], 0
	s_waitcnt lgkmcnt(0)
	v_mul_f64 v[99:100], v[99:100], v[103:104]
	buffer_store_dword v99, off, s[0:3], 0 offset:8
	buffer_store_dword v100, off, s[0:3], 0 offset:12
.LBB46_15:
	s_or_b64 exec, exec, s[8:9]
	; wave barrier
	buffer_load_dword v99, off, s[0:3], 0 offset:16
	buffer_load_dword v100, off, s[0:3], 0 offset:20
	v_cmp_gt_u32_e32 vcc, 2, v0
	s_waitcnt vmcnt(0)
	ds_write_b64 v98, v[99:100]
	s_waitcnt lgkmcnt(0)
	; wave barrier
	s_and_saveexec_b64 s[8:9], vcc
	s_cbranch_execz .LBB46_17
; %bb.16:
	buffer_load_dword v99, v95, s[0:3], 0 offen
	buffer_load_dword v100, v95, s[0:3], 0 offen offset:4
                                        ; kill: killed $vgpr95
	s_nop 0
	buffer_load_dword v95, off, s[0:3], 0 offset:8
	buffer_load_dword v96, off, s[0:3], 0 offset:12
	ds_read_b64 v[101:102], v98
	s_waitcnt vmcnt(2) lgkmcnt(0)
	v_fma_f64 v[103:104], v[99:100], v[101:102], 0
	v_mov_b32_e32 v99, 0
	ds_read2_b64 v[99:102], v99 offset0:2 offset1:49
	s_waitcnt vmcnt(0) lgkmcnt(0)
	v_fma_f64 v[95:96], v[95:96], v[101:102], v[103:104]
	v_cndmask_b32_e64 v96, v104, v96, s[4:5]
	v_cndmask_b32_e64 v95, v103, v95, s[4:5]
	v_mul_f64 v[95:96], v[95:96], v[99:100]
	buffer_store_dword v96, off, s[0:3], 0 offset:20
	buffer_store_dword v95, off, s[0:3], 0 offset:16
.LBB46_17:
	s_or_b64 exec, exec, s[8:9]
	; wave barrier
	buffer_load_dword v95, off, s[0:3], 0 offset:24
	buffer_load_dword v96, off, s[0:3], 0 offset:28
	v_cmp_gt_u32_e32 vcc, 3, v0
	v_add_u32_e32 v99, -1, v0
	s_waitcnt vmcnt(0)
	ds_write_b64 v98, v[95:96]
	s_waitcnt lgkmcnt(0)
	; wave barrier
	s_and_saveexec_b64 s[4:5], vcc
	s_cbranch_execz .LBB46_21
; %bb.18:
	v_mov_b32_e32 v95, 0
	v_add_u32_e32 v100, -1, v0
	v_add_u32_e32 v101, 0x180, v97
	v_mov_b32_e32 v102, v97
	v_mov_b32_e32 v96, 0
	s_mov_b64 s[8:9], 0
.LBB46_19:                              ; =>This Inner Loop Header: Depth=1
	buffer_load_dword v103, v102, s[0:3], 0 offen
	buffer_load_dword v104, v102, s[0:3], 0 offen offset:4
	ds_read_b64 v[105:106], v101
	v_add_u32_e32 v100, 1, v100
	v_cmp_lt_u32_e32 vcc, 1, v100
	v_add_u32_e32 v101, 8, v101
	s_or_b64 s[8:9], vcc, s[8:9]
	v_add_u32_e32 v102, 8, v102
	s_waitcnt vmcnt(0) lgkmcnt(0)
	v_fma_f64 v[95:96], v[103:104], v[105:106], v[95:96]
	s_andn2_b64 exec, exec, s[8:9]
	s_cbranch_execnz .LBB46_19
; %bb.20:
	s_or_b64 exec, exec, s[8:9]
	v_mov_b32_e32 v100, 0
	ds_read_b64 v[100:101], v100 offset:24
	s_waitcnt lgkmcnt(0)
	v_mul_f64 v[95:96], v[95:96], v[100:101]
	buffer_store_dword v96, off, s[0:3], 0 offset:28
	buffer_store_dword v95, off, s[0:3], 0 offset:24
.LBB46_21:
	s_or_b64 exec, exec, s[4:5]
	; wave barrier
	buffer_load_dword v95, off, s[0:3], 0 offset:32
	buffer_load_dword v96, off, s[0:3], 0 offset:36
	v_cmp_gt_u32_e32 vcc, 4, v0
	s_waitcnt vmcnt(0)
	ds_write_b64 v98, v[95:96]
	s_waitcnt lgkmcnt(0)
	; wave barrier
	s_and_saveexec_b64 s[4:5], vcc
	s_cbranch_execz .LBB46_25
; %bb.22:
	v_mov_b32_e32 v95, 0
	v_add_u32_e32 v100, -1, v0
	v_add_u32_e32 v101, 0x180, v97
	v_mov_b32_e32 v102, v97
	v_mov_b32_e32 v96, 0
	s_mov_b64 s[8:9], 0
.LBB46_23:                              ; =>This Inner Loop Header: Depth=1
	buffer_load_dword v103, v102, s[0:3], 0 offen
	buffer_load_dword v104, v102, s[0:3], 0 offen offset:4
	ds_read_b64 v[105:106], v101
	v_add_u32_e32 v100, 1, v100
	v_cmp_lt_u32_e32 vcc, 2, v100
	v_add_u32_e32 v101, 8, v101
	s_or_b64 s[8:9], vcc, s[8:9]
	v_add_u32_e32 v102, 8, v102
	s_waitcnt vmcnt(0) lgkmcnt(0)
	v_fma_f64 v[95:96], v[103:104], v[105:106], v[95:96]
	s_andn2_b64 exec, exec, s[8:9]
	s_cbranch_execnz .LBB46_23
; %bb.24:
	s_or_b64 exec, exec, s[8:9]
	v_mov_b32_e32 v100, 0
	ds_read_b64 v[100:101], v100 offset:32
	s_waitcnt lgkmcnt(0)
	v_mul_f64 v[95:96], v[95:96], v[100:101]
	buffer_store_dword v96, off, s[0:3], 0 offset:36
	buffer_store_dword v95, off, s[0:3], 0 offset:32
.LBB46_25:
	s_or_b64 exec, exec, s[4:5]
	; wave barrier
	buffer_load_dword v95, off, s[0:3], 0 offset:40
	buffer_load_dword v96, off, s[0:3], 0 offset:44
	v_cmp_gt_u32_e32 vcc, 5, v0
	;; [unrolled: 40-line block ×21, first 2 shown]
	s_waitcnt vmcnt(0)
	ds_write_b64 v98, v[95:96]
	s_waitcnt lgkmcnt(0)
	; wave barrier
	s_and_saveexec_b64 s[4:5], vcc
	s_cbranch_execz .LBB46_105
; %bb.102:
	v_mov_b32_e32 v95, 0
	v_add_u32_e32 v100, -1, v0
	v_add_u32_e32 v101, 0x180, v97
	v_mov_b32_e32 v102, v97
	v_mov_b32_e32 v96, 0
	s_mov_b64 s[8:9], 0
.LBB46_103:                             ; =>This Inner Loop Header: Depth=1
	buffer_load_dword v103, v102, s[0:3], 0 offen
	buffer_load_dword v104, v102, s[0:3], 0 offen offset:4
	ds_read_b64 v[105:106], v101
	v_add_u32_e32 v100, 1, v100
	v_cmp_lt_u32_e32 vcc, 22, v100
	v_add_u32_e32 v101, 8, v101
	s_or_b64 s[8:9], vcc, s[8:9]
	v_add_u32_e32 v102, 8, v102
	s_waitcnt vmcnt(0) lgkmcnt(0)
	v_fma_f64 v[95:96], v[103:104], v[105:106], v[95:96]
	s_andn2_b64 exec, exec, s[8:9]
	s_cbranch_execnz .LBB46_103
; %bb.104:
	s_or_b64 exec, exec, s[8:9]
	v_mov_b32_e32 v100, 0
	ds_read_b64 v[100:101], v100 offset:192
	s_waitcnt lgkmcnt(0)
	v_mul_f64 v[95:96], v[95:96], v[100:101]
	buffer_store_dword v96, off, s[0:3], 0 offset:196
	buffer_store_dword v95, off, s[0:3], 0 offset:192
.LBB46_105:
	s_or_b64 exec, exec, s[4:5]
	; wave barrier
	buffer_load_dword v95, off, s[0:3], 0 offset:200
	buffer_load_dword v96, off, s[0:3], 0 offset:204
	v_cmp_gt_u32_e32 vcc, 25, v0
	s_waitcnt vmcnt(0)
	ds_write_b64 v98, v[95:96]
	s_waitcnt lgkmcnt(0)
	; wave barrier
	s_and_saveexec_b64 s[4:5], vcc
	s_cbranch_execz .LBB46_109
; %bb.106:
	v_mov_b32_e32 v95, 0
	v_add_u32_e32 v100, -1, v0
	v_add_u32_e32 v101, 0x180, v97
	v_mov_b32_e32 v102, v97
	v_mov_b32_e32 v96, 0
	s_mov_b64 s[8:9], 0
.LBB46_107:                             ; =>This Inner Loop Header: Depth=1
	buffer_load_dword v103, v102, s[0:3], 0 offen
	buffer_load_dword v104, v102, s[0:3], 0 offen offset:4
	ds_read_b64 v[105:106], v101
	v_add_u32_e32 v100, 1, v100
	v_cmp_lt_u32_e32 vcc, 23, v100
	v_add_u32_e32 v101, 8, v101
	s_or_b64 s[8:9], vcc, s[8:9]
	v_add_u32_e32 v102, 8, v102
	s_waitcnt vmcnt(0) lgkmcnt(0)
	v_fma_f64 v[95:96], v[103:104], v[105:106], v[95:96]
	s_andn2_b64 exec, exec, s[8:9]
	s_cbranch_execnz .LBB46_107
; %bb.108:
	s_or_b64 exec, exec, s[8:9]
	v_mov_b32_e32 v100, 0
	ds_read_b64 v[100:101], v100 offset:200
	s_waitcnt lgkmcnt(0)
	v_mul_f64 v[95:96], v[95:96], v[100:101]
	buffer_store_dword v96, off, s[0:3], 0 offset:204
	buffer_store_dword v95, off, s[0:3], 0 offset:200
.LBB46_109:
	s_or_b64 exec, exec, s[4:5]
	; wave barrier
	buffer_load_dword v95, off, s[0:3], 0 offset:208
	buffer_load_dword v96, off, s[0:3], 0 offset:212
	v_cmp_gt_u32_e32 vcc, 26, v0
	;; [unrolled: 40-line block ×21, first 2 shown]
	s_waitcnt vmcnt(0)
	ds_write_b64 v98, v[95:96]
	s_waitcnt lgkmcnt(0)
	; wave barrier
	s_and_saveexec_b64 s[4:5], vcc
	s_cbranch_execz .LBB46_189
; %bb.186:
	v_mov_b32_e32 v95, 0
	v_add_u32_e32 v100, -1, v0
	v_add_u32_e32 v101, 0x180, v97
	v_mov_b32_e32 v102, v97
	v_mov_b32_e32 v96, 0
	s_mov_b64 s[8:9], 0
.LBB46_187:                             ; =>This Inner Loop Header: Depth=1
	buffer_load_dword v103, v102, s[0:3], 0 offen
	buffer_load_dword v104, v102, s[0:3], 0 offen offset:4
	ds_read_b64 v[105:106], v101
	v_add_u32_e32 v100, 1, v100
	v_cmp_lt_u32_e32 vcc, 43, v100
	v_add_u32_e32 v101, 8, v101
	s_or_b64 s[8:9], vcc, s[8:9]
	v_add_u32_e32 v102, 8, v102
	s_waitcnt vmcnt(0) lgkmcnt(0)
	v_fma_f64 v[95:96], v[103:104], v[105:106], v[95:96]
	s_andn2_b64 exec, exec, s[8:9]
	s_cbranch_execnz .LBB46_187
; %bb.188:
	s_or_b64 exec, exec, s[8:9]
	v_mov_b32_e32 v100, 0
	ds_read_b64 v[100:101], v100 offset:360
	s_waitcnt lgkmcnt(0)
	v_mul_f64 v[95:96], v[95:96], v[100:101]
	buffer_store_dword v96, off, s[0:3], 0 offset:364
	buffer_store_dword v95, off, s[0:3], 0 offset:360
.LBB46_189:
	s_or_b64 exec, exec, s[4:5]
	; wave barrier
	buffer_load_dword v95, off, s[0:3], 0 offset:368
	buffer_load_dword v96, off, s[0:3], 0 offset:372
	v_cmp_ne_u32_e32 vcc, 46, v0
	s_waitcnt vmcnt(0)
	ds_write_b64 v98, v[95:96]
	s_waitcnt lgkmcnt(0)
	; wave barrier
	s_and_saveexec_b64 s[4:5], vcc
	s_cbranch_execz .LBB46_193
; %bb.190:
	v_mov_b32_e32 v95, 0
	v_add_u32_e32 v98, 0x180, v97
	v_mov_b32_e32 v96, 0
	s_mov_b64 s[8:9], 0
.LBB46_191:                             ; =>This Inner Loop Header: Depth=1
	buffer_load_dword v100, v97, s[0:3], 0 offen
	buffer_load_dword v101, v97, s[0:3], 0 offen offset:4
	ds_read_b64 v[102:103], v98
	v_add_u32_e32 v99, 1, v99
	v_cmp_lt_u32_e32 vcc, 44, v99
	v_add_u32_e32 v98, 8, v98
	s_or_b64 s[8:9], vcc, s[8:9]
	v_add_u32_e32 v97, 8, v97
	s_waitcnt vmcnt(0) lgkmcnt(0)
	v_fma_f64 v[95:96], v[100:101], v[102:103], v[95:96]
	s_andn2_b64 exec, exec, s[8:9]
	s_cbranch_execnz .LBB46_191
; %bb.192:
	s_or_b64 exec, exec, s[8:9]
	v_mov_b32_e32 v97, 0
	ds_read_b64 v[97:98], v97 offset:368
	s_waitcnt lgkmcnt(0)
	v_mul_f64 v[95:96], v[95:96], v[97:98]
	buffer_store_dword v96, off, s[0:3], 0 offset:372
	buffer_store_dword v95, off, s[0:3], 0 offset:368
.LBB46_193:
	s_or_b64 exec, exec, s[4:5]
	s_mov_b64 s[8:9], -1
	; wave barrier
.LBB46_194:
	s_and_b64 vcc, exec, s[8:9]
	s_cbranch_vccz .LBB46_196
; %bb.195:
	s_lshl_b64 s[4:5], s[6:7], 2
	s_add_u32 s4, s10, s4
	s_addc_u32 s5, s11, s5
	v_mov_b32_e32 v95, 0
	global_load_dword v95, v95, s[4:5]
	s_waitcnt vmcnt(0)
	v_cmp_ne_u32_e32 vcc, 0, v95
	s_cbranch_vccz .LBB46_197
.LBB46_196:
	s_endpgm
.LBB46_197:
	v_mov_b32_e32 v95, 0x180
	v_lshl_add_u32 v95, v0, 3, v95
	v_cmp_eq_u32_e32 vcc, 46, v0
	s_and_saveexec_b64 s[4:5], vcc
	s_cbranch_execz .LBB46_199
; %bb.198:
	buffer_load_dword v96, off, s[0:3], 0 offset:360
	buffer_load_dword v97, off, s[0:3], 0 offset:364
	v_mov_b32_e32 v98, 0
	buffer_store_dword v98, off, s[0:3], 0 offset:360
	buffer_store_dword v98, off, s[0:3], 0 offset:364
	s_waitcnt vmcnt(2)
	ds_write_b64 v95, v[96:97]
.LBB46_199:
	s_or_b64 exec, exec, s[4:5]
	s_waitcnt lgkmcnt(0)
	; wave barrier
	buffer_load_dword v97, off, s[0:3], 0 offset:368
	buffer_load_dword v98, off, s[0:3], 0 offset:372
	;; [unrolled: 1-line block ×4, first 2 shown]
	v_mov_b32_e32 v96, 0
	ds_read_b64 v[101:102], v96 offset:752
	v_cmp_lt_u32_e32 vcc, 44, v0
	s_waitcnt vmcnt(2) lgkmcnt(0)
	v_fma_f64 v[97:98], v[97:98], v[101:102], 0
	s_waitcnt vmcnt(0)
	v_add_f64 v[97:98], v[99:100], -v[97:98]
	buffer_store_dword v97, off, s[0:3], 0 offset:360
	buffer_store_dword v98, off, s[0:3], 0 offset:364
	s_and_saveexec_b64 s[4:5], vcc
	s_cbranch_execz .LBB46_201
; %bb.200:
	buffer_load_dword v97, off, s[0:3], 0 offset:352
	buffer_load_dword v98, off, s[0:3], 0 offset:356
	s_waitcnt vmcnt(0)
	ds_write_b64 v95, v[97:98]
	buffer_store_dword v96, off, s[0:3], 0 offset:352
	buffer_store_dword v96, off, s[0:3], 0 offset:356
.LBB46_201:
	s_or_b64 exec, exec, s[4:5]
	s_waitcnt lgkmcnt(0)
	; wave barrier
	buffer_load_dword v100, off, s[0:3], 0 offset:360
	buffer_load_dword v101, off, s[0:3], 0 offset:364
	;; [unrolled: 1-line block ×6, first 2 shown]
	ds_read2_b64 v[96:99], v96 offset0:93 offset1:94
	v_cmp_lt_u32_e32 vcc, 43, v0
	s_waitcnt vmcnt(4) lgkmcnt(0)
	v_fma_f64 v[96:97], v[100:101], v[96:97], 0
	s_waitcnt vmcnt(2)
	v_fma_f64 v[96:97], v[102:103], v[98:99], v[96:97]
	s_waitcnt vmcnt(0)
	v_add_f64 v[96:97], v[104:105], -v[96:97]
	buffer_store_dword v96, off, s[0:3], 0 offset:352
	buffer_store_dword v97, off, s[0:3], 0 offset:356
	s_and_saveexec_b64 s[4:5], vcc
	s_cbranch_execz .LBB46_203
; %bb.202:
	buffer_load_dword v96, off, s[0:3], 0 offset:344
	buffer_load_dword v97, off, s[0:3], 0 offset:348
	v_mov_b32_e32 v98, 0
	buffer_store_dword v98, off, s[0:3], 0 offset:344
	buffer_store_dword v98, off, s[0:3], 0 offset:348
	s_waitcnt vmcnt(2)
	ds_write_b64 v95, v[96:97]
.LBB46_203:
	s_or_b64 exec, exec, s[4:5]
	s_waitcnt lgkmcnt(0)
	; wave barrier
	buffer_load_dword v101, off, s[0:3], 0 offset:352
	buffer_load_dword v102, off, s[0:3], 0 offset:356
	;; [unrolled: 1-line block ×8, first 2 shown]
	v_mov_b32_e32 v96, 0
	ds_read_b128 v[97:100], v96 offset:736
	ds_read_b64 v[109:110], v96 offset:752
	v_cmp_lt_u32_e32 vcc, 42, v0
	s_waitcnt vmcnt(6) lgkmcnt(1)
	v_fma_f64 v[97:98], v[101:102], v[97:98], 0
	s_waitcnt vmcnt(4)
	v_fma_f64 v[97:98], v[103:104], v[99:100], v[97:98]
	s_waitcnt vmcnt(2) lgkmcnt(0)
	v_fma_f64 v[97:98], v[105:106], v[109:110], v[97:98]
	s_waitcnt vmcnt(0)
	v_add_f64 v[97:98], v[107:108], -v[97:98]
	buffer_store_dword v97, off, s[0:3], 0 offset:344
	buffer_store_dword v98, off, s[0:3], 0 offset:348
	s_and_saveexec_b64 s[4:5], vcc
	s_cbranch_execz .LBB46_205
; %bb.204:
	buffer_load_dword v97, off, s[0:3], 0 offset:336
	buffer_load_dword v98, off, s[0:3], 0 offset:340
	s_waitcnt vmcnt(0)
	ds_write_b64 v95, v[97:98]
	buffer_store_dword v96, off, s[0:3], 0 offset:336
	buffer_store_dword v96, off, s[0:3], 0 offset:340
.LBB46_205:
	s_or_b64 exec, exec, s[4:5]
	s_waitcnt lgkmcnt(0)
	; wave barrier
	buffer_load_dword v105, off, s[0:3], 0 offset:344
	buffer_load_dword v106, off, s[0:3], 0 offset:348
	buffer_load_dword v107, off, s[0:3], 0 offset:352
	buffer_load_dword v108, off, s[0:3], 0 offset:356
	buffer_load_dword v109, off, s[0:3], 0 offset:360
	buffer_load_dword v110, off, s[0:3], 0 offset:364
	buffer_load_dword v111, off, s[0:3], 0 offset:368
	buffer_load_dword v112, off, s[0:3], 0 offset:372
	buffer_load_dword v113, off, s[0:3], 0 offset:336
	buffer_load_dword v114, off, s[0:3], 0 offset:340
	ds_read2_b64 v[97:100], v96 offset0:91 offset1:92
	ds_read2_b64 v[101:104], v96 offset0:93 offset1:94
	v_cmp_lt_u32_e32 vcc, 41, v0
	s_waitcnt vmcnt(8) lgkmcnt(1)
	v_fma_f64 v[96:97], v[105:106], v[97:98], 0
	s_waitcnt vmcnt(6)
	v_fma_f64 v[96:97], v[107:108], v[99:100], v[96:97]
	s_waitcnt vmcnt(4) lgkmcnt(0)
	v_fma_f64 v[96:97], v[109:110], v[101:102], v[96:97]
	s_waitcnt vmcnt(2)
	v_fma_f64 v[96:97], v[111:112], v[103:104], v[96:97]
	s_waitcnt vmcnt(0)
	v_add_f64 v[96:97], v[113:114], -v[96:97]
	buffer_store_dword v96, off, s[0:3], 0 offset:336
	buffer_store_dword v97, off, s[0:3], 0 offset:340
	s_and_saveexec_b64 s[4:5], vcc
	s_cbranch_execz .LBB46_207
; %bb.206:
	buffer_load_dword v96, off, s[0:3], 0 offset:328
	buffer_load_dword v97, off, s[0:3], 0 offset:332
	v_mov_b32_e32 v98, 0
	buffer_store_dword v98, off, s[0:3], 0 offset:328
	buffer_store_dword v98, off, s[0:3], 0 offset:332
	s_waitcnt vmcnt(2)
	ds_write_b64 v95, v[96:97]
.LBB46_207:
	s_or_b64 exec, exec, s[4:5]
	s_waitcnt lgkmcnt(0)
	; wave barrier
	buffer_load_dword v105, off, s[0:3], 0 offset:336
	buffer_load_dword v106, off, s[0:3], 0 offset:340
	;; [unrolled: 1-line block ×12, first 2 shown]
	v_mov_b32_e32 v96, 0
	ds_read_b128 v[97:100], v96 offset:720
	ds_read_b128 v[101:104], v96 offset:736
	v_cmp_lt_u32_e32 vcc, 40, v0
	s_waitcnt vmcnt(10) lgkmcnt(1)
	v_fma_f64 v[97:98], v[105:106], v[97:98], 0
	s_waitcnt vmcnt(8)
	v_fma_f64 v[97:98], v[107:108], v[99:100], v[97:98]
	ds_read_b64 v[99:100], v96 offset:752
	s_waitcnt vmcnt(6) lgkmcnt(1)
	v_fma_f64 v[97:98], v[109:110], v[101:102], v[97:98]
	s_waitcnt vmcnt(4)
	v_fma_f64 v[97:98], v[111:112], v[103:104], v[97:98]
	s_waitcnt vmcnt(2) lgkmcnt(0)
	v_fma_f64 v[97:98], v[113:114], v[99:100], v[97:98]
	s_waitcnt vmcnt(0)
	v_add_f64 v[97:98], v[115:116], -v[97:98]
	buffer_store_dword v97, off, s[0:3], 0 offset:328
	buffer_store_dword v98, off, s[0:3], 0 offset:332
	s_and_saveexec_b64 s[4:5], vcc
	s_cbranch_execz .LBB46_209
; %bb.208:
	buffer_load_dword v97, off, s[0:3], 0 offset:320
	buffer_load_dword v98, off, s[0:3], 0 offset:324
	s_waitcnt vmcnt(0)
	ds_write_b64 v95, v[97:98]
	buffer_store_dword v96, off, s[0:3], 0 offset:320
	buffer_store_dword v96, off, s[0:3], 0 offset:324
.LBB46_209:
	s_or_b64 exec, exec, s[4:5]
	s_waitcnt lgkmcnt(0)
	; wave barrier
	buffer_load_dword v105, off, s[0:3], 0 offset:328
	buffer_load_dword v106, off, s[0:3], 0 offset:332
	;; [unrolled: 1-line block ×14, first 2 shown]
	ds_read2_b64 v[97:100], v96 offset0:89 offset1:90
	ds_read2_b64 v[101:104], v96 offset0:91 offset1:92
	v_cmp_lt_u32_e32 vcc, 39, v0
	s_waitcnt vmcnt(12) lgkmcnt(1)
	v_fma_f64 v[97:98], v[105:106], v[97:98], 0
	s_waitcnt vmcnt(10)
	v_fma_f64 v[97:98], v[107:108], v[99:100], v[97:98]
	s_waitcnt vmcnt(8) lgkmcnt(0)
	v_fma_f64 v[97:98], v[109:110], v[101:102], v[97:98]
	s_waitcnt vmcnt(6)
	v_fma_f64 v[100:101], v[111:112], v[103:104], v[97:98]
	ds_read2_b64 v[96:99], v96 offset0:93 offset1:94
	s_waitcnt vmcnt(4) lgkmcnt(0)
	v_fma_f64 v[96:97], v[113:114], v[96:97], v[100:101]
	s_waitcnt vmcnt(2)
	v_fma_f64 v[96:97], v[115:116], v[98:99], v[96:97]
	s_waitcnt vmcnt(0)
	v_add_f64 v[96:97], v[117:118], -v[96:97]
	buffer_store_dword v96, off, s[0:3], 0 offset:320
	buffer_store_dword v97, off, s[0:3], 0 offset:324
	s_and_saveexec_b64 s[4:5], vcc
	s_cbranch_execz .LBB46_211
; %bb.210:
	buffer_load_dword v96, off, s[0:3], 0 offset:312
	buffer_load_dword v97, off, s[0:3], 0 offset:316
	v_mov_b32_e32 v98, 0
	buffer_store_dword v98, off, s[0:3], 0 offset:312
	buffer_store_dword v98, off, s[0:3], 0 offset:316
	s_waitcnt vmcnt(2)
	ds_write_b64 v95, v[96:97]
.LBB46_211:
	s_or_b64 exec, exec, s[4:5]
	s_waitcnt lgkmcnt(0)
	; wave barrier
	buffer_load_dword v105, off, s[0:3], 0 offset:320
	buffer_load_dword v106, off, s[0:3], 0 offset:324
	;; [unrolled: 1-line block ×16, first 2 shown]
	v_mov_b32_e32 v96, 0
	ds_read_b128 v[97:100], v96 offset:704
	ds_read_b128 v[101:104], v96 offset:720
	v_cmp_lt_u32_e32 vcc, 38, v0
	s_waitcnt vmcnt(14) lgkmcnt(1)
	v_fma_f64 v[97:98], v[105:106], v[97:98], 0
	s_waitcnt vmcnt(12)
	v_fma_f64 v[97:98], v[107:108], v[99:100], v[97:98]
	s_waitcnt vmcnt(10) lgkmcnt(0)
	v_fma_f64 v[97:98], v[109:110], v[101:102], v[97:98]
	s_waitcnt vmcnt(8)
	v_fma_f64 v[101:102], v[111:112], v[103:104], v[97:98]
	ds_read_b128 v[97:100], v96 offset:736
	ds_read_b64 v[103:104], v96 offset:752
	s_waitcnt vmcnt(6) lgkmcnt(1)
	v_fma_f64 v[97:98], v[113:114], v[97:98], v[101:102]
	s_waitcnt vmcnt(4)
	v_fma_f64 v[97:98], v[115:116], v[99:100], v[97:98]
	s_waitcnt vmcnt(2) lgkmcnt(0)
	v_fma_f64 v[97:98], v[117:118], v[103:104], v[97:98]
	s_waitcnt vmcnt(0)
	v_add_f64 v[97:98], v[119:120], -v[97:98]
	buffer_store_dword v97, off, s[0:3], 0 offset:312
	buffer_store_dword v98, off, s[0:3], 0 offset:316
	s_and_saveexec_b64 s[4:5], vcc
	s_cbranch_execz .LBB46_213
; %bb.212:
	buffer_load_dword v97, off, s[0:3], 0 offset:304
	buffer_load_dword v98, off, s[0:3], 0 offset:308
	s_waitcnt vmcnt(0)
	ds_write_b64 v95, v[97:98]
	buffer_store_dword v96, off, s[0:3], 0 offset:304
	buffer_store_dword v96, off, s[0:3], 0 offset:308
.LBB46_213:
	s_or_b64 exec, exec, s[4:5]
	s_waitcnt lgkmcnt(0)
	; wave barrier
	buffer_load_dword v105, off, s[0:3], 0 offset:312
	buffer_load_dword v106, off, s[0:3], 0 offset:316
	;; [unrolled: 1-line block ×18, first 2 shown]
	ds_read2_b64 v[97:100], v96 offset0:87 offset1:88
	ds_read2_b64 v[101:104], v96 offset0:89 offset1:90
	v_cmp_lt_u32_e32 vcc, 37, v0
	s_waitcnt vmcnt(16) lgkmcnt(1)
	v_fma_f64 v[97:98], v[105:106], v[97:98], 0
	s_waitcnt vmcnt(14)
	v_fma_f64 v[97:98], v[107:108], v[99:100], v[97:98]
	s_waitcnt vmcnt(12) lgkmcnt(0)
	v_fma_f64 v[97:98], v[109:110], v[101:102], v[97:98]
	s_waitcnt vmcnt(10)
	v_fma_f64 v[105:106], v[111:112], v[103:104], v[97:98]
	ds_read2_b64 v[97:100], v96 offset0:91 offset1:92
	ds_read2_b64 v[101:104], v96 offset0:93 offset1:94
	s_waitcnt vmcnt(8) lgkmcnt(1)
	v_fma_f64 v[96:97], v[113:114], v[97:98], v[105:106]
	s_waitcnt vmcnt(6)
	v_fma_f64 v[96:97], v[115:116], v[99:100], v[96:97]
	s_waitcnt vmcnt(4) lgkmcnt(0)
	v_fma_f64 v[96:97], v[117:118], v[101:102], v[96:97]
	s_waitcnt vmcnt(2)
	v_fma_f64 v[96:97], v[119:120], v[103:104], v[96:97]
	s_waitcnt vmcnt(0)
	v_add_f64 v[96:97], v[121:122], -v[96:97]
	buffer_store_dword v96, off, s[0:3], 0 offset:304
	buffer_store_dword v97, off, s[0:3], 0 offset:308
	s_and_saveexec_b64 s[4:5], vcc
	s_cbranch_execz .LBB46_215
; %bb.214:
	buffer_load_dword v96, off, s[0:3], 0 offset:296
	buffer_load_dword v97, off, s[0:3], 0 offset:300
	v_mov_b32_e32 v98, 0
	buffer_store_dword v98, off, s[0:3], 0 offset:296
	buffer_store_dword v98, off, s[0:3], 0 offset:300
	s_waitcnt vmcnt(2)
	ds_write_b64 v95, v[96:97]
.LBB46_215:
	s_or_b64 exec, exec, s[4:5]
	s_waitcnt lgkmcnt(0)
	; wave barrier
	buffer_load_dword v105, off, s[0:3], 0 offset:304
	buffer_load_dword v106, off, s[0:3], 0 offset:308
	;; [unrolled: 1-line block ×20, first 2 shown]
	v_mov_b32_e32 v96, 0
	ds_read_b128 v[97:100], v96 offset:688
	ds_read_b128 v[101:104], v96 offset:704
	v_cmp_lt_u32_e32 vcc, 36, v0
	s_waitcnt vmcnt(18) lgkmcnt(1)
	v_fma_f64 v[97:98], v[105:106], v[97:98], 0
	s_waitcnt vmcnt(16)
	v_fma_f64 v[97:98], v[107:108], v[99:100], v[97:98]
	s_waitcnt vmcnt(14) lgkmcnt(0)
	v_fma_f64 v[97:98], v[109:110], v[101:102], v[97:98]
	s_waitcnt vmcnt(12)
	v_fma_f64 v[105:106], v[111:112], v[103:104], v[97:98]
	ds_read_b128 v[97:100], v96 offset:720
	ds_read_b128 v[101:104], v96 offset:736
	s_waitcnt vmcnt(10) lgkmcnt(1)
	v_fma_f64 v[97:98], v[113:114], v[97:98], v[105:106]
	s_waitcnt vmcnt(8)
	v_fma_f64 v[97:98], v[115:116], v[99:100], v[97:98]
	ds_read_b64 v[99:100], v96 offset:752
	s_waitcnt vmcnt(6) lgkmcnt(1)
	v_fma_f64 v[97:98], v[117:118], v[101:102], v[97:98]
	s_waitcnt vmcnt(3)
	v_fma_f64 v[97:98], v[119:120], v[103:104], v[97:98]
	s_waitcnt vmcnt(2) lgkmcnt(0)
	v_fma_f64 v[97:98], v[121:122], v[99:100], v[97:98]
	s_waitcnt vmcnt(0)
	v_add_f64 v[97:98], v[123:124], -v[97:98]
	buffer_store_dword v97, off, s[0:3], 0 offset:296
	buffer_store_dword v98, off, s[0:3], 0 offset:300
	s_and_saveexec_b64 s[4:5], vcc
	s_cbranch_execz .LBB46_217
; %bb.216:
	buffer_load_dword v97, off, s[0:3], 0 offset:288
	buffer_load_dword v98, off, s[0:3], 0 offset:292
	s_waitcnt vmcnt(0)
	ds_write_b64 v95, v[97:98]
	buffer_store_dword v96, off, s[0:3], 0 offset:288
	buffer_store_dword v96, off, s[0:3], 0 offset:292
.LBB46_217:
	s_or_b64 exec, exec, s[4:5]
	s_waitcnt lgkmcnt(0)
	; wave barrier
	buffer_load_dword v101, off, s[0:3], 0 offset:288
	buffer_load_dword v102, off, s[0:3], 0 offset:292
	;; [unrolled: 1-line block ×16, first 2 shown]
	ds_read2_b64 v[97:100], v96 offset0:85 offset1:86
	v_cmp_lt_u32_e32 vcc, 35, v0
	s_waitcnt vmcnt(12) lgkmcnt(0)
	v_fma_f64 v[97:98], v[103:104], v[97:98], 0
	s_waitcnt vmcnt(10)
	v_fma_f64 v[103:104], v[105:106], v[99:100], v[97:98]
	ds_read2_b64 v[97:100], v96 offset0:87 offset1:88
	s_waitcnt vmcnt(8) lgkmcnt(0)
	v_fma_f64 v[97:98], v[107:108], v[97:98], v[103:104]
	s_waitcnt vmcnt(6)
	v_fma_f64 v[103:104], v[109:110], v[99:100], v[97:98]
	ds_read2_b64 v[97:100], v96 offset0:89 offset1:90
	;; [unrolled: 5-line block ×3, first 2 shown]
	s_waitcnt vmcnt(0) lgkmcnt(0)
	v_fma_f64 v[97:98], v[115:116], v[97:98], v[103:104]
	buffer_load_dword v104, off, s[0:3], 0 offset:356
	buffer_load_dword v103, off, s[0:3], 0 offset:352
	;; [unrolled: 1-line block ×4, first 2 shown]
	s_waitcnt vmcnt(2)
	v_fma_f64 v[103:104], v[103:104], v[99:100], v[97:98]
	ds_read2_b64 v[96:99], v96 offset0:93 offset1:94
	s_waitcnt vmcnt(0) lgkmcnt(0)
	v_fma_f64 v[96:97], v[105:106], v[96:97], v[103:104]
	buffer_load_dword v104, off, s[0:3], 0 offset:372
	buffer_load_dword v103, off, s[0:3], 0 offset:368
	s_waitcnt vmcnt(0)
	v_fma_f64 v[96:97], v[103:104], v[98:99], v[96:97]
	v_add_f64 v[96:97], v[101:102], -v[96:97]
	buffer_store_dword v96, off, s[0:3], 0 offset:288
	buffer_store_dword v97, off, s[0:3], 0 offset:292
	s_and_saveexec_b64 s[4:5], vcc
	s_cbranch_execz .LBB46_219
; %bb.218:
	buffer_load_dword v96, off, s[0:3], 0 offset:280
	buffer_load_dword v97, off, s[0:3], 0 offset:284
	v_mov_b32_e32 v98, 0
	buffer_store_dword v98, off, s[0:3], 0 offset:280
	buffer_store_dword v98, off, s[0:3], 0 offset:284
	s_waitcnt vmcnt(2)
	ds_write_b64 v95, v[96:97]
.LBB46_219:
	s_or_b64 exec, exec, s[4:5]
	s_waitcnt lgkmcnt(0)
	; wave barrier
	buffer_load_dword v101, off, s[0:3], 0 offset:288
	buffer_load_dword v102, off, s[0:3], 0 offset:292
	;; [unrolled: 1-line block ×20, first 2 shown]
	v_mov_b32_e32 v96, 0
	ds_read_b128 v[97:100], v96 offset:672
	buffer_load_dword v121, off, s[0:3], 0 offset:368
	buffer_load_dword v122, off, s[0:3], 0 offset:372
	v_cmp_lt_u32_e32 vcc, 34, v0
	s_waitcnt vmcnt(20) lgkmcnt(0)
	v_fma_f64 v[97:98], v[101:102], v[97:98], 0
	buffer_load_dword v101, off, s[0:3], 0 offset:280
	buffer_load_dword v102, off, s[0:3], 0 offset:284
	s_waitcnt vmcnt(20)
	v_fma_f64 v[103:104], v[103:104], v[99:100], v[97:98]
	ds_read_b128 v[97:100], v96 offset:688
	s_waitcnt vmcnt(18) lgkmcnt(0)
	v_fma_f64 v[97:98], v[105:106], v[97:98], v[103:104]
	s_waitcnt vmcnt(16)
	v_fma_f64 v[103:104], v[107:108], v[99:100], v[97:98]
	ds_read_b128 v[97:100], v96 offset:704
	s_waitcnt vmcnt(14) lgkmcnt(0)
	v_fma_f64 v[97:98], v[109:110], v[97:98], v[103:104]
	s_waitcnt vmcnt(12)
	v_fma_f64 v[103:104], v[111:112], v[99:100], v[97:98]
	ds_read_b128 v[97:100], v96 offset:720
	s_waitcnt vmcnt(10) lgkmcnt(0)
	v_fma_f64 v[97:98], v[113:114], v[97:98], v[103:104]
	s_waitcnt vmcnt(8)
	v_fma_f64 v[103:104], v[115:116], v[99:100], v[97:98]
	ds_read_b128 v[97:100], v96 offset:736
	s_waitcnt vmcnt(6) lgkmcnt(0)
	v_fma_f64 v[97:98], v[117:118], v[97:98], v[103:104]
	s_waitcnt vmcnt(4)
	v_fma_f64 v[97:98], v[119:120], v[99:100], v[97:98]
	ds_read_b64 v[99:100], v96 offset:752
	s_waitcnt vmcnt(2) lgkmcnt(0)
	v_fma_f64 v[97:98], v[121:122], v[99:100], v[97:98]
	s_waitcnt vmcnt(0)
	v_add_f64 v[97:98], v[101:102], -v[97:98]
	buffer_store_dword v98, off, s[0:3], 0 offset:284
	buffer_store_dword v97, off, s[0:3], 0 offset:280
	s_and_saveexec_b64 s[4:5], vcc
	s_cbranch_execz .LBB46_221
; %bb.220:
	buffer_load_dword v97, off, s[0:3], 0 offset:272
	buffer_load_dword v98, off, s[0:3], 0 offset:276
	s_waitcnt vmcnt(0)
	ds_write_b64 v95, v[97:98]
	buffer_store_dword v96, off, s[0:3], 0 offset:272
	buffer_store_dword v96, off, s[0:3], 0 offset:276
.LBB46_221:
	s_or_b64 exec, exec, s[4:5]
	s_waitcnt lgkmcnt(0)
	; wave barrier
	buffer_load_dword v101, off, s[0:3], 0 offset:280
	buffer_load_dword v102, off, s[0:3], 0 offset:284
	;; [unrolled: 1-line block ×20, first 2 shown]
	ds_read2_b64 v[97:100], v96 offset0:83 offset1:84
	buffer_load_dword v121, off, s[0:3], 0 offset:360
	buffer_load_dword v122, off, s[0:3], 0 offset:364
	v_cmp_lt_u32_e32 vcc, 33, v0
	s_waitcnt vmcnt(20) lgkmcnt(0)
	v_fma_f64 v[97:98], v[101:102], v[97:98], 0
	buffer_load_dword v102, off, s[0:3], 0 offset:372
	buffer_load_dword v101, off, s[0:3], 0 offset:368
	s_waitcnt vmcnt(20)
	v_fma_f64 v[103:104], v[103:104], v[99:100], v[97:98]
	ds_read2_b64 v[97:100], v96 offset0:85 offset1:86
	buffer_load_dword v123, off, s[0:3], 0 offset:272
	buffer_load_dword v124, off, s[0:3], 0 offset:276
	s_waitcnt vmcnt(20) lgkmcnt(0)
	v_fma_f64 v[97:98], v[105:106], v[97:98], v[103:104]
	s_waitcnt vmcnt(18)
	v_fma_f64 v[103:104], v[107:108], v[99:100], v[97:98]
	ds_read2_b64 v[97:100], v96 offset0:87 offset1:88
	s_waitcnt vmcnt(16) lgkmcnt(0)
	v_fma_f64 v[97:98], v[109:110], v[97:98], v[103:104]
	s_waitcnt vmcnt(14)
	v_fma_f64 v[103:104], v[111:112], v[99:100], v[97:98]
	ds_read2_b64 v[97:100], v96 offset0:89 offset1:90
	;; [unrolled: 5-line block ×4, first 2 shown]
	s_waitcnt vmcnt(4) lgkmcnt(0)
	v_fma_f64 v[96:97], v[121:122], v[96:97], v[103:104]
	s_waitcnt vmcnt(2)
	v_fma_f64 v[96:97], v[101:102], v[98:99], v[96:97]
	s_waitcnt vmcnt(0)
	v_add_f64 v[96:97], v[123:124], -v[96:97]
	buffer_store_dword v97, off, s[0:3], 0 offset:276
	buffer_store_dword v96, off, s[0:3], 0 offset:272
	s_and_saveexec_b64 s[4:5], vcc
	s_cbranch_execz .LBB46_223
; %bb.222:
	buffer_load_dword v96, off, s[0:3], 0 offset:264
	buffer_load_dword v97, off, s[0:3], 0 offset:268
	v_mov_b32_e32 v98, 0
	buffer_store_dword v98, off, s[0:3], 0 offset:264
	buffer_store_dword v98, off, s[0:3], 0 offset:268
	s_waitcnt vmcnt(2)
	ds_write_b64 v95, v[96:97]
.LBB46_223:
	s_or_b64 exec, exec, s[4:5]
	s_waitcnt lgkmcnt(0)
	; wave barrier
	buffer_load_dword v101, off, s[0:3], 0 offset:272
	buffer_load_dword v102, off, s[0:3], 0 offset:276
	;; [unrolled: 1-line block ×20, first 2 shown]
	v_mov_b32_e32 v96, 0
	ds_read_b128 v[97:100], v96 offset:656
	buffer_load_dword v121, off, s[0:3], 0 offset:352
	buffer_load_dword v122, off, s[0:3], 0 offset:356
	v_cmp_lt_u32_e32 vcc, 32, v0
	s_waitcnt vmcnt(20) lgkmcnt(0)
	v_fma_f64 v[97:98], v[101:102], v[97:98], 0
	buffer_load_dword v102, off, s[0:3], 0 offset:364
	buffer_load_dword v101, off, s[0:3], 0 offset:360
	s_waitcnt vmcnt(20)
	v_fma_f64 v[103:104], v[103:104], v[99:100], v[97:98]
	ds_read_b128 v[97:100], v96 offset:672
	buffer_load_dword v123, off, s[0:3], 0 offset:368
	buffer_load_dword v124, off, s[0:3], 0 offset:372
	s_waitcnt vmcnt(20) lgkmcnt(0)
	v_fma_f64 v[97:98], v[105:106], v[97:98], v[103:104]
	buffer_load_dword v103, off, s[0:3], 0 offset:264
	buffer_load_dword v104, off, s[0:3], 0 offset:268
	s_waitcnt vmcnt(20)
	v_fma_f64 v[105:106], v[107:108], v[99:100], v[97:98]
	ds_read_b128 v[97:100], v96 offset:688
	s_waitcnt vmcnt(18) lgkmcnt(0)
	v_fma_f64 v[97:98], v[109:110], v[97:98], v[105:106]
	s_waitcnt vmcnt(16)
	v_fma_f64 v[105:106], v[111:112], v[99:100], v[97:98]
	ds_read_b128 v[97:100], v96 offset:704
	s_waitcnt vmcnt(14) lgkmcnt(0)
	v_fma_f64 v[97:98], v[113:114], v[97:98], v[105:106]
	;; [unrolled: 5-line block ×4, first 2 shown]
	s_waitcnt vmcnt(4)
	v_fma_f64 v[97:98], v[101:102], v[99:100], v[97:98]
	ds_read_b64 v[99:100], v96 offset:752
	s_waitcnt vmcnt(2) lgkmcnt(0)
	v_fma_f64 v[97:98], v[123:124], v[99:100], v[97:98]
	s_waitcnt vmcnt(0)
	v_add_f64 v[97:98], v[103:104], -v[97:98]
	buffer_store_dword v98, off, s[0:3], 0 offset:268
	buffer_store_dword v97, off, s[0:3], 0 offset:264
	s_and_saveexec_b64 s[4:5], vcc
	s_cbranch_execz .LBB46_225
; %bb.224:
	buffer_load_dword v97, off, s[0:3], 0 offset:256
	buffer_load_dword v98, off, s[0:3], 0 offset:260
	s_waitcnt vmcnt(0)
	ds_write_b64 v95, v[97:98]
	buffer_store_dword v96, off, s[0:3], 0 offset:256
	buffer_store_dword v96, off, s[0:3], 0 offset:260
.LBB46_225:
	s_or_b64 exec, exec, s[4:5]
	s_waitcnt lgkmcnt(0)
	; wave barrier
	buffer_load_dword v101, off, s[0:3], 0 offset:264
	buffer_load_dword v102, off, s[0:3], 0 offset:268
	;; [unrolled: 1-line block ×20, first 2 shown]
	ds_read2_b64 v[97:100], v96 offset0:81 offset1:82
	buffer_load_dword v121, off, s[0:3], 0 offset:344
	buffer_load_dword v122, off, s[0:3], 0 offset:348
	v_cmp_lt_u32_e32 vcc, 31, v0
	s_waitcnt vmcnt(20) lgkmcnt(0)
	v_fma_f64 v[97:98], v[101:102], v[97:98], 0
	buffer_load_dword v102, off, s[0:3], 0 offset:356
	buffer_load_dword v101, off, s[0:3], 0 offset:352
	s_waitcnt vmcnt(20)
	v_fma_f64 v[103:104], v[103:104], v[99:100], v[97:98]
	ds_read2_b64 v[97:100], v96 offset0:83 offset1:84
	buffer_load_dword v123, off, s[0:3], 0 offset:360
	buffer_load_dword v124, off, s[0:3], 0 offset:364
	s_waitcnt vmcnt(20) lgkmcnt(0)
	v_fma_f64 v[97:98], v[105:106], v[97:98], v[103:104]
	buffer_load_dword v103, off, s[0:3], 0 offset:368
	buffer_load_dword v104, off, s[0:3], 0 offset:372
	s_waitcnt vmcnt(20)
	v_fma_f64 v[105:106], v[107:108], v[99:100], v[97:98]
	ds_read2_b64 v[97:100], v96 offset0:85 offset1:86
	buffer_load_dword v107, off, s[0:3], 0 offset:256
	buffer_load_dword v108, off, s[0:3], 0 offset:260
	s_waitcnt vmcnt(20) lgkmcnt(0)
	v_fma_f64 v[97:98], v[109:110], v[97:98], v[105:106]
	s_waitcnt vmcnt(18)
	v_fma_f64 v[105:106], v[111:112], v[99:100], v[97:98]
	ds_read2_b64 v[97:100], v96 offset0:87 offset1:88
	s_waitcnt vmcnt(16) lgkmcnt(0)
	v_fma_f64 v[97:98], v[113:114], v[97:98], v[105:106]
	s_waitcnt vmcnt(14)
	v_fma_f64 v[105:106], v[115:116], v[99:100], v[97:98]
	ds_read2_b64 v[97:100], v96 offset0:89 offset1:90
	;; [unrolled: 5-line block ×4, first 2 shown]
	s_waitcnt vmcnt(4) lgkmcnt(0)
	v_fma_f64 v[96:97], v[123:124], v[96:97], v[100:101]
	s_waitcnt vmcnt(2)
	v_fma_f64 v[96:97], v[103:104], v[98:99], v[96:97]
	s_waitcnt vmcnt(0)
	v_add_f64 v[96:97], v[107:108], -v[96:97]
	buffer_store_dword v97, off, s[0:3], 0 offset:260
	buffer_store_dword v96, off, s[0:3], 0 offset:256
	s_and_saveexec_b64 s[4:5], vcc
	s_cbranch_execz .LBB46_227
; %bb.226:
	buffer_load_dword v96, off, s[0:3], 0 offset:248
	buffer_load_dword v97, off, s[0:3], 0 offset:252
	v_mov_b32_e32 v98, 0
	buffer_store_dword v98, off, s[0:3], 0 offset:248
	buffer_store_dword v98, off, s[0:3], 0 offset:252
	s_waitcnt vmcnt(2)
	ds_write_b64 v95, v[96:97]
.LBB46_227:
	s_or_b64 exec, exec, s[4:5]
	s_waitcnt lgkmcnt(0)
	; wave barrier
	buffer_load_dword v101, off, s[0:3], 0 offset:256
	buffer_load_dword v102, off, s[0:3], 0 offset:260
	;; [unrolled: 1-line block ×20, first 2 shown]
	v_mov_b32_e32 v96, 0
	ds_read_b128 v[97:100], v96 offset:640
	buffer_load_dword v121, off, s[0:3], 0 offset:336
	buffer_load_dword v122, off, s[0:3], 0 offset:340
	v_cmp_lt_u32_e32 vcc, 30, v0
	s_waitcnt vmcnt(20) lgkmcnt(0)
	v_fma_f64 v[97:98], v[101:102], v[97:98], 0
	buffer_load_dword v102, off, s[0:3], 0 offset:348
	buffer_load_dword v101, off, s[0:3], 0 offset:344
	s_waitcnt vmcnt(20)
	v_fma_f64 v[103:104], v[103:104], v[99:100], v[97:98]
	ds_read_b128 v[97:100], v96 offset:656
	buffer_load_dword v123, off, s[0:3], 0 offset:352
	buffer_load_dword v124, off, s[0:3], 0 offset:356
	s_waitcnt vmcnt(20) lgkmcnt(0)
	v_fma_f64 v[97:98], v[105:106], v[97:98], v[103:104]
	buffer_load_dword v103, off, s[0:3], 0 offset:360
	buffer_load_dword v104, off, s[0:3], 0 offset:364
	s_waitcnt vmcnt(20)
	v_fma_f64 v[105:106], v[107:108], v[99:100], v[97:98]
	ds_read_b128 v[97:100], v96 offset:672
	buffer_load_dword v107, off, s[0:3], 0 offset:368
	buffer_load_dword v108, off, s[0:3], 0 offset:372
	s_waitcnt vmcnt(20) lgkmcnt(0)
	v_fma_f64 v[97:98], v[109:110], v[97:98], v[105:106]
	buffer_load_dword v105, off, s[0:3], 0 offset:248
	buffer_load_dword v106, off, s[0:3], 0 offset:252
	s_waitcnt vmcnt(20)
	v_fma_f64 v[109:110], v[111:112], v[99:100], v[97:98]
	ds_read_b128 v[97:100], v96 offset:688
	s_waitcnt vmcnt(18) lgkmcnt(0)
	v_fma_f64 v[97:98], v[113:114], v[97:98], v[109:110]
	s_waitcnt vmcnt(16)
	v_fma_f64 v[109:110], v[115:116], v[99:100], v[97:98]
	ds_read_b128 v[97:100], v96 offset:704
	s_waitcnt vmcnt(14) lgkmcnt(0)
	v_fma_f64 v[97:98], v[117:118], v[97:98], v[109:110]
	s_waitcnt vmcnt(12)
	v_fma_f64 v[109:110], v[119:120], v[99:100], v[97:98]
	ds_read_b128 v[97:100], v96 offset:720
	s_waitcnt vmcnt(10) lgkmcnt(0)
	v_fma_f64 v[97:98], v[121:122], v[97:98], v[109:110]
	s_waitcnt vmcnt(8)
	v_fma_f64 v[101:102], v[101:102], v[99:100], v[97:98]
	ds_read_b128 v[97:100], v96 offset:736
	s_waitcnt vmcnt(6) lgkmcnt(0)
	v_fma_f64 v[97:98], v[123:124], v[97:98], v[101:102]
	s_waitcnt vmcnt(4)
	v_fma_f64 v[97:98], v[103:104], v[99:100], v[97:98]
	ds_read_b64 v[99:100], v96 offset:752
	s_waitcnt vmcnt(2) lgkmcnt(0)
	v_fma_f64 v[97:98], v[107:108], v[99:100], v[97:98]
	s_waitcnt vmcnt(0)
	v_add_f64 v[97:98], v[105:106], -v[97:98]
	buffer_store_dword v98, off, s[0:3], 0 offset:252
	buffer_store_dword v97, off, s[0:3], 0 offset:248
	s_and_saveexec_b64 s[4:5], vcc
	s_cbranch_execz .LBB46_229
; %bb.228:
	buffer_load_dword v97, off, s[0:3], 0 offset:240
	buffer_load_dword v98, off, s[0:3], 0 offset:244
	s_waitcnt vmcnt(0)
	ds_write_b64 v95, v[97:98]
	buffer_store_dword v96, off, s[0:3], 0 offset:240
	buffer_store_dword v96, off, s[0:3], 0 offset:244
.LBB46_229:
	s_or_b64 exec, exec, s[4:5]
	s_waitcnt lgkmcnt(0)
	; wave barrier
	buffer_load_dword v101, off, s[0:3], 0 offset:248
	buffer_load_dword v102, off, s[0:3], 0 offset:252
	;; [unrolled: 1-line block ×20, first 2 shown]
	ds_read2_b64 v[97:100], v96 offset0:79 offset1:80
	buffer_load_dword v121, off, s[0:3], 0 offset:328
	buffer_load_dword v122, off, s[0:3], 0 offset:332
	v_cmp_lt_u32_e32 vcc, 29, v0
	s_waitcnt vmcnt(20) lgkmcnt(0)
	v_fma_f64 v[97:98], v[101:102], v[97:98], 0
	buffer_load_dword v102, off, s[0:3], 0 offset:340
	buffer_load_dword v101, off, s[0:3], 0 offset:336
	s_waitcnt vmcnt(20)
	v_fma_f64 v[103:104], v[103:104], v[99:100], v[97:98]
	ds_read2_b64 v[97:100], v96 offset0:81 offset1:82
	buffer_load_dword v123, off, s[0:3], 0 offset:344
	buffer_load_dword v124, off, s[0:3], 0 offset:348
	s_waitcnt vmcnt(20) lgkmcnt(0)
	v_fma_f64 v[97:98], v[105:106], v[97:98], v[103:104]
	buffer_load_dword v103, off, s[0:3], 0 offset:352
	buffer_load_dword v104, off, s[0:3], 0 offset:356
	s_waitcnt vmcnt(20)
	v_fma_f64 v[105:106], v[107:108], v[99:100], v[97:98]
	ds_read2_b64 v[97:100], v96 offset0:83 offset1:84
	buffer_load_dword v107, off, s[0:3], 0 offset:360
	buffer_load_dword v108, off, s[0:3], 0 offset:364
	;; [unrolled: 9-line block ×3, first 2 shown]
	s_waitcnt vmcnt(20) lgkmcnt(0)
	v_fma_f64 v[97:98], v[113:114], v[97:98], v[109:110]
	s_waitcnt vmcnt(18)
	v_fma_f64 v[109:110], v[115:116], v[99:100], v[97:98]
	ds_read2_b64 v[97:100], v96 offset0:87 offset1:88
	s_waitcnt vmcnt(16) lgkmcnt(0)
	v_fma_f64 v[97:98], v[117:118], v[97:98], v[109:110]
	s_waitcnt vmcnt(14)
	v_fma_f64 v[109:110], v[119:120], v[99:100], v[97:98]
	ds_read2_b64 v[97:100], v96 offset0:89 offset1:90
	;; [unrolled: 5-line block ×4, first 2 shown]
	s_waitcnt vmcnt(4) lgkmcnt(0)
	v_fma_f64 v[96:97], v[107:108], v[96:97], v[100:101]
	s_waitcnt vmcnt(2)
	v_fma_f64 v[96:97], v[105:106], v[98:99], v[96:97]
	s_waitcnt vmcnt(0)
	v_add_f64 v[96:97], v[111:112], -v[96:97]
	buffer_store_dword v97, off, s[0:3], 0 offset:244
	buffer_store_dword v96, off, s[0:3], 0 offset:240
	s_and_saveexec_b64 s[4:5], vcc
	s_cbranch_execz .LBB46_231
; %bb.230:
	buffer_load_dword v96, off, s[0:3], 0 offset:232
	buffer_load_dword v97, off, s[0:3], 0 offset:236
	v_mov_b32_e32 v98, 0
	buffer_store_dword v98, off, s[0:3], 0 offset:232
	buffer_store_dword v98, off, s[0:3], 0 offset:236
	s_waitcnt vmcnt(2)
	ds_write_b64 v95, v[96:97]
.LBB46_231:
	s_or_b64 exec, exec, s[4:5]
	s_waitcnt lgkmcnt(0)
	; wave barrier
	buffer_load_dword v101, off, s[0:3], 0 offset:240
	buffer_load_dword v102, off, s[0:3], 0 offset:244
	buffer_load_dword v103, off, s[0:3], 0 offset:248
	buffer_load_dword v104, off, s[0:3], 0 offset:252
	buffer_load_dword v105, off, s[0:3], 0 offset:256
	buffer_load_dword v106, off, s[0:3], 0 offset:260
	buffer_load_dword v107, off, s[0:3], 0 offset:264
	buffer_load_dword v108, off, s[0:3], 0 offset:268
	buffer_load_dword v109, off, s[0:3], 0 offset:272
	buffer_load_dword v110, off, s[0:3], 0 offset:276
	buffer_load_dword v111, off, s[0:3], 0 offset:280
	buffer_load_dword v112, off, s[0:3], 0 offset:284
	buffer_load_dword v113, off, s[0:3], 0 offset:288
	buffer_load_dword v114, off, s[0:3], 0 offset:292
	buffer_load_dword v116, off, s[0:3], 0 offset:300
	buffer_load_dword v115, off, s[0:3], 0 offset:296
	buffer_load_dword v117, off, s[0:3], 0 offset:304
	buffer_load_dword v118, off, s[0:3], 0 offset:308
	buffer_load_dword v119, off, s[0:3], 0 offset:312
	buffer_load_dword v120, off, s[0:3], 0 offset:316
	v_mov_b32_e32 v96, 0
	ds_read_b128 v[97:100], v96 offset:624
	buffer_load_dword v121, off, s[0:3], 0 offset:320
	buffer_load_dword v122, off, s[0:3], 0 offset:324
	v_cmp_lt_u32_e32 vcc, 28, v0
	s_waitcnt vmcnt(20) lgkmcnt(0)
	v_fma_f64 v[97:98], v[101:102], v[97:98], 0
	buffer_load_dword v102, off, s[0:3], 0 offset:332
	buffer_load_dword v101, off, s[0:3], 0 offset:328
	s_waitcnt vmcnt(20)
	v_fma_f64 v[103:104], v[103:104], v[99:100], v[97:98]
	ds_read_b128 v[97:100], v96 offset:640
	buffer_load_dword v123, off, s[0:3], 0 offset:336
	buffer_load_dword v124, off, s[0:3], 0 offset:340
	s_waitcnt vmcnt(20) lgkmcnt(0)
	v_fma_f64 v[97:98], v[105:106], v[97:98], v[103:104]
	buffer_load_dword v103, off, s[0:3], 0 offset:344
	buffer_load_dword v104, off, s[0:3], 0 offset:348
	s_waitcnt vmcnt(20)
	v_fma_f64 v[105:106], v[107:108], v[99:100], v[97:98]
	ds_read_b128 v[97:100], v96 offset:656
	buffer_load_dword v107, off, s[0:3], 0 offset:352
	buffer_load_dword v108, off, s[0:3], 0 offset:356
	;; [unrolled: 9-line block ×3, first 2 shown]
	s_waitcnt vmcnt(20) lgkmcnt(0)
	v_fma_f64 v[97:98], v[113:114], v[97:98], v[109:110]
	buffer_load_dword v109, off, s[0:3], 0 offset:232
	buffer_load_dword v110, off, s[0:3], 0 offset:236
	s_waitcnt vmcnt(20)
	v_fma_f64 v[113:114], v[115:116], v[99:100], v[97:98]
	ds_read_b128 v[97:100], v96 offset:688
	s_waitcnt vmcnt(18) lgkmcnt(0)
	v_fma_f64 v[97:98], v[117:118], v[97:98], v[113:114]
	s_waitcnt vmcnt(16)
	v_fma_f64 v[113:114], v[119:120], v[99:100], v[97:98]
	ds_read_b128 v[97:100], v96 offset:704
	s_waitcnt vmcnt(14) lgkmcnt(0)
	v_fma_f64 v[97:98], v[121:122], v[97:98], v[113:114]
	;; [unrolled: 5-line block ×4, first 2 shown]
	s_waitcnt vmcnt(4)
	v_fma_f64 v[97:98], v[105:106], v[99:100], v[97:98]
	ds_read_b64 v[99:100], v96 offset:752
	s_waitcnt vmcnt(2) lgkmcnt(0)
	v_fma_f64 v[97:98], v[111:112], v[99:100], v[97:98]
	s_waitcnt vmcnt(0)
	v_add_f64 v[97:98], v[109:110], -v[97:98]
	buffer_store_dword v98, off, s[0:3], 0 offset:236
	buffer_store_dword v97, off, s[0:3], 0 offset:232
	s_and_saveexec_b64 s[4:5], vcc
	s_cbranch_execz .LBB46_233
; %bb.232:
	buffer_load_dword v97, off, s[0:3], 0 offset:224
	buffer_load_dword v98, off, s[0:3], 0 offset:228
	s_waitcnt vmcnt(0)
	ds_write_b64 v95, v[97:98]
	buffer_store_dword v96, off, s[0:3], 0 offset:224
	buffer_store_dword v96, off, s[0:3], 0 offset:228
.LBB46_233:
	s_or_b64 exec, exec, s[4:5]
	s_waitcnt lgkmcnt(0)
	; wave barrier
	buffer_load_dword v101, off, s[0:3], 0 offset:232
	buffer_load_dword v102, off, s[0:3], 0 offset:236
	;; [unrolled: 1-line block ×20, first 2 shown]
	ds_read2_b64 v[97:100], v96 offset0:77 offset1:78
	buffer_load_dword v121, off, s[0:3], 0 offset:312
	buffer_load_dword v122, off, s[0:3], 0 offset:316
	v_cmp_lt_u32_e32 vcc, 27, v0
	s_waitcnt vmcnt(20) lgkmcnt(0)
	v_fma_f64 v[97:98], v[101:102], v[97:98], 0
	buffer_load_dword v102, off, s[0:3], 0 offset:324
	buffer_load_dword v101, off, s[0:3], 0 offset:320
	s_waitcnt vmcnt(20)
	v_fma_f64 v[103:104], v[103:104], v[99:100], v[97:98]
	ds_read2_b64 v[97:100], v96 offset0:79 offset1:80
	buffer_load_dword v123, off, s[0:3], 0 offset:328
	buffer_load_dword v124, off, s[0:3], 0 offset:332
	s_waitcnt vmcnt(20) lgkmcnt(0)
	v_fma_f64 v[97:98], v[105:106], v[97:98], v[103:104]
	buffer_load_dword v103, off, s[0:3], 0 offset:336
	buffer_load_dword v104, off, s[0:3], 0 offset:340
	s_waitcnt vmcnt(20)
	v_fma_f64 v[105:106], v[107:108], v[99:100], v[97:98]
	ds_read2_b64 v[97:100], v96 offset0:81 offset1:82
	buffer_load_dword v107, off, s[0:3], 0 offset:344
	buffer_load_dword v108, off, s[0:3], 0 offset:348
	s_waitcnt vmcnt(20) lgkmcnt(0)
	v_fma_f64 v[97:98], v[109:110], v[97:98], v[105:106]
	buffer_load_dword v106, off, s[0:3], 0 offset:356
	buffer_load_dword v105, off, s[0:3], 0 offset:352
	s_waitcnt vmcnt(20)
	v_fma_f64 v[109:110], v[111:112], v[99:100], v[97:98]
	ds_read2_b64 v[97:100], v96 offset0:83 offset1:84
	buffer_load_dword v111, off, s[0:3], 0 offset:360
	buffer_load_dword v112, off, s[0:3], 0 offset:364
	s_waitcnt vmcnt(20) lgkmcnt(0)
	v_fma_f64 v[97:98], v[113:114], v[97:98], v[109:110]
	buffer_load_dword v109, off, s[0:3], 0 offset:368
	buffer_load_dword v110, off, s[0:3], 0 offset:372
	s_waitcnt vmcnt(20)
	v_fma_f64 v[113:114], v[115:116], v[99:100], v[97:98]
	ds_read2_b64 v[97:100], v96 offset0:85 offset1:86
	buffer_load_dword v115, off, s[0:3], 0 offset:224
	buffer_load_dword v116, off, s[0:3], 0 offset:228
	s_waitcnt vmcnt(20) lgkmcnt(0)
	v_fma_f64 v[97:98], v[117:118], v[97:98], v[113:114]
	s_waitcnt vmcnt(18)
	v_fma_f64 v[113:114], v[119:120], v[99:100], v[97:98]
	ds_read2_b64 v[97:100], v96 offset0:87 offset1:88
	s_waitcnt vmcnt(16) lgkmcnt(0)
	v_fma_f64 v[97:98], v[121:122], v[97:98], v[113:114]
	s_waitcnt vmcnt(14)
	v_fma_f64 v[101:102], v[101:102], v[99:100], v[97:98]
	ds_read2_b64 v[97:100], v96 offset0:89 offset1:90
	s_waitcnt vmcnt(12) lgkmcnt(0)
	v_fma_f64 v[97:98], v[123:124], v[97:98], v[101:102]
	s_waitcnt vmcnt(10)
	v_fma_f64 v[101:102], v[103:104], v[99:100], v[97:98]
	ds_read2_b64 v[97:100], v96 offset0:91 offset1:92
	s_waitcnt vmcnt(8) lgkmcnt(0)
	v_fma_f64 v[97:98], v[107:108], v[97:98], v[101:102]
	s_waitcnt vmcnt(6)
	v_fma_f64 v[100:101], v[105:106], v[99:100], v[97:98]
	ds_read2_b64 v[96:99], v96 offset0:93 offset1:94
	s_waitcnt vmcnt(4) lgkmcnt(0)
	v_fma_f64 v[96:97], v[111:112], v[96:97], v[100:101]
	s_waitcnt vmcnt(2)
	v_fma_f64 v[96:97], v[109:110], v[98:99], v[96:97]
	s_waitcnt vmcnt(0)
	v_add_f64 v[96:97], v[115:116], -v[96:97]
	buffer_store_dword v97, off, s[0:3], 0 offset:228
	buffer_store_dword v96, off, s[0:3], 0 offset:224
	s_and_saveexec_b64 s[4:5], vcc
	s_cbranch_execz .LBB46_235
; %bb.234:
	buffer_load_dword v96, off, s[0:3], 0 offset:216
	buffer_load_dword v97, off, s[0:3], 0 offset:220
	v_mov_b32_e32 v98, 0
	buffer_store_dword v98, off, s[0:3], 0 offset:216
	buffer_store_dword v98, off, s[0:3], 0 offset:220
	s_waitcnt vmcnt(2)
	ds_write_b64 v95, v[96:97]
.LBB46_235:
	s_or_b64 exec, exec, s[4:5]
	s_waitcnt lgkmcnt(0)
	; wave barrier
	buffer_load_dword v101, off, s[0:3], 0 offset:224
	buffer_load_dword v102, off, s[0:3], 0 offset:228
	;; [unrolled: 1-line block ×20, first 2 shown]
	v_mov_b32_e32 v96, 0
	ds_read_b128 v[97:100], v96 offset:608
	buffer_load_dword v121, off, s[0:3], 0 offset:304
	buffer_load_dword v122, off, s[0:3], 0 offset:308
	v_cmp_lt_u32_e32 vcc, 26, v0
	s_waitcnt vmcnt(20) lgkmcnt(0)
	v_fma_f64 v[97:98], v[101:102], v[97:98], 0
	buffer_load_dword v102, off, s[0:3], 0 offset:316
	buffer_load_dword v101, off, s[0:3], 0 offset:312
	s_waitcnt vmcnt(20)
	v_fma_f64 v[103:104], v[103:104], v[99:100], v[97:98]
	ds_read_b128 v[97:100], v96 offset:624
	buffer_load_dword v123, off, s[0:3], 0 offset:320
	buffer_load_dword v124, off, s[0:3], 0 offset:324
	s_waitcnt vmcnt(20) lgkmcnt(0)
	v_fma_f64 v[97:98], v[105:106], v[97:98], v[103:104]
	buffer_load_dword v103, off, s[0:3], 0 offset:328
	buffer_load_dword v104, off, s[0:3], 0 offset:332
	s_waitcnt vmcnt(20)
	v_fma_f64 v[105:106], v[107:108], v[99:100], v[97:98]
	ds_read_b128 v[97:100], v96 offset:640
	buffer_load_dword v107, off, s[0:3], 0 offset:336
	buffer_load_dword v108, off, s[0:3], 0 offset:340
	;; [unrolled: 9-line block ×4, first 2 shown]
	s_waitcnt vmcnt(20) lgkmcnt(0)
	v_fma_f64 v[97:98], v[117:118], v[97:98], v[113:114]
	buffer_load_dword v113, off, s[0:3], 0 offset:216
	buffer_load_dword v114, off, s[0:3], 0 offset:220
	s_waitcnt vmcnt(20)
	v_fma_f64 v[117:118], v[119:120], v[99:100], v[97:98]
	ds_read_b128 v[97:100], v96 offset:688
	s_waitcnt vmcnt(18) lgkmcnt(0)
	v_fma_f64 v[97:98], v[121:122], v[97:98], v[117:118]
	s_waitcnt vmcnt(16)
	v_fma_f64 v[101:102], v[101:102], v[99:100], v[97:98]
	ds_read_b128 v[97:100], v96 offset:704
	s_waitcnt vmcnt(14) lgkmcnt(0)
	v_fma_f64 v[97:98], v[123:124], v[97:98], v[101:102]
	;; [unrolled: 5-line block ×4, first 2 shown]
	s_waitcnt vmcnt(4)
	v_fma_f64 v[97:98], v[109:110], v[99:100], v[97:98]
	ds_read_b64 v[99:100], v96 offset:752
	s_waitcnt vmcnt(2) lgkmcnt(0)
	v_fma_f64 v[97:98], v[115:116], v[99:100], v[97:98]
	s_waitcnt vmcnt(0)
	v_add_f64 v[97:98], v[113:114], -v[97:98]
	buffer_store_dword v98, off, s[0:3], 0 offset:220
	buffer_store_dword v97, off, s[0:3], 0 offset:216
	s_and_saveexec_b64 s[4:5], vcc
	s_cbranch_execz .LBB46_237
; %bb.236:
	buffer_load_dword v97, off, s[0:3], 0 offset:208
	buffer_load_dword v98, off, s[0:3], 0 offset:212
	s_waitcnt vmcnt(0)
	ds_write_b64 v95, v[97:98]
	buffer_store_dword v96, off, s[0:3], 0 offset:208
	buffer_store_dword v96, off, s[0:3], 0 offset:212
.LBB46_237:
	s_or_b64 exec, exec, s[4:5]
	s_waitcnt lgkmcnt(0)
	; wave barrier
	buffer_load_dword v101, off, s[0:3], 0 offset:216
	buffer_load_dword v102, off, s[0:3], 0 offset:220
	buffer_load_dword v103, off, s[0:3], 0 offset:224
	buffer_load_dword v104, off, s[0:3], 0 offset:228
	buffer_load_dword v105, off, s[0:3], 0 offset:232
	buffer_load_dword v106, off, s[0:3], 0 offset:236
	buffer_load_dword v107, off, s[0:3], 0 offset:240
	buffer_load_dword v108, off, s[0:3], 0 offset:244
	buffer_load_dword v109, off, s[0:3], 0 offset:248
	buffer_load_dword v110, off, s[0:3], 0 offset:252
	buffer_load_dword v111, off, s[0:3], 0 offset:256
	buffer_load_dword v112, off, s[0:3], 0 offset:260
	buffer_load_dword v113, off, s[0:3], 0 offset:264
	buffer_load_dword v114, off, s[0:3], 0 offset:268
	buffer_load_dword v116, off, s[0:3], 0 offset:276
	buffer_load_dword v115, off, s[0:3], 0 offset:272
	buffer_load_dword v117, off, s[0:3], 0 offset:280
	buffer_load_dword v118, off, s[0:3], 0 offset:284
	buffer_load_dword v119, off, s[0:3], 0 offset:288
	buffer_load_dword v120, off, s[0:3], 0 offset:292
	ds_read2_b64 v[97:100], v96 offset0:75 offset1:76
	buffer_load_dword v121, off, s[0:3], 0 offset:296
	buffer_load_dword v122, off, s[0:3], 0 offset:300
	v_cmp_lt_u32_e32 vcc, 25, v0
	s_waitcnt vmcnt(20) lgkmcnt(0)
	v_fma_f64 v[97:98], v[101:102], v[97:98], 0
	buffer_load_dword v102, off, s[0:3], 0 offset:308
	buffer_load_dword v101, off, s[0:3], 0 offset:304
	s_waitcnt vmcnt(20)
	v_fma_f64 v[103:104], v[103:104], v[99:100], v[97:98]
	ds_read2_b64 v[97:100], v96 offset0:77 offset1:78
	buffer_load_dword v123, off, s[0:3], 0 offset:312
	buffer_load_dword v124, off, s[0:3], 0 offset:316
	s_waitcnt vmcnt(20) lgkmcnt(0)
	v_fma_f64 v[97:98], v[105:106], v[97:98], v[103:104]
	buffer_load_dword v103, off, s[0:3], 0 offset:320
	buffer_load_dword v104, off, s[0:3], 0 offset:324
	s_waitcnt vmcnt(20)
	v_fma_f64 v[105:106], v[107:108], v[99:100], v[97:98]
	ds_read2_b64 v[97:100], v96 offset0:79 offset1:80
	buffer_load_dword v107, off, s[0:3], 0 offset:328
	buffer_load_dword v108, off, s[0:3], 0 offset:332
	;; [unrolled: 9-line block ×5, first 2 shown]
	s_waitcnt vmcnt(20) lgkmcnt(0)
	v_fma_f64 v[97:98], v[121:122], v[97:98], v[117:118]
	s_waitcnt vmcnt(18)
	v_fma_f64 v[101:102], v[101:102], v[99:100], v[97:98]
	ds_read2_b64 v[97:100], v96 offset0:87 offset1:88
	s_waitcnt vmcnt(16) lgkmcnt(0)
	v_fma_f64 v[97:98], v[123:124], v[97:98], v[101:102]
	s_waitcnt vmcnt(14)
	v_fma_f64 v[101:102], v[103:104], v[99:100], v[97:98]
	ds_read2_b64 v[97:100], v96 offset0:89 offset1:90
	;; [unrolled: 5-line block ×4, first 2 shown]
	s_waitcnt vmcnt(4) lgkmcnt(0)
	v_fma_f64 v[96:97], v[115:116], v[96:97], v[100:101]
	s_waitcnt vmcnt(2)
	v_fma_f64 v[96:97], v[113:114], v[98:99], v[96:97]
	s_waitcnt vmcnt(0)
	v_add_f64 v[96:97], v[119:120], -v[96:97]
	buffer_store_dword v97, off, s[0:3], 0 offset:212
	buffer_store_dword v96, off, s[0:3], 0 offset:208
	s_and_saveexec_b64 s[4:5], vcc
	s_cbranch_execz .LBB46_239
; %bb.238:
	buffer_load_dword v96, off, s[0:3], 0 offset:200
	buffer_load_dword v97, off, s[0:3], 0 offset:204
	v_mov_b32_e32 v98, 0
	buffer_store_dword v98, off, s[0:3], 0 offset:200
	buffer_store_dword v98, off, s[0:3], 0 offset:204
	s_waitcnt vmcnt(2)
	ds_write_b64 v95, v[96:97]
.LBB46_239:
	s_or_b64 exec, exec, s[4:5]
	s_waitcnt lgkmcnt(0)
	; wave barrier
	buffer_load_dword v101, off, s[0:3], 0 offset:208
	buffer_load_dword v102, off, s[0:3], 0 offset:212
	;; [unrolled: 1-line block ×20, first 2 shown]
	v_mov_b32_e32 v96, 0
	ds_read_b128 v[97:100], v96 offset:592
	buffer_load_dword v121, off, s[0:3], 0 offset:288
	buffer_load_dword v122, off, s[0:3], 0 offset:292
	v_cmp_lt_u32_e32 vcc, 24, v0
	s_waitcnt vmcnt(20) lgkmcnt(0)
	v_fma_f64 v[97:98], v[101:102], v[97:98], 0
	buffer_load_dword v102, off, s[0:3], 0 offset:300
	buffer_load_dword v101, off, s[0:3], 0 offset:296
	s_waitcnt vmcnt(20)
	v_fma_f64 v[103:104], v[103:104], v[99:100], v[97:98]
	ds_read_b128 v[97:100], v96 offset:608
	buffer_load_dword v123, off, s[0:3], 0 offset:304
	buffer_load_dword v124, off, s[0:3], 0 offset:308
	s_waitcnt vmcnt(20) lgkmcnt(0)
	v_fma_f64 v[97:98], v[105:106], v[97:98], v[103:104]
	buffer_load_dword v103, off, s[0:3], 0 offset:312
	buffer_load_dword v104, off, s[0:3], 0 offset:316
	s_waitcnt vmcnt(20)
	v_fma_f64 v[105:106], v[107:108], v[99:100], v[97:98]
	ds_read_b128 v[97:100], v96 offset:624
	buffer_load_dword v107, off, s[0:3], 0 offset:320
	buffer_load_dword v108, off, s[0:3], 0 offset:324
	;; [unrolled: 9-line block ×5, first 2 shown]
	s_waitcnt vmcnt(20) lgkmcnt(0)
	v_fma_f64 v[97:98], v[121:122], v[97:98], v[117:118]
	buffer_load_dword v117, off, s[0:3], 0 offset:200
	buffer_load_dword v118, off, s[0:3], 0 offset:204
	s_waitcnt vmcnt(20)
	v_fma_f64 v[101:102], v[101:102], v[99:100], v[97:98]
	ds_read_b128 v[97:100], v96 offset:688
	s_waitcnt vmcnt(18) lgkmcnt(0)
	v_fma_f64 v[97:98], v[123:124], v[97:98], v[101:102]
	s_waitcnt vmcnt(16)
	v_fma_f64 v[101:102], v[103:104], v[99:100], v[97:98]
	ds_read_b128 v[97:100], v96 offset:704
	s_waitcnt vmcnt(14) lgkmcnt(0)
	v_fma_f64 v[97:98], v[107:108], v[97:98], v[101:102]
	;; [unrolled: 5-line block ×4, first 2 shown]
	s_waitcnt vmcnt(4)
	v_fma_f64 v[97:98], v[113:114], v[99:100], v[97:98]
	ds_read_b64 v[99:100], v96 offset:752
	s_waitcnt vmcnt(2) lgkmcnt(0)
	v_fma_f64 v[97:98], v[119:120], v[99:100], v[97:98]
	s_waitcnt vmcnt(0)
	v_add_f64 v[97:98], v[117:118], -v[97:98]
	buffer_store_dword v98, off, s[0:3], 0 offset:204
	buffer_store_dword v97, off, s[0:3], 0 offset:200
	s_and_saveexec_b64 s[4:5], vcc
	s_cbranch_execz .LBB46_241
; %bb.240:
	buffer_load_dword v97, off, s[0:3], 0 offset:192
	buffer_load_dword v98, off, s[0:3], 0 offset:196
	s_waitcnt vmcnt(0)
	ds_write_b64 v95, v[97:98]
	buffer_store_dword v96, off, s[0:3], 0 offset:192
	buffer_store_dword v96, off, s[0:3], 0 offset:196
.LBB46_241:
	s_or_b64 exec, exec, s[4:5]
	s_waitcnt lgkmcnt(0)
	; wave barrier
	buffer_load_dword v101, off, s[0:3], 0 offset:200
	buffer_load_dword v102, off, s[0:3], 0 offset:204
	;; [unrolled: 1-line block ×20, first 2 shown]
	ds_read2_b64 v[97:100], v96 offset0:73 offset1:74
	buffer_load_dword v121, off, s[0:3], 0 offset:280
	buffer_load_dword v122, off, s[0:3], 0 offset:284
	v_cmp_lt_u32_e32 vcc, 23, v0
	s_waitcnt vmcnt(20) lgkmcnt(0)
	v_fma_f64 v[97:98], v[101:102], v[97:98], 0
	buffer_load_dword v102, off, s[0:3], 0 offset:292
	buffer_load_dword v101, off, s[0:3], 0 offset:288
	s_waitcnt vmcnt(20)
	v_fma_f64 v[103:104], v[103:104], v[99:100], v[97:98]
	ds_read2_b64 v[97:100], v96 offset0:75 offset1:76
	buffer_load_dword v123, off, s[0:3], 0 offset:296
	buffer_load_dword v124, off, s[0:3], 0 offset:300
	s_waitcnt vmcnt(20) lgkmcnt(0)
	v_fma_f64 v[97:98], v[105:106], v[97:98], v[103:104]
	buffer_load_dword v103, off, s[0:3], 0 offset:304
	buffer_load_dword v104, off, s[0:3], 0 offset:308
	s_waitcnt vmcnt(20)
	v_fma_f64 v[105:106], v[107:108], v[99:100], v[97:98]
	ds_read2_b64 v[97:100], v96 offset0:77 offset1:78
	buffer_load_dword v107, off, s[0:3], 0 offset:312
	buffer_load_dword v108, off, s[0:3], 0 offset:316
	;; [unrolled: 9-line block ×6, first 2 shown]
	s_waitcnt vmcnt(20) lgkmcnt(0)
	v_fma_f64 v[97:98], v[123:124], v[97:98], v[101:102]
	s_waitcnt vmcnt(18)
	v_fma_f64 v[101:102], v[103:104], v[99:100], v[97:98]
	ds_read2_b64 v[97:100], v96 offset0:87 offset1:88
	s_waitcnt vmcnt(16) lgkmcnt(0)
	v_fma_f64 v[97:98], v[107:108], v[97:98], v[101:102]
	s_waitcnt vmcnt(14)
	v_fma_f64 v[101:102], v[105:106], v[99:100], v[97:98]
	ds_read2_b64 v[97:100], v96 offset0:89 offset1:90
	;; [unrolled: 5-line block ×4, first 2 shown]
	s_waitcnt vmcnt(4) lgkmcnt(0)
	v_fma_f64 v[96:97], v[119:120], v[96:97], v[100:101]
	s_waitcnt vmcnt(2)
	v_fma_f64 v[96:97], v[117:118], v[98:99], v[96:97]
	s_waitcnt vmcnt(0)
	v_add_f64 v[96:97], v[121:122], -v[96:97]
	buffer_store_dword v97, off, s[0:3], 0 offset:196
	buffer_store_dword v96, off, s[0:3], 0 offset:192
	s_and_saveexec_b64 s[4:5], vcc
	s_cbranch_execz .LBB46_243
; %bb.242:
	buffer_load_dword v96, off, s[0:3], 0 offset:184
	buffer_load_dword v97, off, s[0:3], 0 offset:188
	v_mov_b32_e32 v98, 0
	buffer_store_dword v98, off, s[0:3], 0 offset:184
	buffer_store_dword v98, off, s[0:3], 0 offset:188
	s_waitcnt vmcnt(2)
	ds_write_b64 v95, v[96:97]
.LBB46_243:
	s_or_b64 exec, exec, s[4:5]
	s_waitcnt lgkmcnt(0)
	; wave barrier
	buffer_load_dword v101, off, s[0:3], 0 offset:192
	buffer_load_dword v102, off, s[0:3], 0 offset:196
	;; [unrolled: 1-line block ×20, first 2 shown]
	v_mov_b32_e32 v96, 0
	ds_read_b128 v[97:100], v96 offset:576
	buffer_load_dword v121, off, s[0:3], 0 offset:272
	buffer_load_dword v122, off, s[0:3], 0 offset:276
	v_cmp_lt_u32_e32 vcc, 22, v0
	s_waitcnt vmcnt(20) lgkmcnt(0)
	v_fma_f64 v[97:98], v[101:102], v[97:98], 0
	buffer_load_dword v102, off, s[0:3], 0 offset:284
	buffer_load_dword v101, off, s[0:3], 0 offset:280
	s_waitcnt vmcnt(20)
	v_fma_f64 v[103:104], v[103:104], v[99:100], v[97:98]
	ds_read_b128 v[97:100], v96 offset:592
	buffer_load_dword v123, off, s[0:3], 0 offset:288
	buffer_load_dword v124, off, s[0:3], 0 offset:292
	s_waitcnt vmcnt(20) lgkmcnt(0)
	v_fma_f64 v[97:98], v[105:106], v[97:98], v[103:104]
	buffer_load_dword v103, off, s[0:3], 0 offset:296
	buffer_load_dword v104, off, s[0:3], 0 offset:300
	s_waitcnt vmcnt(20)
	v_fma_f64 v[105:106], v[107:108], v[99:100], v[97:98]
	ds_read_b128 v[97:100], v96 offset:608
	buffer_load_dword v107, off, s[0:3], 0 offset:304
	buffer_load_dword v108, off, s[0:3], 0 offset:308
	;; [unrolled: 9-line block ×6, first 2 shown]
	s_waitcnt vmcnt(20) lgkmcnt(0)
	v_fma_f64 v[97:98], v[123:124], v[97:98], v[101:102]
	buffer_load_dword v101, off, s[0:3], 0 offset:184
	buffer_load_dword v102, off, s[0:3], 0 offset:188
	s_waitcnt vmcnt(20)
	v_fma_f64 v[103:104], v[103:104], v[99:100], v[97:98]
	ds_read_b128 v[97:100], v96 offset:688
	s_waitcnt vmcnt(18) lgkmcnt(0)
	v_fma_f64 v[97:98], v[107:108], v[97:98], v[103:104]
	s_waitcnt vmcnt(16)
	v_fma_f64 v[103:104], v[105:106], v[99:100], v[97:98]
	ds_read_b128 v[97:100], v96 offset:704
	s_waitcnt vmcnt(14) lgkmcnt(0)
	v_fma_f64 v[97:98], v[111:112], v[97:98], v[103:104]
	s_waitcnt vmcnt(12)
	v_fma_f64 v[103:104], v[109:110], v[99:100], v[97:98]
	ds_read_b128 v[97:100], v96 offset:720
	s_waitcnt vmcnt(10) lgkmcnt(0)
	v_fma_f64 v[97:98], v[115:116], v[97:98], v[103:104]
	s_waitcnt vmcnt(8)
	v_fma_f64 v[103:104], v[113:114], v[99:100], v[97:98]
	ds_read_b128 v[97:100], v96 offset:736
	s_waitcnt vmcnt(6) lgkmcnt(0)
	v_fma_f64 v[97:98], v[119:120], v[97:98], v[103:104]
	s_waitcnt vmcnt(4)
	v_fma_f64 v[97:98], v[117:118], v[99:100], v[97:98]
	ds_read_b64 v[99:100], v96 offset:752
	s_waitcnt vmcnt(2) lgkmcnt(0)
	v_fma_f64 v[97:98], v[121:122], v[99:100], v[97:98]
	s_waitcnt vmcnt(0)
	v_add_f64 v[97:98], v[101:102], -v[97:98]
	buffer_store_dword v98, off, s[0:3], 0 offset:188
	buffer_store_dword v97, off, s[0:3], 0 offset:184
	s_and_saveexec_b64 s[4:5], vcc
	s_cbranch_execz .LBB46_245
; %bb.244:
	buffer_load_dword v97, off, s[0:3], 0 offset:176
	buffer_load_dword v98, off, s[0:3], 0 offset:180
	s_waitcnt vmcnt(0)
	ds_write_b64 v95, v[97:98]
	buffer_store_dword v96, off, s[0:3], 0 offset:176
	buffer_store_dword v96, off, s[0:3], 0 offset:180
.LBB46_245:
	s_or_b64 exec, exec, s[4:5]
	s_waitcnt lgkmcnt(0)
	; wave barrier
	buffer_load_dword v101, off, s[0:3], 0 offset:184
	buffer_load_dword v102, off, s[0:3], 0 offset:188
	;; [unrolled: 1-line block ×20, first 2 shown]
	ds_read2_b64 v[97:100], v96 offset0:71 offset1:72
	buffer_load_dword v121, off, s[0:3], 0 offset:264
	buffer_load_dword v122, off, s[0:3], 0 offset:268
	v_cmp_lt_u32_e32 vcc, 21, v0
	s_waitcnt vmcnt(20) lgkmcnt(0)
	v_fma_f64 v[97:98], v[101:102], v[97:98], 0
	buffer_load_dword v102, off, s[0:3], 0 offset:276
	buffer_load_dword v101, off, s[0:3], 0 offset:272
	s_waitcnt vmcnt(20)
	v_fma_f64 v[103:104], v[103:104], v[99:100], v[97:98]
	ds_read2_b64 v[97:100], v96 offset0:73 offset1:74
	buffer_load_dword v123, off, s[0:3], 0 offset:280
	buffer_load_dword v124, off, s[0:3], 0 offset:284
	s_waitcnt vmcnt(20) lgkmcnt(0)
	v_fma_f64 v[97:98], v[105:106], v[97:98], v[103:104]
	buffer_load_dword v103, off, s[0:3], 0 offset:288
	buffer_load_dword v104, off, s[0:3], 0 offset:292
	s_waitcnt vmcnt(20)
	v_fma_f64 v[105:106], v[107:108], v[99:100], v[97:98]
	ds_read2_b64 v[97:100], v96 offset0:75 offset1:76
	buffer_load_dword v107, off, s[0:3], 0 offset:296
	buffer_load_dword v108, off, s[0:3], 0 offset:300
	;; [unrolled: 9-line block ×7, first 2 shown]
	s_waitcnt vmcnt(20) lgkmcnt(0)
	v_fma_f64 v[97:98], v[107:108], v[97:98], v[103:104]
	s_waitcnt vmcnt(18)
	v_fma_f64 v[103:104], v[105:106], v[99:100], v[97:98]
	ds_read2_b64 v[97:100], v96 offset0:87 offset1:88
	s_waitcnt vmcnt(16) lgkmcnt(0)
	v_fma_f64 v[97:98], v[111:112], v[97:98], v[103:104]
	s_waitcnt vmcnt(14)
	v_fma_f64 v[103:104], v[109:110], v[99:100], v[97:98]
	ds_read2_b64 v[97:100], v96 offset0:89 offset1:90
	;; [unrolled: 5-line block ×4, first 2 shown]
	s_waitcnt vmcnt(4) lgkmcnt(0)
	v_fma_f64 v[96:97], v[121:122], v[96:97], v[103:104]
	s_waitcnt vmcnt(2)
	v_fma_f64 v[96:97], v[101:102], v[98:99], v[96:97]
	s_waitcnt vmcnt(0)
	v_add_f64 v[96:97], v[123:124], -v[96:97]
	buffer_store_dword v97, off, s[0:3], 0 offset:180
	buffer_store_dword v96, off, s[0:3], 0 offset:176
	s_and_saveexec_b64 s[4:5], vcc
	s_cbranch_execz .LBB46_247
; %bb.246:
	buffer_load_dword v96, off, s[0:3], 0 offset:168
	buffer_load_dword v97, off, s[0:3], 0 offset:172
	v_mov_b32_e32 v98, 0
	buffer_store_dword v98, off, s[0:3], 0 offset:168
	buffer_store_dword v98, off, s[0:3], 0 offset:172
	s_waitcnt vmcnt(2)
	ds_write_b64 v95, v[96:97]
.LBB46_247:
	s_or_b64 exec, exec, s[4:5]
	s_waitcnt lgkmcnt(0)
	; wave barrier
	buffer_load_dword v101, off, s[0:3], 0 offset:176
	buffer_load_dword v102, off, s[0:3], 0 offset:180
	;; [unrolled: 1-line block ×20, first 2 shown]
	v_mov_b32_e32 v96, 0
	ds_read_b128 v[97:100], v96 offset:560
	buffer_load_dword v121, off, s[0:3], 0 offset:256
	buffer_load_dword v122, off, s[0:3], 0 offset:260
	v_cmp_lt_u32_e32 vcc, 20, v0
	s_waitcnt vmcnt(20) lgkmcnt(0)
	v_fma_f64 v[97:98], v[101:102], v[97:98], 0
	buffer_load_dword v102, off, s[0:3], 0 offset:268
	buffer_load_dword v101, off, s[0:3], 0 offset:264
	s_waitcnt vmcnt(20)
	v_fma_f64 v[103:104], v[103:104], v[99:100], v[97:98]
	ds_read_b128 v[97:100], v96 offset:576
	buffer_load_dword v123, off, s[0:3], 0 offset:272
	buffer_load_dword v124, off, s[0:3], 0 offset:276
	s_waitcnt vmcnt(20) lgkmcnt(0)
	v_fma_f64 v[97:98], v[105:106], v[97:98], v[103:104]
	buffer_load_dword v103, off, s[0:3], 0 offset:280
	buffer_load_dword v104, off, s[0:3], 0 offset:284
	s_waitcnt vmcnt(20)
	v_fma_f64 v[105:106], v[107:108], v[99:100], v[97:98]
	ds_read_b128 v[97:100], v96 offset:592
	buffer_load_dword v107, off, s[0:3], 0 offset:288
	buffer_load_dword v108, off, s[0:3], 0 offset:292
	;; [unrolled: 9-line block ×7, first 2 shown]
	s_waitcnt vmcnt(20) lgkmcnt(0)
	v_fma_f64 v[97:98], v[107:108], v[97:98], v[103:104]
	buffer_load_dword v103, off, s[0:3], 0 offset:168
	buffer_load_dword v104, off, s[0:3], 0 offset:172
	s_waitcnt vmcnt(20)
	v_fma_f64 v[105:106], v[105:106], v[99:100], v[97:98]
	ds_read_b128 v[97:100], v96 offset:688
	s_waitcnt vmcnt(18) lgkmcnt(0)
	v_fma_f64 v[97:98], v[111:112], v[97:98], v[105:106]
	s_waitcnt vmcnt(16)
	v_fma_f64 v[105:106], v[109:110], v[99:100], v[97:98]
	ds_read_b128 v[97:100], v96 offset:704
	s_waitcnt vmcnt(14) lgkmcnt(0)
	v_fma_f64 v[97:98], v[115:116], v[97:98], v[105:106]
	;; [unrolled: 5-line block ×4, first 2 shown]
	s_waitcnt vmcnt(4)
	v_fma_f64 v[97:98], v[101:102], v[99:100], v[97:98]
	ds_read_b64 v[99:100], v96 offset:752
	s_waitcnt vmcnt(2) lgkmcnt(0)
	v_fma_f64 v[97:98], v[123:124], v[99:100], v[97:98]
	s_waitcnt vmcnt(0)
	v_add_f64 v[97:98], v[103:104], -v[97:98]
	buffer_store_dword v98, off, s[0:3], 0 offset:172
	buffer_store_dword v97, off, s[0:3], 0 offset:168
	s_and_saveexec_b64 s[4:5], vcc
	s_cbranch_execz .LBB46_249
; %bb.248:
	buffer_load_dword v97, off, s[0:3], 0 offset:160
	buffer_load_dword v98, off, s[0:3], 0 offset:164
	s_waitcnt vmcnt(0)
	ds_write_b64 v95, v[97:98]
	buffer_store_dword v96, off, s[0:3], 0 offset:160
	buffer_store_dword v96, off, s[0:3], 0 offset:164
.LBB46_249:
	s_or_b64 exec, exec, s[4:5]
	s_waitcnt lgkmcnt(0)
	; wave barrier
	buffer_load_dword v101, off, s[0:3], 0 offset:168
	buffer_load_dword v102, off, s[0:3], 0 offset:172
	buffer_load_dword v103, off, s[0:3], 0 offset:176
	buffer_load_dword v104, off, s[0:3], 0 offset:180
	buffer_load_dword v105, off, s[0:3], 0 offset:184
	buffer_load_dword v106, off, s[0:3], 0 offset:188
	buffer_load_dword v107, off, s[0:3], 0 offset:192
	buffer_load_dword v108, off, s[0:3], 0 offset:196
	buffer_load_dword v109, off, s[0:3], 0 offset:200
	buffer_load_dword v110, off, s[0:3], 0 offset:204
	buffer_load_dword v111, off, s[0:3], 0 offset:208
	buffer_load_dword v112, off, s[0:3], 0 offset:212
	buffer_load_dword v113, off, s[0:3], 0 offset:216
	buffer_load_dword v114, off, s[0:3], 0 offset:220
	buffer_load_dword v116, off, s[0:3], 0 offset:228
	buffer_load_dword v115, off, s[0:3], 0 offset:224
	buffer_load_dword v117, off, s[0:3], 0 offset:232
	buffer_load_dword v118, off, s[0:3], 0 offset:236
	buffer_load_dword v119, off, s[0:3], 0 offset:240
	buffer_load_dword v120, off, s[0:3], 0 offset:244
	ds_read2_b64 v[97:100], v96 offset0:69 offset1:70
	buffer_load_dword v121, off, s[0:3], 0 offset:248
	buffer_load_dword v122, off, s[0:3], 0 offset:252
	v_cmp_lt_u32_e32 vcc, 19, v0
	s_waitcnt vmcnt(20) lgkmcnt(0)
	v_fma_f64 v[97:98], v[101:102], v[97:98], 0
	buffer_load_dword v102, off, s[0:3], 0 offset:260
	buffer_load_dword v101, off, s[0:3], 0 offset:256
	s_waitcnt vmcnt(20)
	v_fma_f64 v[103:104], v[103:104], v[99:100], v[97:98]
	ds_read2_b64 v[97:100], v96 offset0:71 offset1:72
	buffer_load_dword v123, off, s[0:3], 0 offset:264
	buffer_load_dword v124, off, s[0:3], 0 offset:268
	s_waitcnt vmcnt(20) lgkmcnt(0)
	v_fma_f64 v[97:98], v[105:106], v[97:98], v[103:104]
	buffer_load_dword v103, off, s[0:3], 0 offset:272
	buffer_load_dword v104, off, s[0:3], 0 offset:276
	s_waitcnt vmcnt(20)
	v_fma_f64 v[105:106], v[107:108], v[99:100], v[97:98]
	ds_read2_b64 v[97:100], v96 offset0:73 offset1:74
	buffer_load_dword v107, off, s[0:3], 0 offset:280
	buffer_load_dword v108, off, s[0:3], 0 offset:284
	;; [unrolled: 9-line block ×8, first 2 shown]
	s_waitcnt vmcnt(20) lgkmcnt(0)
	v_fma_f64 v[97:98], v[111:112], v[97:98], v[105:106]
	s_waitcnt vmcnt(18)
	v_fma_f64 v[105:106], v[109:110], v[99:100], v[97:98]
	ds_read2_b64 v[97:100], v96 offset0:87 offset1:88
	s_waitcnt vmcnt(16) lgkmcnt(0)
	v_fma_f64 v[97:98], v[115:116], v[97:98], v[105:106]
	s_waitcnt vmcnt(14)
	v_fma_f64 v[105:106], v[113:114], v[99:100], v[97:98]
	ds_read2_b64 v[97:100], v96 offset0:89 offset1:90
	;; [unrolled: 5-line block ×4, first 2 shown]
	s_waitcnt vmcnt(4) lgkmcnt(0)
	v_fma_f64 v[96:97], v[123:124], v[96:97], v[100:101]
	s_waitcnt vmcnt(2)
	v_fma_f64 v[96:97], v[103:104], v[98:99], v[96:97]
	s_waitcnt vmcnt(0)
	v_add_f64 v[96:97], v[107:108], -v[96:97]
	buffer_store_dword v97, off, s[0:3], 0 offset:164
	buffer_store_dword v96, off, s[0:3], 0 offset:160
	s_and_saveexec_b64 s[4:5], vcc
	s_cbranch_execz .LBB46_251
; %bb.250:
	buffer_load_dword v96, off, s[0:3], 0 offset:152
	buffer_load_dword v97, off, s[0:3], 0 offset:156
	v_mov_b32_e32 v98, 0
	buffer_store_dword v98, off, s[0:3], 0 offset:152
	buffer_store_dword v98, off, s[0:3], 0 offset:156
	s_waitcnt vmcnt(2)
	ds_write_b64 v95, v[96:97]
.LBB46_251:
	s_or_b64 exec, exec, s[4:5]
	s_waitcnt lgkmcnt(0)
	; wave barrier
	buffer_load_dword v101, off, s[0:3], 0 offset:160
	buffer_load_dword v102, off, s[0:3], 0 offset:164
	;; [unrolled: 1-line block ×20, first 2 shown]
	v_mov_b32_e32 v96, 0
	ds_read_b128 v[97:100], v96 offset:544
	buffer_load_dword v121, off, s[0:3], 0 offset:240
	buffer_load_dword v122, off, s[0:3], 0 offset:244
	v_cmp_lt_u32_e32 vcc, 18, v0
	s_waitcnt vmcnt(20) lgkmcnt(0)
	v_fma_f64 v[97:98], v[101:102], v[97:98], 0
	buffer_load_dword v102, off, s[0:3], 0 offset:252
	buffer_load_dword v101, off, s[0:3], 0 offset:248
	s_waitcnt vmcnt(20)
	v_fma_f64 v[103:104], v[103:104], v[99:100], v[97:98]
	ds_read_b128 v[97:100], v96 offset:560
	buffer_load_dword v123, off, s[0:3], 0 offset:256
	buffer_load_dword v124, off, s[0:3], 0 offset:260
	s_waitcnt vmcnt(20) lgkmcnt(0)
	v_fma_f64 v[97:98], v[105:106], v[97:98], v[103:104]
	buffer_load_dword v103, off, s[0:3], 0 offset:264
	buffer_load_dword v104, off, s[0:3], 0 offset:268
	s_waitcnt vmcnt(20)
	v_fma_f64 v[105:106], v[107:108], v[99:100], v[97:98]
	ds_read_b128 v[97:100], v96 offset:576
	buffer_load_dword v107, off, s[0:3], 0 offset:272
	buffer_load_dword v108, off, s[0:3], 0 offset:276
	;; [unrolled: 9-line block ×8, first 2 shown]
	s_waitcnt vmcnt(20) lgkmcnt(0)
	v_fma_f64 v[97:98], v[111:112], v[97:98], v[105:106]
	buffer_load_dword v105, off, s[0:3], 0 offset:152
	buffer_load_dword v106, off, s[0:3], 0 offset:156
	s_waitcnt vmcnt(20)
	v_fma_f64 v[109:110], v[109:110], v[99:100], v[97:98]
	ds_read_b128 v[97:100], v96 offset:688
	s_waitcnt vmcnt(18) lgkmcnt(0)
	v_fma_f64 v[97:98], v[115:116], v[97:98], v[109:110]
	s_waitcnt vmcnt(16)
	v_fma_f64 v[109:110], v[113:114], v[99:100], v[97:98]
	ds_read_b128 v[97:100], v96 offset:704
	s_waitcnt vmcnt(14) lgkmcnt(0)
	v_fma_f64 v[97:98], v[119:120], v[97:98], v[109:110]
	;; [unrolled: 5-line block ×4, first 2 shown]
	s_waitcnt vmcnt(4)
	v_fma_f64 v[97:98], v[103:104], v[99:100], v[97:98]
	ds_read_b64 v[99:100], v96 offset:752
	s_waitcnt vmcnt(2) lgkmcnt(0)
	v_fma_f64 v[97:98], v[107:108], v[99:100], v[97:98]
	s_waitcnt vmcnt(0)
	v_add_f64 v[97:98], v[105:106], -v[97:98]
	buffer_store_dword v98, off, s[0:3], 0 offset:156
	buffer_store_dword v97, off, s[0:3], 0 offset:152
	s_and_saveexec_b64 s[4:5], vcc
	s_cbranch_execz .LBB46_253
; %bb.252:
	buffer_load_dword v97, off, s[0:3], 0 offset:144
	buffer_load_dword v98, off, s[0:3], 0 offset:148
	s_waitcnt vmcnt(0)
	ds_write_b64 v95, v[97:98]
	buffer_store_dword v96, off, s[0:3], 0 offset:144
	buffer_store_dword v96, off, s[0:3], 0 offset:148
.LBB46_253:
	s_or_b64 exec, exec, s[4:5]
	s_waitcnt lgkmcnt(0)
	; wave barrier
	buffer_load_dword v101, off, s[0:3], 0 offset:152
	buffer_load_dword v102, off, s[0:3], 0 offset:156
	;; [unrolled: 1-line block ×20, first 2 shown]
	ds_read2_b64 v[97:100], v96 offset0:67 offset1:68
	buffer_load_dword v121, off, s[0:3], 0 offset:232
	buffer_load_dword v122, off, s[0:3], 0 offset:236
	v_cmp_lt_u32_e32 vcc, 17, v0
	s_waitcnt vmcnt(20) lgkmcnt(0)
	v_fma_f64 v[97:98], v[101:102], v[97:98], 0
	buffer_load_dword v102, off, s[0:3], 0 offset:244
	buffer_load_dword v101, off, s[0:3], 0 offset:240
	s_waitcnt vmcnt(20)
	v_fma_f64 v[103:104], v[103:104], v[99:100], v[97:98]
	ds_read2_b64 v[97:100], v96 offset0:69 offset1:70
	buffer_load_dword v123, off, s[0:3], 0 offset:248
	buffer_load_dword v124, off, s[0:3], 0 offset:252
	s_waitcnt vmcnt(20) lgkmcnt(0)
	v_fma_f64 v[97:98], v[105:106], v[97:98], v[103:104]
	buffer_load_dword v103, off, s[0:3], 0 offset:256
	buffer_load_dword v104, off, s[0:3], 0 offset:260
	s_waitcnt vmcnt(20)
	v_fma_f64 v[105:106], v[107:108], v[99:100], v[97:98]
	ds_read2_b64 v[97:100], v96 offset0:71 offset1:72
	buffer_load_dword v107, off, s[0:3], 0 offset:264
	buffer_load_dword v108, off, s[0:3], 0 offset:268
	;; [unrolled: 9-line block ×9, first 2 shown]
	s_waitcnt vmcnt(20) lgkmcnt(0)
	v_fma_f64 v[97:98], v[115:116], v[97:98], v[109:110]
	s_waitcnt vmcnt(18)
	v_fma_f64 v[109:110], v[113:114], v[99:100], v[97:98]
	ds_read2_b64 v[97:100], v96 offset0:87 offset1:88
	s_waitcnt vmcnt(16) lgkmcnt(0)
	v_fma_f64 v[97:98], v[119:120], v[97:98], v[109:110]
	s_waitcnt vmcnt(14)
	v_fma_f64 v[109:110], v[117:118], v[99:100], v[97:98]
	ds_read2_b64 v[97:100], v96 offset0:89 offset1:90
	;; [unrolled: 5-line block ×4, first 2 shown]
	s_waitcnt vmcnt(4) lgkmcnt(0)
	v_fma_f64 v[96:97], v[107:108], v[96:97], v[100:101]
	s_waitcnt vmcnt(2)
	v_fma_f64 v[96:97], v[105:106], v[98:99], v[96:97]
	s_waitcnt vmcnt(0)
	v_add_f64 v[96:97], v[111:112], -v[96:97]
	buffer_store_dword v97, off, s[0:3], 0 offset:148
	buffer_store_dword v96, off, s[0:3], 0 offset:144
	s_and_saveexec_b64 s[4:5], vcc
	s_cbranch_execz .LBB46_255
; %bb.254:
	buffer_load_dword v96, off, s[0:3], 0 offset:136
	buffer_load_dword v97, off, s[0:3], 0 offset:140
	v_mov_b32_e32 v98, 0
	buffer_store_dword v98, off, s[0:3], 0 offset:136
	buffer_store_dword v98, off, s[0:3], 0 offset:140
	s_waitcnt vmcnt(2)
	ds_write_b64 v95, v[96:97]
.LBB46_255:
	s_or_b64 exec, exec, s[4:5]
	s_waitcnt lgkmcnt(0)
	; wave barrier
	buffer_load_dword v101, off, s[0:3], 0 offset:144
	buffer_load_dword v102, off, s[0:3], 0 offset:148
	;; [unrolled: 1-line block ×20, first 2 shown]
	v_mov_b32_e32 v96, 0
	ds_read_b128 v[97:100], v96 offset:528
	buffer_load_dword v121, off, s[0:3], 0 offset:224
	buffer_load_dword v122, off, s[0:3], 0 offset:228
	v_cmp_lt_u32_e32 vcc, 16, v0
	s_waitcnt vmcnt(20) lgkmcnt(0)
	v_fma_f64 v[97:98], v[101:102], v[97:98], 0
	buffer_load_dword v102, off, s[0:3], 0 offset:236
	buffer_load_dword v101, off, s[0:3], 0 offset:232
	s_waitcnt vmcnt(20)
	v_fma_f64 v[103:104], v[103:104], v[99:100], v[97:98]
	ds_read_b128 v[97:100], v96 offset:544
	buffer_load_dword v123, off, s[0:3], 0 offset:240
	buffer_load_dword v124, off, s[0:3], 0 offset:244
	s_waitcnt vmcnt(20) lgkmcnt(0)
	v_fma_f64 v[97:98], v[105:106], v[97:98], v[103:104]
	buffer_load_dword v103, off, s[0:3], 0 offset:248
	buffer_load_dword v104, off, s[0:3], 0 offset:252
	s_waitcnt vmcnt(20)
	v_fma_f64 v[105:106], v[107:108], v[99:100], v[97:98]
	ds_read_b128 v[97:100], v96 offset:560
	buffer_load_dword v107, off, s[0:3], 0 offset:256
	buffer_load_dword v108, off, s[0:3], 0 offset:260
	s_waitcnt vmcnt(20) lgkmcnt(0)
	v_fma_f64 v[97:98], v[109:110], v[97:98], v[105:106]
	buffer_load_dword v106, off, s[0:3], 0 offset:268
	buffer_load_dword v105, off, s[0:3], 0 offset:264
	s_waitcnt vmcnt(20)
	v_fma_f64 v[109:110], v[111:112], v[99:100], v[97:98]
	ds_read_b128 v[97:100], v96 offset:576
	buffer_load_dword v111, off, s[0:3], 0 offset:272
	buffer_load_dword v112, off, s[0:3], 0 offset:276
	s_waitcnt vmcnt(20) lgkmcnt(0)
	v_fma_f64 v[97:98], v[113:114], v[97:98], v[109:110]
	buffer_load_dword v109, off, s[0:3], 0 offset:280
	buffer_load_dword v110, off, s[0:3], 0 offset:284
	s_waitcnt vmcnt(20)
	v_fma_f64 v[113:114], v[115:116], v[99:100], v[97:98]
	ds_read_b128 v[97:100], v96 offset:592
	buffer_load_dword v115, off, s[0:3], 0 offset:288
	buffer_load_dword v116, off, s[0:3], 0 offset:292
	s_waitcnt vmcnt(20) lgkmcnt(0)
	v_fma_f64 v[97:98], v[117:118], v[97:98], v[113:114]
	buffer_load_dword v114, off, s[0:3], 0 offset:300
	buffer_load_dword v113, off, s[0:3], 0 offset:296
	s_waitcnt vmcnt(20)
	v_fma_f64 v[117:118], v[119:120], v[99:100], v[97:98]
	ds_read_b128 v[97:100], v96 offset:608
	buffer_load_dword v119, off, s[0:3], 0 offset:304
	buffer_load_dword v120, off, s[0:3], 0 offset:308
	s_waitcnt vmcnt(20) lgkmcnt(0)
	v_fma_f64 v[97:98], v[121:122], v[97:98], v[117:118]
	buffer_load_dword v117, off, s[0:3], 0 offset:312
	buffer_load_dword v118, off, s[0:3], 0 offset:316
	s_waitcnt vmcnt(20)
	v_fma_f64 v[101:102], v[101:102], v[99:100], v[97:98]
	ds_read_b128 v[97:100], v96 offset:624
	buffer_load_dword v121, off, s[0:3], 0 offset:320
	buffer_load_dword v122, off, s[0:3], 0 offset:324
	s_waitcnt vmcnt(20) lgkmcnt(0)
	v_fma_f64 v[97:98], v[123:124], v[97:98], v[101:102]
	buffer_load_dword v102, off, s[0:3], 0 offset:332
	buffer_load_dword v101, off, s[0:3], 0 offset:328
	s_waitcnt vmcnt(20)
	v_fma_f64 v[103:104], v[103:104], v[99:100], v[97:98]
	ds_read_b128 v[97:100], v96 offset:640
	buffer_load_dword v123, off, s[0:3], 0 offset:336
	buffer_load_dword v124, off, s[0:3], 0 offset:340
	s_waitcnt vmcnt(20) lgkmcnt(0)
	v_fma_f64 v[97:98], v[107:108], v[97:98], v[103:104]
	buffer_load_dword v103, off, s[0:3], 0 offset:344
	buffer_load_dword v104, off, s[0:3], 0 offset:348
	s_waitcnt vmcnt(20)
	v_fma_f64 v[105:106], v[105:106], v[99:100], v[97:98]
	ds_read_b128 v[97:100], v96 offset:656
	buffer_load_dword v107, off, s[0:3], 0 offset:352
	buffer_load_dword v108, off, s[0:3], 0 offset:356
	s_waitcnt vmcnt(20) lgkmcnt(0)
	v_fma_f64 v[97:98], v[111:112], v[97:98], v[105:106]
	buffer_load_dword v106, off, s[0:3], 0 offset:364
	buffer_load_dword v105, off, s[0:3], 0 offset:360
	s_waitcnt vmcnt(20)
	v_fma_f64 v[109:110], v[109:110], v[99:100], v[97:98]
	ds_read_b128 v[97:100], v96 offset:672
	buffer_load_dword v111, off, s[0:3], 0 offset:368
	buffer_load_dword v112, off, s[0:3], 0 offset:372
	s_waitcnt vmcnt(20) lgkmcnt(0)
	v_fma_f64 v[97:98], v[115:116], v[97:98], v[109:110]
	buffer_load_dword v109, off, s[0:3], 0 offset:136
	buffer_load_dword v110, off, s[0:3], 0 offset:140
	s_waitcnt vmcnt(20)
	v_fma_f64 v[113:114], v[113:114], v[99:100], v[97:98]
	ds_read_b128 v[97:100], v96 offset:688
	s_waitcnt vmcnt(18) lgkmcnt(0)
	v_fma_f64 v[97:98], v[119:120], v[97:98], v[113:114]
	s_waitcnt vmcnt(16)
	v_fma_f64 v[113:114], v[117:118], v[99:100], v[97:98]
	ds_read_b128 v[97:100], v96 offset:704
	s_waitcnt vmcnt(14) lgkmcnt(0)
	v_fma_f64 v[97:98], v[121:122], v[97:98], v[113:114]
	;; [unrolled: 5-line block ×4, first 2 shown]
	s_waitcnt vmcnt(4)
	v_fma_f64 v[97:98], v[105:106], v[99:100], v[97:98]
	ds_read_b64 v[99:100], v96 offset:752
	s_waitcnt vmcnt(2) lgkmcnt(0)
	v_fma_f64 v[97:98], v[111:112], v[99:100], v[97:98]
	s_waitcnt vmcnt(0)
	v_add_f64 v[97:98], v[109:110], -v[97:98]
	buffer_store_dword v98, off, s[0:3], 0 offset:140
	buffer_store_dword v97, off, s[0:3], 0 offset:136
	s_and_saveexec_b64 s[4:5], vcc
	s_cbranch_execz .LBB46_257
; %bb.256:
	buffer_load_dword v97, off, s[0:3], 0 offset:128
	buffer_load_dword v98, off, s[0:3], 0 offset:132
	s_waitcnt vmcnt(0)
	ds_write_b64 v95, v[97:98]
	buffer_store_dword v96, off, s[0:3], 0 offset:128
	buffer_store_dword v96, off, s[0:3], 0 offset:132
.LBB46_257:
	s_or_b64 exec, exec, s[4:5]
	s_waitcnt lgkmcnt(0)
	; wave barrier
	buffer_load_dword v101, off, s[0:3], 0 offset:136
	buffer_load_dword v102, off, s[0:3], 0 offset:140
	;; [unrolled: 1-line block ×20, first 2 shown]
	ds_read2_b64 v[97:100], v96 offset0:65 offset1:66
	buffer_load_dword v121, off, s[0:3], 0 offset:216
	buffer_load_dword v122, off, s[0:3], 0 offset:220
	v_cmp_lt_u32_e32 vcc, 15, v0
	s_waitcnt vmcnt(20) lgkmcnt(0)
	v_fma_f64 v[97:98], v[101:102], v[97:98], 0
	buffer_load_dword v102, off, s[0:3], 0 offset:228
	buffer_load_dword v101, off, s[0:3], 0 offset:224
	s_waitcnt vmcnt(20)
	v_fma_f64 v[103:104], v[103:104], v[99:100], v[97:98]
	ds_read2_b64 v[97:100], v96 offset0:67 offset1:68
	buffer_load_dword v123, off, s[0:3], 0 offset:232
	buffer_load_dword v124, off, s[0:3], 0 offset:236
	s_waitcnt vmcnt(20) lgkmcnt(0)
	v_fma_f64 v[97:98], v[105:106], v[97:98], v[103:104]
	buffer_load_dword v103, off, s[0:3], 0 offset:240
	buffer_load_dword v104, off, s[0:3], 0 offset:244
	s_waitcnt vmcnt(20)
	v_fma_f64 v[105:106], v[107:108], v[99:100], v[97:98]
	ds_read2_b64 v[97:100], v96 offset0:69 offset1:70
	buffer_load_dword v107, off, s[0:3], 0 offset:248
	buffer_load_dword v108, off, s[0:3], 0 offset:252
	;; [unrolled: 9-line block ×10, first 2 shown]
	s_waitcnt vmcnt(20) lgkmcnt(0)
	v_fma_f64 v[97:98], v[119:120], v[97:98], v[113:114]
	s_waitcnt vmcnt(18)
	v_fma_f64 v[113:114], v[117:118], v[99:100], v[97:98]
	ds_read2_b64 v[97:100], v96 offset0:87 offset1:88
	s_waitcnt vmcnt(16) lgkmcnt(0)
	v_fma_f64 v[97:98], v[121:122], v[97:98], v[113:114]
	s_waitcnt vmcnt(14)
	v_fma_f64 v[101:102], v[101:102], v[99:100], v[97:98]
	ds_read2_b64 v[97:100], v96 offset0:89 offset1:90
	;; [unrolled: 5-line block ×4, first 2 shown]
	s_waitcnt vmcnt(4) lgkmcnt(0)
	v_fma_f64 v[96:97], v[111:112], v[96:97], v[100:101]
	s_waitcnt vmcnt(2)
	v_fma_f64 v[96:97], v[109:110], v[98:99], v[96:97]
	s_waitcnt vmcnt(0)
	v_add_f64 v[96:97], v[115:116], -v[96:97]
	buffer_store_dword v97, off, s[0:3], 0 offset:132
	buffer_store_dword v96, off, s[0:3], 0 offset:128
	s_and_saveexec_b64 s[4:5], vcc
	s_cbranch_execz .LBB46_259
; %bb.258:
	buffer_load_dword v96, off, s[0:3], 0 offset:120
	buffer_load_dword v97, off, s[0:3], 0 offset:124
	v_mov_b32_e32 v98, 0
	buffer_store_dword v98, off, s[0:3], 0 offset:120
	buffer_store_dword v98, off, s[0:3], 0 offset:124
	s_waitcnt vmcnt(2)
	ds_write_b64 v95, v[96:97]
.LBB46_259:
	s_or_b64 exec, exec, s[4:5]
	s_waitcnt lgkmcnt(0)
	; wave barrier
	buffer_load_dword v101, off, s[0:3], 0 offset:128
	buffer_load_dword v102, off, s[0:3], 0 offset:132
	;; [unrolled: 1-line block ×20, first 2 shown]
	v_mov_b32_e32 v96, 0
	ds_read_b128 v[97:100], v96 offset:512
	buffer_load_dword v121, off, s[0:3], 0 offset:208
	buffer_load_dword v122, off, s[0:3], 0 offset:212
	v_cmp_lt_u32_e32 vcc, 14, v0
	s_waitcnt vmcnt(20) lgkmcnt(0)
	v_fma_f64 v[97:98], v[101:102], v[97:98], 0
	buffer_load_dword v102, off, s[0:3], 0 offset:220
	buffer_load_dword v101, off, s[0:3], 0 offset:216
	s_waitcnt vmcnt(20)
	v_fma_f64 v[103:104], v[103:104], v[99:100], v[97:98]
	ds_read_b128 v[97:100], v96 offset:528
	buffer_load_dword v123, off, s[0:3], 0 offset:224
	buffer_load_dword v124, off, s[0:3], 0 offset:228
	s_waitcnt vmcnt(20) lgkmcnt(0)
	v_fma_f64 v[97:98], v[105:106], v[97:98], v[103:104]
	buffer_load_dword v103, off, s[0:3], 0 offset:232
	buffer_load_dword v104, off, s[0:3], 0 offset:236
	s_waitcnt vmcnt(20)
	v_fma_f64 v[105:106], v[107:108], v[99:100], v[97:98]
	ds_read_b128 v[97:100], v96 offset:544
	buffer_load_dword v107, off, s[0:3], 0 offset:240
	buffer_load_dword v108, off, s[0:3], 0 offset:244
	;; [unrolled: 9-line block ×10, first 2 shown]
	s_waitcnt vmcnt(20) lgkmcnt(0)
	v_fma_f64 v[97:98], v[119:120], v[97:98], v[113:114]
	buffer_load_dword v113, off, s[0:3], 0 offset:120
	buffer_load_dword v114, off, s[0:3], 0 offset:124
	s_waitcnt vmcnt(20)
	v_fma_f64 v[117:118], v[117:118], v[99:100], v[97:98]
	ds_read_b128 v[97:100], v96 offset:688
	s_waitcnt vmcnt(18) lgkmcnt(0)
	v_fma_f64 v[97:98], v[121:122], v[97:98], v[117:118]
	s_waitcnt vmcnt(16)
	v_fma_f64 v[101:102], v[101:102], v[99:100], v[97:98]
	ds_read_b128 v[97:100], v96 offset:704
	s_waitcnt vmcnt(14) lgkmcnt(0)
	v_fma_f64 v[97:98], v[123:124], v[97:98], v[101:102]
	;; [unrolled: 5-line block ×4, first 2 shown]
	s_waitcnt vmcnt(4)
	v_fma_f64 v[97:98], v[109:110], v[99:100], v[97:98]
	ds_read_b64 v[99:100], v96 offset:752
	s_waitcnt vmcnt(2) lgkmcnt(0)
	v_fma_f64 v[97:98], v[115:116], v[99:100], v[97:98]
	s_waitcnt vmcnt(0)
	v_add_f64 v[97:98], v[113:114], -v[97:98]
	buffer_store_dword v98, off, s[0:3], 0 offset:124
	buffer_store_dword v97, off, s[0:3], 0 offset:120
	s_and_saveexec_b64 s[4:5], vcc
	s_cbranch_execz .LBB46_261
; %bb.260:
	buffer_load_dword v97, off, s[0:3], 0 offset:112
	buffer_load_dword v98, off, s[0:3], 0 offset:116
	s_waitcnt vmcnt(0)
	ds_write_b64 v95, v[97:98]
	buffer_store_dword v96, off, s[0:3], 0 offset:112
	buffer_store_dword v96, off, s[0:3], 0 offset:116
.LBB46_261:
	s_or_b64 exec, exec, s[4:5]
	s_waitcnt lgkmcnt(0)
	; wave barrier
	buffer_load_dword v101, off, s[0:3], 0 offset:120
	buffer_load_dword v102, off, s[0:3], 0 offset:124
	;; [unrolled: 1-line block ×20, first 2 shown]
	ds_read2_b64 v[97:100], v96 offset0:63 offset1:64
	buffer_load_dword v121, off, s[0:3], 0 offset:200
	buffer_load_dword v122, off, s[0:3], 0 offset:204
	v_cmp_lt_u32_e32 vcc, 13, v0
	s_waitcnt vmcnt(20) lgkmcnt(0)
	v_fma_f64 v[97:98], v[101:102], v[97:98], 0
	buffer_load_dword v102, off, s[0:3], 0 offset:212
	buffer_load_dword v101, off, s[0:3], 0 offset:208
	s_waitcnt vmcnt(20)
	v_fma_f64 v[103:104], v[103:104], v[99:100], v[97:98]
	ds_read2_b64 v[97:100], v96 offset0:65 offset1:66
	buffer_load_dword v123, off, s[0:3], 0 offset:216
	buffer_load_dword v124, off, s[0:3], 0 offset:220
	s_waitcnt vmcnt(20) lgkmcnt(0)
	v_fma_f64 v[97:98], v[105:106], v[97:98], v[103:104]
	buffer_load_dword v103, off, s[0:3], 0 offset:224
	buffer_load_dword v104, off, s[0:3], 0 offset:228
	s_waitcnt vmcnt(20)
	v_fma_f64 v[105:106], v[107:108], v[99:100], v[97:98]
	ds_read2_b64 v[97:100], v96 offset0:67 offset1:68
	buffer_load_dword v107, off, s[0:3], 0 offset:232
	buffer_load_dword v108, off, s[0:3], 0 offset:236
	;; [unrolled: 9-line block ×11, first 2 shown]
	s_waitcnt vmcnt(20) lgkmcnt(0)
	v_fma_f64 v[97:98], v[121:122], v[97:98], v[117:118]
	s_waitcnt vmcnt(18)
	v_fma_f64 v[101:102], v[101:102], v[99:100], v[97:98]
	ds_read2_b64 v[97:100], v96 offset0:87 offset1:88
	s_waitcnt vmcnt(16) lgkmcnt(0)
	v_fma_f64 v[97:98], v[123:124], v[97:98], v[101:102]
	s_waitcnt vmcnt(14)
	v_fma_f64 v[101:102], v[103:104], v[99:100], v[97:98]
	ds_read2_b64 v[97:100], v96 offset0:89 offset1:90
	;; [unrolled: 5-line block ×4, first 2 shown]
	s_waitcnt vmcnt(4) lgkmcnt(0)
	v_fma_f64 v[96:97], v[115:116], v[96:97], v[100:101]
	s_waitcnt vmcnt(2)
	v_fma_f64 v[96:97], v[113:114], v[98:99], v[96:97]
	s_waitcnt vmcnt(0)
	v_add_f64 v[96:97], v[119:120], -v[96:97]
	buffer_store_dword v97, off, s[0:3], 0 offset:116
	buffer_store_dword v96, off, s[0:3], 0 offset:112
	s_and_saveexec_b64 s[4:5], vcc
	s_cbranch_execz .LBB46_263
; %bb.262:
	buffer_load_dword v96, off, s[0:3], 0 offset:104
	buffer_load_dword v97, off, s[0:3], 0 offset:108
	v_mov_b32_e32 v98, 0
	buffer_store_dword v98, off, s[0:3], 0 offset:104
	buffer_store_dword v98, off, s[0:3], 0 offset:108
	s_waitcnt vmcnt(2)
	ds_write_b64 v95, v[96:97]
.LBB46_263:
	s_or_b64 exec, exec, s[4:5]
	s_waitcnt lgkmcnt(0)
	; wave barrier
	buffer_load_dword v101, off, s[0:3], 0 offset:112
	buffer_load_dword v102, off, s[0:3], 0 offset:116
	;; [unrolled: 1-line block ×20, first 2 shown]
	v_mov_b32_e32 v96, 0
	ds_read_b128 v[97:100], v96 offset:496
	buffer_load_dword v121, off, s[0:3], 0 offset:192
	buffer_load_dword v122, off, s[0:3], 0 offset:196
	v_cmp_lt_u32_e32 vcc, 12, v0
	s_waitcnt vmcnt(20) lgkmcnt(0)
	v_fma_f64 v[97:98], v[101:102], v[97:98], 0
	buffer_load_dword v102, off, s[0:3], 0 offset:204
	buffer_load_dword v101, off, s[0:3], 0 offset:200
	s_waitcnt vmcnt(20)
	v_fma_f64 v[103:104], v[103:104], v[99:100], v[97:98]
	ds_read_b128 v[97:100], v96 offset:512
	buffer_load_dword v123, off, s[0:3], 0 offset:208
	buffer_load_dword v124, off, s[0:3], 0 offset:212
	s_waitcnt vmcnt(20) lgkmcnt(0)
	v_fma_f64 v[97:98], v[105:106], v[97:98], v[103:104]
	buffer_load_dword v103, off, s[0:3], 0 offset:216
	buffer_load_dword v104, off, s[0:3], 0 offset:220
	s_waitcnt vmcnt(20)
	v_fma_f64 v[105:106], v[107:108], v[99:100], v[97:98]
	ds_read_b128 v[97:100], v96 offset:528
	buffer_load_dword v107, off, s[0:3], 0 offset:224
	buffer_load_dword v108, off, s[0:3], 0 offset:228
	s_waitcnt vmcnt(20) lgkmcnt(0)
	v_fma_f64 v[97:98], v[109:110], v[97:98], v[105:106]
	buffer_load_dword v106, off, s[0:3], 0 offset:236
	buffer_load_dword v105, off, s[0:3], 0 offset:232
	s_waitcnt vmcnt(20)
	v_fma_f64 v[109:110], v[111:112], v[99:100], v[97:98]
	ds_read_b128 v[97:100], v96 offset:544
	buffer_load_dword v111, off, s[0:3], 0 offset:240
	buffer_load_dword v112, off, s[0:3], 0 offset:244
	s_waitcnt vmcnt(20) lgkmcnt(0)
	v_fma_f64 v[97:98], v[113:114], v[97:98], v[109:110]
	buffer_load_dword v109, off, s[0:3], 0 offset:248
	buffer_load_dword v110, off, s[0:3], 0 offset:252
	s_waitcnt vmcnt(20)
	v_fma_f64 v[113:114], v[115:116], v[99:100], v[97:98]
	ds_read_b128 v[97:100], v96 offset:560
	buffer_load_dword v115, off, s[0:3], 0 offset:256
	buffer_load_dword v116, off, s[0:3], 0 offset:260
	s_waitcnt vmcnt(20) lgkmcnt(0)
	v_fma_f64 v[97:98], v[117:118], v[97:98], v[113:114]
	buffer_load_dword v114, off, s[0:3], 0 offset:268
	buffer_load_dword v113, off, s[0:3], 0 offset:264
	s_waitcnt vmcnt(20)
	v_fma_f64 v[117:118], v[119:120], v[99:100], v[97:98]
	ds_read_b128 v[97:100], v96 offset:576
	buffer_load_dword v119, off, s[0:3], 0 offset:272
	buffer_load_dword v120, off, s[0:3], 0 offset:276
	s_waitcnt vmcnt(20) lgkmcnt(0)
	v_fma_f64 v[97:98], v[121:122], v[97:98], v[117:118]
	buffer_load_dword v117, off, s[0:3], 0 offset:280
	buffer_load_dword v118, off, s[0:3], 0 offset:284
	s_waitcnt vmcnt(20)
	v_fma_f64 v[101:102], v[101:102], v[99:100], v[97:98]
	ds_read_b128 v[97:100], v96 offset:592
	buffer_load_dword v121, off, s[0:3], 0 offset:288
	buffer_load_dword v122, off, s[0:3], 0 offset:292
	s_waitcnt vmcnt(20) lgkmcnt(0)
	v_fma_f64 v[97:98], v[123:124], v[97:98], v[101:102]
	buffer_load_dword v102, off, s[0:3], 0 offset:300
	buffer_load_dword v101, off, s[0:3], 0 offset:296
	s_waitcnt vmcnt(20)
	v_fma_f64 v[103:104], v[103:104], v[99:100], v[97:98]
	ds_read_b128 v[97:100], v96 offset:608
	buffer_load_dword v123, off, s[0:3], 0 offset:304
	buffer_load_dword v124, off, s[0:3], 0 offset:308
	s_waitcnt vmcnt(20) lgkmcnt(0)
	v_fma_f64 v[97:98], v[107:108], v[97:98], v[103:104]
	buffer_load_dword v103, off, s[0:3], 0 offset:312
	buffer_load_dword v104, off, s[0:3], 0 offset:316
	s_waitcnt vmcnt(20)
	v_fma_f64 v[105:106], v[105:106], v[99:100], v[97:98]
	ds_read_b128 v[97:100], v96 offset:624
	buffer_load_dword v107, off, s[0:3], 0 offset:320
	buffer_load_dword v108, off, s[0:3], 0 offset:324
	s_waitcnt vmcnt(20) lgkmcnt(0)
	v_fma_f64 v[97:98], v[111:112], v[97:98], v[105:106]
	buffer_load_dword v106, off, s[0:3], 0 offset:332
	buffer_load_dword v105, off, s[0:3], 0 offset:328
	s_waitcnt vmcnt(20)
	v_fma_f64 v[109:110], v[109:110], v[99:100], v[97:98]
	ds_read_b128 v[97:100], v96 offset:640
	buffer_load_dword v111, off, s[0:3], 0 offset:336
	buffer_load_dword v112, off, s[0:3], 0 offset:340
	s_waitcnt vmcnt(20) lgkmcnt(0)
	v_fma_f64 v[97:98], v[115:116], v[97:98], v[109:110]
	buffer_load_dword v109, off, s[0:3], 0 offset:344
	buffer_load_dword v110, off, s[0:3], 0 offset:348
	s_waitcnt vmcnt(20)
	v_fma_f64 v[113:114], v[113:114], v[99:100], v[97:98]
	ds_read_b128 v[97:100], v96 offset:656
	buffer_load_dword v115, off, s[0:3], 0 offset:352
	buffer_load_dword v116, off, s[0:3], 0 offset:356
	s_waitcnt vmcnt(20) lgkmcnt(0)
	v_fma_f64 v[97:98], v[119:120], v[97:98], v[113:114]
	buffer_load_dword v114, off, s[0:3], 0 offset:364
	buffer_load_dword v113, off, s[0:3], 0 offset:360
	s_waitcnt vmcnt(20)
	v_fma_f64 v[117:118], v[117:118], v[99:100], v[97:98]
	ds_read_b128 v[97:100], v96 offset:672
	buffer_load_dword v119, off, s[0:3], 0 offset:368
	buffer_load_dword v120, off, s[0:3], 0 offset:372
	s_waitcnt vmcnt(20) lgkmcnt(0)
	v_fma_f64 v[97:98], v[121:122], v[97:98], v[117:118]
	buffer_load_dword v117, off, s[0:3], 0 offset:104
	buffer_load_dword v118, off, s[0:3], 0 offset:108
	s_waitcnt vmcnt(20)
	v_fma_f64 v[101:102], v[101:102], v[99:100], v[97:98]
	ds_read_b128 v[97:100], v96 offset:688
	s_waitcnt vmcnt(18) lgkmcnt(0)
	v_fma_f64 v[97:98], v[123:124], v[97:98], v[101:102]
	s_waitcnt vmcnt(16)
	v_fma_f64 v[101:102], v[103:104], v[99:100], v[97:98]
	ds_read_b128 v[97:100], v96 offset:704
	s_waitcnt vmcnt(14) lgkmcnt(0)
	v_fma_f64 v[97:98], v[107:108], v[97:98], v[101:102]
	;; [unrolled: 5-line block ×4, first 2 shown]
	s_waitcnt vmcnt(4)
	v_fma_f64 v[97:98], v[113:114], v[99:100], v[97:98]
	ds_read_b64 v[99:100], v96 offset:752
	s_waitcnt vmcnt(2) lgkmcnt(0)
	v_fma_f64 v[97:98], v[119:120], v[99:100], v[97:98]
	s_waitcnt vmcnt(0)
	v_add_f64 v[97:98], v[117:118], -v[97:98]
	buffer_store_dword v98, off, s[0:3], 0 offset:108
	buffer_store_dword v97, off, s[0:3], 0 offset:104
	s_and_saveexec_b64 s[4:5], vcc
	s_cbranch_execz .LBB46_265
; %bb.264:
	buffer_load_dword v97, off, s[0:3], 0 offset:96
	buffer_load_dword v98, off, s[0:3], 0 offset:100
	s_waitcnt vmcnt(0)
	ds_write_b64 v95, v[97:98]
	buffer_store_dword v96, off, s[0:3], 0 offset:96
	buffer_store_dword v96, off, s[0:3], 0 offset:100
.LBB46_265:
	s_or_b64 exec, exec, s[4:5]
	s_waitcnt lgkmcnt(0)
	; wave barrier
	buffer_load_dword v101, off, s[0:3], 0 offset:104
	buffer_load_dword v102, off, s[0:3], 0 offset:108
	;; [unrolled: 1-line block ×20, first 2 shown]
	ds_read2_b64 v[97:100], v96 offset0:61 offset1:62
	buffer_load_dword v121, off, s[0:3], 0 offset:184
	buffer_load_dword v122, off, s[0:3], 0 offset:188
	v_cmp_lt_u32_e32 vcc, 11, v0
	s_waitcnt vmcnt(20) lgkmcnt(0)
	v_fma_f64 v[97:98], v[101:102], v[97:98], 0
	buffer_load_dword v102, off, s[0:3], 0 offset:196
	buffer_load_dword v101, off, s[0:3], 0 offset:192
	s_waitcnt vmcnt(20)
	v_fma_f64 v[103:104], v[103:104], v[99:100], v[97:98]
	ds_read2_b64 v[97:100], v96 offset0:63 offset1:64
	buffer_load_dword v123, off, s[0:3], 0 offset:200
	buffer_load_dword v124, off, s[0:3], 0 offset:204
	s_waitcnt vmcnt(20) lgkmcnt(0)
	v_fma_f64 v[97:98], v[105:106], v[97:98], v[103:104]
	buffer_load_dword v103, off, s[0:3], 0 offset:208
	buffer_load_dword v104, off, s[0:3], 0 offset:212
	s_waitcnt vmcnt(20)
	v_fma_f64 v[105:106], v[107:108], v[99:100], v[97:98]
	ds_read2_b64 v[97:100], v96 offset0:65 offset1:66
	buffer_load_dword v107, off, s[0:3], 0 offset:216
	buffer_load_dword v108, off, s[0:3], 0 offset:220
	;; [unrolled: 9-line block ×12, first 2 shown]
	s_waitcnt vmcnt(20) lgkmcnt(0)
	v_fma_f64 v[97:98], v[123:124], v[97:98], v[101:102]
	s_waitcnt vmcnt(18)
	v_fma_f64 v[101:102], v[103:104], v[99:100], v[97:98]
	ds_read2_b64 v[97:100], v96 offset0:87 offset1:88
	s_waitcnt vmcnt(16) lgkmcnt(0)
	v_fma_f64 v[97:98], v[107:108], v[97:98], v[101:102]
	s_waitcnt vmcnt(14)
	v_fma_f64 v[101:102], v[105:106], v[99:100], v[97:98]
	ds_read2_b64 v[97:100], v96 offset0:89 offset1:90
	;; [unrolled: 5-line block ×4, first 2 shown]
	s_waitcnt vmcnt(4) lgkmcnt(0)
	v_fma_f64 v[96:97], v[119:120], v[96:97], v[100:101]
	s_waitcnt vmcnt(2)
	v_fma_f64 v[96:97], v[117:118], v[98:99], v[96:97]
	s_waitcnt vmcnt(0)
	v_add_f64 v[96:97], v[121:122], -v[96:97]
	buffer_store_dword v97, off, s[0:3], 0 offset:100
	buffer_store_dword v96, off, s[0:3], 0 offset:96
	s_and_saveexec_b64 s[4:5], vcc
	s_cbranch_execz .LBB46_267
; %bb.266:
	buffer_load_dword v96, off, s[0:3], 0 offset:88
	buffer_load_dword v97, off, s[0:3], 0 offset:92
	v_mov_b32_e32 v98, 0
	buffer_store_dword v98, off, s[0:3], 0 offset:88
	buffer_store_dword v98, off, s[0:3], 0 offset:92
	s_waitcnt vmcnt(2)
	ds_write_b64 v95, v[96:97]
.LBB46_267:
	s_or_b64 exec, exec, s[4:5]
	s_waitcnt lgkmcnt(0)
	; wave barrier
	buffer_load_dword v101, off, s[0:3], 0 offset:96
	buffer_load_dword v102, off, s[0:3], 0 offset:100
	;; [unrolled: 1-line block ×20, first 2 shown]
	v_mov_b32_e32 v96, 0
	ds_read_b128 v[97:100], v96 offset:480
	buffer_load_dword v121, off, s[0:3], 0 offset:176
	buffer_load_dword v122, off, s[0:3], 0 offset:180
	v_cmp_lt_u32_e32 vcc, 10, v0
	s_waitcnt vmcnt(20) lgkmcnt(0)
	v_fma_f64 v[97:98], v[101:102], v[97:98], 0
	buffer_load_dword v102, off, s[0:3], 0 offset:188
	buffer_load_dword v101, off, s[0:3], 0 offset:184
	s_waitcnt vmcnt(20)
	v_fma_f64 v[103:104], v[103:104], v[99:100], v[97:98]
	ds_read_b128 v[97:100], v96 offset:496
	buffer_load_dword v123, off, s[0:3], 0 offset:192
	buffer_load_dword v124, off, s[0:3], 0 offset:196
	s_waitcnt vmcnt(20) lgkmcnt(0)
	v_fma_f64 v[97:98], v[105:106], v[97:98], v[103:104]
	buffer_load_dword v103, off, s[0:3], 0 offset:200
	buffer_load_dword v104, off, s[0:3], 0 offset:204
	s_waitcnt vmcnt(20)
	v_fma_f64 v[105:106], v[107:108], v[99:100], v[97:98]
	ds_read_b128 v[97:100], v96 offset:512
	buffer_load_dword v107, off, s[0:3], 0 offset:208
	buffer_load_dword v108, off, s[0:3], 0 offset:212
	;; [unrolled: 9-line block ×12, first 2 shown]
	s_waitcnt vmcnt(20) lgkmcnt(0)
	v_fma_f64 v[97:98], v[123:124], v[97:98], v[101:102]
	buffer_load_dword v101, off, s[0:3], 0 offset:88
	buffer_load_dword v102, off, s[0:3], 0 offset:92
	s_waitcnt vmcnt(20)
	v_fma_f64 v[103:104], v[103:104], v[99:100], v[97:98]
	ds_read_b128 v[97:100], v96 offset:688
	s_waitcnt vmcnt(18) lgkmcnt(0)
	v_fma_f64 v[97:98], v[107:108], v[97:98], v[103:104]
	s_waitcnt vmcnt(16)
	v_fma_f64 v[103:104], v[105:106], v[99:100], v[97:98]
	ds_read_b128 v[97:100], v96 offset:704
	s_waitcnt vmcnt(14) lgkmcnt(0)
	v_fma_f64 v[97:98], v[111:112], v[97:98], v[103:104]
	;; [unrolled: 5-line block ×4, first 2 shown]
	s_waitcnt vmcnt(4)
	v_fma_f64 v[97:98], v[117:118], v[99:100], v[97:98]
	ds_read_b64 v[99:100], v96 offset:752
	s_waitcnt vmcnt(2) lgkmcnt(0)
	v_fma_f64 v[97:98], v[121:122], v[99:100], v[97:98]
	s_waitcnt vmcnt(0)
	v_add_f64 v[97:98], v[101:102], -v[97:98]
	buffer_store_dword v98, off, s[0:3], 0 offset:92
	buffer_store_dword v97, off, s[0:3], 0 offset:88
	s_and_saveexec_b64 s[4:5], vcc
	s_cbranch_execz .LBB46_269
; %bb.268:
	buffer_load_dword v97, off, s[0:3], 0 offset:80
	buffer_load_dword v98, off, s[0:3], 0 offset:84
	s_waitcnt vmcnt(0)
	ds_write_b64 v95, v[97:98]
	buffer_store_dword v96, off, s[0:3], 0 offset:80
	buffer_store_dword v96, off, s[0:3], 0 offset:84
.LBB46_269:
	s_or_b64 exec, exec, s[4:5]
	s_waitcnt lgkmcnt(0)
	; wave barrier
	buffer_load_dword v101, off, s[0:3], 0 offset:88
	buffer_load_dword v102, off, s[0:3], 0 offset:92
	;; [unrolled: 1-line block ×20, first 2 shown]
	ds_read2_b64 v[97:100], v96 offset0:59 offset1:60
	buffer_load_dword v121, off, s[0:3], 0 offset:168
	buffer_load_dword v122, off, s[0:3], 0 offset:172
	v_cmp_lt_u32_e32 vcc, 9, v0
	s_waitcnt vmcnt(20) lgkmcnt(0)
	v_fma_f64 v[97:98], v[101:102], v[97:98], 0
	buffer_load_dword v102, off, s[0:3], 0 offset:180
	buffer_load_dword v101, off, s[0:3], 0 offset:176
	s_waitcnt vmcnt(20)
	v_fma_f64 v[103:104], v[103:104], v[99:100], v[97:98]
	ds_read2_b64 v[97:100], v96 offset0:61 offset1:62
	buffer_load_dword v123, off, s[0:3], 0 offset:184
	buffer_load_dword v124, off, s[0:3], 0 offset:188
	s_waitcnt vmcnt(20) lgkmcnt(0)
	v_fma_f64 v[97:98], v[105:106], v[97:98], v[103:104]
	buffer_load_dword v103, off, s[0:3], 0 offset:192
	buffer_load_dword v104, off, s[0:3], 0 offset:196
	s_waitcnt vmcnt(20)
	v_fma_f64 v[105:106], v[107:108], v[99:100], v[97:98]
	ds_read2_b64 v[97:100], v96 offset0:63 offset1:64
	buffer_load_dword v107, off, s[0:3], 0 offset:200
	buffer_load_dword v108, off, s[0:3], 0 offset:204
	;; [unrolled: 9-line block ×13, first 2 shown]
	s_waitcnt vmcnt(20) lgkmcnt(0)
	v_fma_f64 v[97:98], v[107:108], v[97:98], v[103:104]
	s_waitcnt vmcnt(18)
	v_fma_f64 v[103:104], v[105:106], v[99:100], v[97:98]
	ds_read2_b64 v[97:100], v96 offset0:87 offset1:88
	s_waitcnt vmcnt(16) lgkmcnt(0)
	v_fma_f64 v[97:98], v[111:112], v[97:98], v[103:104]
	s_waitcnt vmcnt(14)
	v_fma_f64 v[103:104], v[109:110], v[99:100], v[97:98]
	ds_read2_b64 v[97:100], v96 offset0:89 offset1:90
	;; [unrolled: 5-line block ×4, first 2 shown]
	s_waitcnt vmcnt(4) lgkmcnt(0)
	v_fma_f64 v[96:97], v[121:122], v[96:97], v[103:104]
	s_waitcnt vmcnt(2)
	v_fma_f64 v[96:97], v[101:102], v[98:99], v[96:97]
	s_waitcnt vmcnt(0)
	v_add_f64 v[96:97], v[123:124], -v[96:97]
	buffer_store_dword v97, off, s[0:3], 0 offset:84
	buffer_store_dword v96, off, s[0:3], 0 offset:80
	s_and_saveexec_b64 s[4:5], vcc
	s_cbranch_execz .LBB46_271
; %bb.270:
	buffer_load_dword v96, off, s[0:3], 0 offset:72
	buffer_load_dword v97, off, s[0:3], 0 offset:76
	v_mov_b32_e32 v98, 0
	buffer_store_dword v98, off, s[0:3], 0 offset:72
	buffer_store_dword v98, off, s[0:3], 0 offset:76
	s_waitcnt vmcnt(2)
	ds_write_b64 v95, v[96:97]
.LBB46_271:
	s_or_b64 exec, exec, s[4:5]
	s_waitcnt lgkmcnt(0)
	; wave barrier
	buffer_load_dword v101, off, s[0:3], 0 offset:80
	buffer_load_dword v102, off, s[0:3], 0 offset:84
	;; [unrolled: 1-line block ×20, first 2 shown]
	v_mov_b32_e32 v96, 0
	ds_read_b128 v[97:100], v96 offset:464
	buffer_load_dword v121, off, s[0:3], 0 offset:160
	buffer_load_dword v122, off, s[0:3], 0 offset:164
	v_cmp_lt_u32_e32 vcc, 8, v0
	s_waitcnt vmcnt(20) lgkmcnt(0)
	v_fma_f64 v[97:98], v[101:102], v[97:98], 0
	buffer_load_dword v102, off, s[0:3], 0 offset:172
	buffer_load_dword v101, off, s[0:3], 0 offset:168
	s_waitcnt vmcnt(20)
	v_fma_f64 v[103:104], v[103:104], v[99:100], v[97:98]
	ds_read_b128 v[97:100], v96 offset:480
	buffer_load_dword v123, off, s[0:3], 0 offset:176
	buffer_load_dword v124, off, s[0:3], 0 offset:180
	s_waitcnt vmcnt(20) lgkmcnt(0)
	v_fma_f64 v[97:98], v[105:106], v[97:98], v[103:104]
	buffer_load_dword v103, off, s[0:3], 0 offset:184
	buffer_load_dword v104, off, s[0:3], 0 offset:188
	s_waitcnt vmcnt(20)
	v_fma_f64 v[105:106], v[107:108], v[99:100], v[97:98]
	ds_read_b128 v[97:100], v96 offset:496
	buffer_load_dword v107, off, s[0:3], 0 offset:192
	buffer_load_dword v108, off, s[0:3], 0 offset:196
	;; [unrolled: 9-line block ×13, first 2 shown]
	s_waitcnt vmcnt(20) lgkmcnt(0)
	v_fma_f64 v[97:98], v[107:108], v[97:98], v[103:104]
	buffer_load_dword v103, off, s[0:3], 0 offset:72
	buffer_load_dword v104, off, s[0:3], 0 offset:76
	s_waitcnt vmcnt(20)
	v_fma_f64 v[105:106], v[105:106], v[99:100], v[97:98]
	ds_read_b128 v[97:100], v96 offset:688
	s_waitcnt vmcnt(18) lgkmcnt(0)
	v_fma_f64 v[97:98], v[111:112], v[97:98], v[105:106]
	s_waitcnt vmcnt(16)
	v_fma_f64 v[105:106], v[109:110], v[99:100], v[97:98]
	ds_read_b128 v[97:100], v96 offset:704
	s_waitcnt vmcnt(14) lgkmcnt(0)
	v_fma_f64 v[97:98], v[115:116], v[97:98], v[105:106]
	;; [unrolled: 5-line block ×4, first 2 shown]
	s_waitcnt vmcnt(4)
	v_fma_f64 v[97:98], v[101:102], v[99:100], v[97:98]
	ds_read_b64 v[99:100], v96 offset:752
	s_waitcnt vmcnt(2) lgkmcnt(0)
	v_fma_f64 v[97:98], v[123:124], v[99:100], v[97:98]
	s_waitcnt vmcnt(0)
	v_add_f64 v[97:98], v[103:104], -v[97:98]
	buffer_store_dword v98, off, s[0:3], 0 offset:76
	buffer_store_dword v97, off, s[0:3], 0 offset:72
	s_and_saveexec_b64 s[4:5], vcc
	s_cbranch_execz .LBB46_273
; %bb.272:
	buffer_load_dword v97, off, s[0:3], 0 offset:64
	buffer_load_dword v98, off, s[0:3], 0 offset:68
	s_waitcnt vmcnt(0)
	ds_write_b64 v95, v[97:98]
	buffer_store_dword v96, off, s[0:3], 0 offset:64
	buffer_store_dword v96, off, s[0:3], 0 offset:68
.LBB46_273:
	s_or_b64 exec, exec, s[4:5]
	s_waitcnt lgkmcnt(0)
	; wave barrier
	buffer_load_dword v101, off, s[0:3], 0 offset:72
	buffer_load_dword v102, off, s[0:3], 0 offset:76
	;; [unrolled: 1-line block ×20, first 2 shown]
	ds_read2_b64 v[97:100], v96 offset0:57 offset1:58
	buffer_load_dword v121, off, s[0:3], 0 offset:152
	buffer_load_dword v122, off, s[0:3], 0 offset:156
	v_cmp_lt_u32_e32 vcc, 7, v0
	s_waitcnt vmcnt(20) lgkmcnt(0)
	v_fma_f64 v[97:98], v[101:102], v[97:98], 0
	buffer_load_dword v102, off, s[0:3], 0 offset:164
	buffer_load_dword v101, off, s[0:3], 0 offset:160
	s_waitcnt vmcnt(20)
	v_fma_f64 v[103:104], v[103:104], v[99:100], v[97:98]
	ds_read2_b64 v[97:100], v96 offset0:59 offset1:60
	buffer_load_dword v123, off, s[0:3], 0 offset:168
	buffer_load_dword v124, off, s[0:3], 0 offset:172
	s_waitcnt vmcnt(20) lgkmcnt(0)
	v_fma_f64 v[97:98], v[105:106], v[97:98], v[103:104]
	buffer_load_dword v103, off, s[0:3], 0 offset:176
	buffer_load_dword v104, off, s[0:3], 0 offset:180
	s_waitcnt vmcnt(20)
	v_fma_f64 v[105:106], v[107:108], v[99:100], v[97:98]
	ds_read2_b64 v[97:100], v96 offset0:61 offset1:62
	buffer_load_dword v107, off, s[0:3], 0 offset:184
	buffer_load_dword v108, off, s[0:3], 0 offset:188
	;; [unrolled: 9-line block ×14, first 2 shown]
	s_waitcnt vmcnt(20) lgkmcnt(0)
	v_fma_f64 v[97:98], v[111:112], v[97:98], v[105:106]
	s_waitcnt vmcnt(18)
	v_fma_f64 v[105:106], v[109:110], v[99:100], v[97:98]
	ds_read2_b64 v[97:100], v96 offset0:87 offset1:88
	s_waitcnt vmcnt(16) lgkmcnt(0)
	v_fma_f64 v[97:98], v[115:116], v[97:98], v[105:106]
	s_waitcnt vmcnt(14)
	v_fma_f64 v[105:106], v[113:114], v[99:100], v[97:98]
	ds_read2_b64 v[97:100], v96 offset0:89 offset1:90
	;; [unrolled: 5-line block ×4, first 2 shown]
	s_waitcnt vmcnt(4) lgkmcnt(0)
	v_fma_f64 v[96:97], v[123:124], v[96:97], v[100:101]
	s_waitcnt vmcnt(2)
	v_fma_f64 v[96:97], v[103:104], v[98:99], v[96:97]
	s_waitcnt vmcnt(0)
	v_add_f64 v[96:97], v[107:108], -v[96:97]
	buffer_store_dword v97, off, s[0:3], 0 offset:68
	buffer_store_dword v96, off, s[0:3], 0 offset:64
	s_and_saveexec_b64 s[4:5], vcc
	s_cbranch_execz .LBB46_275
; %bb.274:
	buffer_load_dword v96, off, s[0:3], 0 offset:56
	buffer_load_dword v97, off, s[0:3], 0 offset:60
	v_mov_b32_e32 v98, 0
	buffer_store_dword v98, off, s[0:3], 0 offset:56
	buffer_store_dword v98, off, s[0:3], 0 offset:60
	s_waitcnt vmcnt(2)
	ds_write_b64 v95, v[96:97]
.LBB46_275:
	s_or_b64 exec, exec, s[4:5]
	s_waitcnt lgkmcnt(0)
	; wave barrier
	buffer_load_dword v101, off, s[0:3], 0 offset:64
	buffer_load_dword v102, off, s[0:3], 0 offset:68
	;; [unrolled: 1-line block ×20, first 2 shown]
	v_mov_b32_e32 v96, 0
	ds_read_b128 v[97:100], v96 offset:448
	buffer_load_dword v121, off, s[0:3], 0 offset:144
	buffer_load_dword v122, off, s[0:3], 0 offset:148
	v_cmp_lt_u32_e32 vcc, 6, v0
	s_waitcnt vmcnt(20) lgkmcnt(0)
	v_fma_f64 v[97:98], v[101:102], v[97:98], 0
	buffer_load_dword v102, off, s[0:3], 0 offset:156
	buffer_load_dword v101, off, s[0:3], 0 offset:152
	s_waitcnt vmcnt(20)
	v_fma_f64 v[103:104], v[103:104], v[99:100], v[97:98]
	ds_read_b128 v[97:100], v96 offset:464
	buffer_load_dword v123, off, s[0:3], 0 offset:160
	buffer_load_dword v124, off, s[0:3], 0 offset:164
	s_waitcnt vmcnt(20) lgkmcnt(0)
	v_fma_f64 v[97:98], v[105:106], v[97:98], v[103:104]
	buffer_load_dword v103, off, s[0:3], 0 offset:168
	buffer_load_dword v104, off, s[0:3], 0 offset:172
	s_waitcnt vmcnt(20)
	v_fma_f64 v[105:106], v[107:108], v[99:100], v[97:98]
	ds_read_b128 v[97:100], v96 offset:480
	buffer_load_dword v107, off, s[0:3], 0 offset:176
	buffer_load_dword v108, off, s[0:3], 0 offset:180
	;; [unrolled: 9-line block ×14, first 2 shown]
	s_waitcnt vmcnt(20) lgkmcnt(0)
	v_fma_f64 v[97:98], v[111:112], v[97:98], v[105:106]
	buffer_load_dword v105, off, s[0:3], 0 offset:56
	buffer_load_dword v106, off, s[0:3], 0 offset:60
	s_waitcnt vmcnt(20)
	v_fma_f64 v[109:110], v[109:110], v[99:100], v[97:98]
	ds_read_b128 v[97:100], v96 offset:688
	s_waitcnt vmcnt(18) lgkmcnt(0)
	v_fma_f64 v[97:98], v[115:116], v[97:98], v[109:110]
	s_waitcnt vmcnt(16)
	v_fma_f64 v[109:110], v[113:114], v[99:100], v[97:98]
	ds_read_b128 v[97:100], v96 offset:704
	s_waitcnt vmcnt(14) lgkmcnt(0)
	v_fma_f64 v[97:98], v[119:120], v[97:98], v[109:110]
	;; [unrolled: 5-line block ×4, first 2 shown]
	s_waitcnt vmcnt(4)
	v_fma_f64 v[97:98], v[103:104], v[99:100], v[97:98]
	ds_read_b64 v[99:100], v96 offset:752
	s_waitcnt vmcnt(2) lgkmcnt(0)
	v_fma_f64 v[97:98], v[107:108], v[99:100], v[97:98]
	s_waitcnt vmcnt(0)
	v_add_f64 v[97:98], v[105:106], -v[97:98]
	buffer_store_dword v98, off, s[0:3], 0 offset:60
	buffer_store_dword v97, off, s[0:3], 0 offset:56
	s_and_saveexec_b64 s[4:5], vcc
	s_cbranch_execz .LBB46_277
; %bb.276:
	buffer_load_dword v97, off, s[0:3], 0 offset:48
	buffer_load_dword v98, off, s[0:3], 0 offset:52
	s_waitcnt vmcnt(0)
	ds_write_b64 v95, v[97:98]
	buffer_store_dword v96, off, s[0:3], 0 offset:48
	buffer_store_dword v96, off, s[0:3], 0 offset:52
.LBB46_277:
	s_or_b64 exec, exec, s[4:5]
	s_waitcnt lgkmcnt(0)
	; wave barrier
	buffer_load_dword v101, off, s[0:3], 0 offset:56
	buffer_load_dword v102, off, s[0:3], 0 offset:60
	;; [unrolled: 1-line block ×20, first 2 shown]
	ds_read2_b64 v[97:100], v96 offset0:55 offset1:56
	buffer_load_dword v121, off, s[0:3], 0 offset:136
	buffer_load_dword v122, off, s[0:3], 0 offset:140
	v_cmp_lt_u32_e32 vcc, 5, v0
	s_waitcnt vmcnt(20) lgkmcnt(0)
	v_fma_f64 v[97:98], v[101:102], v[97:98], 0
	buffer_load_dword v102, off, s[0:3], 0 offset:148
	buffer_load_dword v101, off, s[0:3], 0 offset:144
	s_waitcnt vmcnt(20)
	v_fma_f64 v[103:104], v[103:104], v[99:100], v[97:98]
	ds_read2_b64 v[97:100], v96 offset0:57 offset1:58
	buffer_load_dword v123, off, s[0:3], 0 offset:152
	buffer_load_dword v124, off, s[0:3], 0 offset:156
	s_waitcnt vmcnt(20) lgkmcnt(0)
	v_fma_f64 v[97:98], v[105:106], v[97:98], v[103:104]
	buffer_load_dword v103, off, s[0:3], 0 offset:160
	buffer_load_dword v104, off, s[0:3], 0 offset:164
	s_waitcnt vmcnt(20)
	v_fma_f64 v[105:106], v[107:108], v[99:100], v[97:98]
	ds_read2_b64 v[97:100], v96 offset0:59 offset1:60
	buffer_load_dword v107, off, s[0:3], 0 offset:168
	buffer_load_dword v108, off, s[0:3], 0 offset:172
	;; [unrolled: 9-line block ×15, first 2 shown]
	s_waitcnt vmcnt(20) lgkmcnt(0)
	v_fma_f64 v[97:98], v[115:116], v[97:98], v[109:110]
	s_waitcnt vmcnt(18)
	v_fma_f64 v[109:110], v[113:114], v[99:100], v[97:98]
	ds_read2_b64 v[97:100], v96 offset0:87 offset1:88
	s_waitcnt vmcnt(16) lgkmcnt(0)
	v_fma_f64 v[97:98], v[119:120], v[97:98], v[109:110]
	s_waitcnt vmcnt(14)
	v_fma_f64 v[109:110], v[117:118], v[99:100], v[97:98]
	ds_read2_b64 v[97:100], v96 offset0:89 offset1:90
	;; [unrolled: 5-line block ×4, first 2 shown]
	s_waitcnt vmcnt(4) lgkmcnt(0)
	v_fma_f64 v[96:97], v[107:108], v[96:97], v[100:101]
	s_waitcnt vmcnt(2)
	v_fma_f64 v[96:97], v[105:106], v[98:99], v[96:97]
	s_waitcnt vmcnt(0)
	v_add_f64 v[96:97], v[111:112], -v[96:97]
	buffer_store_dword v97, off, s[0:3], 0 offset:52
	buffer_store_dword v96, off, s[0:3], 0 offset:48
	s_and_saveexec_b64 s[4:5], vcc
	s_cbranch_execz .LBB46_279
; %bb.278:
	buffer_load_dword v96, off, s[0:3], 0 offset:40
	buffer_load_dword v97, off, s[0:3], 0 offset:44
	v_mov_b32_e32 v98, 0
	buffer_store_dword v98, off, s[0:3], 0 offset:40
	buffer_store_dword v98, off, s[0:3], 0 offset:44
	s_waitcnt vmcnt(2)
	ds_write_b64 v95, v[96:97]
.LBB46_279:
	s_or_b64 exec, exec, s[4:5]
	s_waitcnt lgkmcnt(0)
	; wave barrier
	buffer_load_dword v101, off, s[0:3], 0 offset:48
	buffer_load_dword v102, off, s[0:3], 0 offset:52
	;; [unrolled: 1-line block ×20, first 2 shown]
	v_mov_b32_e32 v96, 0
	ds_read_b128 v[97:100], v96 offset:432
	buffer_load_dword v121, off, s[0:3], 0 offset:128
	buffer_load_dword v122, off, s[0:3], 0 offset:132
	v_cmp_lt_u32_e32 vcc, 4, v0
	s_waitcnt vmcnt(20) lgkmcnt(0)
	v_fma_f64 v[97:98], v[101:102], v[97:98], 0
	buffer_load_dword v102, off, s[0:3], 0 offset:140
	buffer_load_dword v101, off, s[0:3], 0 offset:136
	s_waitcnt vmcnt(20)
	v_fma_f64 v[103:104], v[103:104], v[99:100], v[97:98]
	ds_read_b128 v[97:100], v96 offset:448
	buffer_load_dword v123, off, s[0:3], 0 offset:144
	buffer_load_dword v124, off, s[0:3], 0 offset:148
	s_waitcnt vmcnt(20) lgkmcnt(0)
	v_fma_f64 v[97:98], v[105:106], v[97:98], v[103:104]
	buffer_load_dword v103, off, s[0:3], 0 offset:152
	buffer_load_dword v104, off, s[0:3], 0 offset:156
	s_waitcnt vmcnt(20)
	v_fma_f64 v[105:106], v[107:108], v[99:100], v[97:98]
	ds_read_b128 v[97:100], v96 offset:464
	buffer_load_dword v107, off, s[0:3], 0 offset:160
	buffer_load_dword v108, off, s[0:3], 0 offset:164
	;; [unrolled: 9-line block ×15, first 2 shown]
	s_waitcnt vmcnt(20) lgkmcnt(0)
	v_fma_f64 v[97:98], v[115:116], v[97:98], v[109:110]
	buffer_load_dword v109, off, s[0:3], 0 offset:40
	buffer_load_dword v110, off, s[0:3], 0 offset:44
	s_waitcnt vmcnt(20)
	v_fma_f64 v[113:114], v[113:114], v[99:100], v[97:98]
	ds_read_b128 v[97:100], v96 offset:688
	s_waitcnt vmcnt(18) lgkmcnt(0)
	v_fma_f64 v[97:98], v[119:120], v[97:98], v[113:114]
	s_waitcnt vmcnt(16)
	v_fma_f64 v[113:114], v[117:118], v[99:100], v[97:98]
	ds_read_b128 v[97:100], v96 offset:704
	s_waitcnt vmcnt(14) lgkmcnt(0)
	v_fma_f64 v[97:98], v[121:122], v[97:98], v[113:114]
	;; [unrolled: 5-line block ×4, first 2 shown]
	s_waitcnt vmcnt(4)
	v_fma_f64 v[97:98], v[105:106], v[99:100], v[97:98]
	ds_read_b64 v[99:100], v96 offset:752
	s_waitcnt vmcnt(2) lgkmcnt(0)
	v_fma_f64 v[97:98], v[111:112], v[99:100], v[97:98]
	s_waitcnt vmcnt(0)
	v_add_f64 v[97:98], v[109:110], -v[97:98]
	buffer_store_dword v98, off, s[0:3], 0 offset:44
	buffer_store_dword v97, off, s[0:3], 0 offset:40
	s_and_saveexec_b64 s[4:5], vcc
	s_cbranch_execz .LBB46_281
; %bb.280:
	buffer_load_dword v97, off, s[0:3], 0 offset:32
	buffer_load_dword v98, off, s[0:3], 0 offset:36
	s_waitcnt vmcnt(0)
	ds_write_b64 v95, v[97:98]
	buffer_store_dword v96, off, s[0:3], 0 offset:32
	buffer_store_dword v96, off, s[0:3], 0 offset:36
.LBB46_281:
	s_or_b64 exec, exec, s[4:5]
	s_waitcnt lgkmcnt(0)
	; wave barrier
	buffer_load_dword v101, off, s[0:3], 0 offset:40
	buffer_load_dword v102, off, s[0:3], 0 offset:44
	;; [unrolled: 1-line block ×20, first 2 shown]
	ds_read2_b64 v[97:100], v96 offset0:53 offset1:54
	buffer_load_dword v121, off, s[0:3], 0 offset:120
	buffer_load_dword v122, off, s[0:3], 0 offset:124
	v_cmp_lt_u32_e32 vcc, 3, v0
	s_waitcnt vmcnt(20) lgkmcnt(0)
	v_fma_f64 v[97:98], v[101:102], v[97:98], 0
	buffer_load_dword v102, off, s[0:3], 0 offset:132
	buffer_load_dword v101, off, s[0:3], 0 offset:128
	s_waitcnt vmcnt(20)
	v_fma_f64 v[103:104], v[103:104], v[99:100], v[97:98]
	ds_read2_b64 v[97:100], v96 offset0:55 offset1:56
	buffer_load_dword v123, off, s[0:3], 0 offset:136
	buffer_load_dword v124, off, s[0:3], 0 offset:140
	s_waitcnt vmcnt(20) lgkmcnt(0)
	v_fma_f64 v[97:98], v[105:106], v[97:98], v[103:104]
	buffer_load_dword v103, off, s[0:3], 0 offset:144
	buffer_load_dword v104, off, s[0:3], 0 offset:148
	s_waitcnt vmcnt(20)
	v_fma_f64 v[105:106], v[107:108], v[99:100], v[97:98]
	ds_read2_b64 v[97:100], v96 offset0:57 offset1:58
	buffer_load_dword v107, off, s[0:3], 0 offset:152
	buffer_load_dword v108, off, s[0:3], 0 offset:156
	;; [unrolled: 9-line block ×16, first 2 shown]
	s_waitcnt vmcnt(20) lgkmcnt(0)
	v_fma_f64 v[97:98], v[119:120], v[97:98], v[113:114]
	s_waitcnt vmcnt(18)
	v_fma_f64 v[113:114], v[117:118], v[99:100], v[97:98]
	ds_read2_b64 v[97:100], v96 offset0:87 offset1:88
	s_waitcnt vmcnt(16) lgkmcnt(0)
	v_fma_f64 v[97:98], v[121:122], v[97:98], v[113:114]
	s_waitcnt vmcnt(14)
	v_fma_f64 v[101:102], v[101:102], v[99:100], v[97:98]
	ds_read2_b64 v[97:100], v96 offset0:89 offset1:90
	;; [unrolled: 5-line block ×4, first 2 shown]
	s_waitcnt vmcnt(4) lgkmcnt(0)
	v_fma_f64 v[96:97], v[111:112], v[96:97], v[100:101]
	s_waitcnt vmcnt(2)
	v_fma_f64 v[96:97], v[109:110], v[98:99], v[96:97]
	s_waitcnt vmcnt(0)
	v_add_f64 v[96:97], v[115:116], -v[96:97]
	buffer_store_dword v97, off, s[0:3], 0 offset:36
	buffer_store_dword v96, off, s[0:3], 0 offset:32
	s_and_saveexec_b64 s[4:5], vcc
	s_cbranch_execz .LBB46_283
; %bb.282:
	buffer_load_dword v96, off, s[0:3], 0 offset:24
	buffer_load_dword v97, off, s[0:3], 0 offset:28
	v_mov_b32_e32 v98, 0
	buffer_store_dword v98, off, s[0:3], 0 offset:24
	buffer_store_dword v98, off, s[0:3], 0 offset:28
	s_waitcnt vmcnt(2)
	ds_write_b64 v95, v[96:97]
.LBB46_283:
	s_or_b64 exec, exec, s[4:5]
	s_waitcnt lgkmcnt(0)
	; wave barrier
	buffer_load_dword v101, off, s[0:3], 0 offset:32
	buffer_load_dword v102, off, s[0:3], 0 offset:36
	;; [unrolled: 1-line block ×20, first 2 shown]
	v_mov_b32_e32 v96, 0
	ds_read_b128 v[97:100], v96 offset:416
	buffer_load_dword v121, off, s[0:3], 0 offset:112
	buffer_load_dword v122, off, s[0:3], 0 offset:116
	v_cmp_lt_u32_e32 vcc, 2, v0
	s_waitcnt vmcnt(20) lgkmcnt(0)
	v_fma_f64 v[97:98], v[101:102], v[97:98], 0
	buffer_load_dword v102, off, s[0:3], 0 offset:124
	buffer_load_dword v101, off, s[0:3], 0 offset:120
	s_waitcnt vmcnt(20)
	v_fma_f64 v[103:104], v[103:104], v[99:100], v[97:98]
	ds_read_b128 v[97:100], v96 offset:432
	buffer_load_dword v123, off, s[0:3], 0 offset:128
	buffer_load_dword v124, off, s[0:3], 0 offset:132
	s_waitcnt vmcnt(20) lgkmcnt(0)
	v_fma_f64 v[97:98], v[105:106], v[97:98], v[103:104]
	buffer_load_dword v103, off, s[0:3], 0 offset:136
	buffer_load_dword v104, off, s[0:3], 0 offset:140
	s_waitcnt vmcnt(20)
	v_fma_f64 v[105:106], v[107:108], v[99:100], v[97:98]
	ds_read_b128 v[97:100], v96 offset:448
	buffer_load_dword v107, off, s[0:3], 0 offset:144
	buffer_load_dword v108, off, s[0:3], 0 offset:148
	s_waitcnt vmcnt(20) lgkmcnt(0)
	v_fma_f64 v[97:98], v[109:110], v[97:98], v[105:106]
	buffer_load_dword v106, off, s[0:3], 0 offset:156
	buffer_load_dword v105, off, s[0:3], 0 offset:152
	s_waitcnt vmcnt(20)
	v_fma_f64 v[109:110], v[111:112], v[99:100], v[97:98]
	ds_read_b128 v[97:100], v96 offset:464
	buffer_load_dword v111, off, s[0:3], 0 offset:160
	buffer_load_dword v112, off, s[0:3], 0 offset:164
	s_waitcnt vmcnt(20) lgkmcnt(0)
	v_fma_f64 v[97:98], v[113:114], v[97:98], v[109:110]
	buffer_load_dword v109, off, s[0:3], 0 offset:168
	buffer_load_dword v110, off, s[0:3], 0 offset:172
	s_waitcnt vmcnt(20)
	v_fma_f64 v[113:114], v[115:116], v[99:100], v[97:98]
	ds_read_b128 v[97:100], v96 offset:480
	buffer_load_dword v115, off, s[0:3], 0 offset:176
	buffer_load_dword v116, off, s[0:3], 0 offset:180
	s_waitcnt vmcnt(20) lgkmcnt(0)
	v_fma_f64 v[97:98], v[117:118], v[97:98], v[113:114]
	buffer_load_dword v114, off, s[0:3], 0 offset:188
	buffer_load_dword v113, off, s[0:3], 0 offset:184
	s_waitcnt vmcnt(20)
	v_fma_f64 v[117:118], v[119:120], v[99:100], v[97:98]
	ds_read_b128 v[97:100], v96 offset:496
	buffer_load_dword v119, off, s[0:3], 0 offset:192
	buffer_load_dword v120, off, s[0:3], 0 offset:196
	s_waitcnt vmcnt(20) lgkmcnt(0)
	v_fma_f64 v[97:98], v[121:122], v[97:98], v[117:118]
	buffer_load_dword v117, off, s[0:3], 0 offset:200
	buffer_load_dword v118, off, s[0:3], 0 offset:204
	s_waitcnt vmcnt(20)
	v_fma_f64 v[101:102], v[101:102], v[99:100], v[97:98]
	ds_read_b128 v[97:100], v96 offset:512
	buffer_load_dword v121, off, s[0:3], 0 offset:208
	buffer_load_dword v122, off, s[0:3], 0 offset:212
	s_waitcnt vmcnt(20) lgkmcnt(0)
	v_fma_f64 v[97:98], v[123:124], v[97:98], v[101:102]
	buffer_load_dword v102, off, s[0:3], 0 offset:220
	buffer_load_dword v101, off, s[0:3], 0 offset:216
	s_waitcnt vmcnt(20)
	v_fma_f64 v[103:104], v[103:104], v[99:100], v[97:98]
	ds_read_b128 v[97:100], v96 offset:528
	buffer_load_dword v123, off, s[0:3], 0 offset:224
	buffer_load_dword v124, off, s[0:3], 0 offset:228
	s_waitcnt vmcnt(20) lgkmcnt(0)
	v_fma_f64 v[97:98], v[107:108], v[97:98], v[103:104]
	buffer_load_dword v103, off, s[0:3], 0 offset:232
	buffer_load_dword v104, off, s[0:3], 0 offset:236
	s_waitcnt vmcnt(20)
	v_fma_f64 v[105:106], v[105:106], v[99:100], v[97:98]
	ds_read_b128 v[97:100], v96 offset:544
	buffer_load_dword v107, off, s[0:3], 0 offset:240
	buffer_load_dword v108, off, s[0:3], 0 offset:244
	s_waitcnt vmcnt(20) lgkmcnt(0)
	v_fma_f64 v[97:98], v[111:112], v[97:98], v[105:106]
	buffer_load_dword v106, off, s[0:3], 0 offset:252
	buffer_load_dword v105, off, s[0:3], 0 offset:248
	s_waitcnt vmcnt(20)
	v_fma_f64 v[109:110], v[109:110], v[99:100], v[97:98]
	ds_read_b128 v[97:100], v96 offset:560
	buffer_load_dword v111, off, s[0:3], 0 offset:256
	buffer_load_dword v112, off, s[0:3], 0 offset:260
	s_waitcnt vmcnt(20) lgkmcnt(0)
	v_fma_f64 v[97:98], v[115:116], v[97:98], v[109:110]
	buffer_load_dword v109, off, s[0:3], 0 offset:264
	buffer_load_dword v110, off, s[0:3], 0 offset:268
	s_waitcnt vmcnt(20)
	v_fma_f64 v[113:114], v[113:114], v[99:100], v[97:98]
	ds_read_b128 v[97:100], v96 offset:576
	buffer_load_dword v115, off, s[0:3], 0 offset:272
	buffer_load_dword v116, off, s[0:3], 0 offset:276
	s_waitcnt vmcnt(20) lgkmcnt(0)
	v_fma_f64 v[97:98], v[119:120], v[97:98], v[113:114]
	buffer_load_dword v114, off, s[0:3], 0 offset:284
	buffer_load_dword v113, off, s[0:3], 0 offset:280
	s_waitcnt vmcnt(20)
	v_fma_f64 v[117:118], v[117:118], v[99:100], v[97:98]
	ds_read_b128 v[97:100], v96 offset:592
	buffer_load_dword v119, off, s[0:3], 0 offset:288
	buffer_load_dword v120, off, s[0:3], 0 offset:292
	s_waitcnt vmcnt(20) lgkmcnt(0)
	v_fma_f64 v[97:98], v[121:122], v[97:98], v[117:118]
	buffer_load_dword v117, off, s[0:3], 0 offset:296
	buffer_load_dword v118, off, s[0:3], 0 offset:300
	s_waitcnt vmcnt(20)
	v_fma_f64 v[101:102], v[101:102], v[99:100], v[97:98]
	ds_read_b128 v[97:100], v96 offset:608
	buffer_load_dword v121, off, s[0:3], 0 offset:304
	buffer_load_dword v122, off, s[0:3], 0 offset:308
	s_waitcnt vmcnt(20) lgkmcnt(0)
	v_fma_f64 v[97:98], v[123:124], v[97:98], v[101:102]
	buffer_load_dword v102, off, s[0:3], 0 offset:316
	buffer_load_dword v101, off, s[0:3], 0 offset:312
	s_waitcnt vmcnt(20)
	v_fma_f64 v[103:104], v[103:104], v[99:100], v[97:98]
	ds_read_b128 v[97:100], v96 offset:624
	buffer_load_dword v123, off, s[0:3], 0 offset:320
	buffer_load_dword v124, off, s[0:3], 0 offset:324
	s_waitcnt vmcnt(20) lgkmcnt(0)
	v_fma_f64 v[97:98], v[107:108], v[97:98], v[103:104]
	buffer_load_dword v103, off, s[0:3], 0 offset:328
	buffer_load_dword v104, off, s[0:3], 0 offset:332
	s_waitcnt vmcnt(20)
	v_fma_f64 v[105:106], v[105:106], v[99:100], v[97:98]
	ds_read_b128 v[97:100], v96 offset:640
	buffer_load_dword v107, off, s[0:3], 0 offset:336
	buffer_load_dword v108, off, s[0:3], 0 offset:340
	s_waitcnt vmcnt(20) lgkmcnt(0)
	v_fma_f64 v[97:98], v[111:112], v[97:98], v[105:106]
	buffer_load_dword v106, off, s[0:3], 0 offset:348
	buffer_load_dword v105, off, s[0:3], 0 offset:344
	s_waitcnt vmcnt(20)
	v_fma_f64 v[109:110], v[109:110], v[99:100], v[97:98]
	ds_read_b128 v[97:100], v96 offset:656
	buffer_load_dword v111, off, s[0:3], 0 offset:352
	buffer_load_dword v112, off, s[0:3], 0 offset:356
	s_waitcnt vmcnt(20) lgkmcnt(0)
	v_fma_f64 v[97:98], v[115:116], v[97:98], v[109:110]
	buffer_load_dword v109, off, s[0:3], 0 offset:360
	buffer_load_dword v110, off, s[0:3], 0 offset:364
	s_waitcnt vmcnt(20)
	v_fma_f64 v[113:114], v[113:114], v[99:100], v[97:98]
	ds_read_b128 v[97:100], v96 offset:672
	buffer_load_dword v115, off, s[0:3], 0 offset:368
	buffer_load_dword v116, off, s[0:3], 0 offset:372
	s_waitcnt vmcnt(20) lgkmcnt(0)
	v_fma_f64 v[97:98], v[119:120], v[97:98], v[113:114]
	buffer_load_dword v113, off, s[0:3], 0 offset:24
	buffer_load_dword v114, off, s[0:3], 0 offset:28
	s_waitcnt vmcnt(20)
	v_fma_f64 v[117:118], v[117:118], v[99:100], v[97:98]
	ds_read_b128 v[97:100], v96 offset:688
	s_waitcnt vmcnt(18) lgkmcnt(0)
	v_fma_f64 v[97:98], v[121:122], v[97:98], v[117:118]
	s_waitcnt vmcnt(16)
	v_fma_f64 v[101:102], v[101:102], v[99:100], v[97:98]
	ds_read_b128 v[97:100], v96 offset:704
	s_waitcnt vmcnt(14) lgkmcnt(0)
	v_fma_f64 v[97:98], v[123:124], v[97:98], v[101:102]
	;; [unrolled: 5-line block ×4, first 2 shown]
	s_waitcnt vmcnt(4)
	v_fma_f64 v[97:98], v[109:110], v[99:100], v[97:98]
	ds_read_b64 v[99:100], v96 offset:752
	s_waitcnt vmcnt(2) lgkmcnt(0)
	v_fma_f64 v[97:98], v[115:116], v[99:100], v[97:98]
	s_waitcnt vmcnt(0)
	v_add_f64 v[97:98], v[113:114], -v[97:98]
	buffer_store_dword v98, off, s[0:3], 0 offset:28
	buffer_store_dword v97, off, s[0:3], 0 offset:24
	s_and_saveexec_b64 s[4:5], vcc
	s_cbranch_execz .LBB46_285
; %bb.284:
	buffer_load_dword v97, off, s[0:3], 0 offset:16
	buffer_load_dword v98, off, s[0:3], 0 offset:20
	s_waitcnt vmcnt(0)
	ds_write_b64 v95, v[97:98]
	buffer_store_dword v96, off, s[0:3], 0 offset:16
	buffer_store_dword v96, off, s[0:3], 0 offset:20
.LBB46_285:
	s_or_b64 exec, exec, s[4:5]
	s_waitcnt lgkmcnt(0)
	; wave barrier
	buffer_load_dword v101, off, s[0:3], 0 offset:24
	buffer_load_dword v102, off, s[0:3], 0 offset:28
	;; [unrolled: 1-line block ×20, first 2 shown]
	ds_read2_b64 v[97:100], v96 offset0:51 offset1:52
	buffer_load_dword v121, off, s[0:3], 0 offset:104
	buffer_load_dword v122, off, s[0:3], 0 offset:108
	v_cmp_lt_u32_e32 vcc, 1, v0
	s_waitcnt vmcnt(20) lgkmcnt(0)
	v_fma_f64 v[97:98], v[101:102], v[97:98], 0
	buffer_load_dword v102, off, s[0:3], 0 offset:116
	buffer_load_dword v101, off, s[0:3], 0 offset:112
	s_waitcnt vmcnt(20)
	v_fma_f64 v[103:104], v[103:104], v[99:100], v[97:98]
	ds_read2_b64 v[97:100], v96 offset0:53 offset1:54
	buffer_load_dword v123, off, s[0:3], 0 offset:120
	buffer_load_dword v124, off, s[0:3], 0 offset:124
	s_waitcnt vmcnt(20) lgkmcnt(0)
	v_fma_f64 v[97:98], v[105:106], v[97:98], v[103:104]
	buffer_load_dword v103, off, s[0:3], 0 offset:128
	buffer_load_dword v104, off, s[0:3], 0 offset:132
	s_waitcnt vmcnt(20)
	v_fma_f64 v[105:106], v[107:108], v[99:100], v[97:98]
	ds_read2_b64 v[97:100], v96 offset0:55 offset1:56
	buffer_load_dword v107, off, s[0:3], 0 offset:136
	buffer_load_dword v108, off, s[0:3], 0 offset:140
	;; [unrolled: 9-line block ×17, first 2 shown]
	s_waitcnt vmcnt(20) lgkmcnt(0)
	v_fma_f64 v[97:98], v[121:122], v[97:98], v[117:118]
	s_waitcnt vmcnt(18)
	v_fma_f64 v[101:102], v[101:102], v[99:100], v[97:98]
	ds_read2_b64 v[97:100], v96 offset0:87 offset1:88
	s_waitcnt vmcnt(16) lgkmcnt(0)
	v_fma_f64 v[97:98], v[123:124], v[97:98], v[101:102]
	s_waitcnt vmcnt(14)
	v_fma_f64 v[101:102], v[103:104], v[99:100], v[97:98]
	ds_read2_b64 v[97:100], v96 offset0:89 offset1:90
	;; [unrolled: 5-line block ×4, first 2 shown]
	s_waitcnt vmcnt(4) lgkmcnt(0)
	v_fma_f64 v[96:97], v[115:116], v[96:97], v[100:101]
	s_waitcnt vmcnt(2)
	v_fma_f64 v[96:97], v[113:114], v[98:99], v[96:97]
	s_waitcnt vmcnt(0)
	v_add_f64 v[96:97], v[119:120], -v[96:97]
	buffer_store_dword v97, off, s[0:3], 0 offset:20
	buffer_store_dword v96, off, s[0:3], 0 offset:16
	s_and_saveexec_b64 s[4:5], vcc
	s_cbranch_execz .LBB46_287
; %bb.286:
	buffer_load_dword v96, off, s[0:3], 0 offset:8
	buffer_load_dword v97, off, s[0:3], 0 offset:12
	v_mov_b32_e32 v98, 0
	buffer_store_dword v98, off, s[0:3], 0 offset:8
	buffer_store_dword v98, off, s[0:3], 0 offset:12
	s_waitcnt vmcnt(2)
	ds_write_b64 v95, v[96:97]
.LBB46_287:
	s_or_b64 exec, exec, s[4:5]
	s_waitcnt lgkmcnt(0)
	; wave barrier
	buffer_load_dword v101, off, s[0:3], 0 offset:16
	buffer_load_dword v102, off, s[0:3], 0 offset:20
	;; [unrolled: 1-line block ×20, first 2 shown]
	v_mov_b32_e32 v96, 0
	ds_read_b128 v[97:100], v96 offset:400
	buffer_load_dword v121, off, s[0:3], 0 offset:96
	buffer_load_dword v122, off, s[0:3], 0 offset:100
	v_cmp_ne_u32_e32 vcc, 0, v0
	s_waitcnt vmcnt(20) lgkmcnt(0)
	v_fma_f64 v[97:98], v[101:102], v[97:98], 0
	buffer_load_dword v102, off, s[0:3], 0 offset:108
	buffer_load_dword v101, off, s[0:3], 0 offset:104
	s_waitcnt vmcnt(20)
	v_fma_f64 v[103:104], v[103:104], v[99:100], v[97:98]
	ds_read_b128 v[97:100], v96 offset:416
	buffer_load_dword v123, off, s[0:3], 0 offset:112
	buffer_load_dword v124, off, s[0:3], 0 offset:116
	s_waitcnt vmcnt(20) lgkmcnt(0)
	v_fma_f64 v[97:98], v[105:106], v[97:98], v[103:104]
	buffer_load_dword v103, off, s[0:3], 0 offset:120
	buffer_load_dword v104, off, s[0:3], 0 offset:124
	s_waitcnt vmcnt(20)
	v_fma_f64 v[105:106], v[107:108], v[99:100], v[97:98]
	ds_read_b128 v[97:100], v96 offset:432
	buffer_load_dword v107, off, s[0:3], 0 offset:128
	buffer_load_dword v108, off, s[0:3], 0 offset:132
	;; [unrolled: 9-line block ×17, first 2 shown]
	s_waitcnt vmcnt(20) lgkmcnt(0)
	v_fma_f64 v[97:98], v[121:122], v[97:98], v[117:118]
	buffer_load_dword v117, off, s[0:3], 0 offset:8
	buffer_load_dword v118, off, s[0:3], 0 offset:12
	s_waitcnt vmcnt(20)
	v_fma_f64 v[101:102], v[101:102], v[99:100], v[97:98]
	ds_read_b128 v[97:100], v96 offset:688
	s_waitcnt vmcnt(18) lgkmcnt(0)
	v_fma_f64 v[97:98], v[123:124], v[97:98], v[101:102]
	s_waitcnt vmcnt(16)
	v_fma_f64 v[101:102], v[103:104], v[99:100], v[97:98]
	ds_read_b128 v[97:100], v96 offset:704
	s_waitcnt vmcnt(14) lgkmcnt(0)
	v_fma_f64 v[97:98], v[107:108], v[97:98], v[101:102]
	;; [unrolled: 5-line block ×4, first 2 shown]
	s_waitcnt vmcnt(4)
	v_fma_f64 v[97:98], v[113:114], v[99:100], v[97:98]
	ds_read_b64 v[99:100], v96 offset:752
	s_waitcnt vmcnt(2) lgkmcnt(0)
	v_fma_f64 v[97:98], v[119:120], v[99:100], v[97:98]
	s_waitcnt vmcnt(0)
	v_add_f64 v[97:98], v[117:118], -v[97:98]
	buffer_store_dword v98, off, s[0:3], 0 offset:12
	buffer_store_dword v97, off, s[0:3], 0 offset:8
	s_and_saveexec_b64 s[4:5], vcc
	s_cbranch_execz .LBB46_289
; %bb.288:
	buffer_load_dword v97, off, s[0:3], 0
	buffer_load_dword v98, off, s[0:3], 0 offset:4
	s_waitcnt vmcnt(0)
	ds_write_b64 v95, v[97:98]
	buffer_store_dword v96, off, s[0:3], 0
	buffer_store_dword v96, off, s[0:3], 0 offset:4
.LBB46_289:
	s_or_b64 exec, exec, s[4:5]
	s_waitcnt lgkmcnt(0)
	; wave barrier
	buffer_load_dword v101, off, s[0:3], 0 offset:8
	buffer_load_dword v102, off, s[0:3], 0 offset:12
	;; [unrolled: 1-line block ×20, first 2 shown]
	ds_read2_b64 v[97:100], v96 offset0:49 offset1:50
	buffer_load_dword v121, off, s[0:3], 0 offset:88
	buffer_load_dword v122, off, s[0:3], 0 offset:92
	s_and_b64 vcc, exec, s[22:23]
	s_waitcnt vmcnt(20) lgkmcnt(0)
	v_fma_f64 v[97:98], v[101:102], v[97:98], 0
	buffer_load_dword v102, off, s[0:3], 0 offset:100
	buffer_load_dword v101, off, s[0:3], 0 offset:96
	s_waitcnt vmcnt(20)
	v_fma_f64 v[103:104], v[103:104], v[99:100], v[97:98]
	ds_read2_b64 v[97:100], v96 offset0:51 offset1:52
	buffer_load_dword v123, off, s[0:3], 0 offset:104
	buffer_load_dword v124, off, s[0:3], 0 offset:108
	s_waitcnt vmcnt(20) lgkmcnt(0)
	v_fma_f64 v[97:98], v[105:106], v[97:98], v[103:104]
	buffer_load_dword v103, off, s[0:3], 0 offset:112
	buffer_load_dword v104, off, s[0:3], 0 offset:116
	s_waitcnt vmcnt(20)
	v_fma_f64 v[105:106], v[107:108], v[99:100], v[97:98]
	ds_read2_b64 v[97:100], v96 offset0:53 offset1:54
	buffer_load_dword v107, off, s[0:3], 0 offset:120
	buffer_load_dword v108, off, s[0:3], 0 offset:124
	;; [unrolled: 9-line block ×17, first 2 shown]
	s_waitcnt vmcnt(20) lgkmcnt(0)
	v_fma_f64 v[99:100], v[121:122], v[99:100], v[117:118]
	buffer_load_dword v117, off, s[0:3], 0 offset:368
	buffer_load_dword v118, off, s[0:3], 0 offset:372
	s_waitcnt vmcnt(20)
	v_fma_f64 v[121:122], v[123:124], v[101:102], v[99:100]
	ds_read2_b64 v[99:102], v96 offset0:85 offset1:86
	buffer_load_dword v123, off, s[0:3], 0
	buffer_load_dword v124, off, s[0:3], 0 offset:4
	s_waitcnt vmcnt(20) lgkmcnt(0)
	v_fma_f64 v[99:100], v[103:104], v[99:100], v[121:122]
	s_waitcnt vmcnt(18)
	v_fma_f64 v[103:104], v[107:108], v[101:102], v[99:100]
	ds_read2_b64 v[99:102], v96 offset0:87 offset1:88
	s_waitcnt vmcnt(16) lgkmcnt(0)
	v_fma_f64 v[99:100], v[105:106], v[99:100], v[103:104]
	s_waitcnt vmcnt(14)
	v_fma_f64 v[103:104], v[111:112], v[101:102], v[99:100]
	ds_read2_b64 v[99:102], v96 offset0:89 offset1:90
	;; [unrolled: 5-line block ×4, first 2 shown]
	s_waitcnt vmcnt(4) lgkmcnt(0)
	v_fma_f64 v[95:96], v[97:98], v[99:100], v[103:104]
	s_waitcnt vmcnt(2)
	v_fma_f64 v[95:96], v[117:118], v[101:102], v[95:96]
	s_waitcnt vmcnt(0)
	v_add_f64 v[95:96], v[123:124], -v[95:96]
	buffer_store_dword v96, off, s[0:3], 0 offset:4
	buffer_store_dword v95, off, s[0:3], 0
	s_cbranch_vccz .LBB46_382
; %bb.290:
	v_mov_b32_e32 v0, 0
	global_load_dword v95, v0, s[20:21] offset:180
	s_waitcnt vmcnt(0)
	v_add_u32_e32 v95, -1, v95
	v_cmp_ne_u32_e32 vcc, 45, v95
	s_cbranch_vccz .LBB46_292
; %bb.291:
	v_lshlrev_b32_e32 v95, 3, v95
	buffer_load_dword v96, v95, s[0:3], 0 offen
	buffer_load_dword v99, v95, s[0:3], 0 offen offset:4
	s_waitcnt vmcnt(1)
	buffer_store_dword v96, off, s[0:3], 0 offset:360
	s_waitcnt vmcnt(1)
	buffer_store_dword v99, off, s[0:3], 0 offset:364
	buffer_store_dword v97, v95, s[0:3], 0 offen
	buffer_store_dword v98, v95, s[0:3], 0 offen offset:4
.LBB46_292:
	global_load_dword v0, v0, s[20:21] offset:176
	s_waitcnt vmcnt(0)
	v_add_u32_e32 v0, -1, v0
	v_cmp_eq_u32_e32 vcc, 44, v0
	s_cbranch_vccnz .LBB46_294
; %bb.293:
	v_lshlrev_b32_e32 v0, 3, v0
	buffer_load_dword v95, v0, s[0:3], 0 offen
	buffer_load_dword v96, v0, s[0:3], 0 offen offset:4
	buffer_load_dword v97, off, s[0:3], 0 offset:356
	buffer_load_dword v98, off, s[0:3], 0 offset:352
	s_waitcnt vmcnt(3)
	buffer_store_dword v95, off, s[0:3], 0 offset:352
	s_waitcnt vmcnt(3)
	buffer_store_dword v96, off, s[0:3], 0 offset:356
	s_waitcnt vmcnt(3)
	buffer_store_dword v97, v0, s[0:3], 0 offen offset:4
	s_waitcnt vmcnt(3)
	buffer_store_dword v98, v0, s[0:3], 0 offen
.LBB46_294:
	v_mov_b32_e32 v0, 0
	global_load_dword v95, v0, s[20:21] offset:172
	s_waitcnt vmcnt(0)
	v_add_u32_e32 v95, -1, v95
	v_cmp_eq_u32_e32 vcc, 43, v95
	s_cbranch_vccnz .LBB46_296
; %bb.295:
	v_lshlrev_b32_e32 v95, 3, v95
	buffer_load_dword v96, v95, s[0:3], 0 offen
	buffer_load_dword v97, v95, s[0:3], 0 offen offset:4
	buffer_load_dword v98, off, s[0:3], 0 offset:344
	buffer_load_dword v99, off, s[0:3], 0 offset:348
	s_waitcnt vmcnt(3)
	buffer_store_dword v96, off, s[0:3], 0 offset:344
	s_waitcnt vmcnt(3)
	buffer_store_dword v97, off, s[0:3], 0 offset:348
	s_waitcnt vmcnt(3)
	buffer_store_dword v98, v95, s[0:3], 0 offen
	s_waitcnt vmcnt(3)
	buffer_store_dword v99, v95, s[0:3], 0 offen offset:4
.LBB46_296:
	global_load_dword v0, v0, s[20:21] offset:168
	s_waitcnt vmcnt(0)
	v_add_u32_e32 v0, -1, v0
	v_cmp_eq_u32_e32 vcc, 42, v0
	s_cbranch_vccnz .LBB46_298
; %bb.297:
	v_lshlrev_b32_e32 v0, 3, v0
	buffer_load_dword v95, v0, s[0:3], 0 offen
	buffer_load_dword v96, v0, s[0:3], 0 offen offset:4
	buffer_load_dword v97, off, s[0:3], 0 offset:340
	buffer_load_dword v98, off, s[0:3], 0 offset:336
	s_waitcnt vmcnt(3)
	buffer_store_dword v95, off, s[0:3], 0 offset:336
	s_waitcnt vmcnt(3)
	buffer_store_dword v96, off, s[0:3], 0 offset:340
	s_waitcnt vmcnt(3)
	buffer_store_dword v97, v0, s[0:3], 0 offen offset:4
	s_waitcnt vmcnt(3)
	buffer_store_dword v98, v0, s[0:3], 0 offen
.LBB46_298:
	v_mov_b32_e32 v0, 0
	global_load_dword v95, v0, s[20:21] offset:164
	s_waitcnt vmcnt(0)
	v_add_u32_e32 v95, -1, v95
	v_cmp_eq_u32_e32 vcc, 41, v95
	s_cbranch_vccnz .LBB46_300
; %bb.299:
	v_lshlrev_b32_e32 v95, 3, v95
	buffer_load_dword v96, v95, s[0:3], 0 offen
	buffer_load_dword v97, v95, s[0:3], 0 offen offset:4
	buffer_load_dword v98, off, s[0:3], 0 offset:328
	buffer_load_dword v99, off, s[0:3], 0 offset:332
	s_waitcnt vmcnt(3)
	buffer_store_dword v96, off, s[0:3], 0 offset:328
	s_waitcnt vmcnt(3)
	buffer_store_dword v97, off, s[0:3], 0 offset:332
	s_waitcnt vmcnt(3)
	buffer_store_dword v98, v95, s[0:3], 0 offen
	s_waitcnt vmcnt(3)
	buffer_store_dword v99, v95, s[0:3], 0 offen offset:4
.LBB46_300:
	;; [unrolled: 41-line block ×22, first 2 shown]
	global_load_dword v0, v0, s[20:21]
	s_nop 0
	buffer_load_dword v95, off, s[0:3], 0
	buffer_load_dword v96, off, s[0:3], 0 offset:4
	s_waitcnt vmcnt(2)
	v_add_u32_e32 v0, -1, v0
	v_cmp_eq_u32_e32 vcc, 0, v0
	s_cbranch_vccnz .LBB46_382
; %bb.381:
	v_lshlrev_b32_e32 v0, 3, v0
	buffer_load_dword v97, v0, s[0:3], 0 offen offset:4
	buffer_load_dword v98, v0, s[0:3], 0 offen
	s_waitcnt vmcnt(1)
	buffer_store_dword v97, off, s[0:3], 0 offset:4
	s_waitcnt vmcnt(1)
	buffer_store_dword v98, off, s[0:3], 0
	buffer_store_dword v96, v0, s[0:3], 0 offen offset:4
	buffer_store_dword v95, v0, s[0:3], 0 offen
	buffer_load_dword v95, off, s[0:3], 0
	s_nop 0
	buffer_load_dword v96, off, s[0:3], 0 offset:4
.LBB46_382:
	buffer_load_dword v97, off, s[0:3], 0 offset:8
	buffer_load_dword v98, off, s[0:3], 0 offset:12
	buffer_load_dword v99, off, s[0:3], 0 offset:16
	buffer_load_dword v100, off, s[0:3], 0 offset:20
	buffer_load_dword v101, off, s[0:3], 0 offset:24
	buffer_load_dword v102, off, s[0:3], 0 offset:28
	buffer_load_dword v103, off, s[0:3], 0 offset:32
	buffer_load_dword v104, off, s[0:3], 0 offset:36
	buffer_load_dword v105, off, s[0:3], 0 offset:40
	buffer_load_dword v106, off, s[0:3], 0 offset:44
	buffer_load_dword v107, off, s[0:3], 0 offset:48
	buffer_load_dword v108, off, s[0:3], 0 offset:52
	buffer_load_dword v109, off, s[0:3], 0 offset:56
	buffer_load_dword v110, off, s[0:3], 0 offset:60
	buffer_load_dword v111, off, s[0:3], 0 offset:64
	buffer_load_dword v112, off, s[0:3], 0 offset:68
	buffer_load_dword v113, off, s[0:3], 0 offset:72
	buffer_load_dword v114, off, s[0:3], 0 offset:76
	buffer_load_dword v115, off, s[0:3], 0 offset:80
	buffer_load_dword v116, off, s[0:3], 0 offset:84
	buffer_load_dword v117, off, s[0:3], 0 offset:88
	buffer_load_dword v118, off, s[0:3], 0 offset:92
	buffer_load_dword v119, off, s[0:3], 0 offset:96
	buffer_load_dword v120, off, s[0:3], 0 offset:100
	buffer_load_dword v121, off, s[0:3], 0 offset:104
	buffer_load_dword v122, off, s[0:3], 0 offset:108
	buffer_load_dword v123, off, s[0:3], 0 offset:112
	buffer_load_dword v124, off, s[0:3], 0 offset:116
	s_waitcnt vmcnt(28)
	global_store_dwordx2 v[91:92], v[95:96], off
	buffer_load_dword v91, off, s[0:3], 0 offset:120
	s_nop 0
	buffer_load_dword v92, off, s[0:3], 0 offset:124
	buffer_load_dword v95, off, s[0:3], 0 offset:128
	;; [unrolled: 1-line block ×3, first 2 shown]
	s_waitcnt vmcnt(31)
	global_store_dwordx2 v[93:94], v[97:98], off
	s_waitcnt vmcnt(30)
	global_store_dwordx2 v[1:2], v[99:100], off
	buffer_load_dword v0, off, s[0:3], 0 offset:136
	s_nop 0
	buffer_load_dword v1, off, s[0:3], 0 offset:140
	buffer_load_dword v93, off, s[0:3], 0 offset:144
	;; [unrolled: 1-line block ×7, first 2 shown]
	s_waitcnt vmcnt(37)
	global_store_dwordx2 v[3:4], v[101:102], off
	s_waitcnt vmcnt(36)
	global_store_dwordx2 v[5:6], v[103:104], off
	buffer_load_dword v2, off, s[0:3], 0 offset:168
	buffer_load_dword v3, off, s[0:3], 0 offset:172
	buffer_load_dword v4, off, s[0:3], 0 offset:176
	s_nop 0
	buffer_load_dword v5, off, s[0:3], 0 offset:180
	buffer_load_dword v101, off, s[0:3], 0 offset:184
	buffer_load_dword v102, off, s[0:3], 0 offset:188
	buffer_load_dword v103, off, s[0:3], 0 offset:192
	buffer_load_dword v104, off, s[0:3], 0 offset:196
	s_waitcnt vmcnt(43)
	global_store_dwordx2 v[7:8], v[105:106], off
	s_waitcnt vmcnt(42)
	global_store_dwordx2 v[9:10], v[107:108], off
	buffer_load_dword v6, off, s[0:3], 0 offset:200
	buffer_load_dword v7, off, s[0:3], 0 offset:204
	buffer_load_dword v8, off, s[0:3], 0 offset:208
	s_nop 0
	buffer_load_dword v9, off, s[0:3], 0 offset:212
	buffer_load_dword v105, off, s[0:3], 0 offset:216
	buffer_load_dword v106, off, s[0:3], 0 offset:220
	buffer_load_dword v107, off, s[0:3], 0 offset:224
	buffer_load_dword v108, off, s[0:3], 0 offset:228
	;; [unrolled: 13-line block ×3, first 2 shown]
	s_waitcnt vmcnt(55)
	global_store_dwordx2 v[15:16], v[113:114], off
	s_waitcnt vmcnt(54)
	global_store_dwordx2 v[17:18], v[115:116], off
	;; [unrolled: 2-line block ×4, first 2 shown]
	buffer_load_dword v14, off, s[0:3], 0 offset:264
	buffer_load_dword v15, off, s[0:3], 0 offset:268
	;; [unrolled: 1-line block ×8, first 2 shown]
	s_waitcnt vmcnt(59)
	global_store_dwordx2 v[23:24], v[121:122], off
	s_waitcnt vmcnt(58)
	global_store_dwordx2 v[25:26], v[123:124], off
	buffer_load_dword v22, off, s[0:3], 0 offset:296
	buffer_load_dword v23, off, s[0:3], 0 offset:300
	;; [unrolled: 1-line block ×3, first 2 shown]
	s_nop 0
	buffer_load_dword v25, off, s[0:3], 0 offset:308
	buffer_load_dword v113, off, s[0:3], 0 offset:312
	;; [unrolled: 1-line block ×5, first 2 shown]
	s_waitcnt vmcnt(62)
	global_store_dwordx2 v[27:28], v[91:92], off
	buffer_load_dword v26, off, s[0:3], 0 offset:328
	s_nop 0
	buffer_load_dword v27, off, s[0:3], 0 offset:332
	buffer_load_dword v91, off, s[0:3], 0 offset:336
	;; [unrolled: 1-line block ×11, first 2 shown]
	s_nop 0
	global_store_dwordx2 v[29:30], v[95:96], off
	s_waitcnt vmcnt(62)
	global_store_dwordx2 v[31:32], v[0:1], off
	global_store_dwordx2 v[33:34], v[93:94], off
	;; [unrolled: 1-line block ×5, first 2 shown]
	s_waitcnt vmcnt(62)
	global_store_dwordx2 v[41:42], v[4:5], off
	global_store_dwordx2 v[43:44], v[101:102], off
	s_waitcnt vmcnt(62)
	global_store_dwordx2 v[45:46], v[103:104], off
	s_waitcnt vmcnt(60)
	;; [unrolled: 2-line block ×23, first 2 shown]
	global_store_dwordx2 v[89:90], v[123:124], off
	s_endpgm
	.section	.rodata,"a",@progbits
	.p2align	6, 0x0
	.amdhsa_kernel _ZN9rocsolver6v33100L18getri_kernel_smallILi47EdPdEEvT1_iilPiilS4_bb
		.amdhsa_group_segment_fixed_size 760
		.amdhsa_private_segment_fixed_size 384
		.amdhsa_kernarg_size 60
		.amdhsa_user_sgpr_count 6
		.amdhsa_user_sgpr_private_segment_buffer 1
		.amdhsa_user_sgpr_dispatch_ptr 0
		.amdhsa_user_sgpr_queue_ptr 0
		.amdhsa_user_sgpr_kernarg_segment_ptr 1
		.amdhsa_user_sgpr_dispatch_id 0
		.amdhsa_user_sgpr_flat_scratch_init 0
		.amdhsa_user_sgpr_private_segment_size 0
		.amdhsa_uses_dynamic_stack 0
		.amdhsa_system_sgpr_private_segment_wavefront_offset 1
		.amdhsa_system_sgpr_workgroup_id_x 1
		.amdhsa_system_sgpr_workgroup_id_y 0
		.amdhsa_system_sgpr_workgroup_id_z 0
		.amdhsa_system_sgpr_workgroup_info 0
		.amdhsa_system_vgpr_workitem_id 0
		.amdhsa_next_free_vgpr 125
		.amdhsa_next_free_sgpr 24
		.amdhsa_reserve_vcc 1
		.amdhsa_reserve_flat_scratch 0
		.amdhsa_float_round_mode_32 0
		.amdhsa_float_round_mode_16_64 0
		.amdhsa_float_denorm_mode_32 3
		.amdhsa_float_denorm_mode_16_64 3
		.amdhsa_dx10_clamp 1
		.amdhsa_ieee_mode 1
		.amdhsa_fp16_overflow 0
		.amdhsa_exception_fp_ieee_invalid_op 0
		.amdhsa_exception_fp_denorm_src 0
		.amdhsa_exception_fp_ieee_div_zero 0
		.amdhsa_exception_fp_ieee_overflow 0
		.amdhsa_exception_fp_ieee_underflow 0
		.amdhsa_exception_fp_ieee_inexact 0
		.amdhsa_exception_int_div_zero 0
	.end_amdhsa_kernel
	.section	.text._ZN9rocsolver6v33100L18getri_kernel_smallILi47EdPdEEvT1_iilPiilS4_bb,"axG",@progbits,_ZN9rocsolver6v33100L18getri_kernel_smallILi47EdPdEEvT1_iilPiilS4_bb,comdat
.Lfunc_end46:
	.size	_ZN9rocsolver6v33100L18getri_kernel_smallILi47EdPdEEvT1_iilPiilS4_bb, .Lfunc_end46-_ZN9rocsolver6v33100L18getri_kernel_smallILi47EdPdEEvT1_iilPiilS4_bb
                                        ; -- End function
	.set _ZN9rocsolver6v33100L18getri_kernel_smallILi47EdPdEEvT1_iilPiilS4_bb.num_vgpr, 125
	.set _ZN9rocsolver6v33100L18getri_kernel_smallILi47EdPdEEvT1_iilPiilS4_bb.num_agpr, 0
	.set _ZN9rocsolver6v33100L18getri_kernel_smallILi47EdPdEEvT1_iilPiilS4_bb.numbered_sgpr, 24
	.set _ZN9rocsolver6v33100L18getri_kernel_smallILi47EdPdEEvT1_iilPiilS4_bb.num_named_barrier, 0
	.set _ZN9rocsolver6v33100L18getri_kernel_smallILi47EdPdEEvT1_iilPiilS4_bb.private_seg_size, 384
	.set _ZN9rocsolver6v33100L18getri_kernel_smallILi47EdPdEEvT1_iilPiilS4_bb.uses_vcc, 1
	.set _ZN9rocsolver6v33100L18getri_kernel_smallILi47EdPdEEvT1_iilPiilS4_bb.uses_flat_scratch, 0
	.set _ZN9rocsolver6v33100L18getri_kernel_smallILi47EdPdEEvT1_iilPiilS4_bb.has_dyn_sized_stack, 0
	.set _ZN9rocsolver6v33100L18getri_kernel_smallILi47EdPdEEvT1_iilPiilS4_bb.has_recursion, 0
	.set _ZN9rocsolver6v33100L18getri_kernel_smallILi47EdPdEEvT1_iilPiilS4_bb.has_indirect_call, 0
	.section	.AMDGPU.csdata,"",@progbits
; Kernel info:
; codeLenInByte = 57884
; TotalNumSgprs: 28
; NumVgprs: 125
; ScratchSize: 384
; MemoryBound: 1
; FloatMode: 240
; IeeeMode: 1
; LDSByteSize: 760 bytes/workgroup (compile time only)
; SGPRBlocks: 3
; VGPRBlocks: 31
; NumSGPRsForWavesPerEU: 28
; NumVGPRsForWavesPerEU: 125
; Occupancy: 2
; WaveLimiterHint : 1
; COMPUTE_PGM_RSRC2:SCRATCH_EN: 1
; COMPUTE_PGM_RSRC2:USER_SGPR: 6
; COMPUTE_PGM_RSRC2:TRAP_HANDLER: 0
; COMPUTE_PGM_RSRC2:TGID_X_EN: 1
; COMPUTE_PGM_RSRC2:TGID_Y_EN: 0
; COMPUTE_PGM_RSRC2:TGID_Z_EN: 0
; COMPUTE_PGM_RSRC2:TIDIG_COMP_CNT: 0
	.section	.text._ZN9rocsolver6v33100L18getri_kernel_smallILi48EdPdEEvT1_iilPiilS4_bb,"axG",@progbits,_ZN9rocsolver6v33100L18getri_kernel_smallILi48EdPdEEvT1_iilPiilS4_bb,comdat
	.globl	_ZN9rocsolver6v33100L18getri_kernel_smallILi48EdPdEEvT1_iilPiilS4_bb ; -- Begin function _ZN9rocsolver6v33100L18getri_kernel_smallILi48EdPdEEvT1_iilPiilS4_bb
	.p2align	8
	.type	_ZN9rocsolver6v33100L18getri_kernel_smallILi48EdPdEEvT1_iilPiilS4_bb,@function
_ZN9rocsolver6v33100L18getri_kernel_smallILi48EdPdEEvT1_iilPiilS4_bb: ; @_ZN9rocsolver6v33100L18getri_kernel_smallILi48EdPdEEvT1_iilPiilS4_bb
; %bb.0:
	s_add_u32 s0, s0, s7
	s_addc_u32 s1, s1, 0
	v_cmp_gt_u32_e32 vcc, 48, v0
	s_and_saveexec_b64 s[8:9], vcc
	s_cbranch_execz .LBB47_200
; %bb.1:
	s_load_dword s12, s[4:5], 0x38
	s_load_dwordx4 s[16:19], s[4:5], 0x10
	s_load_dwordx4 s[8:11], s[4:5], 0x28
                                        ; implicit-def: $sgpr20_sgpr21
	s_waitcnt lgkmcnt(0)
	s_bitcmp1_b32 s12, 8
	s_cselect_b64 s[22:23], -1, 0
	s_ashr_i32 s7, s6, 31
	s_bfe_u32 s12, s12, 0x10008
	s_cmp_eq_u32 s12, 0
	s_cbranch_scc1 .LBB47_3
; %bb.2:
	s_load_dword s12, s[4:5], 0x20
	s_mul_i32 s13, s8, s7
	s_mul_hi_u32 s14, s8, s6
	s_mul_i32 s9, s9, s6
	s_add_i32 s14, s14, s13
	s_add_i32 s9, s14, s9
	s_mul_i32 s8, s8, s6
	s_waitcnt lgkmcnt(0)
	s_ashr_i32 s13, s12, 31
	s_lshl_b64 s[8:9], s[8:9], 2
	s_add_u32 s14, s18, s8
	s_addc_u32 s15, s19, s9
	s_lshl_b64 s[8:9], s[12:13], 2
	s_add_u32 s20, s14, s8
	s_addc_u32 s21, s15, s9
.LBB47_3:
	s_load_dwordx4 s[12:15], s[4:5], 0x0
	s_load_dword s8, s[4:5], 0x38
	s_mul_i32 s9, s16, s7
	s_mul_hi_u32 s18, s16, s6
	s_add_i32 s9, s18, s9
	s_waitcnt lgkmcnt(0)
	s_ashr_i32 s5, s14, 31
	s_mov_b32 s4, s14
	s_mul_i32 s14, s17, s6
	s_add_i32 s17, s9, s14
	s_mul_i32 s16, s16, s6
	s_lshl_b64 s[16:17], s[16:17], 3
	s_add_u32 s9, s12, s16
	s_addc_u32 s12, s13, s17
	s_lshl_b64 s[4:5], s[4:5], 3
	s_add_u32 s4, s9, s4
	s_addc_u32 s5, s12, s5
	s_add_i32 s9, s15, s15
	v_add_u32_e32 v3, s9, v0
	v_ashrrev_i32_e32 v4, 31, v3
	v_lshlrev_b64 v[1:2], 3, v[3:4]
	v_add_u32_e32 v5, s15, v3
	v_mov_b32_e32 v4, s5
	v_add_co_u32_e32 v1, vcc, s4, v1
	v_ashrrev_i32_e32 v6, 31, v5
	v_addc_co_u32_e32 v2, vcc, v4, v2, vcc
	v_lshlrev_b64 v[3:4], 3, v[5:6]
	v_add_u32_e32 v7, s15, v5
	v_mov_b32_e32 v6, s5
	v_add_co_u32_e32 v3, vcc, s4, v3
	v_ashrrev_i32_e32 v8, 31, v7
	v_addc_co_u32_e32 v4, vcc, v6, v4, vcc
	;; [unrolled: 6-line block ×8, first 2 shown]
	v_lshlrev_b64 v[17:18], 3, v[19:20]
	v_mov_b32_e32 v21, s5
	v_add_co_u32_e32 v17, vcc, s4, v17
	v_addc_co_u32_e32 v18, vcc, v21, v18, vcc
	v_add_u32_e32 v21, s15, v19
	v_ashrrev_i32_e32 v22, 31, v21
	v_lshlrev_b64 v[19:20], 3, v[21:22]
	v_mov_b32_e32 v23, s5
	v_add_co_u32_e32 v19, vcc, s4, v19
	v_addc_co_u32_e32 v20, vcc, v23, v20, vcc
	v_add_u32_e32 v23, s15, v21
	v_ashrrev_i32_e32 v24, 31, v23
	;; [unrolled: 6-line block ×31, first 2 shown]
	v_lshlrev_b64 v[79:80], 3, v[81:82]
	v_mov_b32_e32 v83, s5
	v_add_co_u32_e32 v79, vcc, s4, v79
	v_addc_co_u32_e32 v80, vcc, v83, v80, vcc
	v_add_u32_e32 v83, s15, v81
	v_lshlrev_b32_e32 v99, 3, v0
	v_ashrrev_i32_e32 v84, 31, v83
	global_load_dwordx2 v[97:98], v99, s[4:5]
	v_lshlrev_b64 v[81:82], 3, v[83:84]
	v_mov_b32_e32 v84, s5
	v_add_co_u32_e32 v87, vcc, s4, v99
	s_ashr_i32 s13, s15, 31
	s_mov_b32 s12, s15
	v_addc_co_u32_e32 v88, vcc, 0, v84, vcc
	s_lshl_b64 s[12:13], s[12:13], 3
	v_mov_b32_e32 v84, s13
	v_add_co_u32_e32 v89, vcc, s12, v87
	v_addc_co_u32_e32 v90, vcc, v88, v84, vcc
	global_load_dwordx2 v[100:101], v[89:90], off
	global_load_dwordx2 v[102:103], v[1:2], off
	v_mov_b32_e32 v85, s5
	v_add_co_u32_e32 v81, vcc, s4, v81
	v_addc_co_u32_e32 v82, vcc, v85, v82, vcc
	v_add_u32_e32 v85, s15, v83
	v_ashrrev_i32_e32 v86, 31, v85
	v_lshlrev_b64 v[83:84], 3, v[85:86]
	v_mov_b32_e32 v91, s5
	v_add_co_u32_e32 v83, vcc, s4, v83
	global_load_dwordx2 v[104:105], v[3:4], off
	global_load_dwordx2 v[106:107], v[5:6], off
	;; [unrolled: 1-line block ×4, first 2 shown]
	v_addc_co_u32_e32 v84, vcc, v91, v84, vcc
	v_add_u32_e32 v91, s15, v85
	v_ashrrev_i32_e32 v92, 31, v91
	v_lshlrev_b64 v[85:86], 3, v[91:92]
	v_mov_b32_e32 v93, s5
	v_add_co_u32_e32 v85, vcc, s4, v85
	v_addc_co_u32_e32 v86, vcc, v93, v86, vcc
	v_add_u32_e32 v93, s15, v91
	v_ashrrev_i32_e32 v94, 31, v93
	v_lshlrev_b64 v[91:92], 3, v[93:94]
	v_mov_b32_e32 v95, s5
	v_add_co_u32_e32 v91, vcc, s4, v91
	;; [unrolled: 6-line block ×3, first 2 shown]
	global_load_dwordx2 v[112:113], v[11:12], off
	global_load_dwordx2 v[114:115], v[13:14], off
	;; [unrolled: 1-line block ×17, first 2 shown]
	v_addc_co_u32_e32 v94, vcc, v146, v94, vcc
	global_load_dwordx2 v[146:147], v[45:46], off
	global_load_dwordx2 v[148:149], v[47:48], off
	;; [unrolled: 1-line block ×8, first 2 shown]
	v_add_u32_e32 v95, s15, v95
	v_ashrrev_i32_e32 v96, 31, v95
	v_lshlrev_b64 v[95:96], 3, v[95:96]
	v_mov_b32_e32 v162, s5
	v_add_co_u32_e32 v95, vcc, s4, v95
	v_addc_co_u32_e32 v96, vcc, v162, v96, vcc
	global_load_dwordx2 v[162:163], v[61:62], off
	global_load_dwordx2 v[164:165], v[63:64], off
	;; [unrolled: 1-line block ×9, first 2 shown]
	s_bitcmp0_b32 s8, 0
	s_waitcnt vmcnt(40)
	buffer_store_dword v98, off, s[0:3], 0 offset:4
	buffer_store_dword v97, off, s[0:3], 0
	global_load_dwordx2 v[97:98], v[65:66], off
	s_mov_b64 s[8:9], -1
	s_waitcnt vmcnt(42)
	buffer_store_dword v101, off, s[0:3], 0 offset:12
	buffer_store_dword v100, off, s[0:3], 0 offset:8
	global_load_dwordx2 v[100:101], v[69:70], off
	s_waitcnt vmcnt(44)
	buffer_store_dword v103, off, s[0:3], 0 offset:20
	buffer_store_dword v102, off, s[0:3], 0 offset:16
	global_load_dwordx2 v[102:103], v[73:74], off
	;; [unrolled: 4-line block ×6, first 2 shown]
	s_waitcnt vmcnt(54)
	buffer_store_dword v113, off, s[0:3], 0 offset:60
	buffer_store_dword v112, off, s[0:3], 0 offset:56
	s_waitcnt vmcnt(55)
	buffer_store_dword v115, off, s[0:3], 0 offset:68
	buffer_store_dword v114, off, s[0:3], 0 offset:64
	;; [unrolled: 3-line block ×10, first 2 shown]
	buffer_store_dword v132, off, s[0:3], 0 offset:136
	buffer_store_dword v133, off, s[0:3], 0 offset:140
	s_waitcnt vmcnt(62)
	buffer_store_dword v134, off, s[0:3], 0 offset:144
	buffer_store_dword v135, off, s[0:3], 0 offset:148
	;; [unrolled: 1-line block ×8, first 2 shown]
	s_waitcnt vmcnt(62)
	buffer_store_dword v142, off, s[0:3], 0 offset:176
	buffer_store_dword v143, off, s[0:3], 0 offset:180
	buffer_store_dword v144, off, s[0:3], 0 offset:184
	buffer_store_dword v145, off, s[0:3], 0 offset:188
	buffer_store_dword v146, off, s[0:3], 0 offset:192
	buffer_store_dword v147, off, s[0:3], 0 offset:196
	buffer_store_dword v149, off, s[0:3], 0 offset:204
	buffer_store_dword v148, off, s[0:3], 0 offset:200
	buffer_store_dword v151, off, s[0:3], 0 offset:212
	buffer_store_dword v150, off, s[0:3], 0 offset:208
	buffer_store_dword v152, off, s[0:3], 0 offset:216
	buffer_store_dword v153, off, s[0:3], 0 offset:220
	buffer_store_dword v154, off, s[0:3], 0 offset:224
	buffer_store_dword v155, off, s[0:3], 0 offset:228
	buffer_store_dword v156, off, s[0:3], 0 offset:232
	buffer_store_dword v157, off, s[0:3], 0 offset:236
	s_waitcnt vmcnt(62)
	buffer_store_dword v158, off, s[0:3], 0 offset:240
	buffer_store_dword v159, off, s[0:3], 0 offset:244
	;; [unrolled: 1-line block ×12, first 2 shown]
	s_waitcnt vmcnt(62)
	buffer_store_dword v100, off, s[0:3], 0 offset:288
	buffer_store_dword v101, off, s[0:3], 0 offset:292
	;; [unrolled: 1-line block ×16, first 2 shown]
	s_waitcnt vmcnt(62)
	buffer_store_dword v109, off, s[0:3], 0 offset:356
	buffer_store_dword v108, off, s[0:3], 0 offset:352
	buffer_store_dword v176, off, s[0:3], 0 offset:360
	buffer_store_dword v177, off, s[0:3], 0 offset:364
	buffer_store_dword v110, off, s[0:3], 0 offset:368
	buffer_store_dword v111, off, s[0:3], 0 offset:372
	buffer_store_dword v178, off, s[0:3], 0 offset:376
	buffer_store_dword v179, off, s[0:3], 0 offset:380
	s_cbranch_scc1 .LBB47_198
; %bb.4:
	v_cmp_eq_u32_e64 s[4:5], 0, v0
	s_and_saveexec_b64 s[8:9], s[4:5]
; %bb.5:
	v_mov_b32_e32 v97, 0
	ds_write_b32 v97, v97 offset:768
; %bb.6:
	s_or_b64 exec, exec, s[8:9]
	v_mov_b32_e32 v97, 0
	v_lshl_add_u32 v97, v0, 3, v97
	s_waitcnt lgkmcnt(0)
	; wave barrier
	buffer_load_dword v100, v97, s[0:3], 0 offen
	buffer_load_dword v101, v97, s[0:3], 0 offen offset:4
	s_waitcnt vmcnt(0)
	v_cmp_eq_f64_e32 vcc, 0, v[100:101]
	s_and_saveexec_b64 s[12:13], vcc
	s_cbranch_execz .LBB47_10
; %bb.7:
	v_mov_b32_e32 v98, 0
	ds_read_b32 v101, v98 offset:768
	v_add_u32_e32 v100, 1, v0
	s_waitcnt lgkmcnt(0)
	v_readfirstlane_b32 s8, v101
	s_cmp_eq_u32 s8, 0
	s_cselect_b64 s[14:15], -1, 0
	v_cmp_gt_i32_e32 vcc, s8, v100
	s_or_b64 s[14:15], s[14:15], vcc
	s_and_b64 exec, exec, s[14:15]
	s_cbranch_execz .LBB47_10
; %bb.8:
	s_mov_b64 s[14:15], 0
	v_mov_b32_e32 v101, s8
.LBB47_9:                               ; =>This Inner Loop Header: Depth=1
	ds_cmpst_rtn_b32 v101, v98, v101, v100 offset:768
	s_waitcnt lgkmcnt(0)
	v_cmp_ne_u32_e32 vcc, 0, v101
	v_cmp_le_i32_e64 s[8:9], v101, v100
	s_and_b64 s[8:9], vcc, s[8:9]
	s_and_b64 s[8:9], exec, s[8:9]
	s_or_b64 s[14:15], s[8:9], s[14:15]
	s_andn2_b64 exec, exec, s[14:15]
	s_cbranch_execnz .LBB47_9
.LBB47_10:
	s_or_b64 exec, exec, s[12:13]
	v_mov_b32_e32 v100, 0
	; wave barrier
	ds_read_b32 v98, v100 offset:768
	s_and_saveexec_b64 s[8:9], s[4:5]
	s_cbranch_execz .LBB47_12
; %bb.11:
	s_lshl_b64 s[12:13], s[6:7], 2
	s_add_u32 s12, s10, s12
	s_addc_u32 s13, s11, s13
	s_waitcnt lgkmcnt(0)
	global_store_dword v100, v98, s[12:13]
.LBB47_12:
	s_or_b64 exec, exec, s[8:9]
	s_waitcnt lgkmcnt(0)
	v_cmp_ne_u32_e32 vcc, 0, v98
	s_mov_b64 s[8:9], 0
	s_cbranch_vccnz .LBB47_198
; %bb.13:
	buffer_load_dword v100, v97, s[0:3], 0 offen
	buffer_load_dword v101, v97, s[0:3], 0 offen offset:4
	s_waitcnt vmcnt(0)
	v_div_scale_f64 v[102:103], s[8:9], v[100:101], v[100:101], 1.0
	v_rcp_f64_e32 v[104:105], v[102:103]
	v_fma_f64 v[106:107], -v[102:103], v[104:105], 1.0
	v_fma_f64 v[104:105], v[104:105], v[106:107], v[104:105]
	v_div_scale_f64 v[106:107], vcc, 1.0, v[100:101], 1.0
	v_fma_f64 v[108:109], -v[102:103], v[104:105], 1.0
	v_fma_f64 v[104:105], v[104:105], v[108:109], v[104:105]
	v_mul_f64 v[108:109], v[106:107], v[104:105]
	v_fma_f64 v[102:103], -v[102:103], v[108:109], v[106:107]
	v_div_fmas_f64 v[102:103], v[102:103], v[104:105], v[108:109]
	v_div_fixup_f64 v[101:102], v[102:103], v[100:101], 1.0
	v_add_u32_e32 v100, 0x180, v99
	buffer_store_dword v102, v97, s[0:3], 0 offen offset:4
	buffer_store_dword v101, v97, s[0:3], 0 offen
	buffer_load_dword v104, off, s[0:3], 0 offset:12
	buffer_load_dword v103, off, s[0:3], 0 offset:8
	v_xor_b32_e32 v102, 0x80000000, v102
	s_waitcnt vmcnt(0)
	ds_write2_b64 v99, v[101:102], v[103:104] offset1:48
	s_waitcnt lgkmcnt(0)
	; wave barrier
	s_and_saveexec_b64 s[8:9], s[4:5]
	s_cbranch_execz .LBB47_15
; %bb.14:
	buffer_load_dword v101, v97, s[0:3], 0 offen
	buffer_load_dword v102, v97, s[0:3], 0 offen offset:4
	ds_read_b64 v[103:104], v100
	v_mov_b32_e32 v98, 0
	ds_read_b64 v[105:106], v98 offset:8
	s_waitcnt vmcnt(0) lgkmcnt(1)
	v_fma_f64 v[101:102], v[101:102], v[103:104], 0
	s_waitcnt lgkmcnt(0)
	v_mul_f64 v[101:102], v[101:102], v[105:106]
	buffer_store_dword v101, off, s[0:3], 0 offset:8
	buffer_store_dword v102, off, s[0:3], 0 offset:12
.LBB47_15:
	s_or_b64 exec, exec, s[8:9]
	; wave barrier
	buffer_load_dword v101, off, s[0:3], 0 offset:16
	buffer_load_dword v102, off, s[0:3], 0 offset:20
	v_cmp_gt_u32_e32 vcc, 2, v0
	s_waitcnt vmcnt(0)
	ds_write_b64 v100, v[101:102]
	s_waitcnt lgkmcnt(0)
	; wave barrier
	s_and_saveexec_b64 s[8:9], vcc
	s_cbranch_execz .LBB47_17
; %bb.16:
	buffer_load_dword v101, v97, s[0:3], 0 offen
	buffer_load_dword v102, v97, s[0:3], 0 offen offset:4
                                        ; kill: killed $vgpr97
	s_nop 0
	buffer_load_dword v97, off, s[0:3], 0 offset:8
	buffer_load_dword v98, off, s[0:3], 0 offset:12
	ds_read_b64 v[103:104], v100
	s_waitcnt vmcnt(2) lgkmcnt(0)
	v_fma_f64 v[105:106], v[101:102], v[103:104], 0
	v_mov_b32_e32 v101, 0
	ds_read2_b64 v[101:104], v101 offset0:2 offset1:49
	s_waitcnt vmcnt(0) lgkmcnt(0)
	v_fma_f64 v[97:98], v[97:98], v[103:104], v[105:106]
	v_cndmask_b32_e64 v98, v106, v98, s[4:5]
	v_cndmask_b32_e64 v97, v105, v97, s[4:5]
	v_mul_f64 v[97:98], v[97:98], v[101:102]
	buffer_store_dword v98, off, s[0:3], 0 offset:20
	buffer_store_dword v97, off, s[0:3], 0 offset:16
.LBB47_17:
	s_or_b64 exec, exec, s[8:9]
	; wave barrier
	buffer_load_dword v97, off, s[0:3], 0 offset:24
	buffer_load_dword v98, off, s[0:3], 0 offset:28
	v_cmp_gt_u32_e32 vcc, 3, v0
	v_add_u32_e32 v101, -1, v0
	s_waitcnt vmcnt(0)
	ds_write_b64 v100, v[97:98]
	s_waitcnt lgkmcnt(0)
	; wave barrier
	s_and_saveexec_b64 s[4:5], vcc
	s_cbranch_execz .LBB47_21
; %bb.18:
	v_mov_b32_e32 v97, 0
	v_add_u32_e32 v102, -1, v0
	v_add_u32_e32 v103, 0x180, v99
	v_mov_b32_e32 v104, v99
	v_mov_b32_e32 v98, 0
	s_mov_b64 s[8:9], 0
.LBB47_19:                              ; =>This Inner Loop Header: Depth=1
	buffer_load_dword v105, v104, s[0:3], 0 offen
	buffer_load_dword v106, v104, s[0:3], 0 offen offset:4
	ds_read_b64 v[107:108], v103
	v_add_u32_e32 v102, 1, v102
	v_cmp_lt_u32_e32 vcc, 1, v102
	v_add_u32_e32 v103, 8, v103
	s_or_b64 s[8:9], vcc, s[8:9]
	v_add_u32_e32 v104, 8, v104
	s_waitcnt vmcnt(0) lgkmcnt(0)
	v_fma_f64 v[97:98], v[105:106], v[107:108], v[97:98]
	s_andn2_b64 exec, exec, s[8:9]
	s_cbranch_execnz .LBB47_19
; %bb.20:
	s_or_b64 exec, exec, s[8:9]
	v_mov_b32_e32 v102, 0
	ds_read_b64 v[102:103], v102 offset:24
	s_waitcnt lgkmcnt(0)
	v_mul_f64 v[97:98], v[97:98], v[102:103]
	buffer_store_dword v98, off, s[0:3], 0 offset:28
	buffer_store_dword v97, off, s[0:3], 0 offset:24
.LBB47_21:
	s_or_b64 exec, exec, s[4:5]
	; wave barrier
	buffer_load_dword v97, off, s[0:3], 0 offset:32
	buffer_load_dword v98, off, s[0:3], 0 offset:36
	v_cmp_gt_u32_e32 vcc, 4, v0
	s_waitcnt vmcnt(0)
	ds_write_b64 v100, v[97:98]
	s_waitcnt lgkmcnt(0)
	; wave barrier
	s_and_saveexec_b64 s[4:5], vcc
	s_cbranch_execz .LBB47_25
; %bb.22:
	v_mov_b32_e32 v97, 0
	v_add_u32_e32 v102, -1, v0
	v_add_u32_e32 v103, 0x180, v99
	v_mov_b32_e32 v104, v99
	v_mov_b32_e32 v98, 0
	s_mov_b64 s[8:9], 0
.LBB47_23:                              ; =>This Inner Loop Header: Depth=1
	buffer_load_dword v105, v104, s[0:3], 0 offen
	buffer_load_dword v106, v104, s[0:3], 0 offen offset:4
	ds_read_b64 v[107:108], v103
	v_add_u32_e32 v102, 1, v102
	v_cmp_lt_u32_e32 vcc, 2, v102
	v_add_u32_e32 v103, 8, v103
	s_or_b64 s[8:9], vcc, s[8:9]
	v_add_u32_e32 v104, 8, v104
	s_waitcnt vmcnt(0) lgkmcnt(0)
	v_fma_f64 v[97:98], v[105:106], v[107:108], v[97:98]
	s_andn2_b64 exec, exec, s[8:9]
	s_cbranch_execnz .LBB47_23
; %bb.24:
	s_or_b64 exec, exec, s[8:9]
	v_mov_b32_e32 v102, 0
	ds_read_b64 v[102:103], v102 offset:32
	s_waitcnt lgkmcnt(0)
	v_mul_f64 v[97:98], v[97:98], v[102:103]
	buffer_store_dword v98, off, s[0:3], 0 offset:36
	buffer_store_dword v97, off, s[0:3], 0 offset:32
.LBB47_25:
	s_or_b64 exec, exec, s[4:5]
	; wave barrier
	buffer_load_dword v97, off, s[0:3], 0 offset:40
	buffer_load_dword v98, off, s[0:3], 0 offset:44
	v_cmp_gt_u32_e32 vcc, 5, v0
	;; [unrolled: 40-line block ×21, first 2 shown]
	s_waitcnt vmcnt(0)
	ds_write_b64 v100, v[97:98]
	s_waitcnt lgkmcnt(0)
	; wave barrier
	s_and_saveexec_b64 s[4:5], vcc
	s_cbranch_execz .LBB47_105
; %bb.102:
	v_mov_b32_e32 v97, 0
	v_add_u32_e32 v102, -1, v0
	v_add_u32_e32 v103, 0x180, v99
	v_mov_b32_e32 v104, v99
	v_mov_b32_e32 v98, 0
	s_mov_b64 s[8:9], 0
.LBB47_103:                             ; =>This Inner Loop Header: Depth=1
	buffer_load_dword v105, v104, s[0:3], 0 offen
	buffer_load_dword v106, v104, s[0:3], 0 offen offset:4
	ds_read_b64 v[107:108], v103
	v_add_u32_e32 v102, 1, v102
	v_cmp_lt_u32_e32 vcc, 22, v102
	v_add_u32_e32 v103, 8, v103
	s_or_b64 s[8:9], vcc, s[8:9]
	v_add_u32_e32 v104, 8, v104
	s_waitcnt vmcnt(0) lgkmcnt(0)
	v_fma_f64 v[97:98], v[105:106], v[107:108], v[97:98]
	s_andn2_b64 exec, exec, s[8:9]
	s_cbranch_execnz .LBB47_103
; %bb.104:
	s_or_b64 exec, exec, s[8:9]
	v_mov_b32_e32 v102, 0
	ds_read_b64 v[102:103], v102 offset:192
	s_waitcnt lgkmcnt(0)
	v_mul_f64 v[97:98], v[97:98], v[102:103]
	buffer_store_dword v98, off, s[0:3], 0 offset:196
	buffer_store_dword v97, off, s[0:3], 0 offset:192
.LBB47_105:
	s_or_b64 exec, exec, s[4:5]
	; wave barrier
	buffer_load_dword v97, off, s[0:3], 0 offset:200
	buffer_load_dword v98, off, s[0:3], 0 offset:204
	v_cmp_gt_u32_e32 vcc, 25, v0
	s_waitcnt vmcnt(0)
	ds_write_b64 v100, v[97:98]
	s_waitcnt lgkmcnt(0)
	; wave barrier
	s_and_saveexec_b64 s[4:5], vcc
	s_cbranch_execz .LBB47_109
; %bb.106:
	v_mov_b32_e32 v97, 0
	v_add_u32_e32 v102, -1, v0
	v_add_u32_e32 v103, 0x180, v99
	v_mov_b32_e32 v104, v99
	v_mov_b32_e32 v98, 0
	s_mov_b64 s[8:9], 0
.LBB47_107:                             ; =>This Inner Loop Header: Depth=1
	buffer_load_dword v105, v104, s[0:3], 0 offen
	buffer_load_dword v106, v104, s[0:3], 0 offen offset:4
	ds_read_b64 v[107:108], v103
	v_add_u32_e32 v102, 1, v102
	v_cmp_lt_u32_e32 vcc, 23, v102
	v_add_u32_e32 v103, 8, v103
	s_or_b64 s[8:9], vcc, s[8:9]
	v_add_u32_e32 v104, 8, v104
	s_waitcnt vmcnt(0) lgkmcnt(0)
	v_fma_f64 v[97:98], v[105:106], v[107:108], v[97:98]
	s_andn2_b64 exec, exec, s[8:9]
	s_cbranch_execnz .LBB47_107
; %bb.108:
	s_or_b64 exec, exec, s[8:9]
	v_mov_b32_e32 v102, 0
	ds_read_b64 v[102:103], v102 offset:200
	s_waitcnt lgkmcnt(0)
	v_mul_f64 v[97:98], v[97:98], v[102:103]
	buffer_store_dword v98, off, s[0:3], 0 offset:204
	buffer_store_dword v97, off, s[0:3], 0 offset:200
.LBB47_109:
	s_or_b64 exec, exec, s[4:5]
	; wave barrier
	buffer_load_dword v97, off, s[0:3], 0 offset:208
	buffer_load_dword v98, off, s[0:3], 0 offset:212
	v_cmp_gt_u32_e32 vcc, 26, v0
	s_waitcnt vmcnt(0)
	ds_write_b64 v100, v[97:98]
	s_waitcnt lgkmcnt(0)
	; wave barrier
	s_and_saveexec_b64 s[4:5], vcc
	s_cbranch_execz .LBB47_113
; %bb.110:
	v_mov_b32_e32 v97, 0
	v_add_u32_e32 v102, -1, v0
	v_add_u32_e32 v103, 0x180, v99
	v_mov_b32_e32 v104, v99
	v_mov_b32_e32 v98, 0
	s_mov_b64 s[8:9], 0
.LBB47_111:                             ; =>This Inner Loop Header: Depth=1
	buffer_load_dword v105, v104, s[0:3], 0 offen
	buffer_load_dword v106, v104, s[0:3], 0 offen offset:4
	ds_read_b64 v[107:108], v103
	v_add_u32_e32 v102, 1, v102
	v_cmp_lt_u32_e32 vcc, 24, v102
	v_add_u32_e32 v103, 8, v103
	s_or_b64 s[8:9], vcc, s[8:9]
	v_add_u32_e32 v104, 8, v104
	s_waitcnt vmcnt(0) lgkmcnt(0)
	v_fma_f64 v[97:98], v[105:106], v[107:108], v[97:98]
	s_andn2_b64 exec, exec, s[8:9]
	s_cbranch_execnz .LBB47_111
; %bb.112:
	s_or_b64 exec, exec, s[8:9]
	v_mov_b32_e32 v102, 0
	ds_read_b64 v[102:103], v102 offset:208
	s_waitcnt lgkmcnt(0)
	v_mul_f64 v[97:98], v[97:98], v[102:103]
	buffer_store_dword v98, off, s[0:3], 0 offset:212
	buffer_store_dword v97, off, s[0:3], 0 offset:208
.LBB47_113:
	s_or_b64 exec, exec, s[4:5]
	; wave barrier
	buffer_load_dword v97, off, s[0:3], 0 offset:216
	buffer_load_dword v98, off, s[0:3], 0 offset:220
	v_cmp_gt_u32_e32 vcc, 27, v0
	s_waitcnt vmcnt(0)
	ds_write_b64 v100, v[97:98]
	s_waitcnt lgkmcnt(0)
	; wave barrier
	s_and_saveexec_b64 s[4:5], vcc
	s_cbranch_execz .LBB47_117
; %bb.114:
	v_mov_b32_e32 v97, 0
	v_add_u32_e32 v102, -1, v0
	v_add_u32_e32 v103, 0x180, v99
	v_mov_b32_e32 v104, v99
	v_mov_b32_e32 v98, 0
	s_mov_b64 s[8:9], 0
.LBB47_115:                             ; =>This Inner Loop Header: Depth=1
	buffer_load_dword v105, v104, s[0:3], 0 offen
	buffer_load_dword v106, v104, s[0:3], 0 offen offset:4
	ds_read_b64 v[107:108], v103
	v_add_u32_e32 v102, 1, v102
	v_cmp_lt_u32_e32 vcc, 25, v102
	v_add_u32_e32 v103, 8, v103
	s_or_b64 s[8:9], vcc, s[8:9]
	v_add_u32_e32 v104, 8, v104
	s_waitcnt vmcnt(0) lgkmcnt(0)
	v_fma_f64 v[97:98], v[105:106], v[107:108], v[97:98]
	s_andn2_b64 exec, exec, s[8:9]
	s_cbranch_execnz .LBB47_115
; %bb.116:
	s_or_b64 exec, exec, s[8:9]
	v_mov_b32_e32 v102, 0
	ds_read_b64 v[102:103], v102 offset:216
	s_waitcnt lgkmcnt(0)
	v_mul_f64 v[97:98], v[97:98], v[102:103]
	buffer_store_dword v98, off, s[0:3], 0 offset:220
	buffer_store_dword v97, off, s[0:3], 0 offset:216
.LBB47_117:
	s_or_b64 exec, exec, s[4:5]
	; wave barrier
	buffer_load_dword v97, off, s[0:3], 0 offset:224
	buffer_load_dword v98, off, s[0:3], 0 offset:228
	v_cmp_gt_u32_e32 vcc, 28, v0
	s_waitcnt vmcnt(0)
	ds_write_b64 v100, v[97:98]
	s_waitcnt lgkmcnt(0)
	; wave barrier
	s_and_saveexec_b64 s[4:5], vcc
	s_cbranch_execz .LBB47_121
; %bb.118:
	v_mov_b32_e32 v97, 0
	v_add_u32_e32 v102, -1, v0
	v_add_u32_e32 v103, 0x180, v99
	v_mov_b32_e32 v104, v99
	v_mov_b32_e32 v98, 0
	s_mov_b64 s[8:9], 0
.LBB47_119:                             ; =>This Inner Loop Header: Depth=1
	buffer_load_dword v105, v104, s[0:3], 0 offen
	buffer_load_dword v106, v104, s[0:3], 0 offen offset:4
	ds_read_b64 v[107:108], v103
	v_add_u32_e32 v102, 1, v102
	v_cmp_lt_u32_e32 vcc, 26, v102
	v_add_u32_e32 v103, 8, v103
	s_or_b64 s[8:9], vcc, s[8:9]
	v_add_u32_e32 v104, 8, v104
	s_waitcnt vmcnt(0) lgkmcnt(0)
	v_fma_f64 v[97:98], v[105:106], v[107:108], v[97:98]
	s_andn2_b64 exec, exec, s[8:9]
	s_cbranch_execnz .LBB47_119
; %bb.120:
	s_or_b64 exec, exec, s[8:9]
	v_mov_b32_e32 v102, 0
	ds_read_b64 v[102:103], v102 offset:224
	s_waitcnt lgkmcnt(0)
	v_mul_f64 v[97:98], v[97:98], v[102:103]
	buffer_store_dword v98, off, s[0:3], 0 offset:228
	buffer_store_dword v97, off, s[0:3], 0 offset:224
.LBB47_121:
	s_or_b64 exec, exec, s[4:5]
	; wave barrier
	buffer_load_dword v97, off, s[0:3], 0 offset:232
	buffer_load_dword v98, off, s[0:3], 0 offset:236
	v_cmp_gt_u32_e32 vcc, 29, v0
	s_waitcnt vmcnt(0)
	ds_write_b64 v100, v[97:98]
	s_waitcnt lgkmcnt(0)
	; wave barrier
	s_and_saveexec_b64 s[4:5], vcc
	s_cbranch_execz .LBB47_125
; %bb.122:
	v_mov_b32_e32 v97, 0
	v_add_u32_e32 v102, -1, v0
	v_add_u32_e32 v103, 0x180, v99
	v_mov_b32_e32 v104, v99
	v_mov_b32_e32 v98, 0
	s_mov_b64 s[8:9], 0
.LBB47_123:                             ; =>This Inner Loop Header: Depth=1
	buffer_load_dword v105, v104, s[0:3], 0 offen
	buffer_load_dword v106, v104, s[0:3], 0 offen offset:4
	ds_read_b64 v[107:108], v103
	v_add_u32_e32 v102, 1, v102
	v_cmp_lt_u32_e32 vcc, 27, v102
	v_add_u32_e32 v103, 8, v103
	s_or_b64 s[8:9], vcc, s[8:9]
	v_add_u32_e32 v104, 8, v104
	s_waitcnt vmcnt(0) lgkmcnt(0)
	v_fma_f64 v[97:98], v[105:106], v[107:108], v[97:98]
	s_andn2_b64 exec, exec, s[8:9]
	s_cbranch_execnz .LBB47_123
; %bb.124:
	s_or_b64 exec, exec, s[8:9]
	v_mov_b32_e32 v102, 0
	ds_read_b64 v[102:103], v102 offset:232
	s_waitcnt lgkmcnt(0)
	v_mul_f64 v[97:98], v[97:98], v[102:103]
	buffer_store_dword v98, off, s[0:3], 0 offset:236
	buffer_store_dword v97, off, s[0:3], 0 offset:232
.LBB47_125:
	s_or_b64 exec, exec, s[4:5]
	; wave barrier
	buffer_load_dword v97, off, s[0:3], 0 offset:240
	buffer_load_dword v98, off, s[0:3], 0 offset:244
	v_cmp_gt_u32_e32 vcc, 30, v0
	s_waitcnt vmcnt(0)
	ds_write_b64 v100, v[97:98]
	s_waitcnt lgkmcnt(0)
	; wave barrier
	s_and_saveexec_b64 s[4:5], vcc
	s_cbranch_execz .LBB47_129
; %bb.126:
	v_mov_b32_e32 v97, 0
	v_add_u32_e32 v102, -1, v0
	v_add_u32_e32 v103, 0x180, v99
	v_mov_b32_e32 v104, v99
	v_mov_b32_e32 v98, 0
	s_mov_b64 s[8:9], 0
.LBB47_127:                             ; =>This Inner Loop Header: Depth=1
	buffer_load_dword v105, v104, s[0:3], 0 offen
	buffer_load_dword v106, v104, s[0:3], 0 offen offset:4
	ds_read_b64 v[107:108], v103
	v_add_u32_e32 v102, 1, v102
	v_cmp_lt_u32_e32 vcc, 28, v102
	v_add_u32_e32 v103, 8, v103
	s_or_b64 s[8:9], vcc, s[8:9]
	v_add_u32_e32 v104, 8, v104
	s_waitcnt vmcnt(0) lgkmcnt(0)
	v_fma_f64 v[97:98], v[105:106], v[107:108], v[97:98]
	s_andn2_b64 exec, exec, s[8:9]
	s_cbranch_execnz .LBB47_127
; %bb.128:
	s_or_b64 exec, exec, s[8:9]
	v_mov_b32_e32 v102, 0
	ds_read_b64 v[102:103], v102 offset:240
	s_waitcnt lgkmcnt(0)
	v_mul_f64 v[97:98], v[97:98], v[102:103]
	buffer_store_dword v98, off, s[0:3], 0 offset:244
	buffer_store_dword v97, off, s[0:3], 0 offset:240
.LBB47_129:
	s_or_b64 exec, exec, s[4:5]
	; wave barrier
	buffer_load_dword v97, off, s[0:3], 0 offset:248
	buffer_load_dword v98, off, s[0:3], 0 offset:252
	v_cmp_gt_u32_e32 vcc, 31, v0
	s_waitcnt vmcnt(0)
	ds_write_b64 v100, v[97:98]
	s_waitcnt lgkmcnt(0)
	; wave barrier
	s_and_saveexec_b64 s[4:5], vcc
	s_cbranch_execz .LBB47_133
; %bb.130:
	v_mov_b32_e32 v97, 0
	v_add_u32_e32 v102, -1, v0
	v_add_u32_e32 v103, 0x180, v99
	v_mov_b32_e32 v104, v99
	v_mov_b32_e32 v98, 0
	s_mov_b64 s[8:9], 0
.LBB47_131:                             ; =>This Inner Loop Header: Depth=1
	buffer_load_dword v105, v104, s[0:3], 0 offen
	buffer_load_dword v106, v104, s[0:3], 0 offen offset:4
	ds_read_b64 v[107:108], v103
	v_add_u32_e32 v102, 1, v102
	v_cmp_lt_u32_e32 vcc, 29, v102
	v_add_u32_e32 v103, 8, v103
	s_or_b64 s[8:9], vcc, s[8:9]
	v_add_u32_e32 v104, 8, v104
	s_waitcnt vmcnt(0) lgkmcnt(0)
	v_fma_f64 v[97:98], v[105:106], v[107:108], v[97:98]
	s_andn2_b64 exec, exec, s[8:9]
	s_cbranch_execnz .LBB47_131
; %bb.132:
	s_or_b64 exec, exec, s[8:9]
	v_mov_b32_e32 v102, 0
	ds_read_b64 v[102:103], v102 offset:248
	s_waitcnt lgkmcnt(0)
	v_mul_f64 v[97:98], v[97:98], v[102:103]
	buffer_store_dword v98, off, s[0:3], 0 offset:252
	buffer_store_dword v97, off, s[0:3], 0 offset:248
.LBB47_133:
	s_or_b64 exec, exec, s[4:5]
	; wave barrier
	buffer_load_dword v97, off, s[0:3], 0 offset:256
	buffer_load_dword v98, off, s[0:3], 0 offset:260
	v_cmp_gt_u32_e32 vcc, 32, v0
	s_waitcnt vmcnt(0)
	ds_write_b64 v100, v[97:98]
	s_waitcnt lgkmcnt(0)
	; wave barrier
	s_and_saveexec_b64 s[4:5], vcc
	s_cbranch_execz .LBB47_137
; %bb.134:
	v_mov_b32_e32 v97, 0
	v_add_u32_e32 v102, -1, v0
	v_add_u32_e32 v103, 0x180, v99
	v_mov_b32_e32 v104, v99
	v_mov_b32_e32 v98, 0
	s_mov_b64 s[8:9], 0
.LBB47_135:                             ; =>This Inner Loop Header: Depth=1
	buffer_load_dword v105, v104, s[0:3], 0 offen
	buffer_load_dword v106, v104, s[0:3], 0 offen offset:4
	ds_read_b64 v[107:108], v103
	v_add_u32_e32 v102, 1, v102
	v_cmp_lt_u32_e32 vcc, 30, v102
	v_add_u32_e32 v103, 8, v103
	s_or_b64 s[8:9], vcc, s[8:9]
	v_add_u32_e32 v104, 8, v104
	s_waitcnt vmcnt(0) lgkmcnt(0)
	v_fma_f64 v[97:98], v[105:106], v[107:108], v[97:98]
	s_andn2_b64 exec, exec, s[8:9]
	s_cbranch_execnz .LBB47_135
; %bb.136:
	s_or_b64 exec, exec, s[8:9]
	v_mov_b32_e32 v102, 0
	ds_read_b64 v[102:103], v102 offset:256
	s_waitcnt lgkmcnt(0)
	v_mul_f64 v[97:98], v[97:98], v[102:103]
	buffer_store_dword v98, off, s[0:3], 0 offset:260
	buffer_store_dword v97, off, s[0:3], 0 offset:256
.LBB47_137:
	s_or_b64 exec, exec, s[4:5]
	; wave barrier
	buffer_load_dword v97, off, s[0:3], 0 offset:264
	buffer_load_dword v98, off, s[0:3], 0 offset:268
	v_cmp_gt_u32_e32 vcc, 33, v0
	s_waitcnt vmcnt(0)
	ds_write_b64 v100, v[97:98]
	s_waitcnt lgkmcnt(0)
	; wave barrier
	s_and_saveexec_b64 s[4:5], vcc
	s_cbranch_execz .LBB47_141
; %bb.138:
	v_mov_b32_e32 v97, 0
	v_add_u32_e32 v102, -1, v0
	v_add_u32_e32 v103, 0x180, v99
	v_mov_b32_e32 v104, v99
	v_mov_b32_e32 v98, 0
	s_mov_b64 s[8:9], 0
.LBB47_139:                             ; =>This Inner Loop Header: Depth=1
	buffer_load_dword v105, v104, s[0:3], 0 offen
	buffer_load_dword v106, v104, s[0:3], 0 offen offset:4
	ds_read_b64 v[107:108], v103
	v_add_u32_e32 v102, 1, v102
	v_cmp_lt_u32_e32 vcc, 31, v102
	v_add_u32_e32 v103, 8, v103
	s_or_b64 s[8:9], vcc, s[8:9]
	v_add_u32_e32 v104, 8, v104
	s_waitcnt vmcnt(0) lgkmcnt(0)
	v_fma_f64 v[97:98], v[105:106], v[107:108], v[97:98]
	s_andn2_b64 exec, exec, s[8:9]
	s_cbranch_execnz .LBB47_139
; %bb.140:
	s_or_b64 exec, exec, s[8:9]
	v_mov_b32_e32 v102, 0
	ds_read_b64 v[102:103], v102 offset:264
	s_waitcnt lgkmcnt(0)
	v_mul_f64 v[97:98], v[97:98], v[102:103]
	buffer_store_dword v98, off, s[0:3], 0 offset:268
	buffer_store_dword v97, off, s[0:3], 0 offset:264
.LBB47_141:
	s_or_b64 exec, exec, s[4:5]
	; wave barrier
	buffer_load_dword v97, off, s[0:3], 0 offset:272
	buffer_load_dword v98, off, s[0:3], 0 offset:276
	v_cmp_gt_u32_e32 vcc, 34, v0
	s_waitcnt vmcnt(0)
	ds_write_b64 v100, v[97:98]
	s_waitcnt lgkmcnt(0)
	; wave barrier
	s_and_saveexec_b64 s[4:5], vcc
	s_cbranch_execz .LBB47_145
; %bb.142:
	v_mov_b32_e32 v97, 0
	v_add_u32_e32 v102, -1, v0
	v_add_u32_e32 v103, 0x180, v99
	v_mov_b32_e32 v104, v99
	v_mov_b32_e32 v98, 0
	s_mov_b64 s[8:9], 0
.LBB47_143:                             ; =>This Inner Loop Header: Depth=1
	buffer_load_dword v105, v104, s[0:3], 0 offen
	buffer_load_dword v106, v104, s[0:3], 0 offen offset:4
	ds_read_b64 v[107:108], v103
	v_add_u32_e32 v102, 1, v102
	v_cmp_lt_u32_e32 vcc, 32, v102
	v_add_u32_e32 v103, 8, v103
	s_or_b64 s[8:9], vcc, s[8:9]
	v_add_u32_e32 v104, 8, v104
	s_waitcnt vmcnt(0) lgkmcnt(0)
	v_fma_f64 v[97:98], v[105:106], v[107:108], v[97:98]
	s_andn2_b64 exec, exec, s[8:9]
	s_cbranch_execnz .LBB47_143
; %bb.144:
	s_or_b64 exec, exec, s[8:9]
	v_mov_b32_e32 v102, 0
	ds_read_b64 v[102:103], v102 offset:272
	s_waitcnt lgkmcnt(0)
	v_mul_f64 v[97:98], v[97:98], v[102:103]
	buffer_store_dword v98, off, s[0:3], 0 offset:276
	buffer_store_dword v97, off, s[0:3], 0 offset:272
.LBB47_145:
	s_or_b64 exec, exec, s[4:5]
	; wave barrier
	buffer_load_dword v97, off, s[0:3], 0 offset:280
	buffer_load_dword v98, off, s[0:3], 0 offset:284
	v_cmp_gt_u32_e32 vcc, 35, v0
	s_waitcnt vmcnt(0)
	ds_write_b64 v100, v[97:98]
	s_waitcnt lgkmcnt(0)
	; wave barrier
	s_and_saveexec_b64 s[4:5], vcc
	s_cbranch_execz .LBB47_149
; %bb.146:
	v_mov_b32_e32 v97, 0
	v_add_u32_e32 v102, -1, v0
	v_add_u32_e32 v103, 0x180, v99
	v_mov_b32_e32 v104, v99
	v_mov_b32_e32 v98, 0
	s_mov_b64 s[8:9], 0
.LBB47_147:                             ; =>This Inner Loop Header: Depth=1
	buffer_load_dword v105, v104, s[0:3], 0 offen
	buffer_load_dword v106, v104, s[0:3], 0 offen offset:4
	ds_read_b64 v[107:108], v103
	v_add_u32_e32 v102, 1, v102
	v_cmp_lt_u32_e32 vcc, 33, v102
	v_add_u32_e32 v103, 8, v103
	s_or_b64 s[8:9], vcc, s[8:9]
	v_add_u32_e32 v104, 8, v104
	s_waitcnt vmcnt(0) lgkmcnt(0)
	v_fma_f64 v[97:98], v[105:106], v[107:108], v[97:98]
	s_andn2_b64 exec, exec, s[8:9]
	s_cbranch_execnz .LBB47_147
; %bb.148:
	s_or_b64 exec, exec, s[8:9]
	v_mov_b32_e32 v102, 0
	ds_read_b64 v[102:103], v102 offset:280
	s_waitcnt lgkmcnt(0)
	v_mul_f64 v[97:98], v[97:98], v[102:103]
	buffer_store_dword v98, off, s[0:3], 0 offset:284
	buffer_store_dword v97, off, s[0:3], 0 offset:280
.LBB47_149:
	s_or_b64 exec, exec, s[4:5]
	; wave barrier
	buffer_load_dword v97, off, s[0:3], 0 offset:288
	buffer_load_dword v98, off, s[0:3], 0 offset:292
	v_cmp_gt_u32_e32 vcc, 36, v0
	s_waitcnt vmcnt(0)
	ds_write_b64 v100, v[97:98]
	s_waitcnt lgkmcnt(0)
	; wave barrier
	s_and_saveexec_b64 s[4:5], vcc
	s_cbranch_execz .LBB47_153
; %bb.150:
	v_mov_b32_e32 v97, 0
	v_add_u32_e32 v102, -1, v0
	v_add_u32_e32 v103, 0x180, v99
	v_mov_b32_e32 v104, v99
	v_mov_b32_e32 v98, 0
	s_mov_b64 s[8:9], 0
.LBB47_151:                             ; =>This Inner Loop Header: Depth=1
	buffer_load_dword v105, v104, s[0:3], 0 offen
	buffer_load_dword v106, v104, s[0:3], 0 offen offset:4
	ds_read_b64 v[107:108], v103
	v_add_u32_e32 v102, 1, v102
	v_cmp_lt_u32_e32 vcc, 34, v102
	v_add_u32_e32 v103, 8, v103
	s_or_b64 s[8:9], vcc, s[8:9]
	v_add_u32_e32 v104, 8, v104
	s_waitcnt vmcnt(0) lgkmcnt(0)
	v_fma_f64 v[97:98], v[105:106], v[107:108], v[97:98]
	s_andn2_b64 exec, exec, s[8:9]
	s_cbranch_execnz .LBB47_151
; %bb.152:
	s_or_b64 exec, exec, s[8:9]
	v_mov_b32_e32 v102, 0
	ds_read_b64 v[102:103], v102 offset:288
	s_waitcnt lgkmcnt(0)
	v_mul_f64 v[97:98], v[97:98], v[102:103]
	buffer_store_dword v98, off, s[0:3], 0 offset:292
	buffer_store_dword v97, off, s[0:3], 0 offset:288
.LBB47_153:
	s_or_b64 exec, exec, s[4:5]
	; wave barrier
	buffer_load_dword v97, off, s[0:3], 0 offset:296
	buffer_load_dword v98, off, s[0:3], 0 offset:300
	v_cmp_gt_u32_e32 vcc, 37, v0
	s_waitcnt vmcnt(0)
	ds_write_b64 v100, v[97:98]
	s_waitcnt lgkmcnt(0)
	; wave barrier
	s_and_saveexec_b64 s[4:5], vcc
	s_cbranch_execz .LBB47_157
; %bb.154:
	v_mov_b32_e32 v97, 0
	v_add_u32_e32 v102, -1, v0
	v_add_u32_e32 v103, 0x180, v99
	v_mov_b32_e32 v104, v99
	v_mov_b32_e32 v98, 0
	s_mov_b64 s[8:9], 0
.LBB47_155:                             ; =>This Inner Loop Header: Depth=1
	buffer_load_dword v105, v104, s[0:3], 0 offen
	buffer_load_dword v106, v104, s[0:3], 0 offen offset:4
	ds_read_b64 v[107:108], v103
	v_add_u32_e32 v102, 1, v102
	v_cmp_lt_u32_e32 vcc, 35, v102
	v_add_u32_e32 v103, 8, v103
	s_or_b64 s[8:9], vcc, s[8:9]
	v_add_u32_e32 v104, 8, v104
	s_waitcnt vmcnt(0) lgkmcnt(0)
	v_fma_f64 v[97:98], v[105:106], v[107:108], v[97:98]
	s_andn2_b64 exec, exec, s[8:9]
	s_cbranch_execnz .LBB47_155
; %bb.156:
	s_or_b64 exec, exec, s[8:9]
	v_mov_b32_e32 v102, 0
	ds_read_b64 v[102:103], v102 offset:296
	s_waitcnt lgkmcnt(0)
	v_mul_f64 v[97:98], v[97:98], v[102:103]
	buffer_store_dword v98, off, s[0:3], 0 offset:300
	buffer_store_dword v97, off, s[0:3], 0 offset:296
.LBB47_157:
	s_or_b64 exec, exec, s[4:5]
	; wave barrier
	buffer_load_dword v97, off, s[0:3], 0 offset:304
	buffer_load_dword v98, off, s[0:3], 0 offset:308
	v_cmp_gt_u32_e32 vcc, 38, v0
	s_waitcnt vmcnt(0)
	ds_write_b64 v100, v[97:98]
	s_waitcnt lgkmcnt(0)
	; wave barrier
	s_and_saveexec_b64 s[4:5], vcc
	s_cbranch_execz .LBB47_161
; %bb.158:
	v_mov_b32_e32 v97, 0
	v_add_u32_e32 v102, -1, v0
	v_add_u32_e32 v103, 0x180, v99
	v_mov_b32_e32 v104, v99
	v_mov_b32_e32 v98, 0
	s_mov_b64 s[8:9], 0
.LBB47_159:                             ; =>This Inner Loop Header: Depth=1
	buffer_load_dword v105, v104, s[0:3], 0 offen
	buffer_load_dword v106, v104, s[0:3], 0 offen offset:4
	ds_read_b64 v[107:108], v103
	v_add_u32_e32 v102, 1, v102
	v_cmp_lt_u32_e32 vcc, 36, v102
	v_add_u32_e32 v103, 8, v103
	s_or_b64 s[8:9], vcc, s[8:9]
	v_add_u32_e32 v104, 8, v104
	s_waitcnt vmcnt(0) lgkmcnt(0)
	v_fma_f64 v[97:98], v[105:106], v[107:108], v[97:98]
	s_andn2_b64 exec, exec, s[8:9]
	s_cbranch_execnz .LBB47_159
; %bb.160:
	s_or_b64 exec, exec, s[8:9]
	v_mov_b32_e32 v102, 0
	ds_read_b64 v[102:103], v102 offset:304
	s_waitcnt lgkmcnt(0)
	v_mul_f64 v[97:98], v[97:98], v[102:103]
	buffer_store_dword v98, off, s[0:3], 0 offset:308
	buffer_store_dword v97, off, s[0:3], 0 offset:304
.LBB47_161:
	s_or_b64 exec, exec, s[4:5]
	; wave barrier
	buffer_load_dword v97, off, s[0:3], 0 offset:312
	buffer_load_dword v98, off, s[0:3], 0 offset:316
	v_cmp_gt_u32_e32 vcc, 39, v0
	s_waitcnt vmcnt(0)
	ds_write_b64 v100, v[97:98]
	s_waitcnt lgkmcnt(0)
	; wave barrier
	s_and_saveexec_b64 s[4:5], vcc
	s_cbranch_execz .LBB47_165
; %bb.162:
	v_mov_b32_e32 v97, 0
	v_add_u32_e32 v102, -1, v0
	v_add_u32_e32 v103, 0x180, v99
	v_mov_b32_e32 v104, v99
	v_mov_b32_e32 v98, 0
	s_mov_b64 s[8:9], 0
.LBB47_163:                             ; =>This Inner Loop Header: Depth=1
	buffer_load_dword v105, v104, s[0:3], 0 offen
	buffer_load_dword v106, v104, s[0:3], 0 offen offset:4
	ds_read_b64 v[107:108], v103
	v_add_u32_e32 v102, 1, v102
	v_cmp_lt_u32_e32 vcc, 37, v102
	v_add_u32_e32 v103, 8, v103
	s_or_b64 s[8:9], vcc, s[8:9]
	v_add_u32_e32 v104, 8, v104
	s_waitcnt vmcnt(0) lgkmcnt(0)
	v_fma_f64 v[97:98], v[105:106], v[107:108], v[97:98]
	s_andn2_b64 exec, exec, s[8:9]
	s_cbranch_execnz .LBB47_163
; %bb.164:
	s_or_b64 exec, exec, s[8:9]
	v_mov_b32_e32 v102, 0
	ds_read_b64 v[102:103], v102 offset:312
	s_waitcnt lgkmcnt(0)
	v_mul_f64 v[97:98], v[97:98], v[102:103]
	buffer_store_dword v98, off, s[0:3], 0 offset:316
	buffer_store_dword v97, off, s[0:3], 0 offset:312
.LBB47_165:
	s_or_b64 exec, exec, s[4:5]
	; wave barrier
	buffer_load_dword v97, off, s[0:3], 0 offset:320
	buffer_load_dword v98, off, s[0:3], 0 offset:324
	v_cmp_gt_u32_e32 vcc, 40, v0
	s_waitcnt vmcnt(0)
	ds_write_b64 v100, v[97:98]
	s_waitcnt lgkmcnt(0)
	; wave barrier
	s_and_saveexec_b64 s[4:5], vcc
	s_cbranch_execz .LBB47_169
; %bb.166:
	v_mov_b32_e32 v97, 0
	v_add_u32_e32 v102, -1, v0
	v_add_u32_e32 v103, 0x180, v99
	v_mov_b32_e32 v104, v99
	v_mov_b32_e32 v98, 0
	s_mov_b64 s[8:9], 0
.LBB47_167:                             ; =>This Inner Loop Header: Depth=1
	buffer_load_dword v105, v104, s[0:3], 0 offen
	buffer_load_dword v106, v104, s[0:3], 0 offen offset:4
	ds_read_b64 v[107:108], v103
	v_add_u32_e32 v102, 1, v102
	v_cmp_lt_u32_e32 vcc, 38, v102
	v_add_u32_e32 v103, 8, v103
	s_or_b64 s[8:9], vcc, s[8:9]
	v_add_u32_e32 v104, 8, v104
	s_waitcnt vmcnt(0) lgkmcnt(0)
	v_fma_f64 v[97:98], v[105:106], v[107:108], v[97:98]
	s_andn2_b64 exec, exec, s[8:9]
	s_cbranch_execnz .LBB47_167
; %bb.168:
	s_or_b64 exec, exec, s[8:9]
	v_mov_b32_e32 v102, 0
	ds_read_b64 v[102:103], v102 offset:320
	s_waitcnt lgkmcnt(0)
	v_mul_f64 v[97:98], v[97:98], v[102:103]
	buffer_store_dword v98, off, s[0:3], 0 offset:324
	buffer_store_dword v97, off, s[0:3], 0 offset:320
.LBB47_169:
	s_or_b64 exec, exec, s[4:5]
	; wave barrier
	buffer_load_dword v97, off, s[0:3], 0 offset:328
	buffer_load_dword v98, off, s[0:3], 0 offset:332
	v_cmp_gt_u32_e32 vcc, 41, v0
	s_waitcnt vmcnt(0)
	ds_write_b64 v100, v[97:98]
	s_waitcnt lgkmcnt(0)
	; wave barrier
	s_and_saveexec_b64 s[4:5], vcc
	s_cbranch_execz .LBB47_173
; %bb.170:
	v_mov_b32_e32 v97, 0
	v_add_u32_e32 v102, -1, v0
	v_add_u32_e32 v103, 0x180, v99
	v_mov_b32_e32 v104, v99
	v_mov_b32_e32 v98, 0
	s_mov_b64 s[8:9], 0
.LBB47_171:                             ; =>This Inner Loop Header: Depth=1
	buffer_load_dword v105, v104, s[0:3], 0 offen
	buffer_load_dword v106, v104, s[0:3], 0 offen offset:4
	ds_read_b64 v[107:108], v103
	v_add_u32_e32 v102, 1, v102
	v_cmp_lt_u32_e32 vcc, 39, v102
	v_add_u32_e32 v103, 8, v103
	s_or_b64 s[8:9], vcc, s[8:9]
	v_add_u32_e32 v104, 8, v104
	s_waitcnt vmcnt(0) lgkmcnt(0)
	v_fma_f64 v[97:98], v[105:106], v[107:108], v[97:98]
	s_andn2_b64 exec, exec, s[8:9]
	s_cbranch_execnz .LBB47_171
; %bb.172:
	s_or_b64 exec, exec, s[8:9]
	v_mov_b32_e32 v102, 0
	ds_read_b64 v[102:103], v102 offset:328
	s_waitcnt lgkmcnt(0)
	v_mul_f64 v[97:98], v[97:98], v[102:103]
	buffer_store_dword v98, off, s[0:3], 0 offset:332
	buffer_store_dword v97, off, s[0:3], 0 offset:328
.LBB47_173:
	s_or_b64 exec, exec, s[4:5]
	; wave barrier
	buffer_load_dword v97, off, s[0:3], 0 offset:336
	buffer_load_dword v98, off, s[0:3], 0 offset:340
	v_cmp_gt_u32_e32 vcc, 42, v0
	s_waitcnt vmcnt(0)
	ds_write_b64 v100, v[97:98]
	s_waitcnt lgkmcnt(0)
	; wave barrier
	s_and_saveexec_b64 s[4:5], vcc
	s_cbranch_execz .LBB47_177
; %bb.174:
	v_mov_b32_e32 v97, 0
	v_add_u32_e32 v102, -1, v0
	v_add_u32_e32 v103, 0x180, v99
	v_mov_b32_e32 v104, v99
	v_mov_b32_e32 v98, 0
	s_mov_b64 s[8:9], 0
.LBB47_175:                             ; =>This Inner Loop Header: Depth=1
	buffer_load_dword v105, v104, s[0:3], 0 offen
	buffer_load_dword v106, v104, s[0:3], 0 offen offset:4
	ds_read_b64 v[107:108], v103
	v_add_u32_e32 v102, 1, v102
	v_cmp_lt_u32_e32 vcc, 40, v102
	v_add_u32_e32 v103, 8, v103
	s_or_b64 s[8:9], vcc, s[8:9]
	v_add_u32_e32 v104, 8, v104
	s_waitcnt vmcnt(0) lgkmcnt(0)
	v_fma_f64 v[97:98], v[105:106], v[107:108], v[97:98]
	s_andn2_b64 exec, exec, s[8:9]
	s_cbranch_execnz .LBB47_175
; %bb.176:
	s_or_b64 exec, exec, s[8:9]
	v_mov_b32_e32 v102, 0
	ds_read_b64 v[102:103], v102 offset:336
	s_waitcnt lgkmcnt(0)
	v_mul_f64 v[97:98], v[97:98], v[102:103]
	buffer_store_dword v98, off, s[0:3], 0 offset:340
	buffer_store_dword v97, off, s[0:3], 0 offset:336
.LBB47_177:
	s_or_b64 exec, exec, s[4:5]
	; wave barrier
	buffer_load_dword v97, off, s[0:3], 0 offset:344
	buffer_load_dword v98, off, s[0:3], 0 offset:348
	v_cmp_gt_u32_e32 vcc, 43, v0
	s_waitcnt vmcnt(0)
	ds_write_b64 v100, v[97:98]
	s_waitcnt lgkmcnt(0)
	; wave barrier
	s_and_saveexec_b64 s[4:5], vcc
	s_cbranch_execz .LBB47_181
; %bb.178:
	v_mov_b32_e32 v97, 0
	v_add_u32_e32 v102, -1, v0
	v_add_u32_e32 v103, 0x180, v99
	v_mov_b32_e32 v104, v99
	v_mov_b32_e32 v98, 0
	s_mov_b64 s[8:9], 0
.LBB47_179:                             ; =>This Inner Loop Header: Depth=1
	buffer_load_dword v105, v104, s[0:3], 0 offen
	buffer_load_dword v106, v104, s[0:3], 0 offen offset:4
	ds_read_b64 v[107:108], v103
	v_add_u32_e32 v102, 1, v102
	v_cmp_lt_u32_e32 vcc, 41, v102
	v_add_u32_e32 v103, 8, v103
	s_or_b64 s[8:9], vcc, s[8:9]
	v_add_u32_e32 v104, 8, v104
	s_waitcnt vmcnt(0) lgkmcnt(0)
	v_fma_f64 v[97:98], v[105:106], v[107:108], v[97:98]
	s_andn2_b64 exec, exec, s[8:9]
	s_cbranch_execnz .LBB47_179
; %bb.180:
	s_or_b64 exec, exec, s[8:9]
	v_mov_b32_e32 v102, 0
	ds_read_b64 v[102:103], v102 offset:344
	s_waitcnt lgkmcnt(0)
	v_mul_f64 v[97:98], v[97:98], v[102:103]
	buffer_store_dword v98, off, s[0:3], 0 offset:348
	buffer_store_dword v97, off, s[0:3], 0 offset:344
.LBB47_181:
	s_or_b64 exec, exec, s[4:5]
	; wave barrier
	buffer_load_dword v97, off, s[0:3], 0 offset:352
	buffer_load_dword v98, off, s[0:3], 0 offset:356
	v_cmp_gt_u32_e32 vcc, 44, v0
	s_waitcnt vmcnt(0)
	ds_write_b64 v100, v[97:98]
	s_waitcnt lgkmcnt(0)
	; wave barrier
	s_and_saveexec_b64 s[4:5], vcc
	s_cbranch_execz .LBB47_185
; %bb.182:
	v_mov_b32_e32 v97, 0
	v_add_u32_e32 v102, -1, v0
	v_add_u32_e32 v103, 0x180, v99
	v_mov_b32_e32 v104, v99
	v_mov_b32_e32 v98, 0
	s_mov_b64 s[8:9], 0
.LBB47_183:                             ; =>This Inner Loop Header: Depth=1
	buffer_load_dword v105, v104, s[0:3], 0 offen
	buffer_load_dword v106, v104, s[0:3], 0 offen offset:4
	ds_read_b64 v[107:108], v103
	v_add_u32_e32 v102, 1, v102
	v_cmp_lt_u32_e32 vcc, 42, v102
	v_add_u32_e32 v103, 8, v103
	s_or_b64 s[8:9], vcc, s[8:9]
	v_add_u32_e32 v104, 8, v104
	s_waitcnt vmcnt(0) lgkmcnt(0)
	v_fma_f64 v[97:98], v[105:106], v[107:108], v[97:98]
	s_andn2_b64 exec, exec, s[8:9]
	s_cbranch_execnz .LBB47_183
; %bb.184:
	s_or_b64 exec, exec, s[8:9]
	v_mov_b32_e32 v102, 0
	ds_read_b64 v[102:103], v102 offset:352
	s_waitcnt lgkmcnt(0)
	v_mul_f64 v[97:98], v[97:98], v[102:103]
	buffer_store_dword v98, off, s[0:3], 0 offset:356
	buffer_store_dword v97, off, s[0:3], 0 offset:352
.LBB47_185:
	s_or_b64 exec, exec, s[4:5]
	; wave barrier
	buffer_load_dword v97, off, s[0:3], 0 offset:360
	buffer_load_dword v98, off, s[0:3], 0 offset:364
	v_cmp_gt_u32_e32 vcc, 45, v0
	s_waitcnt vmcnt(0)
	ds_write_b64 v100, v[97:98]
	s_waitcnt lgkmcnt(0)
	; wave barrier
	s_and_saveexec_b64 s[4:5], vcc
	s_cbranch_execz .LBB47_189
; %bb.186:
	v_mov_b32_e32 v97, 0
	v_add_u32_e32 v102, -1, v0
	v_add_u32_e32 v103, 0x180, v99
	v_mov_b32_e32 v104, v99
	v_mov_b32_e32 v98, 0
	s_mov_b64 s[8:9], 0
.LBB47_187:                             ; =>This Inner Loop Header: Depth=1
	buffer_load_dword v105, v104, s[0:3], 0 offen
	buffer_load_dword v106, v104, s[0:3], 0 offen offset:4
	ds_read_b64 v[107:108], v103
	v_add_u32_e32 v102, 1, v102
	v_cmp_lt_u32_e32 vcc, 43, v102
	v_add_u32_e32 v103, 8, v103
	s_or_b64 s[8:9], vcc, s[8:9]
	v_add_u32_e32 v104, 8, v104
	s_waitcnt vmcnt(0) lgkmcnt(0)
	v_fma_f64 v[97:98], v[105:106], v[107:108], v[97:98]
	s_andn2_b64 exec, exec, s[8:9]
	s_cbranch_execnz .LBB47_187
; %bb.188:
	s_or_b64 exec, exec, s[8:9]
	v_mov_b32_e32 v102, 0
	ds_read_b64 v[102:103], v102 offset:360
	s_waitcnt lgkmcnt(0)
	v_mul_f64 v[97:98], v[97:98], v[102:103]
	buffer_store_dword v98, off, s[0:3], 0 offset:364
	buffer_store_dword v97, off, s[0:3], 0 offset:360
.LBB47_189:
	s_or_b64 exec, exec, s[4:5]
	; wave barrier
	buffer_load_dword v97, off, s[0:3], 0 offset:368
	buffer_load_dword v98, off, s[0:3], 0 offset:372
	v_cmp_gt_u32_e32 vcc, 46, v0
	s_waitcnt vmcnt(0)
	ds_write_b64 v100, v[97:98]
	s_waitcnt lgkmcnt(0)
	; wave barrier
	s_and_saveexec_b64 s[4:5], vcc
	s_cbranch_execz .LBB47_193
; %bb.190:
	v_mov_b32_e32 v97, 0
	v_add_u32_e32 v102, -1, v0
	v_add_u32_e32 v103, 0x180, v99
	v_mov_b32_e32 v104, v99
	v_mov_b32_e32 v98, 0
	s_mov_b64 s[8:9], 0
.LBB47_191:                             ; =>This Inner Loop Header: Depth=1
	buffer_load_dword v105, v104, s[0:3], 0 offen
	buffer_load_dword v106, v104, s[0:3], 0 offen offset:4
	ds_read_b64 v[107:108], v103
	v_add_u32_e32 v102, 1, v102
	v_cmp_lt_u32_e32 vcc, 44, v102
	v_add_u32_e32 v103, 8, v103
	s_or_b64 s[8:9], vcc, s[8:9]
	v_add_u32_e32 v104, 8, v104
	s_waitcnt vmcnt(0) lgkmcnt(0)
	v_fma_f64 v[97:98], v[105:106], v[107:108], v[97:98]
	s_andn2_b64 exec, exec, s[8:9]
	s_cbranch_execnz .LBB47_191
; %bb.192:
	s_or_b64 exec, exec, s[8:9]
	v_mov_b32_e32 v102, 0
	ds_read_b64 v[102:103], v102 offset:368
	s_waitcnt lgkmcnt(0)
	v_mul_f64 v[97:98], v[97:98], v[102:103]
	buffer_store_dword v98, off, s[0:3], 0 offset:372
	buffer_store_dword v97, off, s[0:3], 0 offset:368
.LBB47_193:
	s_or_b64 exec, exec, s[4:5]
	; wave barrier
	buffer_load_dword v97, off, s[0:3], 0 offset:376
	buffer_load_dword v98, off, s[0:3], 0 offset:380
	v_cmp_ne_u32_e32 vcc, 47, v0
	s_waitcnt vmcnt(0)
	ds_write_b64 v100, v[97:98]
	s_waitcnt lgkmcnt(0)
	; wave barrier
	s_and_saveexec_b64 s[4:5], vcc
	s_cbranch_execz .LBB47_197
; %bb.194:
	v_mov_b32_e32 v97, 0
	v_add_u32_e32 v100, 0x180, v99
	v_mov_b32_e32 v98, 0
	s_mov_b64 s[8:9], 0
.LBB47_195:                             ; =>This Inner Loop Header: Depth=1
	buffer_load_dword v102, v99, s[0:3], 0 offen
	buffer_load_dword v103, v99, s[0:3], 0 offen offset:4
	ds_read_b64 v[104:105], v100
	v_add_u32_e32 v101, 1, v101
	v_cmp_lt_u32_e32 vcc, 45, v101
	v_add_u32_e32 v100, 8, v100
	s_or_b64 s[8:9], vcc, s[8:9]
	v_add_u32_e32 v99, 8, v99
	s_waitcnt vmcnt(0) lgkmcnt(0)
	v_fma_f64 v[97:98], v[102:103], v[104:105], v[97:98]
	s_andn2_b64 exec, exec, s[8:9]
	s_cbranch_execnz .LBB47_195
; %bb.196:
	s_or_b64 exec, exec, s[8:9]
	v_mov_b32_e32 v99, 0
	ds_read_b64 v[99:100], v99 offset:376
	s_waitcnt lgkmcnt(0)
	v_mul_f64 v[97:98], v[97:98], v[99:100]
	buffer_store_dword v98, off, s[0:3], 0 offset:380
	buffer_store_dword v97, off, s[0:3], 0 offset:376
.LBB47_197:
	s_or_b64 exec, exec, s[4:5]
	s_mov_b64 s[8:9], -1
	; wave barrier
.LBB47_198:
	s_and_b64 vcc, exec, s[8:9]
	s_cbranch_vccz .LBB47_200
; %bb.199:
	s_lshl_b64 s[4:5], s[6:7], 2
	s_add_u32 s4, s10, s4
	s_addc_u32 s5, s11, s5
	v_mov_b32_e32 v97, 0
	global_load_dword v97, v97, s[4:5]
	s_waitcnt vmcnt(0)
	v_cmp_ne_u32_e32 vcc, 0, v97
	s_cbranch_vccz .LBB47_201
.LBB47_200:
	s_endpgm
.LBB47_201:
	v_mov_b32_e32 v97, 0x180
	v_lshl_add_u32 v97, v0, 3, v97
	v_cmp_eq_u32_e32 vcc, 47, v0
	s_and_saveexec_b64 s[4:5], vcc
	s_cbranch_execz .LBB47_203
; %bb.202:
	buffer_load_dword v98, off, s[0:3], 0 offset:368
	buffer_load_dword v99, off, s[0:3], 0 offset:372
	v_mov_b32_e32 v100, 0
	buffer_store_dword v100, off, s[0:3], 0 offset:368
	buffer_store_dword v100, off, s[0:3], 0 offset:372
	s_waitcnt vmcnt(2)
	ds_write_b64 v97, v[98:99]
.LBB47_203:
	s_or_b64 exec, exec, s[4:5]
	s_waitcnt lgkmcnt(0)
	; wave barrier
	buffer_load_dword v99, off, s[0:3], 0 offset:376
	buffer_load_dword v100, off, s[0:3], 0 offset:380
	;; [unrolled: 1-line block ×4, first 2 shown]
	v_mov_b32_e32 v98, 0
	ds_read_b64 v[103:104], v98 offset:760
	v_cmp_lt_u32_e32 vcc, 45, v0
	s_waitcnt vmcnt(2) lgkmcnt(0)
	v_fma_f64 v[99:100], v[99:100], v[103:104], 0
	s_waitcnt vmcnt(0)
	v_add_f64 v[99:100], v[101:102], -v[99:100]
	buffer_store_dword v99, off, s[0:3], 0 offset:368
	buffer_store_dword v100, off, s[0:3], 0 offset:372
	s_and_saveexec_b64 s[4:5], vcc
	s_cbranch_execz .LBB47_205
; %bb.204:
	buffer_load_dword v99, off, s[0:3], 0 offset:360
	buffer_load_dword v100, off, s[0:3], 0 offset:364
	s_waitcnt vmcnt(0)
	ds_write_b64 v97, v[99:100]
	buffer_store_dword v98, off, s[0:3], 0 offset:360
	buffer_store_dword v98, off, s[0:3], 0 offset:364
.LBB47_205:
	s_or_b64 exec, exec, s[4:5]
	s_waitcnt lgkmcnt(0)
	; wave barrier
	buffer_load_dword v102, off, s[0:3], 0 offset:368
	buffer_load_dword v103, off, s[0:3], 0 offset:372
	buffer_load_dword v104, off, s[0:3], 0 offset:376
	buffer_load_dword v105, off, s[0:3], 0 offset:380
	buffer_load_dword v106, off, s[0:3], 0 offset:360
	buffer_load_dword v107, off, s[0:3], 0 offset:364
	ds_read_b128 v[98:101], v98 offset:752
	v_cmp_lt_u32_e32 vcc, 44, v0
	s_waitcnt vmcnt(4) lgkmcnt(0)
	v_fma_f64 v[98:99], v[102:103], v[98:99], 0
	s_waitcnt vmcnt(2)
	v_fma_f64 v[98:99], v[104:105], v[100:101], v[98:99]
	s_waitcnt vmcnt(0)
	v_add_f64 v[98:99], v[106:107], -v[98:99]
	buffer_store_dword v98, off, s[0:3], 0 offset:360
	buffer_store_dword v99, off, s[0:3], 0 offset:364
	s_and_saveexec_b64 s[4:5], vcc
	s_cbranch_execz .LBB47_207
; %bb.206:
	buffer_load_dword v98, off, s[0:3], 0 offset:352
	buffer_load_dword v99, off, s[0:3], 0 offset:356
	v_mov_b32_e32 v100, 0
	buffer_store_dword v100, off, s[0:3], 0 offset:352
	buffer_store_dword v100, off, s[0:3], 0 offset:356
	s_waitcnt vmcnt(2)
	ds_write_b64 v97, v[98:99]
.LBB47_207:
	s_or_b64 exec, exec, s[4:5]
	s_waitcnt lgkmcnt(0)
	; wave barrier
	buffer_load_dword v103, off, s[0:3], 0 offset:360
	buffer_load_dword v104, off, s[0:3], 0 offset:364
	;; [unrolled: 1-line block ×8, first 2 shown]
	v_mov_b32_e32 v98, 0
	ds_read2_b64 v[99:102], v98 offset0:93 offset1:94
	ds_read_b64 v[111:112], v98 offset:760
	v_cmp_lt_u32_e32 vcc, 43, v0
	s_waitcnt vmcnt(6) lgkmcnt(1)
	v_fma_f64 v[99:100], v[103:104], v[99:100], 0
	s_waitcnt vmcnt(4)
	v_fma_f64 v[99:100], v[105:106], v[101:102], v[99:100]
	s_waitcnt vmcnt(2) lgkmcnt(0)
	v_fma_f64 v[99:100], v[107:108], v[111:112], v[99:100]
	s_waitcnt vmcnt(0)
	v_add_f64 v[99:100], v[109:110], -v[99:100]
	buffer_store_dword v99, off, s[0:3], 0 offset:352
	buffer_store_dword v100, off, s[0:3], 0 offset:356
	s_and_saveexec_b64 s[4:5], vcc
	s_cbranch_execz .LBB47_209
; %bb.208:
	buffer_load_dword v99, off, s[0:3], 0 offset:344
	buffer_load_dword v100, off, s[0:3], 0 offset:348
	s_waitcnt vmcnt(0)
	ds_write_b64 v97, v[99:100]
	buffer_store_dword v98, off, s[0:3], 0 offset:344
	buffer_store_dword v98, off, s[0:3], 0 offset:348
.LBB47_209:
	s_or_b64 exec, exec, s[4:5]
	s_waitcnt lgkmcnt(0)
	; wave barrier
	buffer_load_dword v107, off, s[0:3], 0 offset:352
	buffer_load_dword v108, off, s[0:3], 0 offset:356
	;; [unrolled: 1-line block ×10, first 2 shown]
	ds_read_b128 v[99:102], v98 offset:736
	ds_read_b128 v[103:106], v98 offset:752
	v_cmp_lt_u32_e32 vcc, 42, v0
	s_waitcnt vmcnt(8) lgkmcnt(1)
	v_fma_f64 v[98:99], v[107:108], v[99:100], 0
	s_waitcnt vmcnt(6)
	v_fma_f64 v[98:99], v[109:110], v[101:102], v[98:99]
	s_waitcnt vmcnt(4) lgkmcnt(0)
	v_fma_f64 v[98:99], v[111:112], v[103:104], v[98:99]
	s_waitcnt vmcnt(2)
	v_fma_f64 v[98:99], v[113:114], v[105:106], v[98:99]
	s_waitcnt vmcnt(0)
	v_add_f64 v[98:99], v[115:116], -v[98:99]
	buffer_store_dword v98, off, s[0:3], 0 offset:344
	buffer_store_dword v99, off, s[0:3], 0 offset:348
	s_and_saveexec_b64 s[4:5], vcc
	s_cbranch_execz .LBB47_211
; %bb.210:
	buffer_load_dword v98, off, s[0:3], 0 offset:336
	buffer_load_dword v99, off, s[0:3], 0 offset:340
	v_mov_b32_e32 v100, 0
	buffer_store_dword v100, off, s[0:3], 0 offset:336
	buffer_store_dword v100, off, s[0:3], 0 offset:340
	s_waitcnt vmcnt(2)
	ds_write_b64 v97, v[98:99]
.LBB47_211:
	s_or_b64 exec, exec, s[4:5]
	s_waitcnt lgkmcnt(0)
	; wave barrier
	buffer_load_dword v107, off, s[0:3], 0 offset:344
	buffer_load_dword v108, off, s[0:3], 0 offset:348
	;; [unrolled: 1-line block ×12, first 2 shown]
	v_mov_b32_e32 v98, 0
	ds_read2_b64 v[99:102], v98 offset0:91 offset1:92
	ds_read2_b64 v[103:106], v98 offset0:93 offset1:94
	v_cmp_lt_u32_e32 vcc, 41, v0
	s_waitcnt vmcnt(10) lgkmcnt(1)
	v_fma_f64 v[99:100], v[107:108], v[99:100], 0
	s_waitcnt vmcnt(8)
	v_fma_f64 v[99:100], v[109:110], v[101:102], v[99:100]
	ds_read_b64 v[101:102], v98 offset:760
	s_waitcnt vmcnt(6) lgkmcnt(1)
	v_fma_f64 v[99:100], v[111:112], v[103:104], v[99:100]
	s_waitcnt vmcnt(4)
	v_fma_f64 v[99:100], v[113:114], v[105:106], v[99:100]
	s_waitcnt vmcnt(2) lgkmcnt(0)
	v_fma_f64 v[99:100], v[115:116], v[101:102], v[99:100]
	s_waitcnt vmcnt(0)
	v_add_f64 v[99:100], v[117:118], -v[99:100]
	buffer_store_dword v99, off, s[0:3], 0 offset:336
	buffer_store_dword v100, off, s[0:3], 0 offset:340
	s_and_saveexec_b64 s[4:5], vcc
	s_cbranch_execz .LBB47_213
; %bb.212:
	buffer_load_dword v99, off, s[0:3], 0 offset:328
	buffer_load_dword v100, off, s[0:3], 0 offset:332
	s_waitcnt vmcnt(0)
	ds_write_b64 v97, v[99:100]
	buffer_store_dword v98, off, s[0:3], 0 offset:328
	buffer_store_dword v98, off, s[0:3], 0 offset:332
.LBB47_213:
	s_or_b64 exec, exec, s[4:5]
	s_waitcnt lgkmcnt(0)
	; wave barrier
	buffer_load_dword v107, off, s[0:3], 0 offset:336
	buffer_load_dword v108, off, s[0:3], 0 offset:340
	;; [unrolled: 1-line block ×14, first 2 shown]
	ds_read_b128 v[99:102], v98 offset:720
	ds_read_b128 v[103:106], v98 offset:736
	v_cmp_lt_u32_e32 vcc, 40, v0
	s_waitcnt vmcnt(12) lgkmcnt(1)
	v_fma_f64 v[99:100], v[107:108], v[99:100], 0
	s_waitcnt vmcnt(10)
	v_fma_f64 v[99:100], v[109:110], v[101:102], v[99:100]
	s_waitcnt vmcnt(8) lgkmcnt(0)
	v_fma_f64 v[99:100], v[111:112], v[103:104], v[99:100]
	s_waitcnt vmcnt(6)
	v_fma_f64 v[102:103], v[113:114], v[105:106], v[99:100]
	ds_read_b128 v[98:101], v98 offset:752
	s_waitcnt vmcnt(4) lgkmcnt(0)
	v_fma_f64 v[98:99], v[115:116], v[98:99], v[102:103]
	s_waitcnt vmcnt(2)
	v_fma_f64 v[98:99], v[117:118], v[100:101], v[98:99]
	s_waitcnt vmcnt(0)
	v_add_f64 v[98:99], v[119:120], -v[98:99]
	buffer_store_dword v98, off, s[0:3], 0 offset:328
	buffer_store_dword v99, off, s[0:3], 0 offset:332
	s_and_saveexec_b64 s[4:5], vcc
	s_cbranch_execz .LBB47_215
; %bb.214:
	buffer_load_dword v98, off, s[0:3], 0 offset:320
	buffer_load_dword v99, off, s[0:3], 0 offset:324
	v_mov_b32_e32 v100, 0
	buffer_store_dword v100, off, s[0:3], 0 offset:320
	buffer_store_dword v100, off, s[0:3], 0 offset:324
	s_waitcnt vmcnt(2)
	ds_write_b64 v97, v[98:99]
.LBB47_215:
	s_or_b64 exec, exec, s[4:5]
	s_waitcnt lgkmcnt(0)
	; wave barrier
	buffer_load_dword v107, off, s[0:3], 0 offset:328
	buffer_load_dword v108, off, s[0:3], 0 offset:332
	;; [unrolled: 1-line block ×16, first 2 shown]
	v_mov_b32_e32 v98, 0
	ds_read2_b64 v[99:102], v98 offset0:89 offset1:90
	ds_read2_b64 v[103:106], v98 offset0:91 offset1:92
	v_cmp_lt_u32_e32 vcc, 39, v0
	s_waitcnt vmcnt(14) lgkmcnt(1)
	v_fma_f64 v[99:100], v[107:108], v[99:100], 0
	s_waitcnt vmcnt(12)
	v_fma_f64 v[99:100], v[109:110], v[101:102], v[99:100]
	s_waitcnt vmcnt(10) lgkmcnt(0)
	v_fma_f64 v[99:100], v[111:112], v[103:104], v[99:100]
	s_waitcnt vmcnt(8)
	v_fma_f64 v[103:104], v[113:114], v[105:106], v[99:100]
	ds_read2_b64 v[99:102], v98 offset0:93 offset1:94
	ds_read_b64 v[105:106], v98 offset:760
	s_waitcnt vmcnt(6) lgkmcnt(1)
	v_fma_f64 v[99:100], v[115:116], v[99:100], v[103:104]
	s_waitcnt vmcnt(4)
	v_fma_f64 v[99:100], v[117:118], v[101:102], v[99:100]
	s_waitcnt vmcnt(2) lgkmcnt(0)
	v_fma_f64 v[99:100], v[119:120], v[105:106], v[99:100]
	s_waitcnt vmcnt(0)
	v_add_f64 v[99:100], v[121:122], -v[99:100]
	buffer_store_dword v99, off, s[0:3], 0 offset:320
	buffer_store_dword v100, off, s[0:3], 0 offset:324
	s_and_saveexec_b64 s[4:5], vcc
	s_cbranch_execz .LBB47_217
; %bb.216:
	buffer_load_dword v99, off, s[0:3], 0 offset:312
	buffer_load_dword v100, off, s[0:3], 0 offset:316
	s_waitcnt vmcnt(0)
	ds_write_b64 v97, v[99:100]
	buffer_store_dword v98, off, s[0:3], 0 offset:312
	buffer_store_dword v98, off, s[0:3], 0 offset:316
.LBB47_217:
	s_or_b64 exec, exec, s[4:5]
	s_waitcnt lgkmcnt(0)
	; wave barrier
	buffer_load_dword v107, off, s[0:3], 0 offset:320
	buffer_load_dword v108, off, s[0:3], 0 offset:324
	;; [unrolled: 1-line block ×18, first 2 shown]
	ds_read_b128 v[99:102], v98 offset:704
	ds_read_b128 v[103:106], v98 offset:720
	v_cmp_lt_u32_e32 vcc, 38, v0
	s_waitcnt vmcnt(16) lgkmcnt(1)
	v_fma_f64 v[99:100], v[107:108], v[99:100], 0
	s_waitcnt vmcnt(14)
	v_fma_f64 v[99:100], v[109:110], v[101:102], v[99:100]
	s_waitcnt vmcnt(12) lgkmcnt(0)
	v_fma_f64 v[99:100], v[111:112], v[103:104], v[99:100]
	s_waitcnt vmcnt(10)
	v_fma_f64 v[107:108], v[113:114], v[105:106], v[99:100]
	ds_read_b128 v[99:102], v98 offset:736
	ds_read_b128 v[103:106], v98 offset:752
	s_waitcnt vmcnt(8) lgkmcnt(1)
	v_fma_f64 v[98:99], v[115:116], v[99:100], v[107:108]
	s_waitcnt vmcnt(6)
	v_fma_f64 v[98:99], v[117:118], v[101:102], v[98:99]
	s_waitcnt vmcnt(4) lgkmcnt(0)
	v_fma_f64 v[98:99], v[119:120], v[103:104], v[98:99]
	s_waitcnt vmcnt(2)
	v_fma_f64 v[98:99], v[121:122], v[105:106], v[98:99]
	s_waitcnt vmcnt(0)
	v_add_f64 v[98:99], v[123:124], -v[98:99]
	buffer_store_dword v98, off, s[0:3], 0 offset:312
	buffer_store_dword v99, off, s[0:3], 0 offset:316
	s_and_saveexec_b64 s[4:5], vcc
	s_cbranch_execz .LBB47_219
; %bb.218:
	buffer_load_dword v98, off, s[0:3], 0 offset:304
	buffer_load_dword v99, off, s[0:3], 0 offset:308
	v_mov_b32_e32 v100, 0
	buffer_store_dword v100, off, s[0:3], 0 offset:304
	buffer_store_dword v100, off, s[0:3], 0 offset:308
	s_waitcnt vmcnt(2)
	ds_write_b64 v97, v[98:99]
.LBB47_219:
	s_or_b64 exec, exec, s[4:5]
	s_waitcnt lgkmcnt(0)
	; wave barrier
	buffer_load_dword v103, off, s[0:3], 0 offset:304
	buffer_load_dword v104, off, s[0:3], 0 offset:308
	;; [unrolled: 1-line block ×16, first 2 shown]
	v_mov_b32_e32 v98, 0
	ds_read2_b64 v[99:102], v98 offset0:87 offset1:88
	v_cmp_lt_u32_e32 vcc, 37, v0
	s_waitcnt vmcnt(12) lgkmcnt(0)
	v_fma_f64 v[99:100], v[105:106], v[99:100], 0
	s_waitcnt vmcnt(10)
	v_fma_f64 v[105:106], v[107:108], v[101:102], v[99:100]
	ds_read2_b64 v[99:102], v98 offset0:89 offset1:90
	s_waitcnt vmcnt(8) lgkmcnt(0)
	v_fma_f64 v[99:100], v[109:110], v[99:100], v[105:106]
	s_waitcnt vmcnt(6)
	v_fma_f64 v[105:106], v[111:112], v[101:102], v[99:100]
	ds_read2_b64 v[99:102], v98 offset0:91 offset1:92
	;; [unrolled: 5-line block ×3, first 2 shown]
	s_waitcnt vmcnt(0) lgkmcnt(0)
	v_fma_f64 v[99:100], v[117:118], v[99:100], v[105:106]
	buffer_load_dword v106, off, s[0:3], 0 offset:372
	buffer_load_dword v105, off, s[0:3], 0 offset:368
	s_waitcnt vmcnt(0)
	v_fma_f64 v[99:100], v[105:106], v[101:102], v[99:100]
	buffer_load_dword v102, off, s[0:3], 0 offset:380
	buffer_load_dword v101, off, s[0:3], 0 offset:376
	ds_read_b64 v[105:106], v98 offset:760
	s_waitcnt vmcnt(0) lgkmcnt(0)
	v_fma_f64 v[99:100], v[101:102], v[105:106], v[99:100]
	v_add_f64 v[99:100], v[103:104], -v[99:100]
	buffer_store_dword v99, off, s[0:3], 0 offset:304
	buffer_store_dword v100, off, s[0:3], 0 offset:308
	s_and_saveexec_b64 s[4:5], vcc
	s_cbranch_execz .LBB47_221
; %bb.220:
	buffer_load_dword v99, off, s[0:3], 0 offset:296
	buffer_load_dword v100, off, s[0:3], 0 offset:300
	s_waitcnt vmcnt(0)
	ds_write_b64 v97, v[99:100]
	buffer_store_dword v98, off, s[0:3], 0 offset:296
	buffer_store_dword v98, off, s[0:3], 0 offset:300
.LBB47_221:
	s_or_b64 exec, exec, s[4:5]
	s_waitcnt lgkmcnt(0)
	; wave barrier
	buffer_load_dword v103, off, s[0:3], 0 offset:304
	buffer_load_dword v104, off, s[0:3], 0 offset:308
	;; [unrolled: 1-line block ×20, first 2 shown]
	ds_read_b128 v[99:102], v98 offset:688
	buffer_load_dword v123, off, s[0:3], 0 offset:296
	buffer_load_dword v124, off, s[0:3], 0 offset:300
	v_cmp_lt_u32_e32 vcc, 36, v0
	s_waitcnt vmcnt(20) lgkmcnt(0)
	v_fma_f64 v[99:100], v[103:104], v[99:100], 0
	s_waitcnt vmcnt(18)
	v_fma_f64 v[103:104], v[105:106], v[101:102], v[99:100]
	ds_read_b128 v[99:102], v98 offset:704
	s_waitcnt vmcnt(16) lgkmcnt(0)
	v_fma_f64 v[99:100], v[107:108], v[99:100], v[103:104]
	s_waitcnt vmcnt(14)
	v_fma_f64 v[103:104], v[109:110], v[101:102], v[99:100]
	ds_read_b128 v[99:102], v98 offset:720
	;; [unrolled: 5-line block ×4, first 2 shown]
	s_waitcnt vmcnt(4) lgkmcnt(0)
	v_fma_f64 v[98:99], v[119:120], v[98:99], v[102:103]
	s_waitcnt vmcnt(2)
	v_fma_f64 v[98:99], v[121:122], v[100:101], v[98:99]
	s_waitcnt vmcnt(0)
	v_add_f64 v[98:99], v[123:124], -v[98:99]
	buffer_store_dword v98, off, s[0:3], 0 offset:296
	buffer_store_dword v99, off, s[0:3], 0 offset:300
	s_and_saveexec_b64 s[4:5], vcc
	s_cbranch_execz .LBB47_223
; %bb.222:
	buffer_load_dword v98, off, s[0:3], 0 offset:288
	buffer_load_dword v99, off, s[0:3], 0 offset:292
	v_mov_b32_e32 v100, 0
	buffer_store_dword v100, off, s[0:3], 0 offset:288
	buffer_store_dword v100, off, s[0:3], 0 offset:292
	s_waitcnt vmcnt(2)
	ds_write_b64 v97, v[98:99]
.LBB47_223:
	s_or_b64 exec, exec, s[4:5]
	s_waitcnt lgkmcnt(0)
	; wave barrier
	buffer_load_dword v103, off, s[0:3], 0 offset:296
	buffer_load_dword v104, off, s[0:3], 0 offset:300
	;; [unrolled: 1-line block ×20, first 2 shown]
	v_mov_b32_e32 v98, 0
	ds_read2_b64 v[99:102], v98 offset0:85 offset1:86
	buffer_load_dword v123, off, s[0:3], 0 offset:376
	buffer_load_dword v124, off, s[0:3], 0 offset:380
	v_cmp_lt_u32_e32 vcc, 35, v0
	s_waitcnt vmcnt(20) lgkmcnt(0)
	v_fma_f64 v[99:100], v[103:104], v[99:100], 0
	buffer_load_dword v103, off, s[0:3], 0 offset:288
	buffer_load_dword v104, off, s[0:3], 0 offset:292
	s_waitcnt vmcnt(20)
	v_fma_f64 v[105:106], v[105:106], v[101:102], v[99:100]
	ds_read2_b64 v[99:102], v98 offset0:87 offset1:88
	s_waitcnt vmcnt(18) lgkmcnt(0)
	v_fma_f64 v[99:100], v[107:108], v[99:100], v[105:106]
	s_waitcnt vmcnt(16)
	v_fma_f64 v[105:106], v[109:110], v[101:102], v[99:100]
	ds_read2_b64 v[99:102], v98 offset0:89 offset1:90
	s_waitcnt vmcnt(14) lgkmcnt(0)
	v_fma_f64 v[99:100], v[111:112], v[99:100], v[105:106]
	;; [unrolled: 5-line block ×4, first 2 shown]
	s_waitcnt vmcnt(4)
	v_fma_f64 v[99:100], v[121:122], v[101:102], v[99:100]
	ds_read_b64 v[101:102], v98 offset:760
	s_waitcnt vmcnt(2) lgkmcnt(0)
	v_fma_f64 v[99:100], v[123:124], v[101:102], v[99:100]
	s_waitcnt vmcnt(0)
	v_add_f64 v[99:100], v[103:104], -v[99:100]
	buffer_store_dword v100, off, s[0:3], 0 offset:292
	buffer_store_dword v99, off, s[0:3], 0 offset:288
	s_and_saveexec_b64 s[4:5], vcc
	s_cbranch_execz .LBB47_225
; %bb.224:
	buffer_load_dword v99, off, s[0:3], 0 offset:280
	buffer_load_dword v100, off, s[0:3], 0 offset:284
	s_waitcnt vmcnt(0)
	ds_write_b64 v97, v[99:100]
	buffer_store_dword v98, off, s[0:3], 0 offset:280
	buffer_store_dword v98, off, s[0:3], 0 offset:284
.LBB47_225:
	s_or_b64 exec, exec, s[4:5]
	s_waitcnt lgkmcnt(0)
	; wave barrier
	buffer_load_dword v103, off, s[0:3], 0 offset:288
	buffer_load_dword v104, off, s[0:3], 0 offset:292
	;; [unrolled: 1-line block ×20, first 2 shown]
	ds_read_b128 v[99:102], v98 offset:672
	buffer_load_dword v123, off, s[0:3], 0 offset:368
	buffer_load_dword v124, off, s[0:3], 0 offset:372
	v_cmp_lt_u32_e32 vcc, 34, v0
	s_waitcnt vmcnt(20) lgkmcnt(0)
	v_fma_f64 v[99:100], v[103:104], v[99:100], 0
	buffer_load_dword v104, off, s[0:3], 0 offset:380
	buffer_load_dword v103, off, s[0:3], 0 offset:376
	s_waitcnt vmcnt(20)
	v_fma_f64 v[105:106], v[105:106], v[101:102], v[99:100]
	ds_read_b128 v[99:102], v98 offset:688
	buffer_load_dword v125, off, s[0:3], 0 offset:280
	buffer_load_dword v126, off, s[0:3], 0 offset:284
	s_waitcnt vmcnt(20) lgkmcnt(0)
	v_fma_f64 v[99:100], v[107:108], v[99:100], v[105:106]
	s_waitcnt vmcnt(18)
	v_fma_f64 v[105:106], v[109:110], v[101:102], v[99:100]
	ds_read_b128 v[99:102], v98 offset:704
	s_waitcnt vmcnt(16) lgkmcnt(0)
	v_fma_f64 v[99:100], v[111:112], v[99:100], v[105:106]
	s_waitcnt vmcnt(14)
	v_fma_f64 v[105:106], v[113:114], v[101:102], v[99:100]
	ds_read_b128 v[99:102], v98 offset:720
	s_waitcnt vmcnt(12) lgkmcnt(0)
	v_fma_f64 v[99:100], v[115:116], v[99:100], v[105:106]
	s_waitcnt vmcnt(10)
	v_fma_f64 v[105:106], v[117:118], v[101:102], v[99:100]
	ds_read_b128 v[99:102], v98 offset:736
	s_waitcnt vmcnt(8) lgkmcnt(0)
	v_fma_f64 v[99:100], v[119:120], v[99:100], v[105:106]
	s_waitcnt vmcnt(6)
	v_fma_f64 v[105:106], v[121:122], v[101:102], v[99:100]
	ds_read_b128 v[98:101], v98 offset:752
	s_waitcnt vmcnt(4) lgkmcnt(0)
	v_fma_f64 v[98:99], v[123:124], v[98:99], v[105:106]
	s_waitcnt vmcnt(2)
	v_fma_f64 v[98:99], v[103:104], v[100:101], v[98:99]
	s_waitcnt vmcnt(0)
	v_add_f64 v[98:99], v[125:126], -v[98:99]
	buffer_store_dword v99, off, s[0:3], 0 offset:284
	buffer_store_dword v98, off, s[0:3], 0 offset:280
	s_and_saveexec_b64 s[4:5], vcc
	s_cbranch_execz .LBB47_227
; %bb.226:
	buffer_load_dword v98, off, s[0:3], 0 offset:272
	buffer_load_dword v99, off, s[0:3], 0 offset:276
	v_mov_b32_e32 v100, 0
	buffer_store_dword v100, off, s[0:3], 0 offset:272
	buffer_store_dword v100, off, s[0:3], 0 offset:276
	s_waitcnt vmcnt(2)
	ds_write_b64 v97, v[98:99]
.LBB47_227:
	s_or_b64 exec, exec, s[4:5]
	s_waitcnt lgkmcnt(0)
	; wave barrier
	buffer_load_dword v107, off, s[0:3], 0 offset:280
	buffer_load_dword v108, off, s[0:3], 0 offset:284
	;; [unrolled: 1-line block ×21, first 2 shown]
	v_mov_b32_e32 v98, 0
	ds_read2_b64 v[99:102], v98 offset0:83 offset1:84
	ds_read2_b64 v[103:106], v98 offset0:85 offset1:86
	buffer_load_dword v124, off, s[0:3], 0 offset:364
	v_cmp_lt_u32_e32 vcc, 33, v0
	s_waitcnt vmcnt(20) lgkmcnt(1)
	v_fma_f64 v[99:100], v[107:108], v[99:100], 0
	s_waitcnt vmcnt(18)
	v_fma_f64 v[99:100], v[109:110], v[101:102], v[99:100]
	buffer_load_dword v108, off, s[0:3], 0 offset:372
	buffer_load_dword v109, off, s[0:3], 0 offset:376
	;; [unrolled: 1-line block ×4, first 2 shown]
	s_waitcnt vmcnt(20) lgkmcnt(0)
	v_fma_f64 v[99:100], v[111:112], v[103:104], v[99:100]
	buffer_load_dword v111, off, s[0:3], 0 offset:272
	buffer_load_dword v112, off, s[0:3], 0 offset:276
	s_waitcnt vmcnt(20)
	v_fma_f64 v[113:114], v[113:114], v[105:106], v[99:100]
	ds_read2_b64 v[99:102], v98 offset0:87 offset1:88
	ds_read2_b64 v[103:106], v98 offset0:89 offset1:90
	s_waitcnt vmcnt(18) lgkmcnt(1)
	v_fma_f64 v[99:100], v[115:116], v[99:100], v[113:114]
	s_waitcnt vmcnt(16)
	v_fma_f64 v[99:100], v[117:118], v[101:102], v[99:100]
	s_waitcnt vmcnt(14) lgkmcnt(0)
	v_fma_f64 v[99:100], v[119:120], v[103:104], v[99:100]
	s_waitcnt vmcnt(9)
	v_fma_f64 v[113:114], v[121:122], v[105:106], v[99:100]
	ds_read2_b64 v[99:102], v98 offset0:91 offset1:92
	ds_read2_b64 v[103:106], v98 offset0:93 offset1:94
	s_waitcnt vmcnt(8) lgkmcnt(1)
	v_fma_f64 v[99:100], v[127:128], v[99:100], v[113:114]
	s_waitcnt vmcnt(7)
	v_fma_f64 v[99:100], v[125:126], v[101:102], v[99:100]
	ds_read_b64 v[101:102], v98 offset:760
	s_waitcnt vmcnt(6) lgkmcnt(1)
	v_fma_f64 v[99:100], v[123:124], v[103:104], v[99:100]
	s_waitcnt vmcnt(3)
	v_fma_f64 v[99:100], v[107:108], v[105:106], v[99:100]
	s_waitcnt vmcnt(2) lgkmcnt(0)
	v_fma_f64 v[99:100], v[109:110], v[101:102], v[99:100]
	s_waitcnt vmcnt(0)
	v_add_f64 v[99:100], v[111:112], -v[99:100]
	buffer_store_dword v100, off, s[0:3], 0 offset:276
	buffer_store_dword v99, off, s[0:3], 0 offset:272
	s_and_saveexec_b64 s[4:5], vcc
	s_cbranch_execz .LBB47_229
; %bb.228:
	buffer_load_dword v99, off, s[0:3], 0 offset:264
	buffer_load_dword v100, off, s[0:3], 0 offset:268
	s_waitcnt vmcnt(0)
	ds_write_b64 v97, v[99:100]
	buffer_store_dword v98, off, s[0:3], 0 offset:264
	buffer_store_dword v98, off, s[0:3], 0 offset:268
.LBB47_229:
	s_or_b64 exec, exec, s[4:5]
	s_waitcnt lgkmcnt(0)
	; wave barrier
	buffer_load_dword v107, off, s[0:3], 0 offset:272
	buffer_load_dword v108, off, s[0:3], 0 offset:276
	;; [unrolled: 1-line block ×22, first 2 shown]
	ds_read_b128 v[99:102], v98 offset:656
	ds_read_b128 v[103:106], v98 offset:672
	v_cmp_lt_u32_e32 vcc, 32, v0
	s_waitcnt vmcnt(20) lgkmcnt(1)
	v_fma_f64 v[99:100], v[107:108], v[99:100], 0
	s_waitcnt vmcnt(18)
	v_fma_f64 v[99:100], v[109:110], v[101:102], v[99:100]
	buffer_load_dword v108, off, s[0:3], 0 offset:364
	buffer_load_dword v109, off, s[0:3], 0 offset:376
	;; [unrolled: 1-line block ×6, first 2 shown]
	s_waitcnt vmcnt(22) lgkmcnt(0)
	v_fma_f64 v[99:100], v[111:112], v[103:104], v[99:100]
	s_waitcnt vmcnt(20)
	v_fma_f64 v[111:112], v[113:114], v[105:106], v[99:100]
	ds_read_b128 v[99:102], v98 offset:688
	buffer_load_dword v113, off, s[0:3], 0 offset:264
	buffer_load_dword v114, off, s[0:3], 0 offset:268
	ds_read_b128 v[103:106], v98 offset:704
	s_waitcnt vmcnt(20) lgkmcnt(1)
	v_fma_f64 v[99:100], v[115:116], v[99:100], v[111:112]
	s_waitcnt vmcnt(18)
	v_fma_f64 v[99:100], v[117:118], v[101:102], v[99:100]
	s_waitcnt vmcnt(16) lgkmcnt(0)
	v_fma_f64 v[99:100], v[119:120], v[103:104], v[99:100]
	s_waitcnt vmcnt(11)
	v_fma_f64 v[111:112], v[121:122], v[105:106], v[99:100]
	ds_read_b128 v[99:102], v98 offset:720
	ds_read_b128 v[103:106], v98 offset:736
	s_waitcnt vmcnt(10) lgkmcnt(1)
	v_fma_f64 v[99:100], v[127:128], v[99:100], v[111:112]
	s_waitcnt vmcnt(9)
	v_fma_f64 v[99:100], v[125:126], v[101:102], v[99:100]
	s_waitcnt vmcnt(8) lgkmcnt(0)
	v_fma_f64 v[99:100], v[123:124], v[103:104], v[99:100]
	s_waitcnt vmcnt(4)
	v_fma_f64 v[102:103], v[107:108], v[105:106], v[99:100]
	ds_read_b128 v[98:101], v98 offset:752
	s_waitcnt vmcnt(3) lgkmcnt(0)
	v_fma_f64 v[98:99], v[129:130], v[98:99], v[102:103]
	s_waitcnt vmcnt(2)
	v_fma_f64 v[98:99], v[109:110], v[100:101], v[98:99]
	s_waitcnt vmcnt(0)
	v_add_f64 v[98:99], v[113:114], -v[98:99]
	buffer_store_dword v99, off, s[0:3], 0 offset:268
	buffer_store_dword v98, off, s[0:3], 0 offset:264
	s_and_saveexec_b64 s[4:5], vcc
	s_cbranch_execz .LBB47_231
; %bb.230:
	buffer_load_dword v98, off, s[0:3], 0 offset:256
	buffer_load_dword v99, off, s[0:3], 0 offset:260
	v_mov_b32_e32 v100, 0
	buffer_store_dword v100, off, s[0:3], 0 offset:256
	buffer_store_dword v100, off, s[0:3], 0 offset:260
	s_waitcnt vmcnt(2)
	ds_write_b64 v97, v[98:99]
.LBB47_231:
	s_or_b64 exec, exec, s[4:5]
	s_waitcnt lgkmcnt(0)
	; wave barrier
	buffer_load_dword v107, off, s[0:3], 0 offset:264
	buffer_load_dword v108, off, s[0:3], 0 offset:268
	;; [unrolled: 1-line block ×22, first 2 shown]
	v_mov_b32_e32 v98, 0
	ds_read2_b64 v[99:102], v98 offset0:81 offset1:82
	ds_read2_b64 v[103:106], v98 offset0:83 offset1:84
	v_cmp_lt_u32_e32 vcc, 31, v0
	s_waitcnt vmcnt(20) lgkmcnt(1)
	v_fma_f64 v[99:100], v[107:108], v[99:100], 0
	s_waitcnt vmcnt(18)
	v_fma_f64 v[99:100], v[109:110], v[101:102], v[99:100]
	buffer_load_dword v108, off, s[0:3], 0 offset:356
	buffer_load_dword v109, off, s[0:3], 0 offset:376
	;; [unrolled: 1-line block ×8, first 2 shown]
	s_waitcnt vmcnt(24) lgkmcnt(0)
	v_fma_f64 v[99:100], v[111:112], v[103:104], v[99:100]
	s_waitcnt vmcnt(22)
	v_fma_f64 v[111:112], v[113:114], v[105:106], v[99:100]
	ds_read2_b64 v[99:102], v98 offset0:85 offset1:86
	ds_read2_b64 v[103:106], v98 offset0:87 offset1:88
	s_waitcnt vmcnt(20) lgkmcnt(1)
	v_fma_f64 v[99:100], v[115:116], v[99:100], v[111:112]
	buffer_load_dword v111, off, s[0:3], 0 offset:256
	buffer_load_dword v112, off, s[0:3], 0 offset:260
	s_waitcnt vmcnt(20)
	v_fma_f64 v[99:100], v[117:118], v[101:102], v[99:100]
	s_waitcnt vmcnt(18) lgkmcnt(0)
	v_fma_f64 v[99:100], v[119:120], v[103:104], v[99:100]
	s_waitcnt vmcnt(13)
	v_fma_f64 v[113:114], v[121:122], v[105:106], v[99:100]
	ds_read2_b64 v[99:102], v98 offset0:89 offset1:90
	ds_read2_b64 v[103:106], v98 offset0:91 offset1:92
	s_waitcnt vmcnt(12) lgkmcnt(1)
	v_fma_f64 v[99:100], v[127:128], v[99:100], v[113:114]
	s_waitcnt vmcnt(11)
	v_fma_f64 v[99:100], v[125:126], v[101:102], v[99:100]
	s_waitcnt vmcnt(10) lgkmcnt(0)
	v_fma_f64 v[99:100], v[123:124], v[103:104], v[99:100]
	s_waitcnt vmcnt(5)
	v_fma_f64 v[103:104], v[107:108], v[105:106], v[99:100]
	ds_read2_b64 v[99:102], v98 offset0:93 offset1:94
	ds_read_b64 v[105:106], v98 offset:760
	s_waitcnt vmcnt(4) lgkmcnt(1)
	v_fma_f64 v[99:100], v[131:132], v[99:100], v[103:104]
	s_waitcnt vmcnt(3)
	v_fma_f64 v[99:100], v[129:130], v[101:102], v[99:100]
	s_waitcnt vmcnt(2) lgkmcnt(0)
	v_fma_f64 v[99:100], v[109:110], v[105:106], v[99:100]
	s_waitcnt vmcnt(0)
	v_add_f64 v[99:100], v[111:112], -v[99:100]
	buffer_store_dword v100, off, s[0:3], 0 offset:260
	buffer_store_dword v99, off, s[0:3], 0 offset:256
	s_and_saveexec_b64 s[4:5], vcc
	s_cbranch_execz .LBB47_233
; %bb.232:
	buffer_load_dword v99, off, s[0:3], 0 offset:248
	buffer_load_dword v100, off, s[0:3], 0 offset:252
	s_waitcnt vmcnt(0)
	ds_write_b64 v97, v[99:100]
	buffer_store_dword v98, off, s[0:3], 0 offset:248
	buffer_store_dword v98, off, s[0:3], 0 offset:252
.LBB47_233:
	s_or_b64 exec, exec, s[4:5]
	s_waitcnt lgkmcnt(0)
	; wave barrier
	buffer_load_dword v107, off, s[0:3], 0 offset:256
	buffer_load_dword v108, off, s[0:3], 0 offset:260
	;; [unrolled: 1-line block ×22, first 2 shown]
	ds_read_b128 v[99:102], v98 offset:640
	ds_read_b128 v[103:106], v98 offset:656
	v_cmp_lt_u32_e32 vcc, 30, v0
	s_waitcnt vmcnt(20) lgkmcnt(1)
	v_fma_f64 v[99:100], v[107:108], v[99:100], 0
	s_waitcnt vmcnt(18)
	v_fma_f64 v[99:100], v[109:110], v[101:102], v[99:100]
	buffer_load_dword v108, off, s[0:3], 0 offset:348
	buffer_load_dword v109, off, s[0:3], 0 offset:368
	;; [unrolled: 1-line block ×8, first 2 shown]
	s_waitcnt vmcnt(24) lgkmcnt(0)
	v_fma_f64 v[99:100], v[111:112], v[103:104], v[99:100]
	s_waitcnt vmcnt(22)
	v_fma_f64 v[111:112], v[113:114], v[105:106], v[99:100]
	ds_read_b128 v[99:102], v98 offset:672
	ds_read_b128 v[103:106], v98 offset:688
	s_waitcnt vmcnt(20) lgkmcnt(1)
	v_fma_f64 v[99:100], v[115:116], v[99:100], v[111:112]
	buffer_load_dword v112, off, s[0:3], 0 offset:380
	buffer_load_dword v111, off, s[0:3], 0 offset:376
	buffer_load_dword v113, off, s[0:3], 0 offset:248
	buffer_load_dword v114, off, s[0:3], 0 offset:252
	s_waitcnt vmcnt(22)
	v_fma_f64 v[99:100], v[117:118], v[101:102], v[99:100]
	s_waitcnt vmcnt(20) lgkmcnt(0)
	v_fma_f64 v[99:100], v[119:120], v[103:104], v[99:100]
	s_waitcnt vmcnt(15)
	v_fma_f64 v[115:116], v[121:122], v[105:106], v[99:100]
	ds_read_b128 v[99:102], v98 offset:704
	ds_read_b128 v[103:106], v98 offset:720
	s_waitcnt vmcnt(14) lgkmcnt(1)
	v_fma_f64 v[99:100], v[127:128], v[99:100], v[115:116]
	s_waitcnt vmcnt(13)
	v_fma_f64 v[99:100], v[125:126], v[101:102], v[99:100]
	s_waitcnt vmcnt(12) lgkmcnt(0)
	v_fma_f64 v[99:100], v[123:124], v[103:104], v[99:100]
	s_waitcnt vmcnt(7)
	v_fma_f64 v[107:108], v[107:108], v[105:106], v[99:100]
	ds_read_b128 v[99:102], v98 offset:736
	ds_read_b128 v[103:106], v98 offset:752
	s_waitcnt vmcnt(6) lgkmcnt(1)
	v_fma_f64 v[98:99], v[131:132], v[99:100], v[107:108]
	s_waitcnt vmcnt(5)
	v_fma_f64 v[98:99], v[129:130], v[101:102], v[98:99]
	s_waitcnt vmcnt(4) lgkmcnt(0)
	v_fma_f64 v[98:99], v[109:110], v[103:104], v[98:99]
	s_waitcnt vmcnt(2)
	v_fma_f64 v[98:99], v[111:112], v[105:106], v[98:99]
	s_waitcnt vmcnt(0)
	v_add_f64 v[98:99], v[113:114], -v[98:99]
	buffer_store_dword v99, off, s[0:3], 0 offset:252
	buffer_store_dword v98, off, s[0:3], 0 offset:248
	s_and_saveexec_b64 s[4:5], vcc
	s_cbranch_execz .LBB47_235
; %bb.234:
	buffer_load_dword v98, off, s[0:3], 0 offset:240
	buffer_load_dword v99, off, s[0:3], 0 offset:244
	v_mov_b32_e32 v100, 0
	buffer_store_dword v100, off, s[0:3], 0 offset:240
	buffer_store_dword v100, off, s[0:3], 0 offset:244
	s_waitcnt vmcnt(2)
	ds_write_b64 v97, v[98:99]
.LBB47_235:
	s_or_b64 exec, exec, s[4:5]
	s_waitcnt lgkmcnt(0)
	; wave barrier
	buffer_load_dword v107, off, s[0:3], 0 offset:248
	buffer_load_dword v108, off, s[0:3], 0 offset:252
	;; [unrolled: 1-line block ×22, first 2 shown]
	v_mov_b32_e32 v98, 0
	ds_read2_b64 v[99:102], v98 offset0:79 offset1:80
	ds_read2_b64 v[103:106], v98 offset0:81 offset1:82
	v_cmp_lt_u32_e32 vcc, 29, v0
	s_waitcnt vmcnt(20) lgkmcnt(1)
	v_fma_f64 v[99:100], v[107:108], v[99:100], 0
	s_waitcnt vmcnt(18)
	v_fma_f64 v[99:100], v[109:110], v[101:102], v[99:100]
	buffer_load_dword v108, off, s[0:3], 0 offset:340
	buffer_load_dword v109, off, s[0:3], 0 offset:360
	;; [unrolled: 1-line block ×7, first 2 shown]
	s_waitcnt vmcnt(23) lgkmcnt(0)
	v_fma_f64 v[99:100], v[111:112], v[103:104], v[99:100]
	s_waitcnt vmcnt(21)
	v_fma_f64 v[110:111], v[113:114], v[105:106], v[99:100]
	ds_read2_b64 v[99:102], v98 offset0:83 offset1:84
	ds_read2_b64 v[103:106], v98 offset0:85 offset1:86
	s_waitcnt vmcnt(19) lgkmcnt(1)
	v_fma_f64 v[99:100], v[115:116], v[99:100], v[110:111]
	buffer_load_dword v110, off, s[0:3], 0 offset:364
	buffer_load_dword v112, off, s[0:3], 0 offset:372
	;; [unrolled: 1-line block ×7, first 2 shown]
	s_waitcnt vmcnt(24)
	v_fma_f64 v[99:100], v[117:118], v[101:102], v[99:100]
	s_waitcnt vmcnt(22) lgkmcnt(0)
	v_fma_f64 v[99:100], v[119:120], v[103:104], v[99:100]
	s_waitcnt vmcnt(17)
	v_fma_f64 v[117:118], v[121:122], v[105:106], v[99:100]
	ds_read2_b64 v[99:102], v98 offset0:87 offset1:88
	ds_read2_b64 v[103:106], v98 offset0:89 offset1:90
	s_waitcnt vmcnt(16) lgkmcnt(1)
	v_fma_f64 v[99:100], v[127:128], v[99:100], v[117:118]
	s_waitcnt vmcnt(15)
	v_fma_f64 v[99:100], v[125:126], v[101:102], v[99:100]
	s_waitcnt vmcnt(14) lgkmcnt(0)
	v_fma_f64 v[99:100], v[123:124], v[103:104], v[99:100]
	s_waitcnt vmcnt(9)
	v_fma_f64 v[107:108], v[107:108], v[105:106], v[99:100]
	ds_read2_b64 v[99:102], v98 offset0:91 offset1:92
	ds_read2_b64 v[103:106], v98 offset0:93 offset1:94
	s_waitcnt vmcnt(8) lgkmcnt(1)
	v_fma_f64 v[99:100], v[131:132], v[99:100], v[107:108]
	s_waitcnt vmcnt(7)
	v_fma_f64 v[99:100], v[129:130], v[101:102], v[99:100]
	ds_read_b64 v[101:102], v98 offset:760
	s_waitcnt vmcnt(6) lgkmcnt(1)
	v_fma_f64 v[99:100], v[109:110], v[103:104], v[99:100]
	s_waitcnt vmcnt(3)
	v_fma_f64 v[99:100], v[111:112], v[105:106], v[99:100]
	s_waitcnt vmcnt(2) lgkmcnt(0)
	v_fma_f64 v[99:100], v[113:114], v[101:102], v[99:100]
	s_waitcnt vmcnt(0)
	v_add_f64 v[99:100], v[115:116], -v[99:100]
	buffer_store_dword v100, off, s[0:3], 0 offset:244
	buffer_store_dword v99, off, s[0:3], 0 offset:240
	s_and_saveexec_b64 s[4:5], vcc
	s_cbranch_execz .LBB47_237
; %bb.236:
	buffer_load_dword v99, off, s[0:3], 0 offset:232
	buffer_load_dword v100, off, s[0:3], 0 offset:236
	s_waitcnt vmcnt(0)
	ds_write_b64 v97, v[99:100]
	buffer_store_dword v98, off, s[0:3], 0 offset:232
	buffer_store_dword v98, off, s[0:3], 0 offset:236
.LBB47_237:
	s_or_b64 exec, exec, s[4:5]
	s_waitcnt lgkmcnt(0)
	; wave barrier
	buffer_load_dword v107, off, s[0:3], 0 offset:240
	buffer_load_dword v108, off, s[0:3], 0 offset:244
	buffer_load_dword v109, off, s[0:3], 0 offset:248
	buffer_load_dword v110, off, s[0:3], 0 offset:252
	buffer_load_dword v111, off, s[0:3], 0 offset:256
	buffer_load_dword v112, off, s[0:3], 0 offset:260
	buffer_load_dword v113, off, s[0:3], 0 offset:264
	buffer_load_dword v114, off, s[0:3], 0 offset:268
	buffer_load_dword v115, off, s[0:3], 0 offset:272
	buffer_load_dword v116, off, s[0:3], 0 offset:276
	buffer_load_dword v117, off, s[0:3], 0 offset:280
	buffer_load_dword v118, off, s[0:3], 0 offset:284
	buffer_load_dword v119, off, s[0:3], 0 offset:288
	buffer_load_dword v120, off, s[0:3], 0 offset:292
	buffer_load_dword v122, off, s[0:3], 0 offset:300
	buffer_load_dword v123, off, s[0:3], 0 offset:320
	buffer_load_dword v125, off, s[0:3], 0 offset:312
	buffer_load_dword v127, off, s[0:3], 0 offset:304
	buffer_load_dword v121, off, s[0:3], 0 offset:296
	buffer_load_dword v128, off, s[0:3], 0 offset:308
	buffer_load_dword v126, off, s[0:3], 0 offset:316
	buffer_load_dword v124, off, s[0:3], 0 offset:324
	ds_read_b128 v[99:102], v98 offset:624
	ds_read_b128 v[103:106], v98 offset:640
	v_cmp_lt_u32_e32 vcc, 28, v0
	s_waitcnt vmcnt(20) lgkmcnt(1)
	v_fma_f64 v[99:100], v[107:108], v[99:100], 0
	s_waitcnt vmcnt(18)
	v_fma_f64 v[99:100], v[109:110], v[101:102], v[99:100]
	buffer_load_dword v108, off, s[0:3], 0 offset:332
	buffer_load_dword v109, off, s[0:3], 0 offset:352
	;; [unrolled: 1-line block ×7, first 2 shown]
	s_waitcnt vmcnt(23) lgkmcnt(0)
	v_fma_f64 v[99:100], v[111:112], v[103:104], v[99:100]
	s_waitcnt vmcnt(21)
	v_fma_f64 v[110:111], v[113:114], v[105:106], v[99:100]
	ds_read_b128 v[99:102], v98 offset:656
	ds_read_b128 v[103:106], v98 offset:672
	s_waitcnt vmcnt(19) lgkmcnt(1)
	v_fma_f64 v[99:100], v[115:116], v[99:100], v[110:111]
	buffer_load_dword v110, off, s[0:3], 0 offset:356
	buffer_load_dword v112, off, s[0:3], 0 offset:364
	;; [unrolled: 1-line block ×7, first 2 shown]
	s_waitcnt vmcnt(24)
	v_fma_f64 v[99:100], v[117:118], v[101:102], v[99:100]
	s_waitcnt vmcnt(22) lgkmcnt(0)
	v_fma_f64 v[99:100], v[119:120], v[103:104], v[99:100]
	s_waitcnt vmcnt(17)
	v_fma_f64 v[117:118], v[121:122], v[105:106], v[99:100]
	ds_read_b128 v[99:102], v98 offset:688
	buffer_load_dword v119, off, s[0:3], 0 offset:232
	buffer_load_dword v120, off, s[0:3], 0 offset:236
	ds_read_b128 v[103:106], v98 offset:704
	s_waitcnt vmcnt(18) lgkmcnt(1)
	v_fma_f64 v[99:100], v[127:128], v[99:100], v[117:118]
	s_waitcnt vmcnt(17)
	v_fma_f64 v[99:100], v[125:126], v[101:102], v[99:100]
	s_waitcnt vmcnt(16) lgkmcnt(0)
	v_fma_f64 v[99:100], v[123:124], v[103:104], v[99:100]
	s_waitcnt vmcnt(11)
	v_fma_f64 v[107:108], v[107:108], v[105:106], v[99:100]
	ds_read_b128 v[99:102], v98 offset:720
	ds_read_b128 v[103:106], v98 offset:736
	s_waitcnt vmcnt(10) lgkmcnt(1)
	v_fma_f64 v[99:100], v[131:132], v[99:100], v[107:108]
	s_waitcnt vmcnt(9)
	v_fma_f64 v[99:100], v[129:130], v[101:102], v[99:100]
	s_waitcnt vmcnt(8) lgkmcnt(0)
	v_fma_f64 v[99:100], v[109:110], v[103:104], v[99:100]
	s_waitcnt vmcnt(4)
	v_fma_f64 v[102:103], v[111:112], v[105:106], v[99:100]
	ds_read_b128 v[98:101], v98 offset:752
	s_waitcnt vmcnt(3) lgkmcnt(0)
	v_fma_f64 v[98:99], v[115:116], v[98:99], v[102:103]
	s_waitcnt vmcnt(2)
	v_fma_f64 v[98:99], v[113:114], v[100:101], v[98:99]
	s_waitcnt vmcnt(0)
	v_add_f64 v[98:99], v[119:120], -v[98:99]
	buffer_store_dword v99, off, s[0:3], 0 offset:236
	buffer_store_dword v98, off, s[0:3], 0 offset:232
	s_and_saveexec_b64 s[4:5], vcc
	s_cbranch_execz .LBB47_239
; %bb.238:
	buffer_load_dword v98, off, s[0:3], 0 offset:224
	buffer_load_dword v99, off, s[0:3], 0 offset:228
	v_mov_b32_e32 v100, 0
	buffer_store_dword v100, off, s[0:3], 0 offset:224
	buffer_store_dword v100, off, s[0:3], 0 offset:228
	s_waitcnt vmcnt(2)
	ds_write_b64 v97, v[98:99]
.LBB47_239:
	s_or_b64 exec, exec, s[4:5]
	s_waitcnt lgkmcnt(0)
	; wave barrier
	buffer_load_dword v107, off, s[0:3], 0 offset:232
	buffer_load_dword v108, off, s[0:3], 0 offset:236
	;; [unrolled: 1-line block ×22, first 2 shown]
	v_mov_b32_e32 v98, 0
	ds_read2_b64 v[99:102], v98 offset0:77 offset1:78
	ds_read2_b64 v[103:106], v98 offset0:79 offset1:80
	v_cmp_lt_u32_e32 vcc, 27, v0
	s_waitcnt vmcnt(20) lgkmcnt(1)
	v_fma_f64 v[99:100], v[107:108], v[99:100], 0
	s_waitcnt vmcnt(18)
	v_fma_f64 v[99:100], v[109:110], v[101:102], v[99:100]
	buffer_load_dword v108, off, s[0:3], 0 offset:324
	buffer_load_dword v109, off, s[0:3], 0 offset:344
	;; [unrolled: 1-line block ×7, first 2 shown]
	s_waitcnt vmcnt(23) lgkmcnt(0)
	v_fma_f64 v[99:100], v[111:112], v[103:104], v[99:100]
	s_waitcnt vmcnt(21)
	v_fma_f64 v[110:111], v[113:114], v[105:106], v[99:100]
	ds_read2_b64 v[99:102], v98 offset0:81 offset1:82
	ds_read2_b64 v[103:106], v98 offset0:83 offset1:84
	s_waitcnt vmcnt(19) lgkmcnt(1)
	v_fma_f64 v[99:100], v[115:116], v[99:100], v[110:111]
	buffer_load_dword v110, off, s[0:3], 0 offset:348
	s_waitcnt vmcnt(18)
	v_fma_f64 v[99:100], v[117:118], v[101:102], v[99:100]
	buffer_load_dword v112, off, s[0:3], 0 offset:356
	buffer_load_dword v113, off, s[0:3], 0 offset:376
	;; [unrolled: 1-line block ×8, first 2 shown]
	s_waitcnt vmcnt(24) lgkmcnt(0)
	v_fma_f64 v[99:100], v[119:120], v[103:104], v[99:100]
	s_waitcnt vmcnt(19)
	v_fma_f64 v[119:120], v[121:122], v[105:106], v[99:100]
	ds_read2_b64 v[99:102], v98 offset0:85 offset1:86
	ds_read2_b64 v[103:106], v98 offset0:87 offset1:88
	s_waitcnt vmcnt(18) lgkmcnt(1)
	v_fma_f64 v[99:100], v[127:128], v[99:100], v[119:120]
	buffer_load_dword v119, off, s[0:3], 0 offset:224
	buffer_load_dword v120, off, s[0:3], 0 offset:228
	s_waitcnt vmcnt(19)
	v_fma_f64 v[99:100], v[125:126], v[101:102], v[99:100]
	s_waitcnt vmcnt(18) lgkmcnt(0)
	v_fma_f64 v[99:100], v[123:124], v[103:104], v[99:100]
	s_waitcnt vmcnt(13)
	v_fma_f64 v[107:108], v[107:108], v[105:106], v[99:100]
	ds_read2_b64 v[99:102], v98 offset0:89 offset1:90
	ds_read2_b64 v[103:106], v98 offset0:91 offset1:92
	s_waitcnt vmcnt(12) lgkmcnt(1)
	v_fma_f64 v[99:100], v[131:132], v[99:100], v[107:108]
	s_waitcnt vmcnt(11)
	v_fma_f64 v[99:100], v[129:130], v[101:102], v[99:100]
	s_waitcnt vmcnt(10) lgkmcnt(0)
	v_fma_f64 v[99:100], v[109:110], v[103:104], v[99:100]
	s_waitcnt vmcnt(5)
	v_fma_f64 v[103:104], v[111:112], v[105:106], v[99:100]
	ds_read2_b64 v[99:102], v98 offset0:93 offset1:94
	ds_read_b64 v[105:106], v98 offset:760
	s_waitcnt vmcnt(4) lgkmcnt(1)
	v_fma_f64 v[99:100], v[117:118], v[99:100], v[103:104]
	s_waitcnt vmcnt(3)
	v_fma_f64 v[99:100], v[115:116], v[101:102], v[99:100]
	s_waitcnt vmcnt(2) lgkmcnt(0)
	v_fma_f64 v[99:100], v[113:114], v[105:106], v[99:100]
	s_waitcnt vmcnt(0)
	v_add_f64 v[99:100], v[119:120], -v[99:100]
	buffer_store_dword v100, off, s[0:3], 0 offset:228
	buffer_store_dword v99, off, s[0:3], 0 offset:224
	s_and_saveexec_b64 s[4:5], vcc
	s_cbranch_execz .LBB47_241
; %bb.240:
	buffer_load_dword v99, off, s[0:3], 0 offset:216
	buffer_load_dword v100, off, s[0:3], 0 offset:220
	s_waitcnt vmcnt(0)
	ds_write_b64 v97, v[99:100]
	buffer_store_dword v98, off, s[0:3], 0 offset:216
	buffer_store_dword v98, off, s[0:3], 0 offset:220
.LBB47_241:
	s_or_b64 exec, exec, s[4:5]
	s_waitcnt lgkmcnt(0)
	; wave barrier
	buffer_load_dword v107, off, s[0:3], 0 offset:224
	buffer_load_dword v108, off, s[0:3], 0 offset:228
	;; [unrolled: 1-line block ×22, first 2 shown]
	ds_read_b128 v[99:102], v98 offset:608
	ds_read_b128 v[103:106], v98 offset:624
	v_cmp_lt_u32_e32 vcc, 26, v0
	s_waitcnt vmcnt(20) lgkmcnt(1)
	v_fma_f64 v[99:100], v[107:108], v[99:100], 0
	s_waitcnt vmcnt(18)
	v_fma_f64 v[99:100], v[109:110], v[101:102], v[99:100]
	buffer_load_dword v108, off, s[0:3], 0 offset:316
	buffer_load_dword v109, off, s[0:3], 0 offset:336
	buffer_load_dword v129, off, s[0:3], 0 offset:328
	buffer_load_dword v131, off, s[0:3], 0 offset:320
	buffer_load_dword v107, off, s[0:3], 0 offset:312
	buffer_load_dword v132, off, s[0:3], 0 offset:324
	buffer_load_dword v130, off, s[0:3], 0 offset:332
	s_waitcnt vmcnt(23) lgkmcnt(0)
	v_fma_f64 v[99:100], v[111:112], v[103:104], v[99:100]
	s_waitcnt vmcnt(21)
	v_fma_f64 v[110:111], v[113:114], v[105:106], v[99:100]
	ds_read_b128 v[99:102], v98 offset:640
	ds_read_b128 v[103:106], v98 offset:656
	s_waitcnt vmcnt(19) lgkmcnt(1)
	v_fma_f64 v[99:100], v[115:116], v[99:100], v[110:111]
	buffer_load_dword v110, off, s[0:3], 0 offset:340
	s_waitcnt vmcnt(18)
	v_fma_f64 v[99:100], v[117:118], v[101:102], v[99:100]
	buffer_load_dword v112, off, s[0:3], 0 offset:348
	buffer_load_dword v113, off, s[0:3], 0 offset:368
	;; [unrolled: 1-line block ×8, first 2 shown]
	s_waitcnt vmcnt(24) lgkmcnt(0)
	v_fma_f64 v[99:100], v[119:120], v[103:104], v[99:100]
	s_waitcnt vmcnt(19)
	v_fma_f64 v[119:120], v[121:122], v[105:106], v[99:100]
	ds_read_b128 v[99:102], v98 offset:672
	ds_read_b128 v[103:106], v98 offset:688
	s_waitcnt vmcnt(18) lgkmcnt(1)
	v_fma_f64 v[99:100], v[127:128], v[99:100], v[119:120]
	buffer_load_dword v120, off, s[0:3], 0 offset:380
	buffer_load_dword v119, off, s[0:3], 0 offset:376
	;; [unrolled: 1-line block ×4, first 2 shown]
	s_waitcnt vmcnt(21)
	v_fma_f64 v[99:100], v[125:126], v[101:102], v[99:100]
	s_waitcnt vmcnt(20) lgkmcnt(0)
	v_fma_f64 v[99:100], v[123:124], v[103:104], v[99:100]
	s_waitcnt vmcnt(15)
	v_fma_f64 v[107:108], v[107:108], v[105:106], v[99:100]
	ds_read_b128 v[99:102], v98 offset:704
	ds_read_b128 v[103:106], v98 offset:720
	s_waitcnt vmcnt(14) lgkmcnt(1)
	v_fma_f64 v[99:100], v[131:132], v[99:100], v[107:108]
	s_waitcnt vmcnt(13)
	v_fma_f64 v[99:100], v[129:130], v[101:102], v[99:100]
	s_waitcnt vmcnt(12) lgkmcnt(0)
	v_fma_f64 v[99:100], v[109:110], v[103:104], v[99:100]
	s_waitcnt vmcnt(7)
	v_fma_f64 v[107:108], v[111:112], v[105:106], v[99:100]
	ds_read_b128 v[99:102], v98 offset:736
	ds_read_b128 v[103:106], v98 offset:752
	s_waitcnt vmcnt(6) lgkmcnt(1)
	v_fma_f64 v[98:99], v[117:118], v[99:100], v[107:108]
	s_waitcnt vmcnt(5)
	v_fma_f64 v[98:99], v[115:116], v[101:102], v[98:99]
	s_waitcnt vmcnt(4) lgkmcnt(0)
	v_fma_f64 v[98:99], v[113:114], v[103:104], v[98:99]
	s_waitcnt vmcnt(2)
	v_fma_f64 v[98:99], v[119:120], v[105:106], v[98:99]
	s_waitcnt vmcnt(0)
	v_add_f64 v[98:99], v[121:122], -v[98:99]
	buffer_store_dword v99, off, s[0:3], 0 offset:220
	buffer_store_dword v98, off, s[0:3], 0 offset:216
	s_and_saveexec_b64 s[4:5], vcc
	s_cbranch_execz .LBB47_243
; %bb.242:
	buffer_load_dword v98, off, s[0:3], 0 offset:208
	buffer_load_dword v99, off, s[0:3], 0 offset:212
	v_mov_b32_e32 v100, 0
	buffer_store_dword v100, off, s[0:3], 0 offset:208
	buffer_store_dword v100, off, s[0:3], 0 offset:212
	s_waitcnt vmcnt(2)
	ds_write_b64 v97, v[98:99]
.LBB47_243:
	s_or_b64 exec, exec, s[4:5]
	s_waitcnt lgkmcnt(0)
	; wave barrier
	buffer_load_dword v107, off, s[0:3], 0 offset:216
	buffer_load_dword v108, off, s[0:3], 0 offset:220
	;; [unrolled: 1-line block ×21, first 2 shown]
	v_mov_b32_e32 v98, 0
	ds_read2_b64 v[99:102], v98 offset0:75 offset1:76
	ds_read2_b64 v[103:106], v98 offset0:77 offset1:78
	buffer_load_dword v124, off, s[0:3], 0 offset:300
	v_cmp_lt_u32_e32 vcc, 25, v0
	s_waitcnt vmcnt(20) lgkmcnt(1)
	v_fma_f64 v[99:100], v[107:108], v[99:100], 0
	s_waitcnt vmcnt(18)
	v_fma_f64 v[99:100], v[109:110], v[101:102], v[99:100]
	buffer_load_dword v108, off, s[0:3], 0 offset:308
	buffer_load_dword v109, off, s[0:3], 0 offset:328
	;; [unrolled: 1-line block ×7, first 2 shown]
	s_waitcnt vmcnt(23) lgkmcnt(0)
	v_fma_f64 v[99:100], v[111:112], v[103:104], v[99:100]
	s_waitcnt vmcnt(21)
	v_fma_f64 v[110:111], v[113:114], v[105:106], v[99:100]
	ds_read2_b64 v[99:102], v98 offset0:79 offset1:80
	ds_read2_b64 v[103:106], v98 offset0:81 offset1:82
	s_waitcnt vmcnt(19) lgkmcnt(1)
	v_fma_f64 v[99:100], v[115:116], v[99:100], v[110:111]
	buffer_load_dword v110, off, s[0:3], 0 offset:332
	s_waitcnt vmcnt(18)
	v_fma_f64 v[99:100], v[117:118], v[101:102], v[99:100]
	buffer_load_dword v112, off, s[0:3], 0 offset:340
	buffer_load_dword v113, off, s[0:3], 0 offset:360
	;; [unrolled: 1-line block ×7, first 2 shown]
	s_waitcnt vmcnt(23) lgkmcnt(0)
	v_fma_f64 v[99:100], v[119:120], v[103:104], v[99:100]
	s_waitcnt vmcnt(18)
	v_fma_f64 v[119:120], v[121:122], v[105:106], v[99:100]
	ds_read2_b64 v[99:102], v98 offset0:83 offset1:84
	ds_read2_b64 v[103:106], v98 offset0:85 offset1:86
	buffer_load_dword v114, off, s[0:3], 0 offset:364
	s_waitcnt vmcnt(18) lgkmcnt(1)
	v_fma_f64 v[99:100], v[127:128], v[99:100], v[119:120]
	buffer_load_dword v120, off, s[0:3], 0 offset:372
	buffer_load_dword v121, off, s[0:3], 0 offset:376
	;; [unrolled: 1-line block ×4, first 2 shown]
	s_waitcnt vmcnt(21)
	v_fma_f64 v[99:100], v[125:126], v[101:102], v[99:100]
	s_waitcnt vmcnt(20) lgkmcnt(0)
	v_fma_f64 v[99:100], v[123:124], v[103:104], v[99:100]
	buffer_load_dword v123, off, s[0:3], 0 offset:208
	buffer_load_dword v124, off, s[0:3], 0 offset:212
	s_waitcnt vmcnt(17)
	v_fma_f64 v[107:108], v[107:108], v[105:106], v[99:100]
	ds_read2_b64 v[99:102], v98 offset0:87 offset1:88
	ds_read2_b64 v[103:106], v98 offset0:89 offset1:90
	s_waitcnt vmcnt(16) lgkmcnt(1)
	v_fma_f64 v[99:100], v[131:132], v[99:100], v[107:108]
	s_waitcnt vmcnt(15)
	v_fma_f64 v[99:100], v[129:130], v[101:102], v[99:100]
	s_waitcnt vmcnt(14) lgkmcnt(0)
	v_fma_f64 v[99:100], v[109:110], v[103:104], v[99:100]
	s_waitcnt vmcnt(9)
	v_fma_f64 v[107:108], v[111:112], v[105:106], v[99:100]
	ds_read2_b64 v[99:102], v98 offset0:91 offset1:92
	ds_read2_b64 v[103:106], v98 offset0:93 offset1:94
	s_waitcnt vmcnt(8) lgkmcnt(1)
	v_fma_f64 v[99:100], v[117:118], v[99:100], v[107:108]
	s_waitcnt vmcnt(7)
	v_fma_f64 v[99:100], v[115:116], v[101:102], v[99:100]
	ds_read_b64 v[101:102], v98 offset:760
	s_waitcnt vmcnt(6) lgkmcnt(1)
	v_fma_f64 v[99:100], v[113:114], v[103:104], v[99:100]
	s_waitcnt vmcnt(3)
	v_fma_f64 v[99:100], v[119:120], v[105:106], v[99:100]
	s_waitcnt vmcnt(2) lgkmcnt(0)
	v_fma_f64 v[99:100], v[121:122], v[101:102], v[99:100]
	s_waitcnt vmcnt(0)
	v_add_f64 v[99:100], v[123:124], -v[99:100]
	buffer_store_dword v100, off, s[0:3], 0 offset:212
	buffer_store_dword v99, off, s[0:3], 0 offset:208
	s_and_saveexec_b64 s[4:5], vcc
	s_cbranch_execz .LBB47_245
; %bb.244:
	buffer_load_dword v99, off, s[0:3], 0 offset:200
	buffer_load_dword v100, off, s[0:3], 0 offset:204
	s_waitcnt vmcnt(0)
	ds_write_b64 v97, v[99:100]
	buffer_store_dword v98, off, s[0:3], 0 offset:200
	buffer_store_dword v98, off, s[0:3], 0 offset:204
.LBB47_245:
	s_or_b64 exec, exec, s[4:5]
	s_waitcnt lgkmcnt(0)
	; wave barrier
	buffer_load_dword v107, off, s[0:3], 0 offset:208
	buffer_load_dword v108, off, s[0:3], 0 offset:212
	buffer_load_dword v109, off, s[0:3], 0 offset:216
	buffer_load_dword v110, off, s[0:3], 0 offset:220
	buffer_load_dword v111, off, s[0:3], 0 offset:224
	buffer_load_dword v112, off, s[0:3], 0 offset:228
	buffer_load_dword v113, off, s[0:3], 0 offset:232
	buffer_load_dword v114, off, s[0:3], 0 offset:236
	buffer_load_dword v115, off, s[0:3], 0 offset:240
	buffer_load_dword v116, off, s[0:3], 0 offset:244
	buffer_load_dword v117, off, s[0:3], 0 offset:248
	buffer_load_dword v118, off, s[0:3], 0 offset:252
	buffer_load_dword v119, off, s[0:3], 0 offset:256
	buffer_load_dword v120, off, s[0:3], 0 offset:260
	buffer_load_dword v122, off, s[0:3], 0 offset:268
	buffer_load_dword v123, off, s[0:3], 0 offset:288
	buffer_load_dword v125, off, s[0:3], 0 offset:280
	buffer_load_dword v127, off, s[0:3], 0 offset:272
	buffer_load_dword v121, off, s[0:3], 0 offset:264
	buffer_load_dword v128, off, s[0:3], 0 offset:276
	buffer_load_dword v126, off, s[0:3], 0 offset:284
	ds_read_b128 v[99:102], v98 offset:592
	ds_read_b128 v[103:106], v98 offset:608
	buffer_load_dword v124, off, s[0:3], 0 offset:292
	v_cmp_lt_u32_e32 vcc, 24, v0
	s_waitcnt vmcnt(20) lgkmcnt(1)
	v_fma_f64 v[99:100], v[107:108], v[99:100], 0
	s_waitcnt vmcnt(18)
	v_fma_f64 v[99:100], v[109:110], v[101:102], v[99:100]
	buffer_load_dword v108, off, s[0:3], 0 offset:300
	buffer_load_dword v109, off, s[0:3], 0 offset:320
	;; [unrolled: 1-line block ×7, first 2 shown]
	s_waitcnt vmcnt(23) lgkmcnt(0)
	v_fma_f64 v[99:100], v[111:112], v[103:104], v[99:100]
	s_waitcnt vmcnt(21)
	v_fma_f64 v[110:111], v[113:114], v[105:106], v[99:100]
	ds_read_b128 v[99:102], v98 offset:624
	ds_read_b128 v[103:106], v98 offset:640
	s_waitcnt vmcnt(19) lgkmcnt(1)
	v_fma_f64 v[99:100], v[115:116], v[99:100], v[110:111]
	buffer_load_dword v110, off, s[0:3], 0 offset:324
	s_waitcnt vmcnt(18)
	v_fma_f64 v[99:100], v[117:118], v[101:102], v[99:100]
	buffer_load_dword v112, off, s[0:3], 0 offset:332
	buffer_load_dword v113, off, s[0:3], 0 offset:352
	;; [unrolled: 1-line block ×8, first 2 shown]
	s_waitcnt vmcnt(24) lgkmcnt(0)
	v_fma_f64 v[99:100], v[119:120], v[103:104], v[99:100]
	s_waitcnt vmcnt(19)
	v_fma_f64 v[119:120], v[121:122], v[105:106], v[99:100]
	ds_read_b128 v[99:102], v98 offset:656
	ds_read_b128 v[103:106], v98 offset:672
	s_waitcnt vmcnt(18) lgkmcnt(1)
	v_fma_f64 v[99:100], v[127:128], v[99:100], v[119:120]
	s_waitcnt vmcnt(17)
	v_fma_f64 v[99:100], v[125:126], v[101:102], v[99:100]
	buffer_load_dword v120, off, s[0:3], 0 offset:364
	buffer_load_dword v121, off, s[0:3], 0 offset:376
	;; [unrolled: 1-line block ×6, first 2 shown]
	s_waitcnt vmcnt(22) lgkmcnt(0)
	v_fma_f64 v[99:100], v[123:124], v[103:104], v[99:100]
	s_waitcnt vmcnt(17)
	v_fma_f64 v[107:108], v[107:108], v[105:106], v[99:100]
	ds_read_b128 v[99:102], v98 offset:688
	buffer_load_dword v123, off, s[0:3], 0 offset:200
	buffer_load_dword v124, off, s[0:3], 0 offset:204
	ds_read_b128 v[103:106], v98 offset:704
	s_waitcnt vmcnt(18) lgkmcnt(1)
	v_fma_f64 v[99:100], v[131:132], v[99:100], v[107:108]
	s_waitcnt vmcnt(17)
	v_fma_f64 v[99:100], v[129:130], v[101:102], v[99:100]
	s_waitcnt vmcnt(16) lgkmcnt(0)
	v_fma_f64 v[99:100], v[109:110], v[103:104], v[99:100]
	s_waitcnt vmcnt(11)
	v_fma_f64 v[107:108], v[111:112], v[105:106], v[99:100]
	ds_read_b128 v[99:102], v98 offset:720
	ds_read_b128 v[103:106], v98 offset:736
	s_waitcnt vmcnt(10) lgkmcnt(1)
	v_fma_f64 v[99:100], v[117:118], v[99:100], v[107:108]
	s_waitcnt vmcnt(9)
	v_fma_f64 v[99:100], v[115:116], v[101:102], v[99:100]
	s_waitcnt vmcnt(8) lgkmcnt(0)
	v_fma_f64 v[99:100], v[113:114], v[103:104], v[99:100]
	s_waitcnt vmcnt(4)
	v_fma_f64 v[102:103], v[119:120], v[105:106], v[99:100]
	ds_read_b128 v[98:101], v98 offset:752
	s_waitcnt vmcnt(3) lgkmcnt(0)
	v_fma_f64 v[98:99], v[125:126], v[98:99], v[102:103]
	s_waitcnt vmcnt(2)
	v_fma_f64 v[98:99], v[121:122], v[100:101], v[98:99]
	s_waitcnt vmcnt(0)
	v_add_f64 v[98:99], v[123:124], -v[98:99]
	buffer_store_dword v99, off, s[0:3], 0 offset:204
	buffer_store_dword v98, off, s[0:3], 0 offset:200
	s_and_saveexec_b64 s[4:5], vcc
	s_cbranch_execz .LBB47_247
; %bb.246:
	buffer_load_dword v98, off, s[0:3], 0 offset:192
	buffer_load_dword v99, off, s[0:3], 0 offset:196
	v_mov_b32_e32 v100, 0
	buffer_store_dword v100, off, s[0:3], 0 offset:192
	buffer_store_dword v100, off, s[0:3], 0 offset:196
	s_waitcnt vmcnt(2)
	ds_write_b64 v97, v[98:99]
.LBB47_247:
	s_or_b64 exec, exec, s[4:5]
	s_waitcnt lgkmcnt(0)
	; wave barrier
	buffer_load_dword v107, off, s[0:3], 0 offset:200
	buffer_load_dword v108, off, s[0:3], 0 offset:204
	;; [unrolled: 1-line block ×21, first 2 shown]
	v_mov_b32_e32 v98, 0
	ds_read2_b64 v[99:102], v98 offset0:73 offset1:74
	ds_read2_b64 v[103:106], v98 offset0:75 offset1:76
	buffer_load_dword v124, off, s[0:3], 0 offset:284
	v_cmp_lt_u32_e32 vcc, 23, v0
	s_waitcnt vmcnt(20) lgkmcnt(1)
	v_fma_f64 v[99:100], v[107:108], v[99:100], 0
	s_waitcnt vmcnt(18)
	v_fma_f64 v[99:100], v[109:110], v[101:102], v[99:100]
	buffer_load_dword v108, off, s[0:3], 0 offset:292
	buffer_load_dword v109, off, s[0:3], 0 offset:312
	;; [unrolled: 1-line block ×7, first 2 shown]
	s_waitcnt vmcnt(23) lgkmcnt(0)
	v_fma_f64 v[99:100], v[111:112], v[103:104], v[99:100]
	s_waitcnt vmcnt(21)
	v_fma_f64 v[110:111], v[113:114], v[105:106], v[99:100]
	ds_read2_b64 v[99:102], v98 offset0:77 offset1:78
	ds_read2_b64 v[103:106], v98 offset0:79 offset1:80
	s_waitcnt vmcnt(19) lgkmcnt(1)
	v_fma_f64 v[99:100], v[115:116], v[99:100], v[110:111]
	buffer_load_dword v110, off, s[0:3], 0 offset:316
	s_waitcnt vmcnt(18)
	v_fma_f64 v[99:100], v[117:118], v[101:102], v[99:100]
	buffer_load_dword v112, off, s[0:3], 0 offset:324
	buffer_load_dword v113, off, s[0:3], 0 offset:344
	;; [unrolled: 1-line block ×8, first 2 shown]
	s_waitcnt vmcnt(24) lgkmcnt(0)
	v_fma_f64 v[99:100], v[119:120], v[103:104], v[99:100]
	s_waitcnt vmcnt(19)
	v_fma_f64 v[119:120], v[121:122], v[105:106], v[99:100]
	ds_read2_b64 v[99:102], v98 offset0:81 offset1:82
	ds_read2_b64 v[103:106], v98 offset0:83 offset1:84
	s_waitcnt vmcnt(18) lgkmcnt(1)
	v_fma_f64 v[99:100], v[127:128], v[99:100], v[119:120]
	s_waitcnt vmcnt(17)
	v_fma_f64 v[99:100], v[125:126], v[101:102], v[99:100]
	buffer_load_dword v120, off, s[0:3], 0 offset:356
	buffer_load_dword v121, off, s[0:3], 0 offset:376
	;; [unrolled: 1-line block ×8, first 2 shown]
	s_waitcnt vmcnt(24) lgkmcnt(0)
	v_fma_f64 v[99:100], v[123:124], v[103:104], v[99:100]
	s_waitcnt vmcnt(19)
	v_fma_f64 v[107:108], v[107:108], v[105:106], v[99:100]
	ds_read2_b64 v[99:102], v98 offset0:85 offset1:86
	ds_read2_b64 v[103:106], v98 offset0:87 offset1:88
	s_waitcnt vmcnt(18) lgkmcnt(1)
	v_fma_f64 v[99:100], v[131:132], v[99:100], v[107:108]
	buffer_load_dword v107, off, s[0:3], 0 offset:192
	buffer_load_dword v108, off, s[0:3], 0 offset:196
	s_waitcnt vmcnt(19)
	v_fma_f64 v[99:100], v[129:130], v[101:102], v[99:100]
	s_waitcnt vmcnt(18) lgkmcnt(0)
	v_fma_f64 v[99:100], v[109:110], v[103:104], v[99:100]
	s_waitcnt vmcnt(13)
	v_fma_f64 v[109:110], v[111:112], v[105:106], v[99:100]
	ds_read2_b64 v[99:102], v98 offset0:89 offset1:90
	ds_read2_b64 v[103:106], v98 offset0:91 offset1:92
	s_waitcnt vmcnt(12) lgkmcnt(1)
	v_fma_f64 v[99:100], v[117:118], v[99:100], v[109:110]
	s_waitcnt vmcnt(11)
	v_fma_f64 v[99:100], v[115:116], v[101:102], v[99:100]
	s_waitcnt vmcnt(10) lgkmcnt(0)
	v_fma_f64 v[99:100], v[113:114], v[103:104], v[99:100]
	s_waitcnt vmcnt(5)
	v_fma_f64 v[103:104], v[119:120], v[105:106], v[99:100]
	ds_read2_b64 v[99:102], v98 offset0:93 offset1:94
	ds_read_b64 v[105:106], v98 offset:760
	s_waitcnt vmcnt(4) lgkmcnt(1)
	v_fma_f64 v[99:100], v[127:128], v[99:100], v[103:104]
	s_waitcnt vmcnt(3)
	v_fma_f64 v[99:100], v[125:126], v[101:102], v[99:100]
	s_waitcnt vmcnt(2) lgkmcnt(0)
	v_fma_f64 v[99:100], v[121:122], v[105:106], v[99:100]
	s_waitcnt vmcnt(0)
	v_add_f64 v[99:100], v[107:108], -v[99:100]
	buffer_store_dword v100, off, s[0:3], 0 offset:196
	buffer_store_dword v99, off, s[0:3], 0 offset:192
	s_and_saveexec_b64 s[4:5], vcc
	s_cbranch_execz .LBB47_249
; %bb.248:
	buffer_load_dword v99, off, s[0:3], 0 offset:184
	buffer_load_dword v100, off, s[0:3], 0 offset:188
	s_waitcnt vmcnt(0)
	ds_write_b64 v97, v[99:100]
	buffer_store_dword v98, off, s[0:3], 0 offset:184
	buffer_store_dword v98, off, s[0:3], 0 offset:188
.LBB47_249:
	s_or_b64 exec, exec, s[4:5]
	s_waitcnt lgkmcnt(0)
	; wave barrier
	buffer_load_dword v107, off, s[0:3], 0 offset:192
	buffer_load_dword v108, off, s[0:3], 0 offset:196
	;; [unrolled: 1-line block ×21, first 2 shown]
	ds_read_b128 v[99:102], v98 offset:576
	ds_read_b128 v[103:106], v98 offset:592
	buffer_load_dword v124, off, s[0:3], 0 offset:276
	v_cmp_lt_u32_e32 vcc, 22, v0
	s_waitcnt vmcnt(20) lgkmcnt(1)
	v_fma_f64 v[99:100], v[107:108], v[99:100], 0
	s_waitcnt vmcnt(18)
	v_fma_f64 v[99:100], v[109:110], v[101:102], v[99:100]
	buffer_load_dword v108, off, s[0:3], 0 offset:284
	buffer_load_dword v109, off, s[0:3], 0 offset:304
	;; [unrolled: 1-line block ×7, first 2 shown]
	s_waitcnt vmcnt(23) lgkmcnt(0)
	v_fma_f64 v[99:100], v[111:112], v[103:104], v[99:100]
	s_waitcnt vmcnt(21)
	v_fma_f64 v[110:111], v[113:114], v[105:106], v[99:100]
	ds_read_b128 v[99:102], v98 offset:608
	ds_read_b128 v[103:106], v98 offset:624
	s_waitcnt vmcnt(19) lgkmcnt(1)
	v_fma_f64 v[99:100], v[115:116], v[99:100], v[110:111]
	buffer_load_dword v110, off, s[0:3], 0 offset:308
	s_waitcnt vmcnt(18)
	v_fma_f64 v[99:100], v[117:118], v[101:102], v[99:100]
	buffer_load_dword v112, off, s[0:3], 0 offset:316
	buffer_load_dword v113, off, s[0:3], 0 offset:336
	;; [unrolled: 1-line block ×8, first 2 shown]
	s_waitcnt vmcnt(24) lgkmcnt(0)
	v_fma_f64 v[99:100], v[119:120], v[103:104], v[99:100]
	s_waitcnt vmcnt(19)
	v_fma_f64 v[119:120], v[121:122], v[105:106], v[99:100]
	ds_read_b128 v[99:102], v98 offset:640
	ds_read_b128 v[103:106], v98 offset:656
	s_waitcnt vmcnt(18) lgkmcnt(1)
	v_fma_f64 v[99:100], v[127:128], v[99:100], v[119:120]
	s_waitcnt vmcnt(17)
	v_fma_f64 v[99:100], v[125:126], v[101:102], v[99:100]
	buffer_load_dword v120, off, s[0:3], 0 offset:348
	buffer_load_dword v121, off, s[0:3], 0 offset:368
	;; [unrolled: 1-line block ×8, first 2 shown]
	s_waitcnt vmcnt(24) lgkmcnt(0)
	v_fma_f64 v[99:100], v[123:124], v[103:104], v[99:100]
	s_waitcnt vmcnt(19)
	v_fma_f64 v[107:108], v[107:108], v[105:106], v[99:100]
	ds_read_b128 v[99:102], v98 offset:672
	ds_read_b128 v[103:106], v98 offset:688
	s_waitcnt vmcnt(18) lgkmcnt(1)
	v_fma_f64 v[99:100], v[131:132], v[99:100], v[107:108]
	buffer_load_dword v108, off, s[0:3], 0 offset:380
	buffer_load_dword v107, off, s[0:3], 0 offset:376
	;; [unrolled: 1-line block ×4, first 2 shown]
	s_waitcnt vmcnt(21)
	v_fma_f64 v[99:100], v[129:130], v[101:102], v[99:100]
	s_waitcnt vmcnt(20) lgkmcnt(0)
	v_fma_f64 v[99:100], v[109:110], v[103:104], v[99:100]
	s_waitcnt vmcnt(15)
	v_fma_f64 v[109:110], v[111:112], v[105:106], v[99:100]
	ds_read_b128 v[99:102], v98 offset:704
	ds_read_b128 v[103:106], v98 offset:720
	s_waitcnt vmcnt(14) lgkmcnt(1)
	v_fma_f64 v[99:100], v[117:118], v[99:100], v[109:110]
	s_waitcnt vmcnt(13)
	v_fma_f64 v[99:100], v[115:116], v[101:102], v[99:100]
	s_waitcnt vmcnt(12) lgkmcnt(0)
	v_fma_f64 v[99:100], v[113:114], v[103:104], v[99:100]
	s_waitcnt vmcnt(7)
	v_fma_f64 v[109:110], v[119:120], v[105:106], v[99:100]
	ds_read_b128 v[99:102], v98 offset:736
	ds_read_b128 v[103:106], v98 offset:752
	s_waitcnt vmcnt(6) lgkmcnt(1)
	v_fma_f64 v[98:99], v[127:128], v[99:100], v[109:110]
	s_waitcnt vmcnt(5)
	v_fma_f64 v[98:99], v[125:126], v[101:102], v[98:99]
	s_waitcnt vmcnt(4) lgkmcnt(0)
	v_fma_f64 v[98:99], v[121:122], v[103:104], v[98:99]
	s_waitcnt vmcnt(2)
	v_fma_f64 v[98:99], v[107:108], v[105:106], v[98:99]
	s_waitcnt vmcnt(0)
	v_add_f64 v[98:99], v[123:124], -v[98:99]
	buffer_store_dword v99, off, s[0:3], 0 offset:188
	buffer_store_dword v98, off, s[0:3], 0 offset:184
	s_and_saveexec_b64 s[4:5], vcc
	s_cbranch_execz .LBB47_251
; %bb.250:
	buffer_load_dword v98, off, s[0:3], 0 offset:176
	buffer_load_dword v99, off, s[0:3], 0 offset:180
	v_mov_b32_e32 v100, 0
	buffer_store_dword v100, off, s[0:3], 0 offset:176
	buffer_store_dword v100, off, s[0:3], 0 offset:180
	s_waitcnt vmcnt(2)
	ds_write_b64 v97, v[98:99]
.LBB47_251:
	s_or_b64 exec, exec, s[4:5]
	s_waitcnt lgkmcnt(0)
	; wave barrier
	buffer_load_dword v107, off, s[0:3], 0 offset:184
	buffer_load_dword v108, off, s[0:3], 0 offset:188
	;; [unrolled: 1-line block ×21, first 2 shown]
	v_mov_b32_e32 v98, 0
	ds_read2_b64 v[99:102], v98 offset0:71 offset1:72
	ds_read2_b64 v[103:106], v98 offset0:73 offset1:74
	buffer_load_dword v124, off, s[0:3], 0 offset:268
	v_cmp_lt_u32_e32 vcc, 21, v0
	s_waitcnt vmcnt(20) lgkmcnt(1)
	v_fma_f64 v[99:100], v[107:108], v[99:100], 0
	s_waitcnt vmcnt(18)
	v_fma_f64 v[99:100], v[109:110], v[101:102], v[99:100]
	buffer_load_dword v108, off, s[0:3], 0 offset:276
	buffer_load_dword v109, off, s[0:3], 0 offset:296
	;; [unrolled: 1-line block ×7, first 2 shown]
	s_waitcnt vmcnt(23) lgkmcnt(0)
	v_fma_f64 v[99:100], v[111:112], v[103:104], v[99:100]
	s_waitcnt vmcnt(21)
	v_fma_f64 v[110:111], v[113:114], v[105:106], v[99:100]
	ds_read2_b64 v[99:102], v98 offset0:75 offset1:76
	ds_read2_b64 v[103:106], v98 offset0:77 offset1:78
	s_waitcnt vmcnt(19) lgkmcnt(1)
	v_fma_f64 v[99:100], v[115:116], v[99:100], v[110:111]
	buffer_load_dword v110, off, s[0:3], 0 offset:300
	s_waitcnt vmcnt(18)
	v_fma_f64 v[99:100], v[117:118], v[101:102], v[99:100]
	buffer_load_dword v112, off, s[0:3], 0 offset:308
	buffer_load_dword v113, off, s[0:3], 0 offset:328
	;; [unrolled: 1-line block ×8, first 2 shown]
	s_waitcnt vmcnt(24) lgkmcnt(0)
	v_fma_f64 v[99:100], v[119:120], v[103:104], v[99:100]
	s_waitcnt vmcnt(19)
	v_fma_f64 v[119:120], v[121:122], v[105:106], v[99:100]
	ds_read2_b64 v[99:102], v98 offset0:79 offset1:80
	ds_read2_b64 v[103:106], v98 offset0:81 offset1:82
	s_waitcnt vmcnt(18) lgkmcnt(1)
	v_fma_f64 v[99:100], v[127:128], v[99:100], v[119:120]
	s_waitcnt vmcnt(17)
	v_fma_f64 v[99:100], v[125:126], v[101:102], v[99:100]
	buffer_load_dword v120, off, s[0:3], 0 offset:340
	buffer_load_dword v121, off, s[0:3], 0 offset:360
	;; [unrolled: 1-line block ×7, first 2 shown]
	s_waitcnt vmcnt(23) lgkmcnt(0)
	v_fma_f64 v[99:100], v[123:124], v[103:104], v[99:100]
	s_waitcnt vmcnt(18)
	v_fma_f64 v[107:108], v[107:108], v[105:106], v[99:100]
	ds_read2_b64 v[99:102], v98 offset0:83 offset1:84
	ds_read2_b64 v[103:106], v98 offset0:85 offset1:86
	buffer_load_dword v122, off, s[0:3], 0 offset:364
	s_waitcnt vmcnt(18) lgkmcnt(1)
	v_fma_f64 v[99:100], v[131:132], v[99:100], v[107:108]
	buffer_load_dword v108, off, s[0:3], 0 offset:372
	buffer_load_dword v123, off, s[0:3], 0 offset:376
	;; [unrolled: 1-line block ×4, first 2 shown]
	s_waitcnt vmcnt(21)
	v_fma_f64 v[99:100], v[129:130], v[101:102], v[99:100]
	s_waitcnt vmcnt(20) lgkmcnt(0)
	v_fma_f64 v[99:100], v[109:110], v[103:104], v[99:100]
	buffer_load_dword v109, off, s[0:3], 0 offset:176
	buffer_load_dword v110, off, s[0:3], 0 offset:180
	s_waitcnt vmcnt(17)
	v_fma_f64 v[111:112], v[111:112], v[105:106], v[99:100]
	ds_read2_b64 v[99:102], v98 offset0:87 offset1:88
	ds_read2_b64 v[103:106], v98 offset0:89 offset1:90
	s_waitcnt vmcnt(16) lgkmcnt(1)
	v_fma_f64 v[99:100], v[117:118], v[99:100], v[111:112]
	s_waitcnt vmcnt(15)
	v_fma_f64 v[99:100], v[115:116], v[101:102], v[99:100]
	s_waitcnt vmcnt(14) lgkmcnt(0)
	v_fma_f64 v[99:100], v[113:114], v[103:104], v[99:100]
	s_waitcnt vmcnt(9)
	v_fma_f64 v[111:112], v[119:120], v[105:106], v[99:100]
	ds_read2_b64 v[99:102], v98 offset0:91 offset1:92
	ds_read2_b64 v[103:106], v98 offset0:93 offset1:94
	s_waitcnt vmcnt(8) lgkmcnt(1)
	v_fma_f64 v[99:100], v[127:128], v[99:100], v[111:112]
	s_waitcnt vmcnt(7)
	v_fma_f64 v[99:100], v[125:126], v[101:102], v[99:100]
	ds_read_b64 v[101:102], v98 offset:760
	s_waitcnt vmcnt(6) lgkmcnt(1)
	v_fma_f64 v[99:100], v[121:122], v[103:104], v[99:100]
	s_waitcnt vmcnt(3)
	v_fma_f64 v[99:100], v[107:108], v[105:106], v[99:100]
	s_waitcnt vmcnt(2) lgkmcnt(0)
	v_fma_f64 v[99:100], v[123:124], v[101:102], v[99:100]
	s_waitcnt vmcnt(0)
	v_add_f64 v[99:100], v[109:110], -v[99:100]
	buffer_store_dword v100, off, s[0:3], 0 offset:180
	buffer_store_dword v99, off, s[0:3], 0 offset:176
	s_and_saveexec_b64 s[4:5], vcc
	s_cbranch_execz .LBB47_253
; %bb.252:
	buffer_load_dword v99, off, s[0:3], 0 offset:168
	buffer_load_dword v100, off, s[0:3], 0 offset:172
	s_waitcnt vmcnt(0)
	ds_write_b64 v97, v[99:100]
	buffer_store_dword v98, off, s[0:3], 0 offset:168
	buffer_store_dword v98, off, s[0:3], 0 offset:172
.LBB47_253:
	s_or_b64 exec, exec, s[4:5]
	s_waitcnt lgkmcnt(0)
	; wave barrier
	buffer_load_dword v107, off, s[0:3], 0 offset:176
	buffer_load_dword v108, off, s[0:3], 0 offset:180
	;; [unrolled: 1-line block ×22, first 2 shown]
	ds_read_b128 v[99:102], v98 offset:560
	ds_read_b128 v[103:106], v98 offset:576
	v_cmp_lt_u32_e32 vcc, 20, v0
	s_waitcnt vmcnt(20) lgkmcnt(1)
	v_fma_f64 v[99:100], v[107:108], v[99:100], 0
	s_waitcnt vmcnt(18)
	v_fma_f64 v[99:100], v[109:110], v[101:102], v[99:100]
	buffer_load_dword v108, off, s[0:3], 0 offset:268
	buffer_load_dword v109, off, s[0:3], 0 offset:288
	;; [unrolled: 1-line block ×7, first 2 shown]
	s_waitcnt vmcnt(23) lgkmcnt(0)
	v_fma_f64 v[99:100], v[111:112], v[103:104], v[99:100]
	s_waitcnt vmcnt(21)
	v_fma_f64 v[110:111], v[113:114], v[105:106], v[99:100]
	ds_read_b128 v[99:102], v98 offset:592
	ds_read_b128 v[103:106], v98 offset:608
	s_waitcnt vmcnt(19) lgkmcnt(1)
	v_fma_f64 v[99:100], v[115:116], v[99:100], v[110:111]
	buffer_load_dword v110, off, s[0:3], 0 offset:292
	s_waitcnt vmcnt(18)
	v_fma_f64 v[99:100], v[117:118], v[101:102], v[99:100]
	buffer_load_dword v112, off, s[0:3], 0 offset:300
	buffer_load_dword v113, off, s[0:3], 0 offset:320
	;; [unrolled: 1-line block ×8, first 2 shown]
	s_waitcnt vmcnt(24) lgkmcnt(0)
	v_fma_f64 v[99:100], v[119:120], v[103:104], v[99:100]
	s_waitcnt vmcnt(19)
	v_fma_f64 v[119:120], v[121:122], v[105:106], v[99:100]
	ds_read_b128 v[99:102], v98 offset:624
	ds_read_b128 v[103:106], v98 offset:640
	s_waitcnt vmcnt(18) lgkmcnt(1)
	v_fma_f64 v[99:100], v[127:128], v[99:100], v[119:120]
	s_waitcnt vmcnt(17)
	v_fma_f64 v[99:100], v[125:126], v[101:102], v[99:100]
	buffer_load_dword v120, off, s[0:3], 0 offset:332
	buffer_load_dword v121, off, s[0:3], 0 offset:352
	;; [unrolled: 1-line block ×8, first 2 shown]
	s_waitcnt vmcnt(24) lgkmcnt(0)
	v_fma_f64 v[99:100], v[123:124], v[103:104], v[99:100]
	s_waitcnt vmcnt(19)
	v_fma_f64 v[107:108], v[107:108], v[105:106], v[99:100]
	ds_read_b128 v[99:102], v98 offset:656
	ds_read_b128 v[103:106], v98 offset:672
	s_waitcnt vmcnt(18) lgkmcnt(1)
	v_fma_f64 v[99:100], v[131:132], v[99:100], v[107:108]
	s_waitcnt vmcnt(17)
	v_fma_f64 v[99:100], v[129:130], v[101:102], v[99:100]
	buffer_load_dword v108, off, s[0:3], 0 offset:364
	buffer_load_dword v123, off, s[0:3], 0 offset:376
	;; [unrolled: 1-line block ×6, first 2 shown]
	s_waitcnt vmcnt(22) lgkmcnt(0)
	v_fma_f64 v[99:100], v[109:110], v[103:104], v[99:100]
	s_waitcnt vmcnt(17)
	v_fma_f64 v[109:110], v[111:112], v[105:106], v[99:100]
	ds_read_b128 v[99:102], v98 offset:688
	buffer_load_dword v111, off, s[0:3], 0 offset:168
	buffer_load_dword v112, off, s[0:3], 0 offset:172
	ds_read_b128 v[103:106], v98 offset:704
	s_waitcnt vmcnt(18) lgkmcnt(1)
	v_fma_f64 v[99:100], v[117:118], v[99:100], v[109:110]
	s_waitcnt vmcnt(17)
	v_fma_f64 v[99:100], v[115:116], v[101:102], v[99:100]
	s_waitcnt vmcnt(16) lgkmcnt(0)
	v_fma_f64 v[99:100], v[113:114], v[103:104], v[99:100]
	s_waitcnt vmcnt(11)
	v_fma_f64 v[109:110], v[119:120], v[105:106], v[99:100]
	ds_read_b128 v[99:102], v98 offset:720
	ds_read_b128 v[103:106], v98 offset:736
	s_waitcnt vmcnt(10) lgkmcnt(1)
	v_fma_f64 v[99:100], v[127:128], v[99:100], v[109:110]
	s_waitcnt vmcnt(9)
	v_fma_f64 v[99:100], v[125:126], v[101:102], v[99:100]
	s_waitcnt vmcnt(8) lgkmcnt(0)
	v_fma_f64 v[99:100], v[121:122], v[103:104], v[99:100]
	s_waitcnt vmcnt(4)
	v_fma_f64 v[102:103], v[107:108], v[105:106], v[99:100]
	ds_read_b128 v[98:101], v98 offset:752
	s_waitcnt vmcnt(3) lgkmcnt(0)
	v_fma_f64 v[98:99], v[129:130], v[98:99], v[102:103]
	s_waitcnt vmcnt(2)
	v_fma_f64 v[98:99], v[123:124], v[100:101], v[98:99]
	s_waitcnt vmcnt(0)
	v_add_f64 v[98:99], v[111:112], -v[98:99]
	buffer_store_dword v99, off, s[0:3], 0 offset:172
	buffer_store_dword v98, off, s[0:3], 0 offset:168
	s_and_saveexec_b64 s[4:5], vcc
	s_cbranch_execz .LBB47_255
; %bb.254:
	buffer_load_dword v98, off, s[0:3], 0 offset:160
	buffer_load_dword v99, off, s[0:3], 0 offset:164
	v_mov_b32_e32 v100, 0
	buffer_store_dword v100, off, s[0:3], 0 offset:160
	buffer_store_dword v100, off, s[0:3], 0 offset:164
	s_waitcnt vmcnt(2)
	ds_write_b64 v97, v[98:99]
.LBB47_255:
	s_or_b64 exec, exec, s[4:5]
	s_waitcnt lgkmcnt(0)
	; wave barrier
	buffer_load_dword v107, off, s[0:3], 0 offset:168
	buffer_load_dword v108, off, s[0:3], 0 offset:172
	;; [unrolled: 1-line block ×22, first 2 shown]
	v_mov_b32_e32 v98, 0
	ds_read2_b64 v[99:102], v98 offset0:69 offset1:70
	ds_read2_b64 v[103:106], v98 offset0:71 offset1:72
	v_cmp_lt_u32_e32 vcc, 19, v0
	s_waitcnt vmcnt(20) lgkmcnt(1)
	v_fma_f64 v[99:100], v[107:108], v[99:100], 0
	s_waitcnt vmcnt(18)
	v_fma_f64 v[99:100], v[109:110], v[101:102], v[99:100]
	buffer_load_dword v108, off, s[0:3], 0 offset:260
	buffer_load_dword v109, off, s[0:3], 0 offset:280
	buffer_load_dword v129, off, s[0:3], 0 offset:272
	buffer_load_dword v131, off, s[0:3], 0 offset:264
	buffer_load_dword v107, off, s[0:3], 0 offset:256
	buffer_load_dword v132, off, s[0:3], 0 offset:268
	buffer_load_dword v130, off, s[0:3], 0 offset:276
	s_waitcnt vmcnt(23) lgkmcnt(0)
	v_fma_f64 v[99:100], v[111:112], v[103:104], v[99:100]
	s_waitcnt vmcnt(21)
	v_fma_f64 v[110:111], v[113:114], v[105:106], v[99:100]
	ds_read2_b64 v[99:102], v98 offset0:73 offset1:74
	ds_read2_b64 v[103:106], v98 offset0:75 offset1:76
	s_waitcnt vmcnt(19) lgkmcnt(1)
	v_fma_f64 v[99:100], v[115:116], v[99:100], v[110:111]
	buffer_load_dword v110, off, s[0:3], 0 offset:284
	s_waitcnt vmcnt(18)
	v_fma_f64 v[99:100], v[117:118], v[101:102], v[99:100]
	buffer_load_dword v112, off, s[0:3], 0 offset:292
	buffer_load_dword v113, off, s[0:3], 0 offset:312
	buffer_load_dword v115, off, s[0:3], 0 offset:304
	buffer_load_dword v117, off, s[0:3], 0 offset:296
	buffer_load_dword v111, off, s[0:3], 0 offset:288
	buffer_load_dword v118, off, s[0:3], 0 offset:300
	buffer_load_dword v116, off, s[0:3], 0 offset:308
	buffer_load_dword v114, off, s[0:3], 0 offset:316
	s_waitcnt vmcnt(24) lgkmcnt(0)
	v_fma_f64 v[99:100], v[119:120], v[103:104], v[99:100]
	s_waitcnt vmcnt(19)
	v_fma_f64 v[119:120], v[121:122], v[105:106], v[99:100]
	ds_read2_b64 v[99:102], v98 offset0:77 offset1:78
	ds_read2_b64 v[103:106], v98 offset0:79 offset1:80
	s_waitcnt vmcnt(18) lgkmcnt(1)
	v_fma_f64 v[99:100], v[127:128], v[99:100], v[119:120]
	s_waitcnt vmcnt(17)
	v_fma_f64 v[99:100], v[125:126], v[101:102], v[99:100]
	buffer_load_dword v120, off, s[0:3], 0 offset:324
	buffer_load_dword v121, off, s[0:3], 0 offset:344
	buffer_load_dword v125, off, s[0:3], 0 offset:336
	buffer_load_dword v127, off, s[0:3], 0 offset:328
	buffer_load_dword v119, off, s[0:3], 0 offset:320
	buffer_load_dword v128, off, s[0:3], 0 offset:332
	buffer_load_dword v126, off, s[0:3], 0 offset:340
	buffer_load_dword v122, off, s[0:3], 0 offset:348
	s_waitcnt vmcnt(24) lgkmcnt(0)
	v_fma_f64 v[99:100], v[123:124], v[103:104], v[99:100]
	s_waitcnt vmcnt(19)
	v_fma_f64 v[107:108], v[107:108], v[105:106], v[99:100]
	ds_read2_b64 v[99:102], v98 offset0:81 offset1:82
	ds_read2_b64 v[103:106], v98 offset0:83 offset1:84
	s_waitcnt vmcnt(18) lgkmcnt(1)
	v_fma_f64 v[99:100], v[131:132], v[99:100], v[107:108]
	s_waitcnt vmcnt(17)
	v_fma_f64 v[99:100], v[129:130], v[101:102], v[99:100]
	buffer_load_dword v108, off, s[0:3], 0 offset:356
	buffer_load_dword v123, off, s[0:3], 0 offset:376
	buffer_load_dword v129, off, s[0:3], 0 offset:368
	buffer_load_dword v131, off, s[0:3], 0 offset:360
	buffer_load_dword v107, off, s[0:3], 0 offset:352
	buffer_load_dword v132, off, s[0:3], 0 offset:364
	buffer_load_dword v130, off, s[0:3], 0 offset:372
	buffer_load_dword v124, off, s[0:3], 0 offset:380
	s_waitcnt vmcnt(24) lgkmcnt(0)
	v_fma_f64 v[99:100], v[109:110], v[103:104], v[99:100]
	s_waitcnt vmcnt(19)
	v_fma_f64 v[109:110], v[111:112], v[105:106], v[99:100]
	ds_read2_b64 v[99:102], v98 offset0:85 offset1:86
	ds_read2_b64 v[103:106], v98 offset0:87 offset1:88
	s_waitcnt vmcnt(18) lgkmcnt(1)
	v_fma_f64 v[99:100], v[117:118], v[99:100], v[109:110]
	buffer_load_dword v109, off, s[0:3], 0 offset:160
	buffer_load_dword v110, off, s[0:3], 0 offset:164
	s_waitcnt vmcnt(19)
	v_fma_f64 v[99:100], v[115:116], v[101:102], v[99:100]
	s_waitcnt vmcnt(18) lgkmcnt(0)
	v_fma_f64 v[99:100], v[113:114], v[103:104], v[99:100]
	s_waitcnt vmcnt(13)
	v_fma_f64 v[111:112], v[119:120], v[105:106], v[99:100]
	ds_read2_b64 v[99:102], v98 offset0:89 offset1:90
	ds_read2_b64 v[103:106], v98 offset0:91 offset1:92
	s_waitcnt vmcnt(12) lgkmcnt(1)
	v_fma_f64 v[99:100], v[127:128], v[99:100], v[111:112]
	s_waitcnt vmcnt(11)
	v_fma_f64 v[99:100], v[125:126], v[101:102], v[99:100]
	s_waitcnt vmcnt(10) lgkmcnt(0)
	v_fma_f64 v[99:100], v[121:122], v[103:104], v[99:100]
	s_waitcnt vmcnt(5)
	v_fma_f64 v[103:104], v[107:108], v[105:106], v[99:100]
	ds_read2_b64 v[99:102], v98 offset0:93 offset1:94
	ds_read_b64 v[105:106], v98 offset:760
	s_waitcnt vmcnt(4) lgkmcnt(1)
	v_fma_f64 v[99:100], v[131:132], v[99:100], v[103:104]
	s_waitcnt vmcnt(3)
	v_fma_f64 v[99:100], v[129:130], v[101:102], v[99:100]
	s_waitcnt vmcnt(2) lgkmcnt(0)
	v_fma_f64 v[99:100], v[123:124], v[105:106], v[99:100]
	s_waitcnt vmcnt(0)
	v_add_f64 v[99:100], v[109:110], -v[99:100]
	buffer_store_dword v100, off, s[0:3], 0 offset:164
	buffer_store_dword v99, off, s[0:3], 0 offset:160
	s_and_saveexec_b64 s[4:5], vcc
	s_cbranch_execz .LBB47_257
; %bb.256:
	buffer_load_dword v99, off, s[0:3], 0 offset:152
	buffer_load_dword v100, off, s[0:3], 0 offset:156
	s_waitcnt vmcnt(0)
	ds_write_b64 v97, v[99:100]
	buffer_store_dword v98, off, s[0:3], 0 offset:152
	buffer_store_dword v98, off, s[0:3], 0 offset:156
.LBB47_257:
	s_or_b64 exec, exec, s[4:5]
	s_waitcnt lgkmcnt(0)
	; wave barrier
	buffer_load_dword v107, off, s[0:3], 0 offset:160
	buffer_load_dword v108, off, s[0:3], 0 offset:164
	;; [unrolled: 1-line block ×22, first 2 shown]
	ds_read_b128 v[99:102], v98 offset:544
	ds_read_b128 v[103:106], v98 offset:560
	v_cmp_lt_u32_e32 vcc, 18, v0
	s_waitcnt vmcnt(20) lgkmcnt(1)
	v_fma_f64 v[99:100], v[107:108], v[99:100], 0
	s_waitcnt vmcnt(18)
	v_fma_f64 v[99:100], v[109:110], v[101:102], v[99:100]
	buffer_load_dword v108, off, s[0:3], 0 offset:252
	buffer_load_dword v109, off, s[0:3], 0 offset:272
	;; [unrolled: 1-line block ×7, first 2 shown]
	s_waitcnt vmcnt(23) lgkmcnt(0)
	v_fma_f64 v[99:100], v[111:112], v[103:104], v[99:100]
	s_waitcnt vmcnt(21)
	v_fma_f64 v[110:111], v[113:114], v[105:106], v[99:100]
	ds_read_b128 v[99:102], v98 offset:576
	ds_read_b128 v[103:106], v98 offset:592
	s_waitcnt vmcnt(19) lgkmcnt(1)
	v_fma_f64 v[99:100], v[115:116], v[99:100], v[110:111]
	buffer_load_dword v110, off, s[0:3], 0 offset:276
	s_waitcnt vmcnt(18)
	v_fma_f64 v[99:100], v[117:118], v[101:102], v[99:100]
	buffer_load_dword v112, off, s[0:3], 0 offset:284
	buffer_load_dword v113, off, s[0:3], 0 offset:304
	buffer_load_dword v115, off, s[0:3], 0 offset:296
	buffer_load_dword v117, off, s[0:3], 0 offset:288
	buffer_load_dword v111, off, s[0:3], 0 offset:280
	buffer_load_dword v118, off, s[0:3], 0 offset:292
	buffer_load_dword v116, off, s[0:3], 0 offset:300
	buffer_load_dword v114, off, s[0:3], 0 offset:308
	s_waitcnt vmcnt(24) lgkmcnt(0)
	v_fma_f64 v[99:100], v[119:120], v[103:104], v[99:100]
	s_waitcnt vmcnt(19)
	v_fma_f64 v[119:120], v[121:122], v[105:106], v[99:100]
	ds_read_b128 v[99:102], v98 offset:608
	ds_read_b128 v[103:106], v98 offset:624
	s_waitcnt vmcnt(18) lgkmcnt(1)
	v_fma_f64 v[99:100], v[127:128], v[99:100], v[119:120]
	s_waitcnt vmcnt(17)
	v_fma_f64 v[99:100], v[125:126], v[101:102], v[99:100]
	buffer_load_dword v120, off, s[0:3], 0 offset:316
	buffer_load_dword v121, off, s[0:3], 0 offset:336
	buffer_load_dword v125, off, s[0:3], 0 offset:328
	buffer_load_dword v127, off, s[0:3], 0 offset:320
	buffer_load_dword v119, off, s[0:3], 0 offset:312
	buffer_load_dword v128, off, s[0:3], 0 offset:324
	buffer_load_dword v126, off, s[0:3], 0 offset:332
	buffer_load_dword v122, off, s[0:3], 0 offset:340
	s_waitcnt vmcnt(24) lgkmcnt(0)
	v_fma_f64 v[99:100], v[123:124], v[103:104], v[99:100]
	s_waitcnt vmcnt(19)
	v_fma_f64 v[107:108], v[107:108], v[105:106], v[99:100]
	ds_read_b128 v[99:102], v98 offset:640
	ds_read_b128 v[103:106], v98 offset:656
	s_waitcnt vmcnt(18) lgkmcnt(1)
	v_fma_f64 v[99:100], v[131:132], v[99:100], v[107:108]
	;; [unrolled: 18-line block ×3, first 2 shown]
	buffer_load_dword v110, off, s[0:3], 0 offset:380
	buffer_load_dword v109, off, s[0:3], 0 offset:376
	buffer_load_dword v111, off, s[0:3], 0 offset:152
	buffer_load_dword v112, off, s[0:3], 0 offset:156
	s_waitcnt vmcnt(21)
	v_fma_f64 v[99:100], v[115:116], v[101:102], v[99:100]
	s_waitcnt vmcnt(20) lgkmcnt(0)
	v_fma_f64 v[99:100], v[113:114], v[103:104], v[99:100]
	s_waitcnt vmcnt(15)
	v_fma_f64 v[113:114], v[119:120], v[105:106], v[99:100]
	ds_read_b128 v[99:102], v98 offset:704
	ds_read_b128 v[103:106], v98 offset:720
	s_waitcnt vmcnt(14) lgkmcnt(1)
	v_fma_f64 v[99:100], v[127:128], v[99:100], v[113:114]
	s_waitcnt vmcnt(13)
	v_fma_f64 v[99:100], v[125:126], v[101:102], v[99:100]
	s_waitcnt vmcnt(12) lgkmcnt(0)
	v_fma_f64 v[99:100], v[121:122], v[103:104], v[99:100]
	s_waitcnt vmcnt(7)
	v_fma_f64 v[107:108], v[107:108], v[105:106], v[99:100]
	ds_read_b128 v[99:102], v98 offset:736
	ds_read_b128 v[103:106], v98 offset:752
	s_waitcnt vmcnt(6) lgkmcnt(1)
	v_fma_f64 v[98:99], v[131:132], v[99:100], v[107:108]
	s_waitcnt vmcnt(5)
	v_fma_f64 v[98:99], v[129:130], v[101:102], v[98:99]
	s_waitcnt vmcnt(4) lgkmcnt(0)
	v_fma_f64 v[98:99], v[123:124], v[103:104], v[98:99]
	s_waitcnt vmcnt(2)
	v_fma_f64 v[98:99], v[109:110], v[105:106], v[98:99]
	s_waitcnt vmcnt(0)
	v_add_f64 v[98:99], v[111:112], -v[98:99]
	buffer_store_dword v99, off, s[0:3], 0 offset:156
	buffer_store_dword v98, off, s[0:3], 0 offset:152
	s_and_saveexec_b64 s[4:5], vcc
	s_cbranch_execz .LBB47_259
; %bb.258:
	buffer_load_dword v98, off, s[0:3], 0 offset:144
	buffer_load_dword v99, off, s[0:3], 0 offset:148
	v_mov_b32_e32 v100, 0
	buffer_store_dword v100, off, s[0:3], 0 offset:144
	buffer_store_dword v100, off, s[0:3], 0 offset:148
	s_waitcnt vmcnt(2)
	ds_write_b64 v97, v[98:99]
.LBB47_259:
	s_or_b64 exec, exec, s[4:5]
	s_waitcnt lgkmcnt(0)
	; wave barrier
	buffer_load_dword v107, off, s[0:3], 0 offset:152
	buffer_load_dword v108, off, s[0:3], 0 offset:156
	buffer_load_dword v109, off, s[0:3], 0 offset:160
	buffer_load_dword v110, off, s[0:3], 0 offset:164
	buffer_load_dword v111, off, s[0:3], 0 offset:168
	buffer_load_dword v112, off, s[0:3], 0 offset:172
	buffer_load_dword v113, off, s[0:3], 0 offset:176
	buffer_load_dword v114, off, s[0:3], 0 offset:180
	buffer_load_dword v115, off, s[0:3], 0 offset:184
	buffer_load_dword v116, off, s[0:3], 0 offset:188
	buffer_load_dword v117, off, s[0:3], 0 offset:192
	buffer_load_dword v118, off, s[0:3], 0 offset:196
	buffer_load_dword v119, off, s[0:3], 0 offset:200
	buffer_load_dword v120, off, s[0:3], 0 offset:204
	buffer_load_dword v122, off, s[0:3], 0 offset:212
	buffer_load_dword v123, off, s[0:3], 0 offset:232
	buffer_load_dword v125, off, s[0:3], 0 offset:224
	buffer_load_dword v127, off, s[0:3], 0 offset:216
	buffer_load_dword v121, off, s[0:3], 0 offset:208
	buffer_load_dword v128, off, s[0:3], 0 offset:220
	buffer_load_dword v126, off, s[0:3], 0 offset:228
	buffer_load_dword v124, off, s[0:3], 0 offset:236
	v_mov_b32_e32 v98, 0
	ds_read2_b64 v[99:102], v98 offset0:67 offset1:68
	ds_read2_b64 v[103:106], v98 offset0:69 offset1:70
	v_cmp_lt_u32_e32 vcc, 17, v0
	s_waitcnt vmcnt(20) lgkmcnt(1)
	v_fma_f64 v[99:100], v[107:108], v[99:100], 0
	s_waitcnt vmcnt(18)
	v_fma_f64 v[99:100], v[109:110], v[101:102], v[99:100]
	buffer_load_dword v108, off, s[0:3], 0 offset:244
	buffer_load_dword v109, off, s[0:3], 0 offset:264
	;; [unrolled: 1-line block ×7, first 2 shown]
	s_waitcnt vmcnt(23) lgkmcnt(0)
	v_fma_f64 v[99:100], v[111:112], v[103:104], v[99:100]
	s_waitcnt vmcnt(21)
	v_fma_f64 v[110:111], v[113:114], v[105:106], v[99:100]
	ds_read2_b64 v[99:102], v98 offset0:71 offset1:72
	ds_read2_b64 v[103:106], v98 offset0:73 offset1:74
	s_waitcnt vmcnt(19) lgkmcnt(1)
	v_fma_f64 v[99:100], v[115:116], v[99:100], v[110:111]
	buffer_load_dword v110, off, s[0:3], 0 offset:268
	s_waitcnt vmcnt(18)
	v_fma_f64 v[99:100], v[117:118], v[101:102], v[99:100]
	buffer_load_dword v112, off, s[0:3], 0 offset:276
	buffer_load_dword v113, off, s[0:3], 0 offset:296
	;; [unrolled: 1-line block ×7, first 2 shown]
	s_waitcnt vmcnt(23) lgkmcnt(0)
	v_fma_f64 v[99:100], v[119:120], v[103:104], v[99:100]
	s_waitcnt vmcnt(18)
	v_fma_f64 v[119:120], v[121:122], v[105:106], v[99:100]
	ds_read2_b64 v[99:102], v98 offset0:75 offset1:76
	ds_read2_b64 v[103:106], v98 offset0:77 offset1:78
	buffer_load_dword v114, off, s[0:3], 0 offset:300
	s_waitcnt vmcnt(18) lgkmcnt(1)
	v_fma_f64 v[99:100], v[127:128], v[99:100], v[119:120]
	s_waitcnt vmcnt(17)
	v_fma_f64 v[99:100], v[125:126], v[101:102], v[99:100]
	buffer_load_dword v120, off, s[0:3], 0 offset:308
	buffer_load_dword v121, off, s[0:3], 0 offset:328
	;; [unrolled: 1-line block ×8, first 2 shown]
	s_waitcnt vmcnt(24) lgkmcnt(0)
	v_fma_f64 v[99:100], v[123:124], v[103:104], v[99:100]
	s_waitcnt vmcnt(19)
	v_fma_f64 v[107:108], v[107:108], v[105:106], v[99:100]
	ds_read2_b64 v[99:102], v98 offset0:79 offset1:80
	ds_read2_b64 v[103:106], v98 offset0:81 offset1:82
	s_waitcnt vmcnt(18) lgkmcnt(1)
	v_fma_f64 v[99:100], v[131:132], v[99:100], v[107:108]
	s_waitcnt vmcnt(17)
	v_fma_f64 v[99:100], v[129:130], v[101:102], v[99:100]
	buffer_load_dword v108, off, s[0:3], 0 offset:340
	buffer_load_dword v123, off, s[0:3], 0 offset:360
	;; [unrolled: 1-line block ×7, first 2 shown]
	s_waitcnt vmcnt(23) lgkmcnt(0)
	v_fma_f64 v[99:100], v[109:110], v[103:104], v[99:100]
	s_waitcnt vmcnt(18)
	v_fma_f64 v[109:110], v[111:112], v[105:106], v[99:100]
	ds_read2_b64 v[99:102], v98 offset0:83 offset1:84
	ds_read2_b64 v[103:106], v98 offset0:85 offset1:86
	buffer_load_dword v124, off, s[0:3], 0 offset:364
	s_waitcnt vmcnt(18) lgkmcnt(1)
	v_fma_f64 v[99:100], v[117:118], v[99:100], v[109:110]
	buffer_load_dword v110, off, s[0:3], 0 offset:372
	buffer_load_dword v111, off, s[0:3], 0 offset:376
	;; [unrolled: 1-line block ×4, first 2 shown]
	s_waitcnt vmcnt(21)
	v_fma_f64 v[99:100], v[115:116], v[101:102], v[99:100]
	s_waitcnt vmcnt(20) lgkmcnt(0)
	v_fma_f64 v[99:100], v[113:114], v[103:104], v[99:100]
	buffer_load_dword v113, off, s[0:3], 0 offset:144
	buffer_load_dword v114, off, s[0:3], 0 offset:148
	s_waitcnt vmcnt(17)
	v_fma_f64 v[115:116], v[119:120], v[105:106], v[99:100]
	ds_read2_b64 v[99:102], v98 offset0:87 offset1:88
	ds_read2_b64 v[103:106], v98 offset0:89 offset1:90
	s_waitcnt vmcnt(16) lgkmcnt(1)
	v_fma_f64 v[99:100], v[127:128], v[99:100], v[115:116]
	s_waitcnt vmcnt(15)
	v_fma_f64 v[99:100], v[125:126], v[101:102], v[99:100]
	s_waitcnt vmcnt(14) lgkmcnt(0)
	v_fma_f64 v[99:100], v[121:122], v[103:104], v[99:100]
	s_waitcnt vmcnt(9)
	v_fma_f64 v[107:108], v[107:108], v[105:106], v[99:100]
	ds_read2_b64 v[99:102], v98 offset0:91 offset1:92
	ds_read2_b64 v[103:106], v98 offset0:93 offset1:94
	s_waitcnt vmcnt(8) lgkmcnt(1)
	v_fma_f64 v[99:100], v[131:132], v[99:100], v[107:108]
	s_waitcnt vmcnt(7)
	v_fma_f64 v[99:100], v[129:130], v[101:102], v[99:100]
	ds_read_b64 v[101:102], v98 offset:760
	s_waitcnt vmcnt(6) lgkmcnt(1)
	v_fma_f64 v[99:100], v[123:124], v[103:104], v[99:100]
	s_waitcnt vmcnt(3)
	v_fma_f64 v[99:100], v[109:110], v[105:106], v[99:100]
	s_waitcnt vmcnt(2) lgkmcnt(0)
	v_fma_f64 v[99:100], v[111:112], v[101:102], v[99:100]
	s_waitcnt vmcnt(0)
	v_add_f64 v[99:100], v[113:114], -v[99:100]
	buffer_store_dword v100, off, s[0:3], 0 offset:148
	buffer_store_dword v99, off, s[0:3], 0 offset:144
	s_and_saveexec_b64 s[4:5], vcc
	s_cbranch_execz .LBB47_261
; %bb.260:
	buffer_load_dword v99, off, s[0:3], 0 offset:136
	buffer_load_dword v100, off, s[0:3], 0 offset:140
	s_waitcnt vmcnt(0)
	ds_write_b64 v97, v[99:100]
	buffer_store_dword v98, off, s[0:3], 0 offset:136
	buffer_store_dword v98, off, s[0:3], 0 offset:140
.LBB47_261:
	s_or_b64 exec, exec, s[4:5]
	s_waitcnt lgkmcnt(0)
	; wave barrier
	buffer_load_dword v107, off, s[0:3], 0 offset:144
	buffer_load_dword v108, off, s[0:3], 0 offset:148
	;; [unrolled: 1-line block ×22, first 2 shown]
	ds_read_b128 v[99:102], v98 offset:528
	ds_read_b128 v[103:106], v98 offset:544
	v_cmp_lt_u32_e32 vcc, 16, v0
	s_waitcnt vmcnt(20) lgkmcnt(1)
	v_fma_f64 v[99:100], v[107:108], v[99:100], 0
	s_waitcnt vmcnt(18)
	v_fma_f64 v[99:100], v[109:110], v[101:102], v[99:100]
	buffer_load_dword v108, off, s[0:3], 0 offset:236
	buffer_load_dword v109, off, s[0:3], 0 offset:256
	;; [unrolled: 1-line block ×7, first 2 shown]
	s_waitcnt vmcnt(23) lgkmcnt(0)
	v_fma_f64 v[99:100], v[111:112], v[103:104], v[99:100]
	s_waitcnt vmcnt(21)
	v_fma_f64 v[110:111], v[113:114], v[105:106], v[99:100]
	ds_read_b128 v[99:102], v98 offset:560
	ds_read_b128 v[103:106], v98 offset:576
	s_waitcnt vmcnt(19) lgkmcnt(1)
	v_fma_f64 v[99:100], v[115:116], v[99:100], v[110:111]
	buffer_load_dword v110, off, s[0:3], 0 offset:260
	s_waitcnt vmcnt(18)
	v_fma_f64 v[99:100], v[117:118], v[101:102], v[99:100]
	buffer_load_dword v112, off, s[0:3], 0 offset:268
	buffer_load_dword v113, off, s[0:3], 0 offset:288
	;; [unrolled: 1-line block ×7, first 2 shown]
	s_waitcnt vmcnt(23) lgkmcnt(0)
	v_fma_f64 v[99:100], v[119:120], v[103:104], v[99:100]
	s_waitcnt vmcnt(18)
	v_fma_f64 v[119:120], v[121:122], v[105:106], v[99:100]
	ds_read_b128 v[99:102], v98 offset:592
	ds_read_b128 v[103:106], v98 offset:608
	buffer_load_dword v114, off, s[0:3], 0 offset:292
	s_waitcnt vmcnt(18) lgkmcnt(1)
	v_fma_f64 v[99:100], v[127:128], v[99:100], v[119:120]
	s_waitcnt vmcnt(17)
	v_fma_f64 v[99:100], v[125:126], v[101:102], v[99:100]
	buffer_load_dword v120, off, s[0:3], 0 offset:300
	buffer_load_dword v121, off, s[0:3], 0 offset:320
	;; [unrolled: 1-line block ×8, first 2 shown]
	s_waitcnt vmcnt(24) lgkmcnt(0)
	v_fma_f64 v[99:100], v[123:124], v[103:104], v[99:100]
	s_waitcnt vmcnt(19)
	v_fma_f64 v[107:108], v[107:108], v[105:106], v[99:100]
	ds_read_b128 v[99:102], v98 offset:624
	ds_read_b128 v[103:106], v98 offset:640
	s_waitcnt vmcnt(18) lgkmcnt(1)
	v_fma_f64 v[99:100], v[131:132], v[99:100], v[107:108]
	s_waitcnt vmcnt(17)
	v_fma_f64 v[99:100], v[129:130], v[101:102], v[99:100]
	buffer_load_dword v108, off, s[0:3], 0 offset:332
	buffer_load_dword v123, off, s[0:3], 0 offset:352
	;; [unrolled: 1-line block ×8, first 2 shown]
	s_waitcnt vmcnt(24) lgkmcnt(0)
	v_fma_f64 v[99:100], v[109:110], v[103:104], v[99:100]
	s_waitcnt vmcnt(19)
	v_fma_f64 v[109:110], v[111:112], v[105:106], v[99:100]
	ds_read_b128 v[99:102], v98 offset:656
	ds_read_b128 v[103:106], v98 offset:672
	s_waitcnt vmcnt(18) lgkmcnt(1)
	v_fma_f64 v[99:100], v[117:118], v[99:100], v[109:110]
	s_waitcnt vmcnt(17)
	v_fma_f64 v[99:100], v[115:116], v[101:102], v[99:100]
	buffer_load_dword v110, off, s[0:3], 0 offset:364
	buffer_load_dword v111, off, s[0:3], 0 offset:376
	;; [unrolled: 1-line block ×6, first 2 shown]
	s_waitcnt vmcnt(22) lgkmcnt(0)
	v_fma_f64 v[99:100], v[113:114], v[103:104], v[99:100]
	s_waitcnt vmcnt(17)
	v_fma_f64 v[113:114], v[119:120], v[105:106], v[99:100]
	ds_read_b128 v[99:102], v98 offset:688
	buffer_load_dword v117, off, s[0:3], 0 offset:136
	buffer_load_dword v118, off, s[0:3], 0 offset:140
	ds_read_b128 v[103:106], v98 offset:704
	s_waitcnt vmcnt(18) lgkmcnt(1)
	v_fma_f64 v[99:100], v[127:128], v[99:100], v[113:114]
	s_waitcnt vmcnt(17)
	v_fma_f64 v[99:100], v[125:126], v[101:102], v[99:100]
	s_waitcnt vmcnt(16) lgkmcnt(0)
	v_fma_f64 v[99:100], v[121:122], v[103:104], v[99:100]
	s_waitcnt vmcnt(11)
	v_fma_f64 v[107:108], v[107:108], v[105:106], v[99:100]
	ds_read_b128 v[99:102], v98 offset:720
	ds_read_b128 v[103:106], v98 offset:736
	s_waitcnt vmcnt(10) lgkmcnt(1)
	v_fma_f64 v[99:100], v[131:132], v[99:100], v[107:108]
	s_waitcnt vmcnt(9)
	v_fma_f64 v[99:100], v[129:130], v[101:102], v[99:100]
	s_waitcnt vmcnt(8) lgkmcnt(0)
	v_fma_f64 v[99:100], v[123:124], v[103:104], v[99:100]
	s_waitcnt vmcnt(4)
	v_fma_f64 v[102:103], v[109:110], v[105:106], v[99:100]
	ds_read_b128 v[98:101], v98 offset:752
	s_waitcnt vmcnt(3) lgkmcnt(0)
	v_fma_f64 v[98:99], v[115:116], v[98:99], v[102:103]
	s_waitcnt vmcnt(2)
	v_fma_f64 v[98:99], v[111:112], v[100:101], v[98:99]
	s_waitcnt vmcnt(0)
	v_add_f64 v[98:99], v[117:118], -v[98:99]
	buffer_store_dword v99, off, s[0:3], 0 offset:140
	buffer_store_dword v98, off, s[0:3], 0 offset:136
	s_and_saveexec_b64 s[4:5], vcc
	s_cbranch_execz .LBB47_263
; %bb.262:
	buffer_load_dword v98, off, s[0:3], 0 offset:128
	buffer_load_dword v99, off, s[0:3], 0 offset:132
	v_mov_b32_e32 v100, 0
	buffer_store_dword v100, off, s[0:3], 0 offset:128
	buffer_store_dword v100, off, s[0:3], 0 offset:132
	s_waitcnt vmcnt(2)
	ds_write_b64 v97, v[98:99]
.LBB47_263:
	s_or_b64 exec, exec, s[4:5]
	s_waitcnt lgkmcnt(0)
	; wave barrier
	buffer_load_dword v107, off, s[0:3], 0 offset:136
	buffer_load_dword v108, off, s[0:3], 0 offset:140
	buffer_load_dword v109, off, s[0:3], 0 offset:144
	buffer_load_dword v110, off, s[0:3], 0 offset:148
	buffer_load_dword v111, off, s[0:3], 0 offset:152
	buffer_load_dword v112, off, s[0:3], 0 offset:156
	buffer_load_dword v113, off, s[0:3], 0 offset:160
	buffer_load_dword v114, off, s[0:3], 0 offset:164
	buffer_load_dword v115, off, s[0:3], 0 offset:168
	buffer_load_dword v116, off, s[0:3], 0 offset:172
	buffer_load_dword v117, off, s[0:3], 0 offset:176
	buffer_load_dword v118, off, s[0:3], 0 offset:180
	buffer_load_dword v119, off, s[0:3], 0 offset:184
	buffer_load_dword v120, off, s[0:3], 0 offset:188
	buffer_load_dword v122, off, s[0:3], 0 offset:196
	buffer_load_dword v123, off, s[0:3], 0 offset:216
	buffer_load_dword v125, off, s[0:3], 0 offset:208
	buffer_load_dword v127, off, s[0:3], 0 offset:200
	buffer_load_dword v121, off, s[0:3], 0 offset:192
	buffer_load_dword v128, off, s[0:3], 0 offset:204
	buffer_load_dword v126, off, s[0:3], 0 offset:212
	buffer_load_dword v124, off, s[0:3], 0 offset:220
	v_mov_b32_e32 v98, 0
	ds_read2_b64 v[99:102], v98 offset0:65 offset1:66
	ds_read2_b64 v[103:106], v98 offset0:67 offset1:68
	v_cmp_lt_u32_e32 vcc, 15, v0
	s_waitcnt vmcnt(20) lgkmcnt(1)
	v_fma_f64 v[99:100], v[107:108], v[99:100], 0
	s_waitcnt vmcnt(18)
	v_fma_f64 v[99:100], v[109:110], v[101:102], v[99:100]
	buffer_load_dword v108, off, s[0:3], 0 offset:228
	buffer_load_dword v109, off, s[0:3], 0 offset:248
	;; [unrolled: 1-line block ×7, first 2 shown]
	s_waitcnt vmcnt(23) lgkmcnt(0)
	v_fma_f64 v[99:100], v[111:112], v[103:104], v[99:100]
	s_waitcnt vmcnt(21)
	v_fma_f64 v[110:111], v[113:114], v[105:106], v[99:100]
	ds_read2_b64 v[99:102], v98 offset0:69 offset1:70
	ds_read2_b64 v[103:106], v98 offset0:71 offset1:72
	s_waitcnt vmcnt(19) lgkmcnt(1)
	v_fma_f64 v[99:100], v[115:116], v[99:100], v[110:111]
	buffer_load_dword v110, off, s[0:3], 0 offset:252
	s_waitcnt vmcnt(18)
	v_fma_f64 v[99:100], v[117:118], v[101:102], v[99:100]
	buffer_load_dword v112, off, s[0:3], 0 offset:260
	buffer_load_dword v113, off, s[0:3], 0 offset:280
	;; [unrolled: 1-line block ×7, first 2 shown]
	s_waitcnt vmcnt(23) lgkmcnt(0)
	v_fma_f64 v[99:100], v[119:120], v[103:104], v[99:100]
	s_waitcnt vmcnt(18)
	v_fma_f64 v[119:120], v[121:122], v[105:106], v[99:100]
	ds_read2_b64 v[99:102], v98 offset0:73 offset1:74
	ds_read2_b64 v[103:106], v98 offset0:75 offset1:76
	buffer_load_dword v114, off, s[0:3], 0 offset:284
	s_waitcnt vmcnt(18) lgkmcnt(1)
	v_fma_f64 v[99:100], v[127:128], v[99:100], v[119:120]
	s_waitcnt vmcnt(17)
	v_fma_f64 v[99:100], v[125:126], v[101:102], v[99:100]
	buffer_load_dword v120, off, s[0:3], 0 offset:292
	buffer_load_dword v121, off, s[0:3], 0 offset:312
	buffer_load_dword v125, off, s[0:3], 0 offset:304
	buffer_load_dword v127, off, s[0:3], 0 offset:296
	buffer_load_dword v119, off, s[0:3], 0 offset:288
	buffer_load_dword v128, off, s[0:3], 0 offset:300
	buffer_load_dword v126, off, s[0:3], 0 offset:308
	buffer_load_dword v122, off, s[0:3], 0 offset:316
	s_waitcnt vmcnt(24) lgkmcnt(0)
	v_fma_f64 v[99:100], v[123:124], v[103:104], v[99:100]
	s_waitcnt vmcnt(19)
	v_fma_f64 v[107:108], v[107:108], v[105:106], v[99:100]
	ds_read2_b64 v[99:102], v98 offset0:77 offset1:78
	ds_read2_b64 v[103:106], v98 offset0:79 offset1:80
	s_waitcnt vmcnt(18) lgkmcnt(1)
	v_fma_f64 v[99:100], v[131:132], v[99:100], v[107:108]
	s_waitcnt vmcnt(17)
	v_fma_f64 v[99:100], v[129:130], v[101:102], v[99:100]
	buffer_load_dword v108, off, s[0:3], 0 offset:324
	buffer_load_dword v123, off, s[0:3], 0 offset:344
	buffer_load_dword v129, off, s[0:3], 0 offset:336
	buffer_load_dword v131, off, s[0:3], 0 offset:328
	buffer_load_dword v107, off, s[0:3], 0 offset:320
	buffer_load_dword v132, off, s[0:3], 0 offset:332
	buffer_load_dword v130, off, s[0:3], 0 offset:340
	buffer_load_dword v124, off, s[0:3], 0 offset:348
	s_waitcnt vmcnt(24) lgkmcnt(0)
	v_fma_f64 v[99:100], v[109:110], v[103:104], v[99:100]
	s_waitcnt vmcnt(19)
	v_fma_f64 v[109:110], v[111:112], v[105:106], v[99:100]
	ds_read2_b64 v[99:102], v98 offset0:81 offset1:82
	ds_read2_b64 v[103:106], v98 offset0:83 offset1:84
	s_waitcnt vmcnt(18) lgkmcnt(1)
	v_fma_f64 v[99:100], v[117:118], v[99:100], v[109:110]
	s_waitcnt vmcnt(17)
	v_fma_f64 v[99:100], v[115:116], v[101:102], v[99:100]
	buffer_load_dword v110, off, s[0:3], 0 offset:356
	buffer_load_dword v111, off, s[0:3], 0 offset:376
	buffer_load_dword v115, off, s[0:3], 0 offset:368
	buffer_load_dword v117, off, s[0:3], 0 offset:360
	buffer_load_dword v109, off, s[0:3], 0 offset:352
	buffer_load_dword v118, off, s[0:3], 0 offset:364
	buffer_load_dword v116, off, s[0:3], 0 offset:372
	buffer_load_dword v112, off, s[0:3], 0 offset:380
	s_waitcnt vmcnt(24) lgkmcnt(0)
	v_fma_f64 v[99:100], v[113:114], v[103:104], v[99:100]
	s_waitcnt vmcnt(19)
	v_fma_f64 v[113:114], v[119:120], v[105:106], v[99:100]
	ds_read2_b64 v[99:102], v98 offset0:85 offset1:86
	ds_read2_b64 v[103:106], v98 offset0:87 offset1:88
	s_waitcnt vmcnt(18) lgkmcnt(1)
	v_fma_f64 v[99:100], v[127:128], v[99:100], v[113:114]
	buffer_load_dword v113, off, s[0:3], 0 offset:128
	buffer_load_dword v114, off, s[0:3], 0 offset:132
	s_waitcnt vmcnt(19)
	v_fma_f64 v[99:100], v[125:126], v[101:102], v[99:100]
	s_waitcnt vmcnt(18) lgkmcnt(0)
	v_fma_f64 v[99:100], v[121:122], v[103:104], v[99:100]
	s_waitcnt vmcnt(13)
	v_fma_f64 v[107:108], v[107:108], v[105:106], v[99:100]
	ds_read2_b64 v[99:102], v98 offset0:89 offset1:90
	ds_read2_b64 v[103:106], v98 offset0:91 offset1:92
	s_waitcnt vmcnt(12) lgkmcnt(1)
	v_fma_f64 v[99:100], v[131:132], v[99:100], v[107:108]
	s_waitcnt vmcnt(11)
	v_fma_f64 v[99:100], v[129:130], v[101:102], v[99:100]
	s_waitcnt vmcnt(10) lgkmcnt(0)
	v_fma_f64 v[99:100], v[123:124], v[103:104], v[99:100]
	s_waitcnt vmcnt(5)
	v_fma_f64 v[103:104], v[109:110], v[105:106], v[99:100]
	ds_read2_b64 v[99:102], v98 offset0:93 offset1:94
	ds_read_b64 v[105:106], v98 offset:760
	s_waitcnt vmcnt(4) lgkmcnt(1)
	v_fma_f64 v[99:100], v[117:118], v[99:100], v[103:104]
	s_waitcnt vmcnt(3)
	v_fma_f64 v[99:100], v[115:116], v[101:102], v[99:100]
	s_waitcnt vmcnt(2) lgkmcnt(0)
	v_fma_f64 v[99:100], v[111:112], v[105:106], v[99:100]
	s_waitcnt vmcnt(0)
	v_add_f64 v[99:100], v[113:114], -v[99:100]
	buffer_store_dword v100, off, s[0:3], 0 offset:132
	buffer_store_dword v99, off, s[0:3], 0 offset:128
	s_and_saveexec_b64 s[4:5], vcc
	s_cbranch_execz .LBB47_265
; %bb.264:
	buffer_load_dword v99, off, s[0:3], 0 offset:120
	buffer_load_dword v100, off, s[0:3], 0 offset:124
	s_waitcnt vmcnt(0)
	ds_write_b64 v97, v[99:100]
	buffer_store_dword v98, off, s[0:3], 0 offset:120
	buffer_store_dword v98, off, s[0:3], 0 offset:124
.LBB47_265:
	s_or_b64 exec, exec, s[4:5]
	s_waitcnt lgkmcnt(0)
	; wave barrier
	buffer_load_dword v107, off, s[0:3], 0 offset:128
	buffer_load_dword v108, off, s[0:3], 0 offset:132
	;; [unrolled: 1-line block ×22, first 2 shown]
	ds_read_b128 v[99:102], v98 offset:512
	ds_read_b128 v[103:106], v98 offset:528
	v_cmp_lt_u32_e32 vcc, 14, v0
	s_waitcnt vmcnt(20) lgkmcnt(1)
	v_fma_f64 v[99:100], v[107:108], v[99:100], 0
	s_waitcnt vmcnt(18)
	v_fma_f64 v[99:100], v[109:110], v[101:102], v[99:100]
	buffer_load_dword v108, off, s[0:3], 0 offset:220
	buffer_load_dword v109, off, s[0:3], 0 offset:240
	;; [unrolled: 1-line block ×7, first 2 shown]
	s_waitcnt vmcnt(23) lgkmcnt(0)
	v_fma_f64 v[99:100], v[111:112], v[103:104], v[99:100]
	s_waitcnt vmcnt(21)
	v_fma_f64 v[110:111], v[113:114], v[105:106], v[99:100]
	ds_read_b128 v[99:102], v98 offset:544
	ds_read_b128 v[103:106], v98 offset:560
	s_waitcnt vmcnt(19) lgkmcnt(1)
	v_fma_f64 v[99:100], v[115:116], v[99:100], v[110:111]
	buffer_load_dword v110, off, s[0:3], 0 offset:244
	s_waitcnt vmcnt(18)
	v_fma_f64 v[99:100], v[117:118], v[101:102], v[99:100]
	buffer_load_dword v112, off, s[0:3], 0 offset:252
	buffer_load_dword v113, off, s[0:3], 0 offset:272
	;; [unrolled: 1-line block ×7, first 2 shown]
	s_waitcnt vmcnt(23) lgkmcnt(0)
	v_fma_f64 v[99:100], v[119:120], v[103:104], v[99:100]
	s_waitcnt vmcnt(18)
	v_fma_f64 v[119:120], v[121:122], v[105:106], v[99:100]
	ds_read_b128 v[99:102], v98 offset:576
	ds_read_b128 v[103:106], v98 offset:592
	buffer_load_dword v114, off, s[0:3], 0 offset:276
	s_waitcnt vmcnt(18) lgkmcnt(1)
	v_fma_f64 v[99:100], v[127:128], v[99:100], v[119:120]
	s_waitcnt vmcnt(17)
	v_fma_f64 v[99:100], v[125:126], v[101:102], v[99:100]
	buffer_load_dword v120, off, s[0:3], 0 offset:284
	buffer_load_dword v121, off, s[0:3], 0 offset:304
	buffer_load_dword v125, off, s[0:3], 0 offset:296
	buffer_load_dword v127, off, s[0:3], 0 offset:288
	buffer_load_dword v119, off, s[0:3], 0 offset:280
	buffer_load_dword v128, off, s[0:3], 0 offset:292
	buffer_load_dword v126, off, s[0:3], 0 offset:300
	buffer_load_dword v122, off, s[0:3], 0 offset:308
	s_waitcnt vmcnt(24) lgkmcnt(0)
	v_fma_f64 v[99:100], v[123:124], v[103:104], v[99:100]
	s_waitcnt vmcnt(19)
	v_fma_f64 v[107:108], v[107:108], v[105:106], v[99:100]
	ds_read_b128 v[99:102], v98 offset:608
	ds_read_b128 v[103:106], v98 offset:624
	s_waitcnt vmcnt(18) lgkmcnt(1)
	v_fma_f64 v[99:100], v[131:132], v[99:100], v[107:108]
	s_waitcnt vmcnt(17)
	v_fma_f64 v[99:100], v[129:130], v[101:102], v[99:100]
	buffer_load_dword v108, off, s[0:3], 0 offset:316
	buffer_load_dword v123, off, s[0:3], 0 offset:336
	buffer_load_dword v129, off, s[0:3], 0 offset:328
	buffer_load_dword v131, off, s[0:3], 0 offset:320
	buffer_load_dword v107, off, s[0:3], 0 offset:312
	buffer_load_dword v132, off, s[0:3], 0 offset:324
	buffer_load_dword v130, off, s[0:3], 0 offset:332
	buffer_load_dword v124, off, s[0:3], 0 offset:340
	s_waitcnt vmcnt(24) lgkmcnt(0)
	v_fma_f64 v[99:100], v[109:110], v[103:104], v[99:100]
	s_waitcnt vmcnt(19)
	v_fma_f64 v[109:110], v[111:112], v[105:106], v[99:100]
	ds_read_b128 v[99:102], v98 offset:640
	ds_read_b128 v[103:106], v98 offset:656
	;; [unrolled: 18-line block ×3, first 2 shown]
	s_waitcnt vmcnt(18) lgkmcnt(1)
	v_fma_f64 v[99:100], v[127:128], v[99:100], v[113:114]
	buffer_load_dword v114, off, s[0:3], 0 offset:380
	buffer_load_dword v113, off, s[0:3], 0 offset:376
	buffer_load_dword v119, off, s[0:3], 0 offset:120
	buffer_load_dword v120, off, s[0:3], 0 offset:124
	s_waitcnt vmcnt(21)
	v_fma_f64 v[99:100], v[125:126], v[101:102], v[99:100]
	s_waitcnt vmcnt(20) lgkmcnt(0)
	v_fma_f64 v[99:100], v[121:122], v[103:104], v[99:100]
	s_waitcnt vmcnt(15)
	v_fma_f64 v[107:108], v[107:108], v[105:106], v[99:100]
	ds_read_b128 v[99:102], v98 offset:704
	ds_read_b128 v[103:106], v98 offset:720
	s_waitcnt vmcnt(14) lgkmcnt(1)
	v_fma_f64 v[99:100], v[131:132], v[99:100], v[107:108]
	s_waitcnt vmcnt(13)
	v_fma_f64 v[99:100], v[129:130], v[101:102], v[99:100]
	s_waitcnt vmcnt(12) lgkmcnt(0)
	v_fma_f64 v[99:100], v[123:124], v[103:104], v[99:100]
	s_waitcnt vmcnt(7)
	v_fma_f64 v[107:108], v[109:110], v[105:106], v[99:100]
	ds_read_b128 v[99:102], v98 offset:736
	ds_read_b128 v[103:106], v98 offset:752
	s_waitcnt vmcnt(6) lgkmcnt(1)
	v_fma_f64 v[98:99], v[117:118], v[99:100], v[107:108]
	s_waitcnt vmcnt(5)
	v_fma_f64 v[98:99], v[115:116], v[101:102], v[98:99]
	s_waitcnt vmcnt(4) lgkmcnt(0)
	v_fma_f64 v[98:99], v[111:112], v[103:104], v[98:99]
	s_waitcnt vmcnt(2)
	v_fma_f64 v[98:99], v[113:114], v[105:106], v[98:99]
	s_waitcnt vmcnt(0)
	v_add_f64 v[98:99], v[119:120], -v[98:99]
	buffer_store_dword v99, off, s[0:3], 0 offset:124
	buffer_store_dword v98, off, s[0:3], 0 offset:120
	s_and_saveexec_b64 s[4:5], vcc
	s_cbranch_execz .LBB47_267
; %bb.266:
	buffer_load_dword v98, off, s[0:3], 0 offset:112
	buffer_load_dword v99, off, s[0:3], 0 offset:116
	v_mov_b32_e32 v100, 0
	buffer_store_dword v100, off, s[0:3], 0 offset:112
	buffer_store_dword v100, off, s[0:3], 0 offset:116
	s_waitcnt vmcnt(2)
	ds_write_b64 v97, v[98:99]
.LBB47_267:
	s_or_b64 exec, exec, s[4:5]
	s_waitcnt lgkmcnt(0)
	; wave barrier
	buffer_load_dword v107, off, s[0:3], 0 offset:120
	buffer_load_dword v108, off, s[0:3], 0 offset:124
	;; [unrolled: 1-line block ×21, first 2 shown]
	v_mov_b32_e32 v98, 0
	ds_read2_b64 v[99:102], v98 offset0:63 offset1:64
	ds_read2_b64 v[103:106], v98 offset0:65 offset1:66
	buffer_load_dword v124, off, s[0:3], 0 offset:204
	v_cmp_lt_u32_e32 vcc, 13, v0
	s_waitcnt vmcnt(20) lgkmcnt(1)
	v_fma_f64 v[99:100], v[107:108], v[99:100], 0
	s_waitcnt vmcnt(18)
	v_fma_f64 v[99:100], v[109:110], v[101:102], v[99:100]
	buffer_load_dword v108, off, s[0:3], 0 offset:212
	buffer_load_dword v109, off, s[0:3], 0 offset:232
	;; [unrolled: 1-line block ×7, first 2 shown]
	s_waitcnt vmcnt(23) lgkmcnt(0)
	v_fma_f64 v[99:100], v[111:112], v[103:104], v[99:100]
	s_waitcnt vmcnt(21)
	v_fma_f64 v[110:111], v[113:114], v[105:106], v[99:100]
	ds_read2_b64 v[99:102], v98 offset0:67 offset1:68
	ds_read2_b64 v[103:106], v98 offset0:69 offset1:70
	s_waitcnt vmcnt(19) lgkmcnt(1)
	v_fma_f64 v[99:100], v[115:116], v[99:100], v[110:111]
	buffer_load_dword v110, off, s[0:3], 0 offset:236
	s_waitcnt vmcnt(18)
	v_fma_f64 v[99:100], v[117:118], v[101:102], v[99:100]
	buffer_load_dword v112, off, s[0:3], 0 offset:244
	buffer_load_dword v113, off, s[0:3], 0 offset:264
	;; [unrolled: 1-line block ×7, first 2 shown]
	s_waitcnt vmcnt(23) lgkmcnt(0)
	v_fma_f64 v[99:100], v[119:120], v[103:104], v[99:100]
	s_waitcnt vmcnt(18)
	v_fma_f64 v[119:120], v[121:122], v[105:106], v[99:100]
	ds_read2_b64 v[99:102], v98 offset0:71 offset1:72
	ds_read2_b64 v[103:106], v98 offset0:73 offset1:74
	buffer_load_dword v114, off, s[0:3], 0 offset:268
	s_waitcnt vmcnt(18) lgkmcnt(1)
	v_fma_f64 v[99:100], v[127:128], v[99:100], v[119:120]
	s_waitcnt vmcnt(17)
	v_fma_f64 v[99:100], v[125:126], v[101:102], v[99:100]
	buffer_load_dword v120, off, s[0:3], 0 offset:276
	buffer_load_dword v121, off, s[0:3], 0 offset:296
	;; [unrolled: 1-line block ×7, first 2 shown]
	s_waitcnt vmcnt(23) lgkmcnt(0)
	v_fma_f64 v[99:100], v[123:124], v[103:104], v[99:100]
	s_waitcnt vmcnt(18)
	v_fma_f64 v[107:108], v[107:108], v[105:106], v[99:100]
	ds_read2_b64 v[99:102], v98 offset0:75 offset1:76
	ds_read2_b64 v[103:106], v98 offset0:77 offset1:78
	buffer_load_dword v122, off, s[0:3], 0 offset:300
	s_waitcnt vmcnt(18) lgkmcnt(1)
	v_fma_f64 v[99:100], v[131:132], v[99:100], v[107:108]
	s_waitcnt vmcnt(17)
	v_fma_f64 v[99:100], v[129:130], v[101:102], v[99:100]
	buffer_load_dword v108, off, s[0:3], 0 offset:308
	buffer_load_dword v123, off, s[0:3], 0 offset:328
	buffer_load_dword v129, off, s[0:3], 0 offset:320
	buffer_load_dword v131, off, s[0:3], 0 offset:312
	buffer_load_dword v107, off, s[0:3], 0 offset:304
	buffer_load_dword v132, off, s[0:3], 0 offset:316
	buffer_load_dword v130, off, s[0:3], 0 offset:324
	buffer_load_dword v124, off, s[0:3], 0 offset:332
	s_waitcnt vmcnt(24) lgkmcnt(0)
	v_fma_f64 v[99:100], v[109:110], v[103:104], v[99:100]
	s_waitcnt vmcnt(19)
	v_fma_f64 v[109:110], v[111:112], v[105:106], v[99:100]
	ds_read2_b64 v[99:102], v98 offset0:79 offset1:80
	ds_read2_b64 v[103:106], v98 offset0:81 offset1:82
	s_waitcnt vmcnt(18) lgkmcnt(1)
	v_fma_f64 v[99:100], v[117:118], v[99:100], v[109:110]
	s_waitcnt vmcnt(17)
	v_fma_f64 v[99:100], v[115:116], v[101:102], v[99:100]
	buffer_load_dword v110, off, s[0:3], 0 offset:340
	buffer_load_dword v111, off, s[0:3], 0 offset:360
	buffer_load_dword v115, off, s[0:3], 0 offset:352
	buffer_load_dword v117, off, s[0:3], 0 offset:344
	buffer_load_dword v109, off, s[0:3], 0 offset:336
	buffer_load_dword v118, off, s[0:3], 0 offset:348
	buffer_load_dword v116, off, s[0:3], 0 offset:356
	s_waitcnt vmcnt(23) lgkmcnt(0)
	v_fma_f64 v[99:100], v[113:114], v[103:104], v[99:100]
	s_waitcnt vmcnt(18)
	v_fma_f64 v[112:113], v[119:120], v[105:106], v[99:100]
	ds_read2_b64 v[99:102], v98 offset0:83 offset1:84
	ds_read2_b64 v[103:106], v98 offset0:85 offset1:86
	s_waitcnt vmcnt(17) lgkmcnt(1)
	v_fma_f64 v[99:100], v[127:128], v[99:100], v[112:113]
	buffer_load_dword v112, off, s[0:3], 0 offset:364
	buffer_load_dword v114, off, s[0:3], 0 offset:372
	;; [unrolled: 1-line block ×5, first 2 shown]
	s_waitcnt vmcnt(21)
	v_fma_f64 v[99:100], v[125:126], v[101:102], v[99:100]
	s_waitcnt vmcnt(20) lgkmcnt(0)
	v_fma_f64 v[99:100], v[121:122], v[103:104], v[99:100]
	buffer_load_dword v121, off, s[0:3], 0 offset:112
	buffer_load_dword v122, off, s[0:3], 0 offset:116
	s_waitcnt vmcnt(17)
	v_fma_f64 v[107:108], v[107:108], v[105:106], v[99:100]
	ds_read2_b64 v[99:102], v98 offset0:87 offset1:88
	ds_read2_b64 v[103:106], v98 offset0:89 offset1:90
	s_waitcnt vmcnt(16) lgkmcnt(1)
	v_fma_f64 v[99:100], v[131:132], v[99:100], v[107:108]
	s_waitcnt vmcnt(15)
	v_fma_f64 v[99:100], v[129:130], v[101:102], v[99:100]
	s_waitcnt vmcnt(14) lgkmcnt(0)
	v_fma_f64 v[99:100], v[123:124], v[103:104], v[99:100]
	s_waitcnt vmcnt(9)
	v_fma_f64 v[107:108], v[109:110], v[105:106], v[99:100]
	ds_read2_b64 v[99:102], v98 offset0:91 offset1:92
	ds_read2_b64 v[103:106], v98 offset0:93 offset1:94
	s_waitcnt vmcnt(8) lgkmcnt(1)
	v_fma_f64 v[99:100], v[117:118], v[99:100], v[107:108]
	s_waitcnt vmcnt(7)
	v_fma_f64 v[99:100], v[115:116], v[101:102], v[99:100]
	ds_read_b64 v[101:102], v98 offset:760
	s_waitcnt vmcnt(6) lgkmcnt(1)
	v_fma_f64 v[99:100], v[111:112], v[103:104], v[99:100]
	s_waitcnt vmcnt(3)
	v_fma_f64 v[99:100], v[113:114], v[105:106], v[99:100]
	s_waitcnt vmcnt(2) lgkmcnt(0)
	v_fma_f64 v[99:100], v[119:120], v[101:102], v[99:100]
	s_waitcnt vmcnt(0)
	v_add_f64 v[99:100], v[121:122], -v[99:100]
	buffer_store_dword v100, off, s[0:3], 0 offset:116
	buffer_store_dword v99, off, s[0:3], 0 offset:112
	s_and_saveexec_b64 s[4:5], vcc
	s_cbranch_execz .LBB47_269
; %bb.268:
	buffer_load_dword v99, off, s[0:3], 0 offset:104
	buffer_load_dword v100, off, s[0:3], 0 offset:108
	s_waitcnt vmcnt(0)
	ds_write_b64 v97, v[99:100]
	buffer_store_dword v98, off, s[0:3], 0 offset:104
	buffer_store_dword v98, off, s[0:3], 0 offset:108
.LBB47_269:
	s_or_b64 exec, exec, s[4:5]
	s_waitcnt lgkmcnt(0)
	; wave barrier
	buffer_load_dword v107, off, s[0:3], 0 offset:112
	buffer_load_dword v108, off, s[0:3], 0 offset:116
	;; [unrolled: 1-line block ×21, first 2 shown]
	ds_read_b128 v[99:102], v98 offset:496
	ds_read_b128 v[103:106], v98 offset:512
	buffer_load_dword v124, off, s[0:3], 0 offset:196
	v_cmp_lt_u32_e32 vcc, 12, v0
	s_waitcnt vmcnt(20) lgkmcnt(1)
	v_fma_f64 v[99:100], v[107:108], v[99:100], 0
	s_waitcnt vmcnt(18)
	v_fma_f64 v[99:100], v[109:110], v[101:102], v[99:100]
	buffer_load_dword v108, off, s[0:3], 0 offset:204
	buffer_load_dword v109, off, s[0:3], 0 offset:224
	buffer_load_dword v129, off, s[0:3], 0 offset:216
	buffer_load_dword v131, off, s[0:3], 0 offset:208
	buffer_load_dword v107, off, s[0:3], 0 offset:200
	buffer_load_dword v132, off, s[0:3], 0 offset:212
	buffer_load_dword v130, off, s[0:3], 0 offset:220
	s_waitcnt vmcnt(23) lgkmcnt(0)
	v_fma_f64 v[99:100], v[111:112], v[103:104], v[99:100]
	s_waitcnt vmcnt(21)
	v_fma_f64 v[110:111], v[113:114], v[105:106], v[99:100]
	ds_read_b128 v[99:102], v98 offset:528
	ds_read_b128 v[103:106], v98 offset:544
	s_waitcnt vmcnt(19) lgkmcnt(1)
	v_fma_f64 v[99:100], v[115:116], v[99:100], v[110:111]
	buffer_load_dword v110, off, s[0:3], 0 offset:228
	s_waitcnt vmcnt(18)
	v_fma_f64 v[99:100], v[117:118], v[101:102], v[99:100]
	buffer_load_dword v112, off, s[0:3], 0 offset:236
	buffer_load_dword v113, off, s[0:3], 0 offset:256
	;; [unrolled: 1-line block ×8, first 2 shown]
	s_waitcnt vmcnt(24) lgkmcnt(0)
	v_fma_f64 v[99:100], v[119:120], v[103:104], v[99:100]
	s_waitcnt vmcnt(19)
	v_fma_f64 v[119:120], v[121:122], v[105:106], v[99:100]
	ds_read_b128 v[99:102], v98 offset:560
	ds_read_b128 v[103:106], v98 offset:576
	s_waitcnt vmcnt(18) lgkmcnt(1)
	v_fma_f64 v[99:100], v[127:128], v[99:100], v[119:120]
	s_waitcnt vmcnt(17)
	v_fma_f64 v[99:100], v[125:126], v[101:102], v[99:100]
	buffer_load_dword v120, off, s[0:3], 0 offset:268
	buffer_load_dword v121, off, s[0:3], 0 offset:288
	;; [unrolled: 1-line block ×7, first 2 shown]
	s_waitcnt vmcnt(23) lgkmcnt(0)
	v_fma_f64 v[99:100], v[123:124], v[103:104], v[99:100]
	s_waitcnt vmcnt(18)
	v_fma_f64 v[107:108], v[107:108], v[105:106], v[99:100]
	ds_read_b128 v[99:102], v98 offset:592
	ds_read_b128 v[103:106], v98 offset:608
	buffer_load_dword v122, off, s[0:3], 0 offset:292
	s_waitcnt vmcnt(18) lgkmcnt(1)
	v_fma_f64 v[99:100], v[131:132], v[99:100], v[107:108]
	s_waitcnt vmcnt(17)
	v_fma_f64 v[99:100], v[129:130], v[101:102], v[99:100]
	buffer_load_dword v108, off, s[0:3], 0 offset:300
	buffer_load_dword v123, off, s[0:3], 0 offset:320
	;; [unrolled: 1-line block ×8, first 2 shown]
	s_waitcnt vmcnt(24) lgkmcnt(0)
	v_fma_f64 v[99:100], v[109:110], v[103:104], v[99:100]
	s_waitcnt vmcnt(19)
	v_fma_f64 v[109:110], v[111:112], v[105:106], v[99:100]
	ds_read_b128 v[99:102], v98 offset:624
	ds_read_b128 v[103:106], v98 offset:640
	s_waitcnt vmcnt(18) lgkmcnt(1)
	v_fma_f64 v[99:100], v[117:118], v[99:100], v[109:110]
	s_waitcnt vmcnt(17)
	v_fma_f64 v[99:100], v[115:116], v[101:102], v[99:100]
	buffer_load_dword v110, off, s[0:3], 0 offset:332
	buffer_load_dword v111, off, s[0:3], 0 offset:352
	;; [unrolled: 1-line block ×7, first 2 shown]
	s_waitcnt vmcnt(23) lgkmcnt(0)
	v_fma_f64 v[99:100], v[113:114], v[103:104], v[99:100]
	s_waitcnt vmcnt(18)
	v_fma_f64 v[112:113], v[119:120], v[105:106], v[99:100]
	ds_read_b128 v[99:102], v98 offset:656
	ds_read_b128 v[103:106], v98 offset:672
	s_waitcnt vmcnt(17) lgkmcnt(1)
	v_fma_f64 v[99:100], v[127:128], v[99:100], v[112:113]
	buffer_load_dword v112, off, s[0:3], 0 offset:356
	s_waitcnt vmcnt(17)
	v_fma_f64 v[99:100], v[125:126], v[101:102], v[99:100]
	buffer_load_dword v114, off, s[0:3], 0 offset:364
	buffer_load_dword v119, off, s[0:3], 0 offset:376
	;; [unrolled: 1-line block ×6, first 2 shown]
	s_waitcnt vmcnt(22) lgkmcnt(0)
	v_fma_f64 v[99:100], v[121:122], v[103:104], v[99:100]
	s_waitcnt vmcnt(17)
	v_fma_f64 v[107:108], v[107:108], v[105:106], v[99:100]
	ds_read_b128 v[99:102], v98 offset:688
	buffer_load_dword v121, off, s[0:3], 0 offset:104
	buffer_load_dword v122, off, s[0:3], 0 offset:108
	ds_read_b128 v[103:106], v98 offset:704
	s_waitcnt vmcnt(18) lgkmcnt(1)
	v_fma_f64 v[99:100], v[131:132], v[99:100], v[107:108]
	s_waitcnt vmcnt(17)
	v_fma_f64 v[99:100], v[129:130], v[101:102], v[99:100]
	s_waitcnt vmcnt(16) lgkmcnt(0)
	v_fma_f64 v[99:100], v[123:124], v[103:104], v[99:100]
	s_waitcnt vmcnt(11)
	v_fma_f64 v[107:108], v[109:110], v[105:106], v[99:100]
	ds_read_b128 v[99:102], v98 offset:720
	ds_read_b128 v[103:106], v98 offset:736
	s_waitcnt vmcnt(10) lgkmcnt(1)
	v_fma_f64 v[99:100], v[117:118], v[99:100], v[107:108]
	s_waitcnt vmcnt(9)
	v_fma_f64 v[99:100], v[115:116], v[101:102], v[99:100]
	s_waitcnt vmcnt(8) lgkmcnt(0)
	v_fma_f64 v[99:100], v[111:112], v[103:104], v[99:100]
	s_waitcnt vmcnt(4)
	v_fma_f64 v[102:103], v[113:114], v[105:106], v[99:100]
	ds_read_b128 v[98:101], v98 offset:752
	s_waitcnt vmcnt(3) lgkmcnt(0)
	v_fma_f64 v[98:99], v[125:126], v[98:99], v[102:103]
	s_waitcnt vmcnt(2)
	v_fma_f64 v[98:99], v[119:120], v[100:101], v[98:99]
	s_waitcnt vmcnt(0)
	v_add_f64 v[98:99], v[121:122], -v[98:99]
	buffer_store_dword v99, off, s[0:3], 0 offset:108
	buffer_store_dword v98, off, s[0:3], 0 offset:104
	s_and_saveexec_b64 s[4:5], vcc
	s_cbranch_execz .LBB47_271
; %bb.270:
	buffer_load_dword v98, off, s[0:3], 0 offset:96
	buffer_load_dword v99, off, s[0:3], 0 offset:100
	v_mov_b32_e32 v100, 0
	buffer_store_dword v100, off, s[0:3], 0 offset:96
	buffer_store_dword v100, off, s[0:3], 0 offset:100
	s_waitcnt vmcnt(2)
	ds_write_b64 v97, v[98:99]
.LBB47_271:
	s_or_b64 exec, exec, s[4:5]
	s_waitcnt lgkmcnt(0)
	; wave barrier
	buffer_load_dword v107, off, s[0:3], 0 offset:104
	buffer_load_dword v108, off, s[0:3], 0 offset:108
	;; [unrolled: 1-line block ×21, first 2 shown]
	v_mov_b32_e32 v98, 0
	ds_read2_b64 v[99:102], v98 offset0:61 offset1:62
	ds_read2_b64 v[103:106], v98 offset0:63 offset1:64
	buffer_load_dword v124, off, s[0:3], 0 offset:188
	v_cmp_lt_u32_e32 vcc, 11, v0
	s_waitcnt vmcnt(20) lgkmcnt(1)
	v_fma_f64 v[99:100], v[107:108], v[99:100], 0
	s_waitcnt vmcnt(18)
	v_fma_f64 v[99:100], v[109:110], v[101:102], v[99:100]
	buffer_load_dword v108, off, s[0:3], 0 offset:196
	buffer_load_dword v109, off, s[0:3], 0 offset:216
	;; [unrolled: 1-line block ×7, first 2 shown]
	s_waitcnt vmcnt(23) lgkmcnt(0)
	v_fma_f64 v[99:100], v[111:112], v[103:104], v[99:100]
	s_waitcnt vmcnt(21)
	v_fma_f64 v[110:111], v[113:114], v[105:106], v[99:100]
	ds_read2_b64 v[99:102], v98 offset0:65 offset1:66
	ds_read2_b64 v[103:106], v98 offset0:67 offset1:68
	s_waitcnt vmcnt(19) lgkmcnt(1)
	v_fma_f64 v[99:100], v[115:116], v[99:100], v[110:111]
	buffer_load_dword v110, off, s[0:3], 0 offset:220
	s_waitcnt vmcnt(18)
	v_fma_f64 v[99:100], v[117:118], v[101:102], v[99:100]
	buffer_load_dword v112, off, s[0:3], 0 offset:228
	buffer_load_dword v113, off, s[0:3], 0 offset:248
	;; [unrolled: 1-line block ×8, first 2 shown]
	s_waitcnt vmcnt(24) lgkmcnt(0)
	v_fma_f64 v[99:100], v[119:120], v[103:104], v[99:100]
	s_waitcnt vmcnt(19)
	v_fma_f64 v[119:120], v[121:122], v[105:106], v[99:100]
	ds_read2_b64 v[99:102], v98 offset0:69 offset1:70
	ds_read2_b64 v[103:106], v98 offset0:71 offset1:72
	s_waitcnt vmcnt(18) lgkmcnt(1)
	v_fma_f64 v[99:100], v[127:128], v[99:100], v[119:120]
	s_waitcnt vmcnt(17)
	v_fma_f64 v[99:100], v[125:126], v[101:102], v[99:100]
	buffer_load_dword v120, off, s[0:3], 0 offset:260
	buffer_load_dword v121, off, s[0:3], 0 offset:280
	;; [unrolled: 1-line block ×7, first 2 shown]
	s_waitcnt vmcnt(23) lgkmcnt(0)
	v_fma_f64 v[99:100], v[123:124], v[103:104], v[99:100]
	s_waitcnt vmcnt(18)
	v_fma_f64 v[107:108], v[107:108], v[105:106], v[99:100]
	ds_read2_b64 v[99:102], v98 offset0:73 offset1:74
	ds_read2_b64 v[103:106], v98 offset0:75 offset1:76
	buffer_load_dword v122, off, s[0:3], 0 offset:284
	s_waitcnt vmcnt(18) lgkmcnt(1)
	v_fma_f64 v[99:100], v[131:132], v[99:100], v[107:108]
	s_waitcnt vmcnt(17)
	v_fma_f64 v[99:100], v[129:130], v[101:102], v[99:100]
	buffer_load_dword v108, off, s[0:3], 0 offset:292
	buffer_load_dword v123, off, s[0:3], 0 offset:312
	;; [unrolled: 1-line block ×8, first 2 shown]
	s_waitcnt vmcnt(24) lgkmcnt(0)
	v_fma_f64 v[99:100], v[109:110], v[103:104], v[99:100]
	s_waitcnt vmcnt(19)
	v_fma_f64 v[109:110], v[111:112], v[105:106], v[99:100]
	ds_read2_b64 v[99:102], v98 offset0:77 offset1:78
	ds_read2_b64 v[103:106], v98 offset0:79 offset1:80
	s_waitcnt vmcnt(18) lgkmcnt(1)
	v_fma_f64 v[99:100], v[117:118], v[99:100], v[109:110]
	s_waitcnt vmcnt(17)
	v_fma_f64 v[99:100], v[115:116], v[101:102], v[99:100]
	buffer_load_dword v110, off, s[0:3], 0 offset:324
	buffer_load_dword v111, off, s[0:3], 0 offset:344
	;; [unrolled: 1-line block ×7, first 2 shown]
	s_waitcnt vmcnt(23) lgkmcnt(0)
	v_fma_f64 v[99:100], v[113:114], v[103:104], v[99:100]
	s_waitcnt vmcnt(18)
	v_fma_f64 v[112:113], v[119:120], v[105:106], v[99:100]
	ds_read2_b64 v[99:102], v98 offset0:81 offset1:82
	ds_read2_b64 v[103:106], v98 offset0:83 offset1:84
	s_waitcnt vmcnt(17) lgkmcnt(1)
	v_fma_f64 v[99:100], v[127:128], v[99:100], v[112:113]
	buffer_load_dword v112, off, s[0:3], 0 offset:348
	s_waitcnt vmcnt(17)
	v_fma_f64 v[99:100], v[125:126], v[101:102], v[99:100]
	buffer_load_dword v114, off, s[0:3], 0 offset:356
	buffer_load_dword v119, off, s[0:3], 0 offset:376
	;; [unrolled: 1-line block ×8, first 2 shown]
	s_waitcnt vmcnt(24) lgkmcnt(0)
	v_fma_f64 v[99:100], v[121:122], v[103:104], v[99:100]
	s_waitcnt vmcnt(19)
	v_fma_f64 v[107:108], v[107:108], v[105:106], v[99:100]
	ds_read2_b64 v[99:102], v98 offset0:85 offset1:86
	ds_read2_b64 v[103:106], v98 offset0:87 offset1:88
	s_waitcnt vmcnt(18) lgkmcnt(1)
	v_fma_f64 v[99:100], v[131:132], v[99:100], v[107:108]
	buffer_load_dword v107, off, s[0:3], 0 offset:96
	buffer_load_dword v108, off, s[0:3], 0 offset:100
	s_waitcnt vmcnt(19)
	v_fma_f64 v[99:100], v[129:130], v[101:102], v[99:100]
	s_waitcnt vmcnt(18) lgkmcnt(0)
	v_fma_f64 v[99:100], v[123:124], v[103:104], v[99:100]
	s_waitcnt vmcnt(13)
	v_fma_f64 v[109:110], v[109:110], v[105:106], v[99:100]
	ds_read2_b64 v[99:102], v98 offset0:89 offset1:90
	ds_read2_b64 v[103:106], v98 offset0:91 offset1:92
	s_waitcnt vmcnt(12) lgkmcnt(1)
	v_fma_f64 v[99:100], v[117:118], v[99:100], v[109:110]
	s_waitcnt vmcnt(11)
	v_fma_f64 v[99:100], v[115:116], v[101:102], v[99:100]
	s_waitcnt vmcnt(10) lgkmcnt(0)
	v_fma_f64 v[99:100], v[111:112], v[103:104], v[99:100]
	s_waitcnt vmcnt(5)
	v_fma_f64 v[103:104], v[113:114], v[105:106], v[99:100]
	ds_read2_b64 v[99:102], v98 offset0:93 offset1:94
	ds_read_b64 v[105:106], v98 offset:760
	s_waitcnt vmcnt(4) lgkmcnt(1)
	v_fma_f64 v[99:100], v[127:128], v[99:100], v[103:104]
	s_waitcnt vmcnt(3)
	v_fma_f64 v[99:100], v[125:126], v[101:102], v[99:100]
	s_waitcnt vmcnt(2) lgkmcnt(0)
	v_fma_f64 v[99:100], v[119:120], v[105:106], v[99:100]
	s_waitcnt vmcnt(0)
	v_add_f64 v[99:100], v[107:108], -v[99:100]
	buffer_store_dword v100, off, s[0:3], 0 offset:100
	buffer_store_dword v99, off, s[0:3], 0 offset:96
	s_and_saveexec_b64 s[4:5], vcc
	s_cbranch_execz .LBB47_273
; %bb.272:
	buffer_load_dword v99, off, s[0:3], 0 offset:88
	buffer_load_dword v100, off, s[0:3], 0 offset:92
	s_waitcnt vmcnt(0)
	ds_write_b64 v97, v[99:100]
	buffer_store_dword v98, off, s[0:3], 0 offset:88
	buffer_store_dword v98, off, s[0:3], 0 offset:92
.LBB47_273:
	s_or_b64 exec, exec, s[4:5]
	s_waitcnt lgkmcnt(0)
	; wave barrier
	buffer_load_dword v107, off, s[0:3], 0 offset:96
	buffer_load_dword v108, off, s[0:3], 0 offset:100
	;; [unrolled: 1-line block ×21, first 2 shown]
	ds_read_b128 v[99:102], v98 offset:480
	ds_read_b128 v[103:106], v98 offset:496
	buffer_load_dword v124, off, s[0:3], 0 offset:180
	v_cmp_lt_u32_e32 vcc, 10, v0
	s_waitcnt vmcnt(20) lgkmcnt(1)
	v_fma_f64 v[99:100], v[107:108], v[99:100], 0
	s_waitcnt vmcnt(18)
	v_fma_f64 v[99:100], v[109:110], v[101:102], v[99:100]
	buffer_load_dword v108, off, s[0:3], 0 offset:188
	buffer_load_dword v109, off, s[0:3], 0 offset:208
	;; [unrolled: 1-line block ×7, first 2 shown]
	s_waitcnt vmcnt(23) lgkmcnt(0)
	v_fma_f64 v[99:100], v[111:112], v[103:104], v[99:100]
	s_waitcnt vmcnt(21)
	v_fma_f64 v[110:111], v[113:114], v[105:106], v[99:100]
	ds_read_b128 v[99:102], v98 offset:512
	ds_read_b128 v[103:106], v98 offset:528
	s_waitcnt vmcnt(19) lgkmcnt(1)
	v_fma_f64 v[99:100], v[115:116], v[99:100], v[110:111]
	buffer_load_dword v110, off, s[0:3], 0 offset:212
	s_waitcnt vmcnt(18)
	v_fma_f64 v[99:100], v[117:118], v[101:102], v[99:100]
	buffer_load_dword v112, off, s[0:3], 0 offset:220
	buffer_load_dword v113, off, s[0:3], 0 offset:240
	;; [unrolled: 1-line block ×8, first 2 shown]
	s_waitcnt vmcnt(24) lgkmcnt(0)
	v_fma_f64 v[99:100], v[119:120], v[103:104], v[99:100]
	s_waitcnt vmcnt(19)
	v_fma_f64 v[119:120], v[121:122], v[105:106], v[99:100]
	ds_read_b128 v[99:102], v98 offset:544
	ds_read_b128 v[103:106], v98 offset:560
	s_waitcnt vmcnt(18) lgkmcnt(1)
	v_fma_f64 v[99:100], v[127:128], v[99:100], v[119:120]
	s_waitcnt vmcnt(17)
	v_fma_f64 v[99:100], v[125:126], v[101:102], v[99:100]
	buffer_load_dword v120, off, s[0:3], 0 offset:252
	buffer_load_dword v121, off, s[0:3], 0 offset:272
	;; [unrolled: 1-line block ×7, first 2 shown]
	s_waitcnt vmcnt(23) lgkmcnt(0)
	v_fma_f64 v[99:100], v[123:124], v[103:104], v[99:100]
	s_waitcnt vmcnt(18)
	v_fma_f64 v[107:108], v[107:108], v[105:106], v[99:100]
	ds_read_b128 v[99:102], v98 offset:576
	ds_read_b128 v[103:106], v98 offset:592
	buffer_load_dword v122, off, s[0:3], 0 offset:276
	s_waitcnt vmcnt(18) lgkmcnt(1)
	v_fma_f64 v[99:100], v[131:132], v[99:100], v[107:108]
	s_waitcnt vmcnt(17)
	v_fma_f64 v[99:100], v[129:130], v[101:102], v[99:100]
	buffer_load_dword v108, off, s[0:3], 0 offset:284
	buffer_load_dword v123, off, s[0:3], 0 offset:304
	;; [unrolled: 1-line block ×8, first 2 shown]
	s_waitcnt vmcnt(24) lgkmcnt(0)
	v_fma_f64 v[99:100], v[109:110], v[103:104], v[99:100]
	s_waitcnt vmcnt(19)
	v_fma_f64 v[109:110], v[111:112], v[105:106], v[99:100]
	ds_read_b128 v[99:102], v98 offset:608
	ds_read_b128 v[103:106], v98 offset:624
	s_waitcnt vmcnt(18) lgkmcnt(1)
	v_fma_f64 v[99:100], v[117:118], v[99:100], v[109:110]
	s_waitcnt vmcnt(17)
	v_fma_f64 v[99:100], v[115:116], v[101:102], v[99:100]
	buffer_load_dword v110, off, s[0:3], 0 offset:316
	buffer_load_dword v111, off, s[0:3], 0 offset:336
	;; [unrolled: 1-line block ×7, first 2 shown]
	s_waitcnt vmcnt(23) lgkmcnt(0)
	v_fma_f64 v[99:100], v[113:114], v[103:104], v[99:100]
	s_waitcnt vmcnt(18)
	v_fma_f64 v[112:113], v[119:120], v[105:106], v[99:100]
	ds_read_b128 v[99:102], v98 offset:640
	ds_read_b128 v[103:106], v98 offset:656
	s_waitcnt vmcnt(17) lgkmcnt(1)
	v_fma_f64 v[99:100], v[127:128], v[99:100], v[112:113]
	buffer_load_dword v112, off, s[0:3], 0 offset:340
	s_waitcnt vmcnt(17)
	v_fma_f64 v[99:100], v[125:126], v[101:102], v[99:100]
	buffer_load_dword v114, off, s[0:3], 0 offset:348
	buffer_load_dword v119, off, s[0:3], 0 offset:368
	;; [unrolled: 1-line block ×8, first 2 shown]
	s_waitcnt vmcnt(24) lgkmcnt(0)
	v_fma_f64 v[99:100], v[121:122], v[103:104], v[99:100]
	s_waitcnt vmcnt(19)
	v_fma_f64 v[107:108], v[107:108], v[105:106], v[99:100]
	ds_read_b128 v[99:102], v98 offset:672
	ds_read_b128 v[103:106], v98 offset:688
	s_waitcnt vmcnt(18) lgkmcnt(1)
	v_fma_f64 v[99:100], v[131:132], v[99:100], v[107:108]
	buffer_load_dword v108, off, s[0:3], 0 offset:380
	buffer_load_dword v107, off, s[0:3], 0 offset:376
	;; [unrolled: 1-line block ×4, first 2 shown]
	s_waitcnt vmcnt(21)
	v_fma_f64 v[99:100], v[129:130], v[101:102], v[99:100]
	s_waitcnt vmcnt(20) lgkmcnt(0)
	v_fma_f64 v[99:100], v[123:124], v[103:104], v[99:100]
	s_waitcnt vmcnt(15)
	v_fma_f64 v[109:110], v[109:110], v[105:106], v[99:100]
	ds_read_b128 v[99:102], v98 offset:704
	ds_read_b128 v[103:106], v98 offset:720
	s_waitcnt vmcnt(14) lgkmcnt(1)
	v_fma_f64 v[99:100], v[117:118], v[99:100], v[109:110]
	s_waitcnt vmcnt(13)
	v_fma_f64 v[99:100], v[115:116], v[101:102], v[99:100]
	s_waitcnt vmcnt(12) lgkmcnt(0)
	v_fma_f64 v[99:100], v[111:112], v[103:104], v[99:100]
	s_waitcnt vmcnt(7)
	v_fma_f64 v[109:110], v[113:114], v[105:106], v[99:100]
	ds_read_b128 v[99:102], v98 offset:736
	ds_read_b128 v[103:106], v98 offset:752
	s_waitcnt vmcnt(6) lgkmcnt(1)
	v_fma_f64 v[98:99], v[127:128], v[99:100], v[109:110]
	s_waitcnt vmcnt(5)
	v_fma_f64 v[98:99], v[125:126], v[101:102], v[98:99]
	s_waitcnt vmcnt(4) lgkmcnt(0)
	v_fma_f64 v[98:99], v[119:120], v[103:104], v[98:99]
	s_waitcnt vmcnt(2)
	v_fma_f64 v[98:99], v[107:108], v[105:106], v[98:99]
	s_waitcnt vmcnt(0)
	v_add_f64 v[98:99], v[121:122], -v[98:99]
	buffer_store_dword v99, off, s[0:3], 0 offset:92
	buffer_store_dword v98, off, s[0:3], 0 offset:88
	s_and_saveexec_b64 s[4:5], vcc
	s_cbranch_execz .LBB47_275
; %bb.274:
	buffer_load_dword v98, off, s[0:3], 0 offset:80
	buffer_load_dword v99, off, s[0:3], 0 offset:84
	v_mov_b32_e32 v100, 0
	buffer_store_dword v100, off, s[0:3], 0 offset:80
	buffer_store_dword v100, off, s[0:3], 0 offset:84
	s_waitcnt vmcnt(2)
	ds_write_b64 v97, v[98:99]
.LBB47_275:
	s_or_b64 exec, exec, s[4:5]
	s_waitcnt lgkmcnt(0)
	; wave barrier
	buffer_load_dword v107, off, s[0:3], 0 offset:88
	buffer_load_dword v108, off, s[0:3], 0 offset:92
	;; [unrolled: 1-line block ×21, first 2 shown]
	v_mov_b32_e32 v98, 0
	ds_read2_b64 v[99:102], v98 offset0:59 offset1:60
	ds_read2_b64 v[103:106], v98 offset0:61 offset1:62
	buffer_load_dword v124, off, s[0:3], 0 offset:172
	v_cmp_lt_u32_e32 vcc, 9, v0
	s_waitcnt vmcnt(20) lgkmcnt(1)
	v_fma_f64 v[99:100], v[107:108], v[99:100], 0
	s_waitcnt vmcnt(18)
	v_fma_f64 v[99:100], v[109:110], v[101:102], v[99:100]
	buffer_load_dword v108, off, s[0:3], 0 offset:180
	buffer_load_dword v109, off, s[0:3], 0 offset:200
	buffer_load_dword v129, off, s[0:3], 0 offset:192
	buffer_load_dword v131, off, s[0:3], 0 offset:184
	buffer_load_dword v107, off, s[0:3], 0 offset:176
	buffer_load_dword v132, off, s[0:3], 0 offset:188
	buffer_load_dword v130, off, s[0:3], 0 offset:196
	s_waitcnt vmcnt(23) lgkmcnt(0)
	v_fma_f64 v[99:100], v[111:112], v[103:104], v[99:100]
	s_waitcnt vmcnt(21)
	v_fma_f64 v[110:111], v[113:114], v[105:106], v[99:100]
	ds_read2_b64 v[99:102], v98 offset0:63 offset1:64
	ds_read2_b64 v[103:106], v98 offset0:65 offset1:66
	s_waitcnt vmcnt(19) lgkmcnt(1)
	v_fma_f64 v[99:100], v[115:116], v[99:100], v[110:111]
	buffer_load_dword v110, off, s[0:3], 0 offset:204
	s_waitcnt vmcnt(18)
	v_fma_f64 v[99:100], v[117:118], v[101:102], v[99:100]
	buffer_load_dword v112, off, s[0:3], 0 offset:212
	buffer_load_dword v113, off, s[0:3], 0 offset:232
	;; [unrolled: 1-line block ×8, first 2 shown]
	s_waitcnt vmcnt(24) lgkmcnt(0)
	v_fma_f64 v[99:100], v[119:120], v[103:104], v[99:100]
	s_waitcnt vmcnt(19)
	v_fma_f64 v[119:120], v[121:122], v[105:106], v[99:100]
	ds_read2_b64 v[99:102], v98 offset0:67 offset1:68
	ds_read2_b64 v[103:106], v98 offset0:69 offset1:70
	s_waitcnt vmcnt(18) lgkmcnt(1)
	v_fma_f64 v[99:100], v[127:128], v[99:100], v[119:120]
	s_waitcnt vmcnt(17)
	v_fma_f64 v[99:100], v[125:126], v[101:102], v[99:100]
	buffer_load_dword v120, off, s[0:3], 0 offset:244
	buffer_load_dword v121, off, s[0:3], 0 offset:264
	;; [unrolled: 1-line block ×7, first 2 shown]
	s_waitcnt vmcnt(23) lgkmcnt(0)
	v_fma_f64 v[99:100], v[123:124], v[103:104], v[99:100]
	s_waitcnt vmcnt(18)
	v_fma_f64 v[107:108], v[107:108], v[105:106], v[99:100]
	ds_read2_b64 v[99:102], v98 offset0:71 offset1:72
	ds_read2_b64 v[103:106], v98 offset0:73 offset1:74
	buffer_load_dword v122, off, s[0:3], 0 offset:268
	s_waitcnt vmcnt(18) lgkmcnt(1)
	v_fma_f64 v[99:100], v[131:132], v[99:100], v[107:108]
	s_waitcnt vmcnt(17)
	v_fma_f64 v[99:100], v[129:130], v[101:102], v[99:100]
	buffer_load_dword v108, off, s[0:3], 0 offset:276
	buffer_load_dword v123, off, s[0:3], 0 offset:296
	;; [unrolled: 1-line block ×7, first 2 shown]
	s_waitcnt vmcnt(23) lgkmcnt(0)
	v_fma_f64 v[99:100], v[109:110], v[103:104], v[99:100]
	s_waitcnt vmcnt(18)
	v_fma_f64 v[109:110], v[111:112], v[105:106], v[99:100]
	ds_read2_b64 v[99:102], v98 offset0:75 offset1:76
	ds_read2_b64 v[103:106], v98 offset0:77 offset1:78
	buffer_load_dword v124, off, s[0:3], 0 offset:300
	s_waitcnt vmcnt(18) lgkmcnt(1)
	v_fma_f64 v[99:100], v[117:118], v[99:100], v[109:110]
	s_waitcnt vmcnt(17)
	v_fma_f64 v[99:100], v[115:116], v[101:102], v[99:100]
	buffer_load_dword v110, off, s[0:3], 0 offset:308
	buffer_load_dword v111, off, s[0:3], 0 offset:328
	;; [unrolled: 1-line block ×7, first 2 shown]
	s_waitcnt vmcnt(23) lgkmcnt(0)
	v_fma_f64 v[99:100], v[113:114], v[103:104], v[99:100]
	s_waitcnt vmcnt(18)
	v_fma_f64 v[112:113], v[119:120], v[105:106], v[99:100]
	ds_read2_b64 v[99:102], v98 offset0:79 offset1:80
	ds_read2_b64 v[103:106], v98 offset0:81 offset1:82
	s_waitcnt vmcnt(17) lgkmcnt(1)
	v_fma_f64 v[99:100], v[127:128], v[99:100], v[112:113]
	buffer_load_dword v112, off, s[0:3], 0 offset:332
	s_waitcnt vmcnt(17)
	v_fma_f64 v[99:100], v[125:126], v[101:102], v[99:100]
	buffer_load_dword v114, off, s[0:3], 0 offset:340
	buffer_load_dword v119, off, s[0:3], 0 offset:360
	;; [unrolled: 1-line block ×7, first 2 shown]
	s_waitcnt vmcnt(23) lgkmcnt(0)
	v_fma_f64 v[99:100], v[121:122], v[103:104], v[99:100]
	s_waitcnt vmcnt(18)
	v_fma_f64 v[107:108], v[107:108], v[105:106], v[99:100]
	ds_read2_b64 v[99:102], v98 offset0:83 offset1:84
	ds_read2_b64 v[103:106], v98 offset0:85 offset1:86
	buffer_load_dword v120, off, s[0:3], 0 offset:364
	s_waitcnt vmcnt(18) lgkmcnt(1)
	v_fma_f64 v[99:100], v[131:132], v[99:100], v[107:108]
	buffer_load_dword v108, off, s[0:3], 0 offset:372
	buffer_load_dword v121, off, s[0:3], 0 offset:376
	;; [unrolled: 1-line block ×4, first 2 shown]
	s_waitcnt vmcnt(21)
	v_fma_f64 v[99:100], v[129:130], v[101:102], v[99:100]
	s_waitcnt vmcnt(20) lgkmcnt(0)
	v_fma_f64 v[99:100], v[123:124], v[103:104], v[99:100]
	buffer_load_dword v123, off, s[0:3], 0 offset:80
	buffer_load_dword v124, off, s[0:3], 0 offset:84
	s_waitcnt vmcnt(17)
	v_fma_f64 v[109:110], v[109:110], v[105:106], v[99:100]
	ds_read2_b64 v[99:102], v98 offset0:87 offset1:88
	ds_read2_b64 v[103:106], v98 offset0:89 offset1:90
	s_waitcnt vmcnt(16) lgkmcnt(1)
	v_fma_f64 v[99:100], v[117:118], v[99:100], v[109:110]
	s_waitcnt vmcnt(15)
	v_fma_f64 v[99:100], v[115:116], v[101:102], v[99:100]
	s_waitcnt vmcnt(14) lgkmcnt(0)
	v_fma_f64 v[99:100], v[111:112], v[103:104], v[99:100]
	s_waitcnt vmcnt(9)
	v_fma_f64 v[109:110], v[113:114], v[105:106], v[99:100]
	ds_read2_b64 v[99:102], v98 offset0:91 offset1:92
	ds_read2_b64 v[103:106], v98 offset0:93 offset1:94
	s_waitcnt vmcnt(8) lgkmcnt(1)
	v_fma_f64 v[99:100], v[127:128], v[99:100], v[109:110]
	s_waitcnt vmcnt(7)
	v_fma_f64 v[99:100], v[125:126], v[101:102], v[99:100]
	ds_read_b64 v[101:102], v98 offset:760
	s_waitcnt vmcnt(6) lgkmcnt(1)
	v_fma_f64 v[99:100], v[119:120], v[103:104], v[99:100]
	s_waitcnt vmcnt(3)
	v_fma_f64 v[99:100], v[107:108], v[105:106], v[99:100]
	s_waitcnt vmcnt(2) lgkmcnt(0)
	v_fma_f64 v[99:100], v[121:122], v[101:102], v[99:100]
	s_waitcnt vmcnt(0)
	v_add_f64 v[99:100], v[123:124], -v[99:100]
	buffer_store_dword v100, off, s[0:3], 0 offset:84
	buffer_store_dword v99, off, s[0:3], 0 offset:80
	s_and_saveexec_b64 s[4:5], vcc
	s_cbranch_execz .LBB47_277
; %bb.276:
	buffer_load_dword v99, off, s[0:3], 0 offset:72
	buffer_load_dword v100, off, s[0:3], 0 offset:76
	s_waitcnt vmcnt(0)
	ds_write_b64 v97, v[99:100]
	buffer_store_dword v98, off, s[0:3], 0 offset:72
	buffer_store_dword v98, off, s[0:3], 0 offset:76
.LBB47_277:
	s_or_b64 exec, exec, s[4:5]
	s_waitcnt lgkmcnt(0)
	; wave barrier
	buffer_load_dword v107, off, s[0:3], 0 offset:80
	buffer_load_dword v108, off, s[0:3], 0 offset:84
	;; [unrolled: 1-line block ×22, first 2 shown]
	ds_read_b128 v[99:102], v98 offset:464
	ds_read_b128 v[103:106], v98 offset:480
	v_cmp_lt_u32_e32 vcc, 8, v0
	s_waitcnt vmcnt(20) lgkmcnt(1)
	v_fma_f64 v[99:100], v[107:108], v[99:100], 0
	s_waitcnt vmcnt(18)
	v_fma_f64 v[99:100], v[109:110], v[101:102], v[99:100]
	buffer_load_dword v108, off, s[0:3], 0 offset:172
	buffer_load_dword v109, off, s[0:3], 0 offset:192
	;; [unrolled: 1-line block ×7, first 2 shown]
	s_waitcnt vmcnt(23) lgkmcnt(0)
	v_fma_f64 v[99:100], v[111:112], v[103:104], v[99:100]
	s_waitcnt vmcnt(21)
	v_fma_f64 v[110:111], v[113:114], v[105:106], v[99:100]
	ds_read_b128 v[99:102], v98 offset:496
	ds_read_b128 v[103:106], v98 offset:512
	s_waitcnt vmcnt(19) lgkmcnt(1)
	v_fma_f64 v[99:100], v[115:116], v[99:100], v[110:111]
	buffer_load_dword v110, off, s[0:3], 0 offset:196
	s_waitcnt vmcnt(18)
	v_fma_f64 v[99:100], v[117:118], v[101:102], v[99:100]
	buffer_load_dword v112, off, s[0:3], 0 offset:204
	buffer_load_dword v113, off, s[0:3], 0 offset:224
	;; [unrolled: 1-line block ×8, first 2 shown]
	s_waitcnt vmcnt(24) lgkmcnt(0)
	v_fma_f64 v[99:100], v[119:120], v[103:104], v[99:100]
	s_waitcnt vmcnt(19)
	v_fma_f64 v[119:120], v[121:122], v[105:106], v[99:100]
	ds_read_b128 v[99:102], v98 offset:528
	ds_read_b128 v[103:106], v98 offset:544
	s_waitcnt vmcnt(18) lgkmcnt(1)
	v_fma_f64 v[99:100], v[127:128], v[99:100], v[119:120]
	s_waitcnt vmcnt(17)
	v_fma_f64 v[99:100], v[125:126], v[101:102], v[99:100]
	buffer_load_dword v120, off, s[0:3], 0 offset:236
	buffer_load_dword v121, off, s[0:3], 0 offset:256
	;; [unrolled: 1-line block ×8, first 2 shown]
	s_waitcnt vmcnt(24) lgkmcnt(0)
	v_fma_f64 v[99:100], v[123:124], v[103:104], v[99:100]
	s_waitcnt vmcnt(19)
	v_fma_f64 v[107:108], v[107:108], v[105:106], v[99:100]
	ds_read_b128 v[99:102], v98 offset:560
	ds_read_b128 v[103:106], v98 offset:576
	s_waitcnt vmcnt(18) lgkmcnt(1)
	v_fma_f64 v[99:100], v[131:132], v[99:100], v[107:108]
	s_waitcnt vmcnt(17)
	v_fma_f64 v[99:100], v[129:130], v[101:102], v[99:100]
	buffer_load_dword v108, off, s[0:3], 0 offset:268
	buffer_load_dword v123, off, s[0:3], 0 offset:288
	buffer_load_dword v129, off, s[0:3], 0 offset:280
	buffer_load_dword v131, off, s[0:3], 0 offset:272
	buffer_load_dword v107, off, s[0:3], 0 offset:264
	buffer_load_dword v132, off, s[0:3], 0 offset:276
	buffer_load_dword v130, off, s[0:3], 0 offset:284
	s_waitcnt vmcnt(23) lgkmcnt(0)
	v_fma_f64 v[99:100], v[109:110], v[103:104], v[99:100]
	s_waitcnt vmcnt(18)
	v_fma_f64 v[109:110], v[111:112], v[105:106], v[99:100]
	ds_read_b128 v[99:102], v98 offset:592
	ds_read_b128 v[103:106], v98 offset:608
	buffer_load_dword v124, off, s[0:3], 0 offset:292
	s_waitcnt vmcnt(18) lgkmcnt(1)
	v_fma_f64 v[99:100], v[117:118], v[99:100], v[109:110]
	s_waitcnt vmcnt(17)
	v_fma_f64 v[99:100], v[115:116], v[101:102], v[99:100]
	buffer_load_dword v110, off, s[0:3], 0 offset:300
	buffer_load_dword v111, off, s[0:3], 0 offset:320
	;; [unrolled: 1-line block ×7, first 2 shown]
	s_waitcnt vmcnt(23) lgkmcnt(0)
	v_fma_f64 v[99:100], v[113:114], v[103:104], v[99:100]
	s_waitcnt vmcnt(18)
	v_fma_f64 v[112:113], v[119:120], v[105:106], v[99:100]
	ds_read_b128 v[99:102], v98 offset:624
	ds_read_b128 v[103:106], v98 offset:640
	s_waitcnt vmcnt(17) lgkmcnt(1)
	v_fma_f64 v[99:100], v[127:128], v[99:100], v[112:113]
	buffer_load_dword v112, off, s[0:3], 0 offset:324
	s_waitcnt vmcnt(17)
	v_fma_f64 v[99:100], v[125:126], v[101:102], v[99:100]
	buffer_load_dword v114, off, s[0:3], 0 offset:332
	buffer_load_dword v119, off, s[0:3], 0 offset:352
	buffer_load_dword v125, off, s[0:3], 0 offset:344
	buffer_load_dword v127, off, s[0:3], 0 offset:336
	buffer_load_dword v113, off, s[0:3], 0 offset:328
	buffer_load_dword v128, off, s[0:3], 0 offset:340
	buffer_load_dword v126, off, s[0:3], 0 offset:348
	buffer_load_dword v120, off, s[0:3], 0 offset:356
	s_waitcnt vmcnt(24) lgkmcnt(0)
	v_fma_f64 v[99:100], v[121:122], v[103:104], v[99:100]
	s_waitcnt vmcnt(19)
	v_fma_f64 v[107:108], v[107:108], v[105:106], v[99:100]
	ds_read_b128 v[99:102], v98 offset:656
	ds_read_b128 v[103:106], v98 offset:672
	s_waitcnt vmcnt(18) lgkmcnt(1)
	v_fma_f64 v[99:100], v[131:132], v[99:100], v[107:108]
	s_waitcnt vmcnt(17)
	v_fma_f64 v[99:100], v[129:130], v[101:102], v[99:100]
	buffer_load_dword v108, off, s[0:3], 0 offset:364
	buffer_load_dword v121, off, s[0:3], 0 offset:376
	;; [unrolled: 1-line block ×6, first 2 shown]
	s_waitcnt vmcnt(22) lgkmcnt(0)
	v_fma_f64 v[99:100], v[123:124], v[103:104], v[99:100]
	s_waitcnt vmcnt(17)
	v_fma_f64 v[109:110], v[109:110], v[105:106], v[99:100]
	ds_read_b128 v[99:102], v98 offset:688
	buffer_load_dword v123, off, s[0:3], 0 offset:72
	buffer_load_dword v124, off, s[0:3], 0 offset:76
	ds_read_b128 v[103:106], v98 offset:704
	s_waitcnt vmcnt(18) lgkmcnt(1)
	v_fma_f64 v[99:100], v[117:118], v[99:100], v[109:110]
	s_waitcnt vmcnt(17)
	v_fma_f64 v[99:100], v[115:116], v[101:102], v[99:100]
	s_waitcnt vmcnt(16) lgkmcnt(0)
	v_fma_f64 v[99:100], v[111:112], v[103:104], v[99:100]
	s_waitcnt vmcnt(11)
	v_fma_f64 v[109:110], v[113:114], v[105:106], v[99:100]
	ds_read_b128 v[99:102], v98 offset:720
	ds_read_b128 v[103:106], v98 offset:736
	s_waitcnt vmcnt(10) lgkmcnt(1)
	v_fma_f64 v[99:100], v[127:128], v[99:100], v[109:110]
	s_waitcnt vmcnt(9)
	v_fma_f64 v[99:100], v[125:126], v[101:102], v[99:100]
	s_waitcnt vmcnt(8) lgkmcnt(0)
	v_fma_f64 v[99:100], v[119:120], v[103:104], v[99:100]
	s_waitcnt vmcnt(4)
	v_fma_f64 v[102:103], v[107:108], v[105:106], v[99:100]
	ds_read_b128 v[98:101], v98 offset:752
	s_waitcnt vmcnt(3) lgkmcnt(0)
	v_fma_f64 v[98:99], v[129:130], v[98:99], v[102:103]
	s_waitcnt vmcnt(2)
	v_fma_f64 v[98:99], v[121:122], v[100:101], v[98:99]
	s_waitcnt vmcnt(0)
	v_add_f64 v[98:99], v[123:124], -v[98:99]
	buffer_store_dword v99, off, s[0:3], 0 offset:76
	buffer_store_dword v98, off, s[0:3], 0 offset:72
	s_and_saveexec_b64 s[4:5], vcc
	s_cbranch_execz .LBB47_279
; %bb.278:
	buffer_load_dword v98, off, s[0:3], 0 offset:64
	buffer_load_dword v99, off, s[0:3], 0 offset:68
	v_mov_b32_e32 v100, 0
	buffer_store_dword v100, off, s[0:3], 0 offset:64
	buffer_store_dword v100, off, s[0:3], 0 offset:68
	s_waitcnt vmcnt(2)
	ds_write_b64 v97, v[98:99]
.LBB47_279:
	s_or_b64 exec, exec, s[4:5]
	s_waitcnt lgkmcnt(0)
	; wave barrier
	buffer_load_dword v107, off, s[0:3], 0 offset:72
	buffer_load_dword v108, off, s[0:3], 0 offset:76
	;; [unrolled: 1-line block ×22, first 2 shown]
	v_mov_b32_e32 v98, 0
	ds_read2_b64 v[99:102], v98 offset0:57 offset1:58
	ds_read2_b64 v[103:106], v98 offset0:59 offset1:60
	v_cmp_lt_u32_e32 vcc, 7, v0
	s_waitcnt vmcnt(20) lgkmcnt(1)
	v_fma_f64 v[99:100], v[107:108], v[99:100], 0
	s_waitcnt vmcnt(18)
	v_fma_f64 v[99:100], v[109:110], v[101:102], v[99:100]
	buffer_load_dword v108, off, s[0:3], 0 offset:164
	buffer_load_dword v109, off, s[0:3], 0 offset:184
	;; [unrolled: 1-line block ×7, first 2 shown]
	s_waitcnt vmcnt(23) lgkmcnt(0)
	v_fma_f64 v[99:100], v[111:112], v[103:104], v[99:100]
	s_waitcnt vmcnt(21)
	v_fma_f64 v[110:111], v[113:114], v[105:106], v[99:100]
	ds_read2_b64 v[99:102], v98 offset0:61 offset1:62
	ds_read2_b64 v[103:106], v98 offset0:63 offset1:64
	s_waitcnt vmcnt(19) lgkmcnt(1)
	v_fma_f64 v[99:100], v[115:116], v[99:100], v[110:111]
	buffer_load_dword v110, off, s[0:3], 0 offset:188
	s_waitcnt vmcnt(18)
	v_fma_f64 v[99:100], v[117:118], v[101:102], v[99:100]
	buffer_load_dword v112, off, s[0:3], 0 offset:196
	buffer_load_dword v113, off, s[0:3], 0 offset:216
	;; [unrolled: 1-line block ×8, first 2 shown]
	s_waitcnt vmcnt(24) lgkmcnt(0)
	v_fma_f64 v[99:100], v[119:120], v[103:104], v[99:100]
	s_waitcnt vmcnt(19)
	v_fma_f64 v[119:120], v[121:122], v[105:106], v[99:100]
	ds_read2_b64 v[99:102], v98 offset0:65 offset1:66
	ds_read2_b64 v[103:106], v98 offset0:67 offset1:68
	s_waitcnt vmcnt(18) lgkmcnt(1)
	v_fma_f64 v[99:100], v[127:128], v[99:100], v[119:120]
	s_waitcnt vmcnt(17)
	v_fma_f64 v[99:100], v[125:126], v[101:102], v[99:100]
	buffer_load_dword v120, off, s[0:3], 0 offset:228
	buffer_load_dword v121, off, s[0:3], 0 offset:248
	;; [unrolled: 1-line block ×8, first 2 shown]
	s_waitcnt vmcnt(24) lgkmcnt(0)
	v_fma_f64 v[99:100], v[123:124], v[103:104], v[99:100]
	s_waitcnt vmcnt(19)
	v_fma_f64 v[107:108], v[107:108], v[105:106], v[99:100]
	ds_read2_b64 v[99:102], v98 offset0:69 offset1:70
	ds_read2_b64 v[103:106], v98 offset0:71 offset1:72
	s_waitcnt vmcnt(18) lgkmcnt(1)
	v_fma_f64 v[99:100], v[131:132], v[99:100], v[107:108]
	s_waitcnt vmcnt(17)
	v_fma_f64 v[99:100], v[129:130], v[101:102], v[99:100]
	buffer_load_dword v108, off, s[0:3], 0 offset:260
	buffer_load_dword v123, off, s[0:3], 0 offset:280
	;; [unrolled: 1-line block ×7, first 2 shown]
	s_waitcnt vmcnt(23) lgkmcnt(0)
	v_fma_f64 v[99:100], v[109:110], v[103:104], v[99:100]
	s_waitcnt vmcnt(18)
	v_fma_f64 v[109:110], v[111:112], v[105:106], v[99:100]
	ds_read2_b64 v[99:102], v98 offset0:73 offset1:74
	ds_read2_b64 v[103:106], v98 offset0:75 offset1:76
	buffer_load_dword v124, off, s[0:3], 0 offset:284
	s_waitcnt vmcnt(18) lgkmcnt(1)
	v_fma_f64 v[99:100], v[117:118], v[99:100], v[109:110]
	s_waitcnt vmcnt(17)
	v_fma_f64 v[99:100], v[115:116], v[101:102], v[99:100]
	buffer_load_dword v110, off, s[0:3], 0 offset:292
	buffer_load_dword v111, off, s[0:3], 0 offset:312
	;; [unrolled: 1-line block ×7, first 2 shown]
	s_waitcnt vmcnt(23) lgkmcnt(0)
	v_fma_f64 v[99:100], v[113:114], v[103:104], v[99:100]
	s_waitcnt vmcnt(18)
	v_fma_f64 v[112:113], v[119:120], v[105:106], v[99:100]
	ds_read2_b64 v[99:102], v98 offset0:77 offset1:78
	ds_read2_b64 v[103:106], v98 offset0:79 offset1:80
	s_waitcnt vmcnt(17) lgkmcnt(1)
	v_fma_f64 v[99:100], v[127:128], v[99:100], v[112:113]
	buffer_load_dword v112, off, s[0:3], 0 offset:316
	s_waitcnt vmcnt(17)
	v_fma_f64 v[99:100], v[125:126], v[101:102], v[99:100]
	buffer_load_dword v114, off, s[0:3], 0 offset:324
	buffer_load_dword v119, off, s[0:3], 0 offset:344
	;; [unrolled: 1-line block ×8, first 2 shown]
	s_waitcnt vmcnt(24) lgkmcnt(0)
	v_fma_f64 v[99:100], v[121:122], v[103:104], v[99:100]
	s_waitcnt vmcnt(19)
	v_fma_f64 v[107:108], v[107:108], v[105:106], v[99:100]
	ds_read2_b64 v[99:102], v98 offset0:81 offset1:82
	ds_read2_b64 v[103:106], v98 offset0:83 offset1:84
	s_waitcnt vmcnt(18) lgkmcnt(1)
	v_fma_f64 v[99:100], v[131:132], v[99:100], v[107:108]
	s_waitcnt vmcnt(17)
	v_fma_f64 v[99:100], v[129:130], v[101:102], v[99:100]
	buffer_load_dword v108, off, s[0:3], 0 offset:356
	buffer_load_dword v121, off, s[0:3], 0 offset:376
	;; [unrolled: 1-line block ×8, first 2 shown]
	s_waitcnt vmcnt(24) lgkmcnt(0)
	v_fma_f64 v[99:100], v[123:124], v[103:104], v[99:100]
	s_waitcnt vmcnt(19)
	v_fma_f64 v[109:110], v[109:110], v[105:106], v[99:100]
	ds_read2_b64 v[99:102], v98 offset0:85 offset1:86
	ds_read2_b64 v[103:106], v98 offset0:87 offset1:88
	s_waitcnt vmcnt(18) lgkmcnt(1)
	v_fma_f64 v[99:100], v[117:118], v[99:100], v[109:110]
	buffer_load_dword v109, off, s[0:3], 0 offset:64
	buffer_load_dword v110, off, s[0:3], 0 offset:68
	s_waitcnt vmcnt(19)
	v_fma_f64 v[99:100], v[115:116], v[101:102], v[99:100]
	s_waitcnt vmcnt(18) lgkmcnt(0)
	v_fma_f64 v[99:100], v[111:112], v[103:104], v[99:100]
	s_waitcnt vmcnt(13)
	v_fma_f64 v[111:112], v[113:114], v[105:106], v[99:100]
	ds_read2_b64 v[99:102], v98 offset0:89 offset1:90
	ds_read2_b64 v[103:106], v98 offset0:91 offset1:92
	s_waitcnt vmcnt(12) lgkmcnt(1)
	v_fma_f64 v[99:100], v[127:128], v[99:100], v[111:112]
	s_waitcnt vmcnt(11)
	v_fma_f64 v[99:100], v[125:126], v[101:102], v[99:100]
	s_waitcnt vmcnt(10) lgkmcnt(0)
	v_fma_f64 v[99:100], v[119:120], v[103:104], v[99:100]
	s_waitcnt vmcnt(5)
	v_fma_f64 v[103:104], v[107:108], v[105:106], v[99:100]
	ds_read2_b64 v[99:102], v98 offset0:93 offset1:94
	ds_read_b64 v[105:106], v98 offset:760
	s_waitcnt vmcnt(4) lgkmcnt(1)
	v_fma_f64 v[99:100], v[131:132], v[99:100], v[103:104]
	s_waitcnt vmcnt(3)
	v_fma_f64 v[99:100], v[129:130], v[101:102], v[99:100]
	s_waitcnt vmcnt(2) lgkmcnt(0)
	v_fma_f64 v[99:100], v[121:122], v[105:106], v[99:100]
	s_waitcnt vmcnt(0)
	v_add_f64 v[99:100], v[109:110], -v[99:100]
	buffer_store_dword v100, off, s[0:3], 0 offset:68
	buffer_store_dword v99, off, s[0:3], 0 offset:64
	s_and_saveexec_b64 s[4:5], vcc
	s_cbranch_execz .LBB47_281
; %bb.280:
	buffer_load_dword v99, off, s[0:3], 0 offset:56
	buffer_load_dword v100, off, s[0:3], 0 offset:60
	s_waitcnt vmcnt(0)
	ds_write_b64 v97, v[99:100]
	buffer_store_dword v98, off, s[0:3], 0 offset:56
	buffer_store_dword v98, off, s[0:3], 0 offset:60
.LBB47_281:
	s_or_b64 exec, exec, s[4:5]
	s_waitcnt lgkmcnt(0)
	; wave barrier
	buffer_load_dword v107, off, s[0:3], 0 offset:64
	buffer_load_dword v108, off, s[0:3], 0 offset:68
	buffer_load_dword v109, off, s[0:3], 0 offset:72
	buffer_load_dword v110, off, s[0:3], 0 offset:76
	buffer_load_dword v111, off, s[0:3], 0 offset:80
	buffer_load_dword v112, off, s[0:3], 0 offset:84
	buffer_load_dword v113, off, s[0:3], 0 offset:88
	buffer_load_dword v114, off, s[0:3], 0 offset:92
	buffer_load_dword v115, off, s[0:3], 0 offset:96
	buffer_load_dword v116, off, s[0:3], 0 offset:100
	buffer_load_dword v117, off, s[0:3], 0 offset:104
	buffer_load_dword v118, off, s[0:3], 0 offset:108
	buffer_load_dword v119, off, s[0:3], 0 offset:112
	buffer_load_dword v120, off, s[0:3], 0 offset:116
	buffer_load_dword v122, off, s[0:3], 0 offset:124
	buffer_load_dword v123, off, s[0:3], 0 offset:144
	buffer_load_dword v125, off, s[0:3], 0 offset:136
	buffer_load_dword v127, off, s[0:3], 0 offset:128
	buffer_load_dword v121, off, s[0:3], 0 offset:120
	buffer_load_dword v128, off, s[0:3], 0 offset:132
	buffer_load_dword v126, off, s[0:3], 0 offset:140
	buffer_load_dword v124, off, s[0:3], 0 offset:148
	ds_read_b128 v[99:102], v98 offset:448
	ds_read_b128 v[103:106], v98 offset:464
	v_cmp_lt_u32_e32 vcc, 6, v0
	s_waitcnt vmcnt(20) lgkmcnt(1)
	v_fma_f64 v[99:100], v[107:108], v[99:100], 0
	s_waitcnt vmcnt(18)
	v_fma_f64 v[99:100], v[109:110], v[101:102], v[99:100]
	buffer_load_dword v108, off, s[0:3], 0 offset:156
	buffer_load_dword v109, off, s[0:3], 0 offset:176
	buffer_load_dword v129, off, s[0:3], 0 offset:168
	buffer_load_dword v131, off, s[0:3], 0 offset:160
	buffer_load_dword v107, off, s[0:3], 0 offset:152
	buffer_load_dword v132, off, s[0:3], 0 offset:164
	buffer_load_dword v130, off, s[0:3], 0 offset:172
	s_waitcnt vmcnt(23) lgkmcnt(0)
	v_fma_f64 v[99:100], v[111:112], v[103:104], v[99:100]
	s_waitcnt vmcnt(21)
	v_fma_f64 v[110:111], v[113:114], v[105:106], v[99:100]
	ds_read_b128 v[99:102], v98 offset:480
	ds_read_b128 v[103:106], v98 offset:496
	s_waitcnt vmcnt(19) lgkmcnt(1)
	v_fma_f64 v[99:100], v[115:116], v[99:100], v[110:111]
	buffer_load_dword v110, off, s[0:3], 0 offset:180
	s_waitcnt vmcnt(18)
	v_fma_f64 v[99:100], v[117:118], v[101:102], v[99:100]
	buffer_load_dword v112, off, s[0:3], 0 offset:188
	buffer_load_dword v113, off, s[0:3], 0 offset:208
	;; [unrolled: 1-line block ×8, first 2 shown]
	s_waitcnt vmcnt(24) lgkmcnt(0)
	v_fma_f64 v[99:100], v[119:120], v[103:104], v[99:100]
	s_waitcnt vmcnt(19)
	v_fma_f64 v[119:120], v[121:122], v[105:106], v[99:100]
	ds_read_b128 v[99:102], v98 offset:512
	ds_read_b128 v[103:106], v98 offset:528
	s_waitcnt vmcnt(18) lgkmcnt(1)
	v_fma_f64 v[99:100], v[127:128], v[99:100], v[119:120]
	s_waitcnt vmcnt(17)
	v_fma_f64 v[99:100], v[125:126], v[101:102], v[99:100]
	buffer_load_dword v120, off, s[0:3], 0 offset:220
	buffer_load_dword v121, off, s[0:3], 0 offset:240
	buffer_load_dword v125, off, s[0:3], 0 offset:232
	buffer_load_dword v127, off, s[0:3], 0 offset:224
	buffer_load_dword v119, off, s[0:3], 0 offset:216
	buffer_load_dword v128, off, s[0:3], 0 offset:228
	buffer_load_dword v126, off, s[0:3], 0 offset:236
	buffer_load_dword v122, off, s[0:3], 0 offset:244
	s_waitcnt vmcnt(24) lgkmcnt(0)
	v_fma_f64 v[99:100], v[123:124], v[103:104], v[99:100]
	s_waitcnt vmcnt(19)
	v_fma_f64 v[107:108], v[107:108], v[105:106], v[99:100]
	ds_read_b128 v[99:102], v98 offset:544
	ds_read_b128 v[103:106], v98 offset:560
	s_waitcnt vmcnt(18) lgkmcnt(1)
	v_fma_f64 v[99:100], v[131:132], v[99:100], v[107:108]
	s_waitcnt vmcnt(17)
	v_fma_f64 v[99:100], v[129:130], v[101:102], v[99:100]
	buffer_load_dword v108, off, s[0:3], 0 offset:252
	buffer_load_dword v123, off, s[0:3], 0 offset:272
	;; [unrolled: 1-line block ×7, first 2 shown]
	s_waitcnt vmcnt(23) lgkmcnt(0)
	v_fma_f64 v[99:100], v[109:110], v[103:104], v[99:100]
	s_waitcnt vmcnt(18)
	v_fma_f64 v[109:110], v[111:112], v[105:106], v[99:100]
	ds_read_b128 v[99:102], v98 offset:576
	ds_read_b128 v[103:106], v98 offset:592
	buffer_load_dword v124, off, s[0:3], 0 offset:276
	s_waitcnt vmcnt(18) lgkmcnt(1)
	v_fma_f64 v[99:100], v[117:118], v[99:100], v[109:110]
	s_waitcnt vmcnt(17)
	v_fma_f64 v[99:100], v[115:116], v[101:102], v[99:100]
	buffer_load_dword v110, off, s[0:3], 0 offset:284
	buffer_load_dword v111, off, s[0:3], 0 offset:304
	;; [unrolled: 1-line block ×7, first 2 shown]
	s_waitcnt vmcnt(23) lgkmcnt(0)
	v_fma_f64 v[99:100], v[113:114], v[103:104], v[99:100]
	s_waitcnt vmcnt(18)
	v_fma_f64 v[112:113], v[119:120], v[105:106], v[99:100]
	ds_read_b128 v[99:102], v98 offset:608
	ds_read_b128 v[103:106], v98 offset:624
	s_waitcnt vmcnt(17) lgkmcnt(1)
	v_fma_f64 v[99:100], v[127:128], v[99:100], v[112:113]
	buffer_load_dword v112, off, s[0:3], 0 offset:308
	s_waitcnt vmcnt(17)
	v_fma_f64 v[99:100], v[125:126], v[101:102], v[99:100]
	buffer_load_dword v114, off, s[0:3], 0 offset:316
	buffer_load_dword v119, off, s[0:3], 0 offset:336
	;; [unrolled: 1-line block ×8, first 2 shown]
	s_waitcnt vmcnt(24) lgkmcnt(0)
	v_fma_f64 v[99:100], v[121:122], v[103:104], v[99:100]
	s_waitcnt vmcnt(19)
	v_fma_f64 v[107:108], v[107:108], v[105:106], v[99:100]
	ds_read_b128 v[99:102], v98 offset:640
	ds_read_b128 v[103:106], v98 offset:656
	s_waitcnt vmcnt(18) lgkmcnt(1)
	v_fma_f64 v[99:100], v[131:132], v[99:100], v[107:108]
	s_waitcnt vmcnt(17)
	v_fma_f64 v[99:100], v[129:130], v[101:102], v[99:100]
	buffer_load_dword v108, off, s[0:3], 0 offset:348
	buffer_load_dword v121, off, s[0:3], 0 offset:368
	;; [unrolled: 1-line block ×8, first 2 shown]
	s_waitcnt vmcnt(24) lgkmcnt(0)
	v_fma_f64 v[99:100], v[123:124], v[103:104], v[99:100]
	s_waitcnt vmcnt(19)
	v_fma_f64 v[109:110], v[109:110], v[105:106], v[99:100]
	ds_read_b128 v[99:102], v98 offset:672
	ds_read_b128 v[103:106], v98 offset:688
	s_waitcnt vmcnt(18) lgkmcnt(1)
	v_fma_f64 v[99:100], v[117:118], v[99:100], v[109:110]
	buffer_load_dword v110, off, s[0:3], 0 offset:380
	buffer_load_dword v109, off, s[0:3], 0 offset:376
	s_waitcnt vmcnt(19)
	v_fma_f64 v[99:100], v[115:116], v[101:102], v[99:100]
	buffer_load_dword v115, off, s[0:3], 0 offset:56
	buffer_load_dword v116, off, s[0:3], 0 offset:60
	s_waitcnt vmcnt(20) lgkmcnt(0)
	v_fma_f64 v[99:100], v[111:112], v[103:104], v[99:100]
	s_waitcnt vmcnt(15)
	v_fma_f64 v[111:112], v[113:114], v[105:106], v[99:100]
	ds_read_b128 v[99:102], v98 offset:704
	ds_read_b128 v[103:106], v98 offset:720
	s_waitcnt vmcnt(14) lgkmcnt(1)
	v_fma_f64 v[99:100], v[127:128], v[99:100], v[111:112]
	s_waitcnt vmcnt(13)
	v_fma_f64 v[99:100], v[125:126], v[101:102], v[99:100]
	s_waitcnt vmcnt(12) lgkmcnt(0)
	v_fma_f64 v[99:100], v[119:120], v[103:104], v[99:100]
	s_waitcnt vmcnt(7)
	v_fma_f64 v[107:108], v[107:108], v[105:106], v[99:100]
	ds_read_b128 v[99:102], v98 offset:736
	ds_read_b128 v[103:106], v98 offset:752
	s_waitcnt vmcnt(6) lgkmcnt(1)
	v_fma_f64 v[98:99], v[131:132], v[99:100], v[107:108]
	s_waitcnt vmcnt(5)
	v_fma_f64 v[98:99], v[129:130], v[101:102], v[98:99]
	s_waitcnt vmcnt(4) lgkmcnt(0)
	v_fma_f64 v[98:99], v[121:122], v[103:104], v[98:99]
	s_waitcnt vmcnt(2)
	v_fma_f64 v[98:99], v[109:110], v[105:106], v[98:99]
	s_waitcnt vmcnt(0)
	v_add_f64 v[98:99], v[115:116], -v[98:99]
	buffer_store_dword v99, off, s[0:3], 0 offset:60
	buffer_store_dword v98, off, s[0:3], 0 offset:56
	s_and_saveexec_b64 s[4:5], vcc
	s_cbranch_execz .LBB47_283
; %bb.282:
	buffer_load_dword v98, off, s[0:3], 0 offset:48
	buffer_load_dword v99, off, s[0:3], 0 offset:52
	v_mov_b32_e32 v100, 0
	buffer_store_dword v100, off, s[0:3], 0 offset:48
	buffer_store_dword v100, off, s[0:3], 0 offset:52
	s_waitcnt vmcnt(2)
	ds_write_b64 v97, v[98:99]
.LBB47_283:
	s_or_b64 exec, exec, s[4:5]
	s_waitcnt lgkmcnt(0)
	; wave barrier
	buffer_load_dword v107, off, s[0:3], 0 offset:56
	buffer_load_dword v108, off, s[0:3], 0 offset:60
	;; [unrolled: 1-line block ×22, first 2 shown]
	v_mov_b32_e32 v98, 0
	ds_read2_b64 v[99:102], v98 offset0:55 offset1:56
	ds_read2_b64 v[103:106], v98 offset0:57 offset1:58
	v_cmp_lt_u32_e32 vcc, 5, v0
	s_waitcnt vmcnt(20) lgkmcnt(1)
	v_fma_f64 v[99:100], v[107:108], v[99:100], 0
	s_waitcnt vmcnt(18)
	v_fma_f64 v[99:100], v[109:110], v[101:102], v[99:100]
	buffer_load_dword v108, off, s[0:3], 0 offset:148
	buffer_load_dword v109, off, s[0:3], 0 offset:168
	;; [unrolled: 1-line block ×7, first 2 shown]
	s_waitcnt vmcnt(23) lgkmcnt(0)
	v_fma_f64 v[99:100], v[111:112], v[103:104], v[99:100]
	s_waitcnt vmcnt(21)
	v_fma_f64 v[110:111], v[113:114], v[105:106], v[99:100]
	ds_read2_b64 v[99:102], v98 offset0:59 offset1:60
	ds_read2_b64 v[103:106], v98 offset0:61 offset1:62
	s_waitcnt vmcnt(19) lgkmcnt(1)
	v_fma_f64 v[99:100], v[115:116], v[99:100], v[110:111]
	buffer_load_dword v110, off, s[0:3], 0 offset:172
	s_waitcnt vmcnt(18)
	v_fma_f64 v[99:100], v[117:118], v[101:102], v[99:100]
	buffer_load_dword v112, off, s[0:3], 0 offset:180
	buffer_load_dword v113, off, s[0:3], 0 offset:200
	;; [unrolled: 1-line block ×7, first 2 shown]
	s_waitcnt vmcnt(23) lgkmcnt(0)
	v_fma_f64 v[99:100], v[119:120], v[103:104], v[99:100]
	s_waitcnt vmcnt(18)
	v_fma_f64 v[119:120], v[121:122], v[105:106], v[99:100]
	ds_read2_b64 v[99:102], v98 offset0:63 offset1:64
	ds_read2_b64 v[103:106], v98 offset0:65 offset1:66
	buffer_load_dword v114, off, s[0:3], 0 offset:204
	s_waitcnt vmcnt(18) lgkmcnt(1)
	v_fma_f64 v[99:100], v[127:128], v[99:100], v[119:120]
	s_waitcnt vmcnt(17)
	v_fma_f64 v[99:100], v[125:126], v[101:102], v[99:100]
	buffer_load_dword v120, off, s[0:3], 0 offset:212
	buffer_load_dword v121, off, s[0:3], 0 offset:232
	;; [unrolled: 1-line block ×8, first 2 shown]
	s_waitcnt vmcnt(24) lgkmcnt(0)
	v_fma_f64 v[99:100], v[123:124], v[103:104], v[99:100]
	s_waitcnt vmcnt(19)
	v_fma_f64 v[107:108], v[107:108], v[105:106], v[99:100]
	ds_read2_b64 v[99:102], v98 offset0:67 offset1:68
	ds_read2_b64 v[103:106], v98 offset0:69 offset1:70
	s_waitcnt vmcnt(18) lgkmcnt(1)
	v_fma_f64 v[99:100], v[131:132], v[99:100], v[107:108]
	s_waitcnt vmcnt(17)
	v_fma_f64 v[99:100], v[129:130], v[101:102], v[99:100]
	buffer_load_dword v108, off, s[0:3], 0 offset:244
	buffer_load_dword v123, off, s[0:3], 0 offset:264
	;; [unrolled: 1-line block ×7, first 2 shown]
	s_waitcnt vmcnt(23) lgkmcnt(0)
	v_fma_f64 v[99:100], v[109:110], v[103:104], v[99:100]
	s_waitcnt vmcnt(18)
	v_fma_f64 v[109:110], v[111:112], v[105:106], v[99:100]
	ds_read2_b64 v[99:102], v98 offset0:71 offset1:72
	ds_read2_b64 v[103:106], v98 offset0:73 offset1:74
	buffer_load_dword v124, off, s[0:3], 0 offset:268
	s_waitcnt vmcnt(18) lgkmcnt(1)
	v_fma_f64 v[99:100], v[117:118], v[99:100], v[109:110]
	s_waitcnt vmcnt(17)
	v_fma_f64 v[99:100], v[115:116], v[101:102], v[99:100]
	buffer_load_dword v110, off, s[0:3], 0 offset:276
	buffer_load_dword v111, off, s[0:3], 0 offset:296
	;; [unrolled: 1-line block ×7, first 2 shown]
	s_waitcnt vmcnt(23) lgkmcnt(0)
	v_fma_f64 v[99:100], v[113:114], v[103:104], v[99:100]
	s_waitcnt vmcnt(18)
	v_fma_f64 v[112:113], v[119:120], v[105:106], v[99:100]
	ds_read2_b64 v[99:102], v98 offset0:75 offset1:76
	ds_read2_b64 v[103:106], v98 offset0:77 offset1:78
	s_waitcnt vmcnt(17) lgkmcnt(1)
	v_fma_f64 v[99:100], v[127:128], v[99:100], v[112:113]
	buffer_load_dword v112, off, s[0:3], 0 offset:300
	s_waitcnt vmcnt(17)
	v_fma_f64 v[99:100], v[125:126], v[101:102], v[99:100]
	buffer_load_dword v114, off, s[0:3], 0 offset:308
	buffer_load_dword v119, off, s[0:3], 0 offset:328
	;; [unrolled: 1-line block ×8, first 2 shown]
	s_waitcnt vmcnt(24) lgkmcnt(0)
	v_fma_f64 v[99:100], v[121:122], v[103:104], v[99:100]
	s_waitcnt vmcnt(19)
	v_fma_f64 v[107:108], v[107:108], v[105:106], v[99:100]
	ds_read2_b64 v[99:102], v98 offset0:79 offset1:80
	ds_read2_b64 v[103:106], v98 offset0:81 offset1:82
	s_waitcnt vmcnt(18) lgkmcnt(1)
	v_fma_f64 v[99:100], v[131:132], v[99:100], v[107:108]
	s_waitcnt vmcnt(17)
	v_fma_f64 v[99:100], v[129:130], v[101:102], v[99:100]
	buffer_load_dword v108, off, s[0:3], 0 offset:340
	buffer_load_dword v121, off, s[0:3], 0 offset:360
	;; [unrolled: 1-line block ×7, first 2 shown]
	s_waitcnt vmcnt(23) lgkmcnt(0)
	v_fma_f64 v[99:100], v[123:124], v[103:104], v[99:100]
	s_waitcnt vmcnt(18)
	v_fma_f64 v[109:110], v[109:110], v[105:106], v[99:100]
	ds_read2_b64 v[99:102], v98 offset0:83 offset1:84
	ds_read2_b64 v[103:106], v98 offset0:85 offset1:86
	buffer_load_dword v122, off, s[0:3], 0 offset:364
	s_waitcnt vmcnt(18) lgkmcnt(1)
	v_fma_f64 v[99:100], v[117:118], v[99:100], v[109:110]
	s_waitcnt vmcnt(17)
	v_fma_f64 v[99:100], v[115:116], v[101:102], v[99:100]
	buffer_load_dword v110, off, s[0:3], 0 offset:372
	buffer_load_dword v115, off, s[0:3], 0 offset:376
	;; [unrolled: 1-line block ×4, first 2 shown]
	s_waitcnt vmcnt(20) lgkmcnt(0)
	v_fma_f64 v[99:100], v[111:112], v[103:104], v[99:100]
	buffer_load_dword v111, off, s[0:3], 0 offset:48
	buffer_load_dword v112, off, s[0:3], 0 offset:52
	s_waitcnt vmcnt(17)
	v_fma_f64 v[113:114], v[113:114], v[105:106], v[99:100]
	ds_read2_b64 v[99:102], v98 offset0:87 offset1:88
	ds_read2_b64 v[103:106], v98 offset0:89 offset1:90
	s_waitcnt vmcnt(16) lgkmcnt(1)
	v_fma_f64 v[99:100], v[127:128], v[99:100], v[113:114]
	s_waitcnt vmcnt(15)
	v_fma_f64 v[99:100], v[125:126], v[101:102], v[99:100]
	s_waitcnt vmcnt(14) lgkmcnt(0)
	v_fma_f64 v[99:100], v[119:120], v[103:104], v[99:100]
	s_waitcnt vmcnt(9)
	v_fma_f64 v[107:108], v[107:108], v[105:106], v[99:100]
	ds_read2_b64 v[99:102], v98 offset0:91 offset1:92
	ds_read2_b64 v[103:106], v98 offset0:93 offset1:94
	s_waitcnt vmcnt(8) lgkmcnt(1)
	v_fma_f64 v[99:100], v[131:132], v[99:100], v[107:108]
	s_waitcnt vmcnt(7)
	v_fma_f64 v[99:100], v[129:130], v[101:102], v[99:100]
	ds_read_b64 v[101:102], v98 offset:760
	s_waitcnt vmcnt(6) lgkmcnt(1)
	v_fma_f64 v[99:100], v[121:122], v[103:104], v[99:100]
	s_waitcnt vmcnt(3)
	v_fma_f64 v[99:100], v[109:110], v[105:106], v[99:100]
	s_waitcnt vmcnt(2) lgkmcnt(0)
	v_fma_f64 v[99:100], v[115:116], v[101:102], v[99:100]
	s_waitcnt vmcnt(0)
	v_add_f64 v[99:100], v[111:112], -v[99:100]
	buffer_store_dword v100, off, s[0:3], 0 offset:52
	buffer_store_dword v99, off, s[0:3], 0 offset:48
	s_and_saveexec_b64 s[4:5], vcc
	s_cbranch_execz .LBB47_285
; %bb.284:
	buffer_load_dword v99, off, s[0:3], 0 offset:40
	buffer_load_dword v100, off, s[0:3], 0 offset:44
	s_waitcnt vmcnt(0)
	ds_write_b64 v97, v[99:100]
	buffer_store_dword v98, off, s[0:3], 0 offset:40
	buffer_store_dword v98, off, s[0:3], 0 offset:44
.LBB47_285:
	s_or_b64 exec, exec, s[4:5]
	s_waitcnt lgkmcnt(0)
	; wave barrier
	buffer_load_dword v107, off, s[0:3], 0 offset:48
	buffer_load_dword v108, off, s[0:3], 0 offset:52
	;; [unrolled: 1-line block ×22, first 2 shown]
	ds_read_b128 v[99:102], v98 offset:432
	ds_read_b128 v[103:106], v98 offset:448
	v_cmp_lt_u32_e32 vcc, 4, v0
	s_waitcnt vmcnt(20) lgkmcnt(1)
	v_fma_f64 v[99:100], v[107:108], v[99:100], 0
	s_waitcnt vmcnt(18)
	v_fma_f64 v[99:100], v[109:110], v[101:102], v[99:100]
	buffer_load_dword v108, off, s[0:3], 0 offset:140
	buffer_load_dword v109, off, s[0:3], 0 offset:160
	;; [unrolled: 1-line block ×7, first 2 shown]
	s_waitcnt vmcnt(23) lgkmcnt(0)
	v_fma_f64 v[99:100], v[111:112], v[103:104], v[99:100]
	s_waitcnt vmcnt(21)
	v_fma_f64 v[110:111], v[113:114], v[105:106], v[99:100]
	ds_read_b128 v[99:102], v98 offset:464
	ds_read_b128 v[103:106], v98 offset:480
	s_waitcnt vmcnt(19) lgkmcnt(1)
	v_fma_f64 v[99:100], v[115:116], v[99:100], v[110:111]
	buffer_load_dword v110, off, s[0:3], 0 offset:164
	s_waitcnt vmcnt(18)
	v_fma_f64 v[99:100], v[117:118], v[101:102], v[99:100]
	buffer_load_dword v112, off, s[0:3], 0 offset:172
	buffer_load_dword v113, off, s[0:3], 0 offset:192
	;; [unrolled: 1-line block ×7, first 2 shown]
	s_waitcnt vmcnt(23) lgkmcnt(0)
	v_fma_f64 v[99:100], v[119:120], v[103:104], v[99:100]
	s_waitcnt vmcnt(18)
	v_fma_f64 v[119:120], v[121:122], v[105:106], v[99:100]
	ds_read_b128 v[99:102], v98 offset:496
	ds_read_b128 v[103:106], v98 offset:512
	buffer_load_dword v114, off, s[0:3], 0 offset:196
	s_waitcnt vmcnt(18) lgkmcnt(1)
	v_fma_f64 v[99:100], v[127:128], v[99:100], v[119:120]
	s_waitcnt vmcnt(17)
	v_fma_f64 v[99:100], v[125:126], v[101:102], v[99:100]
	buffer_load_dword v120, off, s[0:3], 0 offset:204
	buffer_load_dword v121, off, s[0:3], 0 offset:224
	;; [unrolled: 1-line block ×8, first 2 shown]
	s_waitcnt vmcnt(24) lgkmcnt(0)
	v_fma_f64 v[99:100], v[123:124], v[103:104], v[99:100]
	s_waitcnt vmcnt(19)
	v_fma_f64 v[107:108], v[107:108], v[105:106], v[99:100]
	ds_read_b128 v[99:102], v98 offset:528
	ds_read_b128 v[103:106], v98 offset:544
	s_waitcnt vmcnt(18) lgkmcnt(1)
	v_fma_f64 v[99:100], v[131:132], v[99:100], v[107:108]
	s_waitcnt vmcnt(17)
	v_fma_f64 v[99:100], v[129:130], v[101:102], v[99:100]
	buffer_load_dword v108, off, s[0:3], 0 offset:236
	buffer_load_dword v123, off, s[0:3], 0 offset:256
	;; [unrolled: 1-line block ×8, first 2 shown]
	s_waitcnt vmcnt(24) lgkmcnt(0)
	v_fma_f64 v[99:100], v[109:110], v[103:104], v[99:100]
	s_waitcnt vmcnt(19)
	v_fma_f64 v[109:110], v[111:112], v[105:106], v[99:100]
	ds_read_b128 v[99:102], v98 offset:560
	ds_read_b128 v[103:106], v98 offset:576
	s_waitcnt vmcnt(18) lgkmcnt(1)
	v_fma_f64 v[99:100], v[117:118], v[99:100], v[109:110]
	s_waitcnt vmcnt(17)
	v_fma_f64 v[99:100], v[115:116], v[101:102], v[99:100]
	buffer_load_dword v110, off, s[0:3], 0 offset:268
	buffer_load_dword v111, off, s[0:3], 0 offset:288
	;; [unrolled: 1-line block ×7, first 2 shown]
	s_waitcnt vmcnt(23) lgkmcnt(0)
	v_fma_f64 v[99:100], v[113:114], v[103:104], v[99:100]
	s_waitcnt vmcnt(18)
	v_fma_f64 v[112:113], v[119:120], v[105:106], v[99:100]
	ds_read_b128 v[99:102], v98 offset:592
	ds_read_b128 v[103:106], v98 offset:608
	s_waitcnt vmcnt(17) lgkmcnt(1)
	v_fma_f64 v[99:100], v[127:128], v[99:100], v[112:113]
	buffer_load_dword v112, off, s[0:3], 0 offset:292
	s_waitcnt vmcnt(17)
	v_fma_f64 v[99:100], v[125:126], v[101:102], v[99:100]
	buffer_load_dword v114, off, s[0:3], 0 offset:300
	buffer_load_dword v119, off, s[0:3], 0 offset:320
	;; [unrolled: 1-line block ×8, first 2 shown]
	s_waitcnt vmcnt(24) lgkmcnt(0)
	v_fma_f64 v[99:100], v[121:122], v[103:104], v[99:100]
	s_waitcnt vmcnt(19)
	v_fma_f64 v[107:108], v[107:108], v[105:106], v[99:100]
	ds_read_b128 v[99:102], v98 offset:624
	ds_read_b128 v[103:106], v98 offset:640
	s_waitcnt vmcnt(18) lgkmcnt(1)
	v_fma_f64 v[99:100], v[131:132], v[99:100], v[107:108]
	s_waitcnt vmcnt(17)
	v_fma_f64 v[99:100], v[129:130], v[101:102], v[99:100]
	buffer_load_dword v108, off, s[0:3], 0 offset:332
	buffer_load_dword v121, off, s[0:3], 0 offset:352
	buffer_load_dword v129, off, s[0:3], 0 offset:344
	buffer_load_dword v131, off, s[0:3], 0 offset:336
	buffer_load_dword v107, off, s[0:3], 0 offset:328
	buffer_load_dword v132, off, s[0:3], 0 offset:340
	buffer_load_dword v130, off, s[0:3], 0 offset:348
	buffer_load_dword v122, off, s[0:3], 0 offset:356
	s_waitcnt vmcnt(24) lgkmcnt(0)
	v_fma_f64 v[99:100], v[123:124], v[103:104], v[99:100]
	s_waitcnt vmcnt(19)
	v_fma_f64 v[109:110], v[109:110], v[105:106], v[99:100]
	ds_read_b128 v[99:102], v98 offset:656
	ds_read_b128 v[103:106], v98 offset:672
	s_waitcnt vmcnt(18) lgkmcnt(1)
	v_fma_f64 v[99:100], v[117:118], v[99:100], v[109:110]
	s_waitcnt vmcnt(17)
	v_fma_f64 v[99:100], v[115:116], v[101:102], v[99:100]
	buffer_load_dword v110, off, s[0:3], 0 offset:364
	buffer_load_dword v115, off, s[0:3], 0 offset:376
	;; [unrolled: 1-line block ×6, first 2 shown]
	s_waitcnt vmcnt(22) lgkmcnt(0)
	v_fma_f64 v[99:100], v[111:112], v[103:104], v[99:100]
	s_waitcnt vmcnt(17)
	v_fma_f64 v[111:112], v[113:114], v[105:106], v[99:100]
	ds_read_b128 v[99:102], v98 offset:688
	buffer_load_dword v113, off, s[0:3], 0 offset:40
	buffer_load_dword v114, off, s[0:3], 0 offset:44
	ds_read_b128 v[103:106], v98 offset:704
	s_waitcnt vmcnt(18) lgkmcnt(1)
	v_fma_f64 v[99:100], v[127:128], v[99:100], v[111:112]
	s_waitcnt vmcnt(17)
	v_fma_f64 v[99:100], v[125:126], v[101:102], v[99:100]
	s_waitcnt vmcnt(16) lgkmcnt(0)
	v_fma_f64 v[99:100], v[119:120], v[103:104], v[99:100]
	s_waitcnt vmcnt(11)
	v_fma_f64 v[107:108], v[107:108], v[105:106], v[99:100]
	ds_read_b128 v[99:102], v98 offset:720
	ds_read_b128 v[103:106], v98 offset:736
	s_waitcnt vmcnt(10) lgkmcnt(1)
	v_fma_f64 v[99:100], v[131:132], v[99:100], v[107:108]
	s_waitcnt vmcnt(9)
	v_fma_f64 v[99:100], v[129:130], v[101:102], v[99:100]
	s_waitcnt vmcnt(8) lgkmcnt(0)
	v_fma_f64 v[99:100], v[121:122], v[103:104], v[99:100]
	s_waitcnt vmcnt(4)
	v_fma_f64 v[102:103], v[109:110], v[105:106], v[99:100]
	ds_read_b128 v[98:101], v98 offset:752
	s_waitcnt vmcnt(3) lgkmcnt(0)
	v_fma_f64 v[98:99], v[117:118], v[98:99], v[102:103]
	s_waitcnt vmcnt(2)
	v_fma_f64 v[98:99], v[115:116], v[100:101], v[98:99]
	s_waitcnt vmcnt(0)
	v_add_f64 v[98:99], v[113:114], -v[98:99]
	buffer_store_dword v99, off, s[0:3], 0 offset:44
	buffer_store_dword v98, off, s[0:3], 0 offset:40
	s_and_saveexec_b64 s[4:5], vcc
	s_cbranch_execz .LBB47_287
; %bb.286:
	buffer_load_dword v98, off, s[0:3], 0 offset:32
	buffer_load_dword v99, off, s[0:3], 0 offset:36
	v_mov_b32_e32 v100, 0
	buffer_store_dword v100, off, s[0:3], 0 offset:32
	buffer_store_dword v100, off, s[0:3], 0 offset:36
	s_waitcnt vmcnt(2)
	ds_write_b64 v97, v[98:99]
.LBB47_287:
	s_or_b64 exec, exec, s[4:5]
	s_waitcnt lgkmcnt(0)
	; wave barrier
	buffer_load_dword v107, off, s[0:3], 0 offset:40
	buffer_load_dword v108, off, s[0:3], 0 offset:44
	;; [unrolled: 1-line block ×22, first 2 shown]
	v_mov_b32_e32 v98, 0
	ds_read2_b64 v[99:102], v98 offset0:53 offset1:54
	ds_read2_b64 v[103:106], v98 offset0:55 offset1:56
	v_cmp_lt_u32_e32 vcc, 3, v0
	s_waitcnt vmcnt(20) lgkmcnt(1)
	v_fma_f64 v[99:100], v[107:108], v[99:100], 0
	s_waitcnt vmcnt(18)
	v_fma_f64 v[99:100], v[109:110], v[101:102], v[99:100]
	buffer_load_dword v108, off, s[0:3], 0 offset:132
	buffer_load_dword v109, off, s[0:3], 0 offset:152
	;; [unrolled: 1-line block ×7, first 2 shown]
	s_waitcnt vmcnt(23) lgkmcnt(0)
	v_fma_f64 v[99:100], v[111:112], v[103:104], v[99:100]
	s_waitcnt vmcnt(21)
	v_fma_f64 v[110:111], v[113:114], v[105:106], v[99:100]
	ds_read2_b64 v[99:102], v98 offset0:57 offset1:58
	ds_read2_b64 v[103:106], v98 offset0:59 offset1:60
	s_waitcnt vmcnt(19) lgkmcnt(1)
	v_fma_f64 v[99:100], v[115:116], v[99:100], v[110:111]
	buffer_load_dword v110, off, s[0:3], 0 offset:156
	s_waitcnt vmcnt(18)
	v_fma_f64 v[99:100], v[117:118], v[101:102], v[99:100]
	buffer_load_dword v112, off, s[0:3], 0 offset:164
	buffer_load_dword v113, off, s[0:3], 0 offset:184
	;; [unrolled: 1-line block ×7, first 2 shown]
	s_waitcnt vmcnt(23) lgkmcnt(0)
	v_fma_f64 v[99:100], v[119:120], v[103:104], v[99:100]
	s_waitcnt vmcnt(18)
	v_fma_f64 v[119:120], v[121:122], v[105:106], v[99:100]
	ds_read2_b64 v[99:102], v98 offset0:61 offset1:62
	ds_read2_b64 v[103:106], v98 offset0:63 offset1:64
	buffer_load_dword v114, off, s[0:3], 0 offset:188
	s_waitcnt vmcnt(18) lgkmcnt(1)
	v_fma_f64 v[99:100], v[127:128], v[99:100], v[119:120]
	s_waitcnt vmcnt(17)
	v_fma_f64 v[99:100], v[125:126], v[101:102], v[99:100]
	buffer_load_dword v120, off, s[0:3], 0 offset:196
	buffer_load_dword v121, off, s[0:3], 0 offset:216
	;; [unrolled: 1-line block ×8, first 2 shown]
	s_waitcnt vmcnt(24) lgkmcnt(0)
	v_fma_f64 v[99:100], v[123:124], v[103:104], v[99:100]
	s_waitcnt vmcnt(19)
	v_fma_f64 v[107:108], v[107:108], v[105:106], v[99:100]
	ds_read2_b64 v[99:102], v98 offset0:65 offset1:66
	ds_read2_b64 v[103:106], v98 offset0:67 offset1:68
	s_waitcnt vmcnt(18) lgkmcnt(1)
	v_fma_f64 v[99:100], v[131:132], v[99:100], v[107:108]
	s_waitcnt vmcnt(17)
	v_fma_f64 v[99:100], v[129:130], v[101:102], v[99:100]
	buffer_load_dword v108, off, s[0:3], 0 offset:228
	buffer_load_dword v123, off, s[0:3], 0 offset:248
	buffer_load_dword v129, off, s[0:3], 0 offset:240
	buffer_load_dword v131, off, s[0:3], 0 offset:232
	buffer_load_dword v107, off, s[0:3], 0 offset:224
	buffer_load_dword v132, off, s[0:3], 0 offset:236
	buffer_load_dword v130, off, s[0:3], 0 offset:244
	buffer_load_dword v124, off, s[0:3], 0 offset:252
	s_waitcnt vmcnt(24) lgkmcnt(0)
	v_fma_f64 v[99:100], v[109:110], v[103:104], v[99:100]
	s_waitcnt vmcnt(19)
	v_fma_f64 v[109:110], v[111:112], v[105:106], v[99:100]
	ds_read2_b64 v[99:102], v98 offset0:69 offset1:70
	ds_read2_b64 v[103:106], v98 offset0:71 offset1:72
	s_waitcnt vmcnt(18) lgkmcnt(1)
	v_fma_f64 v[99:100], v[117:118], v[99:100], v[109:110]
	s_waitcnt vmcnt(17)
	v_fma_f64 v[99:100], v[115:116], v[101:102], v[99:100]
	buffer_load_dword v110, off, s[0:3], 0 offset:260
	buffer_load_dword v111, off, s[0:3], 0 offset:280
	;; [unrolled: 1-line block ×7, first 2 shown]
	s_waitcnt vmcnt(23) lgkmcnt(0)
	v_fma_f64 v[99:100], v[113:114], v[103:104], v[99:100]
	s_waitcnt vmcnt(18)
	v_fma_f64 v[112:113], v[119:120], v[105:106], v[99:100]
	ds_read2_b64 v[99:102], v98 offset0:73 offset1:74
	ds_read2_b64 v[103:106], v98 offset0:75 offset1:76
	s_waitcnt vmcnt(17) lgkmcnt(1)
	v_fma_f64 v[99:100], v[127:128], v[99:100], v[112:113]
	buffer_load_dword v112, off, s[0:3], 0 offset:284
	s_waitcnt vmcnt(17)
	v_fma_f64 v[99:100], v[125:126], v[101:102], v[99:100]
	buffer_load_dword v114, off, s[0:3], 0 offset:292
	buffer_load_dword v119, off, s[0:3], 0 offset:312
	buffer_load_dword v125, off, s[0:3], 0 offset:304
	buffer_load_dword v127, off, s[0:3], 0 offset:296
	buffer_load_dword v113, off, s[0:3], 0 offset:288
	buffer_load_dword v128, off, s[0:3], 0 offset:300
	buffer_load_dword v126, off, s[0:3], 0 offset:308
	buffer_load_dword v120, off, s[0:3], 0 offset:316
	s_waitcnt vmcnt(24) lgkmcnt(0)
	v_fma_f64 v[99:100], v[121:122], v[103:104], v[99:100]
	s_waitcnt vmcnt(19)
	v_fma_f64 v[107:108], v[107:108], v[105:106], v[99:100]
	ds_read2_b64 v[99:102], v98 offset0:77 offset1:78
	ds_read2_b64 v[103:106], v98 offset0:79 offset1:80
	s_waitcnt vmcnt(18) lgkmcnt(1)
	v_fma_f64 v[99:100], v[131:132], v[99:100], v[107:108]
	s_waitcnt vmcnt(17)
	v_fma_f64 v[99:100], v[129:130], v[101:102], v[99:100]
	buffer_load_dword v108, off, s[0:3], 0 offset:324
	buffer_load_dword v121, off, s[0:3], 0 offset:344
	buffer_load_dword v129, off, s[0:3], 0 offset:336
	buffer_load_dword v131, off, s[0:3], 0 offset:328
	buffer_load_dword v107, off, s[0:3], 0 offset:320
	buffer_load_dword v132, off, s[0:3], 0 offset:332
	buffer_load_dword v130, off, s[0:3], 0 offset:340
	buffer_load_dword v122, off, s[0:3], 0 offset:348
	s_waitcnt vmcnt(24) lgkmcnt(0)
	v_fma_f64 v[99:100], v[123:124], v[103:104], v[99:100]
	s_waitcnt vmcnt(19)
	v_fma_f64 v[109:110], v[109:110], v[105:106], v[99:100]
	ds_read2_b64 v[99:102], v98 offset0:81 offset1:82
	ds_read2_b64 v[103:106], v98 offset0:83 offset1:84
	s_waitcnt vmcnt(18) lgkmcnt(1)
	v_fma_f64 v[99:100], v[117:118], v[99:100], v[109:110]
	;; [unrolled: 18-line block ×3, first 2 shown]
	buffer_load_dword v111, off, s[0:3], 0 offset:32
	buffer_load_dword v112, off, s[0:3], 0 offset:36
	s_waitcnt vmcnt(19)
	v_fma_f64 v[99:100], v[125:126], v[101:102], v[99:100]
	s_waitcnt vmcnt(18) lgkmcnt(0)
	v_fma_f64 v[99:100], v[119:120], v[103:104], v[99:100]
	s_waitcnt vmcnt(13)
	v_fma_f64 v[107:108], v[107:108], v[105:106], v[99:100]
	ds_read2_b64 v[99:102], v98 offset0:89 offset1:90
	ds_read2_b64 v[103:106], v98 offset0:91 offset1:92
	s_waitcnt vmcnt(12) lgkmcnt(1)
	v_fma_f64 v[99:100], v[131:132], v[99:100], v[107:108]
	s_waitcnt vmcnt(11)
	v_fma_f64 v[99:100], v[129:130], v[101:102], v[99:100]
	s_waitcnt vmcnt(10) lgkmcnt(0)
	v_fma_f64 v[99:100], v[121:122], v[103:104], v[99:100]
	s_waitcnt vmcnt(5)
	v_fma_f64 v[103:104], v[109:110], v[105:106], v[99:100]
	ds_read2_b64 v[99:102], v98 offset0:93 offset1:94
	ds_read_b64 v[105:106], v98 offset:760
	s_waitcnt vmcnt(4) lgkmcnt(1)
	v_fma_f64 v[99:100], v[123:124], v[99:100], v[103:104]
	s_waitcnt vmcnt(3)
	v_fma_f64 v[99:100], v[117:118], v[101:102], v[99:100]
	s_waitcnt vmcnt(2) lgkmcnt(0)
	v_fma_f64 v[99:100], v[115:116], v[105:106], v[99:100]
	s_waitcnt vmcnt(0)
	v_add_f64 v[99:100], v[111:112], -v[99:100]
	buffer_store_dword v100, off, s[0:3], 0 offset:36
	buffer_store_dword v99, off, s[0:3], 0 offset:32
	s_and_saveexec_b64 s[4:5], vcc
	s_cbranch_execz .LBB47_289
; %bb.288:
	buffer_load_dword v99, off, s[0:3], 0 offset:24
	buffer_load_dword v100, off, s[0:3], 0 offset:28
	s_waitcnt vmcnt(0)
	ds_write_b64 v97, v[99:100]
	buffer_store_dword v98, off, s[0:3], 0 offset:24
	buffer_store_dword v98, off, s[0:3], 0 offset:28
.LBB47_289:
	s_or_b64 exec, exec, s[4:5]
	s_waitcnt lgkmcnt(0)
	; wave barrier
	buffer_load_dword v107, off, s[0:3], 0 offset:32
	buffer_load_dword v108, off, s[0:3], 0 offset:36
	;; [unrolled: 1-line block ×22, first 2 shown]
	ds_read_b128 v[99:102], v98 offset:416
	ds_read_b128 v[103:106], v98 offset:432
	v_cmp_lt_u32_e32 vcc, 2, v0
	s_waitcnt vmcnt(20) lgkmcnt(1)
	v_fma_f64 v[99:100], v[107:108], v[99:100], 0
	s_waitcnt vmcnt(18)
	v_fma_f64 v[99:100], v[109:110], v[101:102], v[99:100]
	buffer_load_dword v108, off, s[0:3], 0 offset:124
	buffer_load_dword v109, off, s[0:3], 0 offset:144
	;; [unrolled: 1-line block ×7, first 2 shown]
	s_waitcnt vmcnt(23) lgkmcnt(0)
	v_fma_f64 v[99:100], v[111:112], v[103:104], v[99:100]
	s_waitcnt vmcnt(21)
	v_fma_f64 v[110:111], v[113:114], v[105:106], v[99:100]
	ds_read_b128 v[99:102], v98 offset:448
	ds_read_b128 v[103:106], v98 offset:464
	s_waitcnt vmcnt(19) lgkmcnt(1)
	v_fma_f64 v[99:100], v[115:116], v[99:100], v[110:111]
	buffer_load_dword v110, off, s[0:3], 0 offset:148
	s_waitcnt vmcnt(18)
	v_fma_f64 v[99:100], v[117:118], v[101:102], v[99:100]
	buffer_load_dword v112, off, s[0:3], 0 offset:156
	buffer_load_dword v113, off, s[0:3], 0 offset:176
	;; [unrolled: 1-line block ×7, first 2 shown]
	s_waitcnt vmcnt(23) lgkmcnt(0)
	v_fma_f64 v[99:100], v[119:120], v[103:104], v[99:100]
	s_waitcnt vmcnt(18)
	v_fma_f64 v[119:120], v[121:122], v[105:106], v[99:100]
	ds_read_b128 v[99:102], v98 offset:480
	ds_read_b128 v[103:106], v98 offset:496
	buffer_load_dword v114, off, s[0:3], 0 offset:180
	s_waitcnt vmcnt(18) lgkmcnt(1)
	v_fma_f64 v[99:100], v[127:128], v[99:100], v[119:120]
	s_waitcnt vmcnt(17)
	v_fma_f64 v[99:100], v[125:126], v[101:102], v[99:100]
	buffer_load_dword v120, off, s[0:3], 0 offset:188
	buffer_load_dword v121, off, s[0:3], 0 offset:208
	;; [unrolled: 1-line block ×8, first 2 shown]
	s_waitcnt vmcnt(24) lgkmcnt(0)
	v_fma_f64 v[99:100], v[123:124], v[103:104], v[99:100]
	s_waitcnt vmcnt(19)
	v_fma_f64 v[107:108], v[107:108], v[105:106], v[99:100]
	ds_read_b128 v[99:102], v98 offset:512
	ds_read_b128 v[103:106], v98 offset:528
	s_waitcnt vmcnt(18) lgkmcnt(1)
	v_fma_f64 v[99:100], v[131:132], v[99:100], v[107:108]
	s_waitcnt vmcnt(17)
	v_fma_f64 v[99:100], v[129:130], v[101:102], v[99:100]
	buffer_load_dword v108, off, s[0:3], 0 offset:220
	buffer_load_dword v123, off, s[0:3], 0 offset:240
	;; [unrolled: 1-line block ×8, first 2 shown]
	s_waitcnt vmcnt(24) lgkmcnt(0)
	v_fma_f64 v[99:100], v[109:110], v[103:104], v[99:100]
	s_waitcnt vmcnt(19)
	v_fma_f64 v[109:110], v[111:112], v[105:106], v[99:100]
	ds_read_b128 v[99:102], v98 offset:544
	ds_read_b128 v[103:106], v98 offset:560
	s_waitcnt vmcnt(18) lgkmcnt(1)
	v_fma_f64 v[99:100], v[117:118], v[99:100], v[109:110]
	s_waitcnt vmcnt(17)
	v_fma_f64 v[99:100], v[115:116], v[101:102], v[99:100]
	buffer_load_dword v110, off, s[0:3], 0 offset:252
	buffer_load_dword v111, off, s[0:3], 0 offset:272
	;; [unrolled: 1-line block ×7, first 2 shown]
	s_waitcnt vmcnt(23) lgkmcnt(0)
	v_fma_f64 v[99:100], v[113:114], v[103:104], v[99:100]
	s_waitcnt vmcnt(18)
	v_fma_f64 v[112:113], v[119:120], v[105:106], v[99:100]
	ds_read_b128 v[99:102], v98 offset:576
	ds_read_b128 v[103:106], v98 offset:592
	s_waitcnt vmcnt(17) lgkmcnt(1)
	v_fma_f64 v[99:100], v[127:128], v[99:100], v[112:113]
	buffer_load_dword v112, off, s[0:3], 0 offset:276
	s_waitcnt vmcnt(17)
	v_fma_f64 v[99:100], v[125:126], v[101:102], v[99:100]
	buffer_load_dword v114, off, s[0:3], 0 offset:284
	buffer_load_dword v119, off, s[0:3], 0 offset:304
	buffer_load_dword v125, off, s[0:3], 0 offset:296
	buffer_load_dword v127, off, s[0:3], 0 offset:288
	buffer_load_dword v113, off, s[0:3], 0 offset:280
	buffer_load_dword v128, off, s[0:3], 0 offset:292
	buffer_load_dword v126, off, s[0:3], 0 offset:300
	buffer_load_dword v120, off, s[0:3], 0 offset:308
	s_waitcnt vmcnt(24) lgkmcnt(0)
	v_fma_f64 v[99:100], v[121:122], v[103:104], v[99:100]
	s_waitcnt vmcnt(19)
	v_fma_f64 v[107:108], v[107:108], v[105:106], v[99:100]
	ds_read_b128 v[99:102], v98 offset:608
	ds_read_b128 v[103:106], v98 offset:624
	s_waitcnt vmcnt(18) lgkmcnt(1)
	v_fma_f64 v[99:100], v[131:132], v[99:100], v[107:108]
	s_waitcnt vmcnt(17)
	v_fma_f64 v[99:100], v[129:130], v[101:102], v[99:100]
	buffer_load_dword v108, off, s[0:3], 0 offset:316
	buffer_load_dword v121, off, s[0:3], 0 offset:336
	buffer_load_dword v129, off, s[0:3], 0 offset:328
	buffer_load_dword v131, off, s[0:3], 0 offset:320
	buffer_load_dword v107, off, s[0:3], 0 offset:312
	buffer_load_dword v132, off, s[0:3], 0 offset:324
	buffer_load_dword v130, off, s[0:3], 0 offset:332
	buffer_load_dword v122, off, s[0:3], 0 offset:340
	s_waitcnt vmcnt(24) lgkmcnt(0)
	v_fma_f64 v[99:100], v[123:124], v[103:104], v[99:100]
	s_waitcnt vmcnt(19)
	v_fma_f64 v[109:110], v[109:110], v[105:106], v[99:100]
	ds_read_b128 v[99:102], v98 offset:640
	ds_read_b128 v[103:106], v98 offset:656
	s_waitcnt vmcnt(18) lgkmcnt(1)
	v_fma_f64 v[99:100], v[117:118], v[99:100], v[109:110]
	;; [unrolled: 18-line block ×3, first 2 shown]
	buffer_load_dword v112, off, s[0:3], 0 offset:380
	buffer_load_dword v111, off, s[0:3], 0 offset:376
	;; [unrolled: 1-line block ×4, first 2 shown]
	s_waitcnt vmcnt(21)
	v_fma_f64 v[99:100], v[125:126], v[101:102], v[99:100]
	s_waitcnt vmcnt(20) lgkmcnt(0)
	v_fma_f64 v[99:100], v[119:120], v[103:104], v[99:100]
	s_waitcnt vmcnt(15)
	v_fma_f64 v[107:108], v[107:108], v[105:106], v[99:100]
	ds_read_b128 v[99:102], v98 offset:704
	ds_read_b128 v[103:106], v98 offset:720
	s_waitcnt vmcnt(14) lgkmcnt(1)
	v_fma_f64 v[99:100], v[131:132], v[99:100], v[107:108]
	s_waitcnt vmcnt(13)
	v_fma_f64 v[99:100], v[129:130], v[101:102], v[99:100]
	s_waitcnt vmcnt(12) lgkmcnt(0)
	v_fma_f64 v[99:100], v[121:122], v[103:104], v[99:100]
	s_waitcnt vmcnt(7)
	v_fma_f64 v[107:108], v[109:110], v[105:106], v[99:100]
	ds_read_b128 v[99:102], v98 offset:736
	ds_read_b128 v[103:106], v98 offset:752
	s_waitcnt vmcnt(6) lgkmcnt(1)
	v_fma_f64 v[98:99], v[123:124], v[99:100], v[107:108]
	s_waitcnt vmcnt(5)
	v_fma_f64 v[98:99], v[117:118], v[101:102], v[98:99]
	s_waitcnt vmcnt(4) lgkmcnt(0)
	v_fma_f64 v[98:99], v[115:116], v[103:104], v[98:99]
	s_waitcnt vmcnt(2)
	v_fma_f64 v[98:99], v[111:112], v[105:106], v[98:99]
	s_waitcnt vmcnt(0)
	v_add_f64 v[98:99], v[113:114], -v[98:99]
	buffer_store_dword v99, off, s[0:3], 0 offset:28
	buffer_store_dword v98, off, s[0:3], 0 offset:24
	s_and_saveexec_b64 s[4:5], vcc
	s_cbranch_execz .LBB47_291
; %bb.290:
	buffer_load_dword v98, off, s[0:3], 0 offset:16
	buffer_load_dword v99, off, s[0:3], 0 offset:20
	v_mov_b32_e32 v100, 0
	buffer_store_dword v100, off, s[0:3], 0 offset:16
	buffer_store_dword v100, off, s[0:3], 0 offset:20
	s_waitcnt vmcnt(2)
	ds_write_b64 v97, v[98:99]
.LBB47_291:
	s_or_b64 exec, exec, s[4:5]
	s_waitcnt lgkmcnt(0)
	; wave barrier
	buffer_load_dword v107, off, s[0:3], 0 offset:24
	buffer_load_dword v108, off, s[0:3], 0 offset:28
	;; [unrolled: 1-line block ×21, first 2 shown]
	v_mov_b32_e32 v98, 0
	ds_read2_b64 v[99:102], v98 offset0:51 offset1:52
	ds_read2_b64 v[103:106], v98 offset0:53 offset1:54
	buffer_load_dword v124, off, s[0:3], 0 offset:108
	v_cmp_lt_u32_e32 vcc, 1, v0
	s_waitcnt vmcnt(20) lgkmcnt(1)
	v_fma_f64 v[99:100], v[107:108], v[99:100], 0
	s_waitcnt vmcnt(18)
	v_fma_f64 v[99:100], v[109:110], v[101:102], v[99:100]
	buffer_load_dword v108, off, s[0:3], 0 offset:116
	buffer_load_dword v109, off, s[0:3], 0 offset:136
	;; [unrolled: 1-line block ×7, first 2 shown]
	s_waitcnt vmcnt(23) lgkmcnt(0)
	v_fma_f64 v[99:100], v[111:112], v[103:104], v[99:100]
	s_waitcnt vmcnt(21)
	v_fma_f64 v[110:111], v[113:114], v[105:106], v[99:100]
	ds_read2_b64 v[99:102], v98 offset0:55 offset1:56
	ds_read2_b64 v[103:106], v98 offset0:57 offset1:58
	s_waitcnt vmcnt(19) lgkmcnt(1)
	v_fma_f64 v[99:100], v[115:116], v[99:100], v[110:111]
	buffer_load_dword v110, off, s[0:3], 0 offset:140
	s_waitcnt vmcnt(18)
	v_fma_f64 v[99:100], v[117:118], v[101:102], v[99:100]
	buffer_load_dword v112, off, s[0:3], 0 offset:148
	buffer_load_dword v113, off, s[0:3], 0 offset:168
	;; [unrolled: 1-line block ×7, first 2 shown]
	s_waitcnt vmcnt(23) lgkmcnt(0)
	v_fma_f64 v[99:100], v[119:120], v[103:104], v[99:100]
	s_waitcnt vmcnt(18)
	v_fma_f64 v[119:120], v[121:122], v[105:106], v[99:100]
	ds_read2_b64 v[99:102], v98 offset0:59 offset1:60
	ds_read2_b64 v[103:106], v98 offset0:61 offset1:62
	buffer_load_dword v114, off, s[0:3], 0 offset:172
	s_waitcnt vmcnt(18) lgkmcnt(1)
	v_fma_f64 v[99:100], v[127:128], v[99:100], v[119:120]
	s_waitcnt vmcnt(17)
	v_fma_f64 v[99:100], v[125:126], v[101:102], v[99:100]
	buffer_load_dword v120, off, s[0:3], 0 offset:180
	buffer_load_dword v121, off, s[0:3], 0 offset:200
	;; [unrolled: 1-line block ×7, first 2 shown]
	s_waitcnt vmcnt(23) lgkmcnt(0)
	v_fma_f64 v[99:100], v[123:124], v[103:104], v[99:100]
	s_waitcnt vmcnt(18)
	v_fma_f64 v[107:108], v[107:108], v[105:106], v[99:100]
	ds_read2_b64 v[99:102], v98 offset0:63 offset1:64
	ds_read2_b64 v[103:106], v98 offset0:65 offset1:66
	buffer_load_dword v122, off, s[0:3], 0 offset:204
	s_waitcnt vmcnt(18) lgkmcnt(1)
	v_fma_f64 v[99:100], v[131:132], v[99:100], v[107:108]
	s_waitcnt vmcnt(17)
	v_fma_f64 v[99:100], v[129:130], v[101:102], v[99:100]
	buffer_load_dword v108, off, s[0:3], 0 offset:212
	buffer_load_dword v123, off, s[0:3], 0 offset:232
	;; [unrolled: 1-line block ×8, first 2 shown]
	s_waitcnt vmcnt(24) lgkmcnt(0)
	v_fma_f64 v[99:100], v[109:110], v[103:104], v[99:100]
	s_waitcnt vmcnt(19)
	v_fma_f64 v[109:110], v[111:112], v[105:106], v[99:100]
	ds_read2_b64 v[99:102], v98 offset0:67 offset1:68
	ds_read2_b64 v[103:106], v98 offset0:69 offset1:70
	s_waitcnt vmcnt(18) lgkmcnt(1)
	v_fma_f64 v[99:100], v[117:118], v[99:100], v[109:110]
	s_waitcnt vmcnt(17)
	v_fma_f64 v[99:100], v[115:116], v[101:102], v[99:100]
	buffer_load_dword v110, off, s[0:3], 0 offset:244
	buffer_load_dword v111, off, s[0:3], 0 offset:264
	;; [unrolled: 1-line block ×7, first 2 shown]
	s_waitcnt vmcnt(23) lgkmcnt(0)
	v_fma_f64 v[99:100], v[113:114], v[103:104], v[99:100]
	s_waitcnt vmcnt(18)
	v_fma_f64 v[112:113], v[119:120], v[105:106], v[99:100]
	ds_read2_b64 v[99:102], v98 offset0:71 offset1:72
	ds_read2_b64 v[103:106], v98 offset0:73 offset1:74
	s_waitcnt vmcnt(17) lgkmcnt(1)
	v_fma_f64 v[99:100], v[127:128], v[99:100], v[112:113]
	buffer_load_dword v112, off, s[0:3], 0 offset:268
	s_waitcnt vmcnt(17)
	v_fma_f64 v[99:100], v[125:126], v[101:102], v[99:100]
	buffer_load_dword v114, off, s[0:3], 0 offset:276
	buffer_load_dword v119, off, s[0:3], 0 offset:296
	;; [unrolled: 1-line block ×7, first 2 shown]
	s_waitcnt vmcnt(23) lgkmcnt(0)
	v_fma_f64 v[99:100], v[121:122], v[103:104], v[99:100]
	s_waitcnt vmcnt(18)
	v_fma_f64 v[107:108], v[107:108], v[105:106], v[99:100]
	ds_read2_b64 v[99:102], v98 offset0:75 offset1:76
	ds_read2_b64 v[103:106], v98 offset0:77 offset1:78
	buffer_load_dword v120, off, s[0:3], 0 offset:300
	s_waitcnt vmcnt(18) lgkmcnt(1)
	v_fma_f64 v[99:100], v[131:132], v[99:100], v[107:108]
	s_waitcnt vmcnt(17)
	v_fma_f64 v[99:100], v[129:130], v[101:102], v[99:100]
	buffer_load_dword v108, off, s[0:3], 0 offset:308
	buffer_load_dword v121, off, s[0:3], 0 offset:328
	;; [unrolled: 1-line block ×8, first 2 shown]
	s_waitcnt vmcnt(24) lgkmcnt(0)
	v_fma_f64 v[99:100], v[123:124], v[103:104], v[99:100]
	s_waitcnt vmcnt(19)
	v_fma_f64 v[109:110], v[109:110], v[105:106], v[99:100]
	ds_read2_b64 v[99:102], v98 offset0:79 offset1:80
	ds_read2_b64 v[103:106], v98 offset0:81 offset1:82
	s_waitcnt vmcnt(18) lgkmcnt(1)
	v_fma_f64 v[99:100], v[117:118], v[99:100], v[109:110]
	s_waitcnt vmcnt(17)
	v_fma_f64 v[99:100], v[115:116], v[101:102], v[99:100]
	buffer_load_dword v110, off, s[0:3], 0 offset:340
	buffer_load_dword v115, off, s[0:3], 0 offset:360
	;; [unrolled: 1-line block ×7, first 2 shown]
	s_waitcnt vmcnt(23) lgkmcnt(0)
	v_fma_f64 v[99:100], v[111:112], v[103:104], v[99:100]
	s_waitcnt vmcnt(18)
	v_fma_f64 v[111:112], v[113:114], v[105:106], v[99:100]
	ds_read2_b64 v[99:102], v98 offset0:83 offset1:84
	ds_read2_b64 v[103:106], v98 offset0:85 offset1:86
	buffer_load_dword v116, off, s[0:3], 0 offset:364
	s_waitcnt vmcnt(18) lgkmcnt(1)
	v_fma_f64 v[99:100], v[127:128], v[99:100], v[111:112]
	buffer_load_dword v112, off, s[0:3], 0 offset:372
	buffer_load_dword v113, off, s[0:3], 0 offset:376
	;; [unrolled: 1-line block ×4, first 2 shown]
	s_waitcnt vmcnt(21)
	v_fma_f64 v[99:100], v[125:126], v[101:102], v[99:100]
	s_waitcnt vmcnt(20) lgkmcnt(0)
	v_fma_f64 v[99:100], v[119:120], v[103:104], v[99:100]
	buffer_load_dword v119, off, s[0:3], 0 offset:16
	buffer_load_dword v120, off, s[0:3], 0 offset:20
	s_waitcnt vmcnt(17)
	v_fma_f64 v[107:108], v[107:108], v[105:106], v[99:100]
	ds_read2_b64 v[99:102], v98 offset0:87 offset1:88
	ds_read2_b64 v[103:106], v98 offset0:89 offset1:90
	s_waitcnt vmcnt(16) lgkmcnt(1)
	v_fma_f64 v[99:100], v[131:132], v[99:100], v[107:108]
	s_waitcnt vmcnt(15)
	v_fma_f64 v[99:100], v[129:130], v[101:102], v[99:100]
	s_waitcnt vmcnt(14) lgkmcnt(0)
	v_fma_f64 v[99:100], v[121:122], v[103:104], v[99:100]
	s_waitcnt vmcnt(9)
	v_fma_f64 v[107:108], v[109:110], v[105:106], v[99:100]
	ds_read2_b64 v[99:102], v98 offset0:91 offset1:92
	ds_read2_b64 v[103:106], v98 offset0:93 offset1:94
	s_waitcnt vmcnt(8) lgkmcnt(1)
	v_fma_f64 v[99:100], v[123:124], v[99:100], v[107:108]
	s_waitcnt vmcnt(7)
	v_fma_f64 v[99:100], v[117:118], v[101:102], v[99:100]
	ds_read_b64 v[101:102], v98 offset:760
	s_waitcnt vmcnt(6) lgkmcnt(1)
	v_fma_f64 v[99:100], v[115:116], v[103:104], v[99:100]
	s_waitcnt vmcnt(3)
	v_fma_f64 v[99:100], v[111:112], v[105:106], v[99:100]
	s_waitcnt vmcnt(2) lgkmcnt(0)
	v_fma_f64 v[99:100], v[113:114], v[101:102], v[99:100]
	s_waitcnt vmcnt(0)
	v_add_f64 v[99:100], v[119:120], -v[99:100]
	buffer_store_dword v100, off, s[0:3], 0 offset:20
	buffer_store_dword v99, off, s[0:3], 0 offset:16
	s_and_saveexec_b64 s[4:5], vcc
	s_cbranch_execz .LBB47_293
; %bb.292:
	buffer_load_dword v99, off, s[0:3], 0 offset:8
	buffer_load_dword v100, off, s[0:3], 0 offset:12
	s_waitcnt vmcnt(0)
	ds_write_b64 v97, v[99:100]
	buffer_store_dword v98, off, s[0:3], 0 offset:8
	buffer_store_dword v98, off, s[0:3], 0 offset:12
.LBB47_293:
	s_or_b64 exec, exec, s[4:5]
	s_waitcnt lgkmcnt(0)
	; wave barrier
	buffer_load_dword v107, off, s[0:3], 0 offset:16
	buffer_load_dword v108, off, s[0:3], 0 offset:20
	;; [unrolled: 1-line block ×21, first 2 shown]
	ds_read_b128 v[99:102], v98 offset:400
	ds_read_b128 v[103:106], v98 offset:416
	buffer_load_dword v124, off, s[0:3], 0 offset:100
	v_cmp_ne_u32_e32 vcc, 0, v0
	s_waitcnt vmcnt(20) lgkmcnt(1)
	v_fma_f64 v[99:100], v[107:108], v[99:100], 0
	s_waitcnt vmcnt(18)
	v_fma_f64 v[99:100], v[109:110], v[101:102], v[99:100]
	buffer_load_dword v108, off, s[0:3], 0 offset:108
	buffer_load_dword v109, off, s[0:3], 0 offset:128
	buffer_load_dword v129, off, s[0:3], 0 offset:120
	buffer_load_dword v131, off, s[0:3], 0 offset:112
	buffer_load_dword v107, off, s[0:3], 0 offset:104
	buffer_load_dword v132, off, s[0:3], 0 offset:116
	buffer_load_dword v130, off, s[0:3], 0 offset:124
	s_waitcnt vmcnt(23) lgkmcnt(0)
	v_fma_f64 v[99:100], v[111:112], v[103:104], v[99:100]
	s_waitcnt vmcnt(21)
	v_fma_f64 v[110:111], v[113:114], v[105:106], v[99:100]
	ds_read_b128 v[99:102], v98 offset:432
	ds_read_b128 v[103:106], v98 offset:448
	s_waitcnt vmcnt(19) lgkmcnt(1)
	v_fma_f64 v[99:100], v[115:116], v[99:100], v[110:111]
	buffer_load_dword v110, off, s[0:3], 0 offset:132
	s_waitcnt vmcnt(18)
	v_fma_f64 v[99:100], v[117:118], v[101:102], v[99:100]
	buffer_load_dword v112, off, s[0:3], 0 offset:140
	buffer_load_dword v113, off, s[0:3], 0 offset:160
	;; [unrolled: 1-line block ×8, first 2 shown]
	s_waitcnt vmcnt(24) lgkmcnt(0)
	v_fma_f64 v[99:100], v[119:120], v[103:104], v[99:100]
	s_waitcnt vmcnt(19)
	v_fma_f64 v[119:120], v[121:122], v[105:106], v[99:100]
	ds_read_b128 v[99:102], v98 offset:464
	ds_read_b128 v[103:106], v98 offset:480
	s_waitcnt vmcnt(18) lgkmcnt(1)
	v_fma_f64 v[99:100], v[127:128], v[99:100], v[119:120]
	s_waitcnt vmcnt(17)
	v_fma_f64 v[99:100], v[125:126], v[101:102], v[99:100]
	buffer_load_dword v120, off, s[0:3], 0 offset:172
	buffer_load_dword v121, off, s[0:3], 0 offset:192
	buffer_load_dword v125, off, s[0:3], 0 offset:184
	buffer_load_dword v127, off, s[0:3], 0 offset:176
	buffer_load_dword v119, off, s[0:3], 0 offset:168
	buffer_load_dword v128, off, s[0:3], 0 offset:180
	buffer_load_dword v126, off, s[0:3], 0 offset:188
	s_waitcnt vmcnt(23) lgkmcnt(0)
	v_fma_f64 v[99:100], v[123:124], v[103:104], v[99:100]
	s_waitcnt vmcnt(18)
	v_fma_f64 v[107:108], v[107:108], v[105:106], v[99:100]
	ds_read_b128 v[99:102], v98 offset:496
	ds_read_b128 v[103:106], v98 offset:512
	buffer_load_dword v122, off, s[0:3], 0 offset:196
	s_waitcnt vmcnt(18) lgkmcnt(1)
	v_fma_f64 v[99:100], v[131:132], v[99:100], v[107:108]
	s_waitcnt vmcnt(17)
	v_fma_f64 v[99:100], v[129:130], v[101:102], v[99:100]
	buffer_load_dword v108, off, s[0:3], 0 offset:204
	buffer_load_dword v123, off, s[0:3], 0 offset:224
	;; [unrolled: 1-line block ×8, first 2 shown]
	s_waitcnt vmcnt(24) lgkmcnt(0)
	v_fma_f64 v[99:100], v[109:110], v[103:104], v[99:100]
	s_waitcnt vmcnt(19)
	v_fma_f64 v[109:110], v[111:112], v[105:106], v[99:100]
	ds_read_b128 v[99:102], v98 offset:528
	ds_read_b128 v[103:106], v98 offset:544
	s_waitcnt vmcnt(18) lgkmcnt(1)
	v_fma_f64 v[99:100], v[117:118], v[99:100], v[109:110]
	s_waitcnt vmcnt(17)
	v_fma_f64 v[99:100], v[115:116], v[101:102], v[99:100]
	buffer_load_dword v110, off, s[0:3], 0 offset:236
	buffer_load_dword v111, off, s[0:3], 0 offset:256
	;; [unrolled: 1-line block ×7, first 2 shown]
	s_waitcnt vmcnt(23) lgkmcnt(0)
	v_fma_f64 v[99:100], v[113:114], v[103:104], v[99:100]
	s_waitcnt vmcnt(18)
	v_fma_f64 v[112:113], v[119:120], v[105:106], v[99:100]
	ds_read_b128 v[99:102], v98 offset:560
	ds_read_b128 v[103:106], v98 offset:576
	s_waitcnt vmcnt(17) lgkmcnt(1)
	v_fma_f64 v[99:100], v[127:128], v[99:100], v[112:113]
	buffer_load_dword v112, off, s[0:3], 0 offset:260
	s_waitcnt vmcnt(17)
	v_fma_f64 v[99:100], v[125:126], v[101:102], v[99:100]
	buffer_load_dword v114, off, s[0:3], 0 offset:268
	buffer_load_dword v119, off, s[0:3], 0 offset:288
	;; [unrolled: 1-line block ×7, first 2 shown]
	s_waitcnt vmcnt(23) lgkmcnt(0)
	v_fma_f64 v[99:100], v[121:122], v[103:104], v[99:100]
	s_waitcnt vmcnt(18)
	v_fma_f64 v[107:108], v[107:108], v[105:106], v[99:100]
	ds_read_b128 v[99:102], v98 offset:592
	ds_read_b128 v[103:106], v98 offset:608
	buffer_load_dword v120, off, s[0:3], 0 offset:292
	s_waitcnt vmcnt(18) lgkmcnt(1)
	v_fma_f64 v[99:100], v[131:132], v[99:100], v[107:108]
	s_waitcnt vmcnt(17)
	v_fma_f64 v[99:100], v[129:130], v[101:102], v[99:100]
	buffer_load_dword v108, off, s[0:3], 0 offset:300
	buffer_load_dword v121, off, s[0:3], 0 offset:320
	;; [unrolled: 1-line block ×8, first 2 shown]
	s_waitcnt vmcnt(24) lgkmcnt(0)
	v_fma_f64 v[99:100], v[123:124], v[103:104], v[99:100]
	s_waitcnt vmcnt(19)
	v_fma_f64 v[109:110], v[109:110], v[105:106], v[99:100]
	ds_read_b128 v[99:102], v98 offset:624
	ds_read_b128 v[103:106], v98 offset:640
	s_waitcnt vmcnt(18) lgkmcnt(1)
	v_fma_f64 v[99:100], v[117:118], v[99:100], v[109:110]
	s_waitcnt vmcnt(17)
	v_fma_f64 v[99:100], v[115:116], v[101:102], v[99:100]
	buffer_load_dword v110, off, s[0:3], 0 offset:332
	buffer_load_dword v115, off, s[0:3], 0 offset:352
	buffer_load_dword v117, off, s[0:3], 0 offset:344
	buffer_load_dword v123, off, s[0:3], 0 offset:336
	buffer_load_dword v109, off, s[0:3], 0 offset:328
	buffer_load_dword v124, off, s[0:3], 0 offset:340
	buffer_load_dword v118, off, s[0:3], 0 offset:348
	buffer_load_dword v116, off, s[0:3], 0 offset:356
	s_waitcnt vmcnt(24) lgkmcnt(0)
	v_fma_f64 v[99:100], v[111:112], v[103:104], v[99:100]
	s_waitcnt vmcnt(19)
	v_fma_f64 v[111:112], v[113:114], v[105:106], v[99:100]
	ds_read_b128 v[99:102], v98 offset:656
	ds_read_b128 v[103:106], v98 offset:672
	s_waitcnt vmcnt(18) lgkmcnt(1)
	v_fma_f64 v[99:100], v[127:128], v[99:100], v[111:112]
	s_waitcnt vmcnt(17)
	v_fma_f64 v[99:100], v[125:126], v[101:102], v[99:100]
	buffer_load_dword v112, off, s[0:3], 0 offset:364
	buffer_load_dword v113, off, s[0:3], 0 offset:376
	;; [unrolled: 1-line block ×6, first 2 shown]
	s_waitcnt vmcnt(22) lgkmcnt(0)
	v_fma_f64 v[99:100], v[119:120], v[103:104], v[99:100]
	s_waitcnt vmcnt(17)
	v_fma_f64 v[107:108], v[107:108], v[105:106], v[99:100]
	ds_read_b128 v[99:102], v98 offset:688
	buffer_load_dword v119, off, s[0:3], 0 offset:8
	buffer_load_dword v120, off, s[0:3], 0 offset:12
	ds_read_b128 v[103:106], v98 offset:704
	s_waitcnt vmcnt(18) lgkmcnt(1)
	v_fma_f64 v[99:100], v[131:132], v[99:100], v[107:108]
	s_waitcnt vmcnt(17)
	v_fma_f64 v[99:100], v[129:130], v[101:102], v[99:100]
	s_waitcnt vmcnt(16) lgkmcnt(0)
	v_fma_f64 v[99:100], v[121:122], v[103:104], v[99:100]
	s_waitcnt vmcnt(11)
	v_fma_f64 v[107:108], v[109:110], v[105:106], v[99:100]
	ds_read_b128 v[99:102], v98 offset:720
	ds_read_b128 v[103:106], v98 offset:736
	s_waitcnt vmcnt(10) lgkmcnt(1)
	v_fma_f64 v[99:100], v[123:124], v[99:100], v[107:108]
	s_waitcnt vmcnt(9)
	v_fma_f64 v[99:100], v[117:118], v[101:102], v[99:100]
	s_waitcnt vmcnt(8) lgkmcnt(0)
	v_fma_f64 v[99:100], v[115:116], v[103:104], v[99:100]
	s_waitcnt vmcnt(4)
	v_fma_f64 v[102:103], v[111:112], v[105:106], v[99:100]
	ds_read_b128 v[98:101], v98 offset:752
	s_waitcnt vmcnt(3) lgkmcnt(0)
	v_fma_f64 v[98:99], v[125:126], v[98:99], v[102:103]
	s_waitcnt vmcnt(2)
	v_fma_f64 v[98:99], v[113:114], v[100:101], v[98:99]
	s_waitcnt vmcnt(0)
	v_add_f64 v[98:99], v[119:120], -v[98:99]
	buffer_store_dword v99, off, s[0:3], 0 offset:12
	buffer_store_dword v98, off, s[0:3], 0 offset:8
	s_and_saveexec_b64 s[4:5], vcc
	s_cbranch_execz .LBB47_295
; %bb.294:
	buffer_load_dword v98, off, s[0:3], 0
	buffer_load_dword v99, off, s[0:3], 0 offset:4
	v_mov_b32_e32 v0, 0
	buffer_store_dword v0, off, s[0:3], 0
	buffer_store_dword v0, off, s[0:3], 0 offset:4
	s_waitcnt vmcnt(2)
	ds_write_b64 v97, v[98:99]
.LBB47_295:
	s_or_b64 exec, exec, s[4:5]
	s_waitcnt lgkmcnt(0)
	; wave barrier
	buffer_load_dword v105, off, s[0:3], 0 offset:8
	buffer_load_dword v106, off, s[0:3], 0 offset:12
	;; [unrolled: 1-line block ×21, first 2 shown]
	v_mov_b32_e32 v0, 0
	ds_read2_b64 v[97:100], v0 offset0:49 offset1:50
	ds_read2_b64 v[101:104], v0 offset0:51 offset1:52
	buffer_load_dword v122, off, s[0:3], 0 offset:92
	s_and_b64 vcc, exec, s[22:23]
	s_waitcnt vmcnt(20) lgkmcnt(1)
	v_fma_f64 v[97:98], v[105:106], v[97:98], 0
	s_waitcnt vmcnt(18)
	v_fma_f64 v[97:98], v[107:108], v[99:100], v[97:98]
	buffer_load_dword v106, off, s[0:3], 0 offset:100
	buffer_load_dword v107, off, s[0:3], 0 offset:120
	;; [unrolled: 1-line block ×7, first 2 shown]
	s_waitcnt vmcnt(23) lgkmcnt(0)
	v_fma_f64 v[97:98], v[109:110], v[101:102], v[97:98]
	s_waitcnt vmcnt(21)
	v_fma_f64 v[108:109], v[111:112], v[103:104], v[97:98]
	ds_read2_b64 v[97:100], v0 offset0:53 offset1:54
	ds_read2_b64 v[101:104], v0 offset0:55 offset1:56
	s_waitcnt vmcnt(19) lgkmcnt(1)
	v_fma_f64 v[97:98], v[113:114], v[97:98], v[108:109]
	buffer_load_dword v108, off, s[0:3], 0 offset:124
	s_waitcnt vmcnt(18)
	v_fma_f64 v[97:98], v[115:116], v[99:100], v[97:98]
	buffer_load_dword v110, off, s[0:3], 0 offset:132
	buffer_load_dword v111, off, s[0:3], 0 offset:152
	;; [unrolled: 1-line block ×8, first 2 shown]
	s_waitcnt vmcnt(24) lgkmcnt(0)
	v_fma_f64 v[97:98], v[117:118], v[101:102], v[97:98]
	s_waitcnt vmcnt(19)
	v_fma_f64 v[117:118], v[119:120], v[103:104], v[97:98]
	ds_read2_b64 v[97:100], v0 offset0:57 offset1:58
	ds_read2_b64 v[101:104], v0 offset0:59 offset1:60
	s_waitcnt vmcnt(18) lgkmcnt(1)
	v_fma_f64 v[97:98], v[125:126], v[97:98], v[117:118]
	s_waitcnt vmcnt(17)
	v_fma_f64 v[97:98], v[123:124], v[99:100], v[97:98]
	buffer_load_dword v118, off, s[0:3], 0 offset:164
	buffer_load_dword v119, off, s[0:3], 0 offset:184
	;; [unrolled: 1-line block ×7, first 2 shown]
	s_waitcnt vmcnt(23) lgkmcnt(0)
	v_fma_f64 v[97:98], v[121:122], v[101:102], v[97:98]
	s_waitcnt vmcnt(18)
	v_fma_f64 v[105:106], v[105:106], v[103:104], v[97:98]
	ds_read2_b64 v[97:100], v0 offset0:61 offset1:62
	ds_read2_b64 v[101:104], v0 offset0:63 offset1:64
	buffer_load_dword v120, off, s[0:3], 0 offset:188
	s_waitcnt vmcnt(18) lgkmcnt(1)
	v_fma_f64 v[97:98], v[129:130], v[97:98], v[105:106]
	s_waitcnt vmcnt(17)
	v_fma_f64 v[97:98], v[127:128], v[99:100], v[97:98]
	buffer_load_dword v106, off, s[0:3], 0 offset:196
	buffer_load_dword v121, off, s[0:3], 0 offset:216
	;; [unrolled: 1-line block ×8, first 2 shown]
	s_waitcnt vmcnt(24) lgkmcnt(0)
	v_fma_f64 v[97:98], v[107:108], v[101:102], v[97:98]
	s_waitcnt vmcnt(19)
	v_fma_f64 v[107:108], v[109:110], v[103:104], v[97:98]
	ds_read2_b64 v[97:100], v0 offset0:65 offset1:66
	ds_read2_b64 v[101:104], v0 offset0:67 offset1:68
	s_waitcnt vmcnt(18) lgkmcnt(1)
	v_fma_f64 v[97:98], v[115:116], v[97:98], v[107:108]
	s_waitcnt vmcnt(17)
	v_fma_f64 v[97:98], v[113:114], v[99:100], v[97:98]
	buffer_load_dword v108, off, s[0:3], 0 offset:228
	buffer_load_dword v109, off, s[0:3], 0 offset:248
	;; [unrolled: 1-line block ×7, first 2 shown]
	s_waitcnt vmcnt(23) lgkmcnt(0)
	v_fma_f64 v[97:98], v[111:112], v[101:102], v[97:98]
	s_waitcnt vmcnt(18)
	v_fma_f64 v[110:111], v[117:118], v[103:104], v[97:98]
	ds_read2_b64 v[97:100], v0 offset0:69 offset1:70
	ds_read2_b64 v[101:104], v0 offset0:71 offset1:72
	s_waitcnt vmcnt(17) lgkmcnt(1)
	v_fma_f64 v[97:98], v[125:126], v[97:98], v[110:111]
	buffer_load_dword v110, off, s[0:3], 0 offset:252
	s_waitcnt vmcnt(17)
	v_fma_f64 v[97:98], v[123:124], v[99:100], v[97:98]
	buffer_load_dword v112, off, s[0:3], 0 offset:260
	buffer_load_dword v117, off, s[0:3], 0 offset:280
	;; [unrolled: 1-line block ×7, first 2 shown]
	s_waitcnt vmcnt(23) lgkmcnt(0)
	v_fma_f64 v[97:98], v[119:120], v[101:102], v[97:98]
	s_waitcnt vmcnt(18)
	v_fma_f64 v[105:106], v[105:106], v[103:104], v[97:98]
	ds_read2_b64 v[97:100], v0 offset0:73 offset1:74
	ds_read2_b64 v[101:104], v0 offset0:75 offset1:76
	buffer_load_dword v118, off, s[0:3], 0 offset:284
	s_waitcnt vmcnt(18) lgkmcnt(1)
	v_fma_f64 v[97:98], v[129:130], v[97:98], v[105:106]
	s_waitcnt vmcnt(17)
	v_fma_f64 v[97:98], v[127:128], v[99:100], v[97:98]
	buffer_load_dword v106, off, s[0:3], 0 offset:292
	buffer_load_dword v119, off, s[0:3], 0 offset:312
	buffer_load_dword v127, off, s[0:3], 0 offset:304
	buffer_load_dword v129, off, s[0:3], 0 offset:296
	buffer_load_dword v105, off, s[0:3], 0 offset:288
	buffer_load_dword v130, off, s[0:3], 0 offset:300
	buffer_load_dword v128, off, s[0:3], 0 offset:308
	buffer_load_dword v120, off, s[0:3], 0 offset:316
	s_waitcnt vmcnt(24) lgkmcnt(0)
	v_fma_f64 v[97:98], v[121:122], v[101:102], v[97:98]
	s_waitcnt vmcnt(19)
	v_fma_f64 v[107:108], v[107:108], v[103:104], v[97:98]
	ds_read2_b64 v[97:100], v0 offset0:77 offset1:78
	ds_read2_b64 v[101:104], v0 offset0:79 offset1:80
	s_waitcnt vmcnt(18) lgkmcnt(1)
	v_fma_f64 v[97:98], v[115:116], v[97:98], v[107:108]
	s_waitcnt vmcnt(17)
	v_fma_f64 v[97:98], v[113:114], v[99:100], v[97:98]
	buffer_load_dword v114, off, s[0:3], 0 offset:324
	buffer_load_dword v115, off, s[0:3], 0 offset:344
	buffer_load_dword v121, off, s[0:3], 0 offset:336
	buffer_load_dword v131, off, s[0:3], 0 offset:328
	buffer_load_dword v113, off, s[0:3], 0 offset:320
	buffer_load_dword v132, off, s[0:3], 0 offset:332
	buffer_load_dword v122, off, s[0:3], 0 offset:340
	buffer_load_dword v116, off, s[0:3], 0 offset:348
	s_waitcnt vmcnt(24) lgkmcnt(0)
	v_fma_f64 v[97:98], v[109:110], v[101:102], v[97:98]
	s_waitcnt vmcnt(19)
	v_fma_f64 v[107:108], v[111:112], v[103:104], v[97:98]
	ds_read2_b64 v[97:100], v0 offset0:81 offset1:82
	ds_read2_b64 v[101:104], v0 offset0:83 offset1:84
	;; [unrolled: 18-line block ×3, first 2 shown]
	buffer_load_dword v117, off, s[0:3], 0
	buffer_load_dword v118, off, s[0:3], 0 offset:4
	s_waitcnt vmcnt(20) lgkmcnt(1)
	v_fma_f64 v[97:98], v[129:130], v[101:102], v[97:98]
	s_waitcnt vmcnt(19)
	v_fma_f64 v[97:98], v[127:128], v[103:104], v[97:98]
	s_waitcnt vmcnt(18) lgkmcnt(0)
	v_fma_f64 v[97:98], v[119:120], v[105:106], v[97:98]
	s_waitcnt vmcnt(13)
	v_fma_f64 v[97:98], v[113:114], v[107:108], v[97:98]
	ds_read2_b64 v[101:104], v0 offset0:89 offset1:90
	ds_read2_b64 v[105:108], v0 offset0:91 offset1:92
	s_waitcnt vmcnt(12) lgkmcnt(1)
	v_fma_f64 v[97:98], v[131:132], v[101:102], v[97:98]
	s_waitcnt vmcnt(11)
	v_fma_f64 v[97:98], v[121:122], v[103:104], v[97:98]
	s_waitcnt vmcnt(10) lgkmcnt(0)
	v_fma_f64 v[97:98], v[115:116], v[105:106], v[97:98]
	ds_read2_b64 v[101:104], v0 offset0:93 offset1:94
	ds_read_b64 v[105:106], v0 offset:760
	s_waitcnt vmcnt(5)
	v_fma_f64 v[97:98], v[109:110], v[107:108], v[97:98]
	s_waitcnt vmcnt(4) lgkmcnt(1)
	v_fma_f64 v[97:98], v[123:124], v[101:102], v[97:98]
	s_waitcnt vmcnt(3)
	v_fma_f64 v[97:98], v[99:100], v[103:104], v[97:98]
	s_waitcnt vmcnt(2) lgkmcnt(0)
	v_fma_f64 v[97:98], v[111:112], v[105:106], v[97:98]
	s_waitcnt vmcnt(0)
	v_add_f64 v[97:98], v[117:118], -v[97:98]
	buffer_store_dword v98, off, s[0:3], 0 offset:4
	buffer_store_dword v97, off, s[0:3], 0
	s_cbranch_vccz .LBB47_390
; %bb.296:
	global_load_dword v0, v0, s[20:21] offset:184
	s_waitcnt vmcnt(0)
	v_add_u32_e32 v0, -1, v0
	v_cmp_ne_u32_e32 vcc, 46, v0
	s_cbranch_vccz .LBB47_298
; %bb.297:
	v_lshlrev_b32_e32 v0, 3, v0
	buffer_load_dword v97, v0, s[0:3], 0 offen offset:4
	buffer_load_dword v98, v0, s[0:3], 0 offen
	s_waitcnt vmcnt(1)
	buffer_store_dword v97, off, s[0:3], 0 offset:372
	s_waitcnt vmcnt(1)
	buffer_store_dword v98, off, s[0:3], 0 offset:368
	buffer_store_dword v100, v0, s[0:3], 0 offen offset:4
	buffer_store_dword v99, v0, s[0:3], 0 offen
.LBB47_298:
	v_mov_b32_e32 v0, 0
	global_load_dword v97, v0, s[20:21] offset:180
	s_waitcnt vmcnt(0)
	v_add_u32_e32 v97, -1, v97
	v_cmp_eq_u32_e32 vcc, 45, v97
	s_cbranch_vccnz .LBB47_300
; %bb.299:
	v_lshlrev_b32_e32 v97, 3, v97
	buffer_load_dword v98, v97, s[0:3], 0 offen
	buffer_load_dword v99, v97, s[0:3], 0 offen offset:4
	buffer_load_dword v100, off, s[0:3], 0 offset:360
	buffer_load_dword v101, off, s[0:3], 0 offset:364
	s_waitcnt vmcnt(3)
	buffer_store_dword v98, off, s[0:3], 0 offset:360
	s_waitcnt vmcnt(3)
	buffer_store_dword v99, off, s[0:3], 0 offset:364
	s_waitcnt vmcnt(3)
	buffer_store_dword v100, v97, s[0:3], 0 offen
	s_waitcnt vmcnt(3)
	buffer_store_dword v101, v97, s[0:3], 0 offen offset:4
.LBB47_300:
	global_load_dword v0, v0, s[20:21] offset:176
	s_waitcnt vmcnt(0)
	v_add_u32_e32 v0, -1, v0
	v_cmp_eq_u32_e32 vcc, 44, v0
	s_cbranch_vccnz .LBB47_302
; %bb.301:
	v_lshlrev_b32_e32 v0, 3, v0
	buffer_load_dword v97, v0, s[0:3], 0 offen
	buffer_load_dword v98, v0, s[0:3], 0 offen offset:4
	buffer_load_dword v99, off, s[0:3], 0 offset:356
	buffer_load_dword v100, off, s[0:3], 0 offset:352
	s_waitcnt vmcnt(3)
	buffer_store_dword v97, off, s[0:3], 0 offset:352
	s_waitcnt vmcnt(3)
	buffer_store_dword v98, off, s[0:3], 0 offset:356
	s_waitcnt vmcnt(3)
	buffer_store_dword v99, v0, s[0:3], 0 offen offset:4
	s_waitcnt vmcnt(3)
	buffer_store_dword v100, v0, s[0:3], 0 offen
.LBB47_302:
	v_mov_b32_e32 v0, 0
	global_load_dword v97, v0, s[20:21] offset:172
	s_waitcnt vmcnt(0)
	v_add_u32_e32 v97, -1, v97
	v_cmp_eq_u32_e32 vcc, 43, v97
	s_cbranch_vccnz .LBB47_304
; %bb.303:
	v_lshlrev_b32_e32 v97, 3, v97
	buffer_load_dword v98, v97, s[0:3], 0 offen
	buffer_load_dword v99, v97, s[0:3], 0 offen offset:4
	buffer_load_dword v100, off, s[0:3], 0 offset:344
	buffer_load_dword v101, off, s[0:3], 0 offset:348
	s_waitcnt vmcnt(3)
	buffer_store_dword v98, off, s[0:3], 0 offset:344
	s_waitcnt vmcnt(3)
	buffer_store_dword v99, off, s[0:3], 0 offset:348
	s_waitcnt vmcnt(3)
	buffer_store_dword v100, v97, s[0:3], 0 offen
	s_waitcnt vmcnt(3)
	buffer_store_dword v101, v97, s[0:3], 0 offen offset:4
.LBB47_304:
	global_load_dword v0, v0, s[20:21] offset:168
	s_waitcnt vmcnt(0)
	v_add_u32_e32 v0, -1, v0
	v_cmp_eq_u32_e32 vcc, 42, v0
	s_cbranch_vccnz .LBB47_306
; %bb.305:
	v_lshlrev_b32_e32 v0, 3, v0
	buffer_load_dword v97, v0, s[0:3], 0 offen
	buffer_load_dword v98, v0, s[0:3], 0 offen offset:4
	buffer_load_dword v99, off, s[0:3], 0 offset:340
	buffer_load_dword v100, off, s[0:3], 0 offset:336
	s_waitcnt vmcnt(3)
	buffer_store_dword v97, off, s[0:3], 0 offset:336
	s_waitcnt vmcnt(3)
	buffer_store_dword v98, off, s[0:3], 0 offset:340
	s_waitcnt vmcnt(3)
	buffer_store_dword v99, v0, s[0:3], 0 offen offset:4
	s_waitcnt vmcnt(3)
	buffer_store_dword v100, v0, s[0:3], 0 offen
.LBB47_306:
	;; [unrolled: 41-line block ×22, first 2 shown]
	v_mov_b32_e32 v0, 0
	global_load_dword v97, v0, s[20:21] offset:4
	s_waitcnt vmcnt(0)
	v_add_u32_e32 v97, -1, v97
	v_cmp_eq_u32_e32 vcc, 1, v97
	s_cbranch_vccnz .LBB47_388
; %bb.387:
	v_lshlrev_b32_e32 v97, 3, v97
	buffer_load_dword v98, v97, s[0:3], 0 offen
	buffer_load_dword v99, v97, s[0:3], 0 offen offset:4
	buffer_load_dword v100, off, s[0:3], 0 offset:8
	buffer_load_dword v101, off, s[0:3], 0 offset:12
	s_waitcnt vmcnt(3)
	buffer_store_dword v98, off, s[0:3], 0 offset:8
	s_waitcnt vmcnt(3)
	buffer_store_dword v99, off, s[0:3], 0 offset:12
	s_waitcnt vmcnt(3)
	buffer_store_dword v100, v97, s[0:3], 0 offen
	s_waitcnt vmcnt(3)
	buffer_store_dword v101, v97, s[0:3], 0 offen offset:4
.LBB47_388:
	global_load_dword v0, v0, s[20:21]
	s_nop 0
	buffer_load_dword v97, off, s[0:3], 0
	buffer_load_dword v98, off, s[0:3], 0 offset:4
	s_waitcnt vmcnt(2)
	v_add_u32_e32 v0, -1, v0
	v_cmp_eq_u32_e32 vcc, 0, v0
	s_cbranch_vccnz .LBB47_390
; %bb.389:
	v_lshlrev_b32_e32 v0, 3, v0
	buffer_load_dword v99, v0, s[0:3], 0 offen offset:4
	buffer_load_dword v100, v0, s[0:3], 0 offen
	s_waitcnt vmcnt(1)
	buffer_store_dword v99, off, s[0:3], 0 offset:4
	s_waitcnt vmcnt(1)
	buffer_store_dword v100, off, s[0:3], 0
	buffer_store_dword v98, v0, s[0:3], 0 offen offset:4
	buffer_store_dword v97, v0, s[0:3], 0 offen
	buffer_load_dword v97, off, s[0:3], 0
	s_nop 0
	buffer_load_dword v98, off, s[0:3], 0 offset:4
.LBB47_390:
	buffer_load_dword v99, off, s[0:3], 0 offset:8
	buffer_load_dword v100, off, s[0:3], 0 offset:12
	buffer_load_dword v101, off, s[0:3], 0 offset:16
	buffer_load_dword v102, off, s[0:3], 0 offset:20
	buffer_load_dword v103, off, s[0:3], 0 offset:24
	buffer_load_dword v104, off, s[0:3], 0 offset:28
	buffer_load_dword v105, off, s[0:3], 0 offset:32
	buffer_load_dword v106, off, s[0:3], 0 offset:36
	buffer_load_dword v107, off, s[0:3], 0 offset:40
	buffer_load_dword v108, off, s[0:3], 0 offset:44
	buffer_load_dword v109, off, s[0:3], 0 offset:48
	buffer_load_dword v110, off, s[0:3], 0 offset:52
	buffer_load_dword v111, off, s[0:3], 0 offset:56
	buffer_load_dword v112, off, s[0:3], 0 offset:60
	buffer_load_dword v113, off, s[0:3], 0 offset:64
	buffer_load_dword v114, off, s[0:3], 0 offset:68
	buffer_load_dword v115, off, s[0:3], 0 offset:72
	buffer_load_dword v116, off, s[0:3], 0 offset:76
	buffer_load_dword v117, off, s[0:3], 0 offset:80
	buffer_load_dword v118, off, s[0:3], 0 offset:84
	buffer_load_dword v119, off, s[0:3], 0 offset:88
	buffer_load_dword v120, off, s[0:3], 0 offset:92
	buffer_load_dword v121, off, s[0:3], 0 offset:96
	buffer_load_dword v122, off, s[0:3], 0 offset:100
	buffer_load_dword v123, off, s[0:3], 0 offset:104
	buffer_load_dword v124, off, s[0:3], 0 offset:108
	buffer_load_dword v125, off, s[0:3], 0 offset:112
	buffer_load_dword v126, off, s[0:3], 0 offset:116
	buffer_load_dword v127, off, s[0:3], 0 offset:120
	buffer_load_dword v128, off, s[0:3], 0 offset:124
	buffer_load_dword v129, off, s[0:3], 0 offset:128
	buffer_load_dword v130, off, s[0:3], 0 offset:132
	buffer_load_dword v131, off, s[0:3], 0 offset:136
	buffer_load_dword v132, off, s[0:3], 0 offset:140
	buffer_load_dword v133, off, s[0:3], 0 offset:144
	buffer_load_dword v134, off, s[0:3], 0 offset:148
	buffer_load_dword v135, off, s[0:3], 0 offset:152
	buffer_load_dword v136, off, s[0:3], 0 offset:156
	buffer_load_dword v137, off, s[0:3], 0 offset:160
	buffer_load_dword v138, off, s[0:3], 0 offset:164
	buffer_load_dword v139, off, s[0:3], 0 offset:168
	buffer_load_dword v140, off, s[0:3], 0 offset:172
	buffer_load_dword v141, off, s[0:3], 0 offset:176
	buffer_load_dword v142, off, s[0:3], 0 offset:180
	buffer_load_dword v143, off, s[0:3], 0 offset:184
	buffer_load_dword v144, off, s[0:3], 0 offset:188
	buffer_load_dword v145, off, s[0:3], 0 offset:192
	buffer_load_dword v146, off, s[0:3], 0 offset:196
	buffer_load_dword v147, off, s[0:3], 0 offset:200
	buffer_load_dword v148, off, s[0:3], 0 offset:204
	buffer_load_dword v149, off, s[0:3], 0 offset:208
	buffer_load_dword v150, off, s[0:3], 0 offset:212
	buffer_load_dword v151, off, s[0:3], 0 offset:216
	buffer_load_dword v152, off, s[0:3], 0 offset:220
	buffer_load_dword v153, off, s[0:3], 0 offset:224
	buffer_load_dword v154, off, s[0:3], 0 offset:228
	buffer_load_dword v155, off, s[0:3], 0 offset:232
	buffer_load_dword v156, off, s[0:3], 0 offset:236
	buffer_load_dword v157, off, s[0:3], 0 offset:240
	buffer_load_dword v158, off, s[0:3], 0 offset:244
	buffer_load_dword v159, off, s[0:3], 0 offset:248
	buffer_load_dword v160, off, s[0:3], 0 offset:252
	buffer_load_dword v161, off, s[0:3], 0 offset:256
	buffer_load_dword v162, off, s[0:3], 0 offset:260
	buffer_load_dword v163, off, s[0:3], 0 offset:264
	buffer_load_dword v164, off, s[0:3], 0 offset:268
	buffer_load_dword v165, off, s[0:3], 0 offset:272
	buffer_load_dword v166, off, s[0:3], 0 offset:276
	buffer_load_dword v167, off, s[0:3], 0 offset:280
	buffer_load_dword v168, off, s[0:3], 0 offset:284
	buffer_load_dword v169, off, s[0:3], 0 offset:288
	buffer_load_dword v170, off, s[0:3], 0 offset:292
	buffer_load_dword v171, off, s[0:3], 0 offset:296
	buffer_load_dword v172, off, s[0:3], 0 offset:300
	buffer_load_dword v173, off, s[0:3], 0 offset:304
	buffer_load_dword v174, off, s[0:3], 0 offset:308
	buffer_load_dword v175, off, s[0:3], 0 offset:312
	buffer_load_dword v176, off, s[0:3], 0 offset:316
	buffer_load_dword v177, off, s[0:3], 0 offset:320
	buffer_load_dword v178, off, s[0:3], 0 offset:324
	buffer_load_dword v179, off, s[0:3], 0 offset:328
	buffer_load_dword v180, off, s[0:3], 0 offset:332
	buffer_load_dword v181, off, s[0:3], 0 offset:336
	buffer_load_dword v182, off, s[0:3], 0 offset:340
	buffer_load_dword v183, off, s[0:3], 0 offset:344
	buffer_load_dword v184, off, s[0:3], 0 offset:348
	buffer_load_dword v185, off, s[0:3], 0 offset:352
	buffer_load_dword v186, off, s[0:3], 0 offset:356
	buffer_load_dword v187, off, s[0:3], 0 offset:360
	buffer_load_dword v188, off, s[0:3], 0 offset:364
	buffer_load_dword v189, off, s[0:3], 0 offset:368
	buffer_load_dword v190, off, s[0:3], 0 offset:372
	buffer_load_dword v191, off, s[0:3], 0 offset:376
	buffer_load_dword v192, off, s[0:3], 0 offset:380
	s_waitcnt vmcnt(62)
	global_store_dwordx2 v[87:88], v[97:98], off
	global_store_dwordx2 v[89:90], v[99:100], off
	;; [unrolled: 1-line block ×17, first 2 shown]
	s_waitcnt vmcnt(62)
	global_store_dwordx2 v[31:32], v[131:132], off
	global_store_dwordx2 v[33:34], v[133:134], off
	;; [unrolled: 1-line block ×8, first 2 shown]
	s_waitcnt vmcnt(62)
	global_store_dwordx2 v[47:48], v[147:148], off
	global_store_dwordx2 v[49:50], v[149:150], off
	;; [unrolled: 1-line block ×4, first 2 shown]
	s_waitcnt vmcnt(62)
	global_store_dwordx2 v[55:56], v[155:156], off
	global_store_dwordx2 v[57:58], v[157:158], off
	s_waitcnt vmcnt(62)
	global_store_dwordx2 v[59:60], v[159:160], off
	s_waitcnt vmcnt(62)
	;; [unrolled: 2-line block ×17, first 2 shown]
	global_store_dwordx2 v[95:96], v[191:192], off
	s_endpgm
	.section	.rodata,"a",@progbits
	.p2align	6, 0x0
	.amdhsa_kernel _ZN9rocsolver6v33100L18getri_kernel_smallILi48EdPdEEvT1_iilPiilS4_bb
		.amdhsa_group_segment_fixed_size 776
		.amdhsa_private_segment_fixed_size 400
		.amdhsa_kernarg_size 60
		.amdhsa_user_sgpr_count 6
		.amdhsa_user_sgpr_private_segment_buffer 1
		.amdhsa_user_sgpr_dispatch_ptr 0
		.amdhsa_user_sgpr_queue_ptr 0
		.amdhsa_user_sgpr_kernarg_segment_ptr 1
		.amdhsa_user_sgpr_dispatch_id 0
		.amdhsa_user_sgpr_flat_scratch_init 0
		.amdhsa_user_sgpr_private_segment_size 0
		.amdhsa_uses_dynamic_stack 0
		.amdhsa_system_sgpr_private_segment_wavefront_offset 1
		.amdhsa_system_sgpr_workgroup_id_x 1
		.amdhsa_system_sgpr_workgroup_id_y 0
		.amdhsa_system_sgpr_workgroup_id_z 0
		.amdhsa_system_sgpr_workgroup_info 0
		.amdhsa_system_vgpr_workitem_id 0
		.amdhsa_next_free_vgpr 193
		.amdhsa_next_free_sgpr 24
		.amdhsa_reserve_vcc 1
		.amdhsa_reserve_flat_scratch 0
		.amdhsa_float_round_mode_32 0
		.amdhsa_float_round_mode_16_64 0
		.amdhsa_float_denorm_mode_32 3
		.amdhsa_float_denorm_mode_16_64 3
		.amdhsa_dx10_clamp 1
		.amdhsa_ieee_mode 1
		.amdhsa_fp16_overflow 0
		.amdhsa_exception_fp_ieee_invalid_op 0
		.amdhsa_exception_fp_denorm_src 0
		.amdhsa_exception_fp_ieee_div_zero 0
		.amdhsa_exception_fp_ieee_overflow 0
		.amdhsa_exception_fp_ieee_underflow 0
		.amdhsa_exception_fp_ieee_inexact 0
		.amdhsa_exception_int_div_zero 0
	.end_amdhsa_kernel
	.section	.text._ZN9rocsolver6v33100L18getri_kernel_smallILi48EdPdEEvT1_iilPiilS4_bb,"axG",@progbits,_ZN9rocsolver6v33100L18getri_kernel_smallILi48EdPdEEvT1_iilPiilS4_bb,comdat
.Lfunc_end47:
	.size	_ZN9rocsolver6v33100L18getri_kernel_smallILi48EdPdEEvT1_iilPiilS4_bb, .Lfunc_end47-_ZN9rocsolver6v33100L18getri_kernel_smallILi48EdPdEEvT1_iilPiilS4_bb
                                        ; -- End function
	.set _ZN9rocsolver6v33100L18getri_kernel_smallILi48EdPdEEvT1_iilPiilS4_bb.num_vgpr, 193
	.set _ZN9rocsolver6v33100L18getri_kernel_smallILi48EdPdEEvT1_iilPiilS4_bb.num_agpr, 0
	.set _ZN9rocsolver6v33100L18getri_kernel_smallILi48EdPdEEvT1_iilPiilS4_bb.numbered_sgpr, 24
	.set _ZN9rocsolver6v33100L18getri_kernel_smallILi48EdPdEEvT1_iilPiilS4_bb.num_named_barrier, 0
	.set _ZN9rocsolver6v33100L18getri_kernel_smallILi48EdPdEEvT1_iilPiilS4_bb.private_seg_size, 400
	.set _ZN9rocsolver6v33100L18getri_kernel_smallILi48EdPdEEvT1_iilPiilS4_bb.uses_vcc, 1
	.set _ZN9rocsolver6v33100L18getri_kernel_smallILi48EdPdEEvT1_iilPiilS4_bb.uses_flat_scratch, 0
	.set _ZN9rocsolver6v33100L18getri_kernel_smallILi48EdPdEEvT1_iilPiilS4_bb.has_dyn_sized_stack, 0
	.set _ZN9rocsolver6v33100L18getri_kernel_smallILi48EdPdEEvT1_iilPiilS4_bb.has_recursion, 0
	.set _ZN9rocsolver6v33100L18getri_kernel_smallILi48EdPdEEvT1_iilPiilS4_bb.has_indirect_call, 0
	.section	.AMDGPU.csdata,"",@progbits
; Kernel info:
; codeLenInByte = 59660
; TotalNumSgprs: 28
; NumVgprs: 193
; ScratchSize: 400
; MemoryBound: 1
; FloatMode: 240
; IeeeMode: 1
; LDSByteSize: 776 bytes/workgroup (compile time only)
; SGPRBlocks: 3
; VGPRBlocks: 48
; NumSGPRsForWavesPerEU: 28
; NumVGPRsForWavesPerEU: 193
; Occupancy: 1
; WaveLimiterHint : 1
; COMPUTE_PGM_RSRC2:SCRATCH_EN: 1
; COMPUTE_PGM_RSRC2:USER_SGPR: 6
; COMPUTE_PGM_RSRC2:TRAP_HANDLER: 0
; COMPUTE_PGM_RSRC2:TGID_X_EN: 1
; COMPUTE_PGM_RSRC2:TGID_Y_EN: 0
; COMPUTE_PGM_RSRC2:TGID_Z_EN: 0
; COMPUTE_PGM_RSRC2:TIDIG_COMP_CNT: 0
	.section	.text._ZN9rocsolver6v33100L18getri_kernel_smallILi49EdPdEEvT1_iilPiilS4_bb,"axG",@progbits,_ZN9rocsolver6v33100L18getri_kernel_smallILi49EdPdEEvT1_iilPiilS4_bb,comdat
	.globl	_ZN9rocsolver6v33100L18getri_kernel_smallILi49EdPdEEvT1_iilPiilS4_bb ; -- Begin function _ZN9rocsolver6v33100L18getri_kernel_smallILi49EdPdEEvT1_iilPiilS4_bb
	.p2align	8
	.type	_ZN9rocsolver6v33100L18getri_kernel_smallILi49EdPdEEvT1_iilPiilS4_bb,@function
_ZN9rocsolver6v33100L18getri_kernel_smallILi49EdPdEEvT1_iilPiilS4_bb: ; @_ZN9rocsolver6v33100L18getri_kernel_smallILi49EdPdEEvT1_iilPiilS4_bb
; %bb.0:
	s_add_u32 s0, s0, s7
	s_addc_u32 s1, s1, 0
	v_cmp_gt_u32_e32 vcc, 49, v0
	s_and_saveexec_b64 s[8:9], vcc
	s_cbranch_execz .LBB48_204
; %bb.1:
	s_load_dword s12, s[4:5], 0x38
	s_load_dwordx4 s[16:19], s[4:5], 0x10
	s_load_dwordx4 s[8:11], s[4:5], 0x28
                                        ; implicit-def: $sgpr20_sgpr21
	s_waitcnt lgkmcnt(0)
	s_bitcmp1_b32 s12, 8
	s_cselect_b64 s[22:23], -1, 0
	s_ashr_i32 s7, s6, 31
	s_bfe_u32 s12, s12, 0x10008
	s_cmp_eq_u32 s12, 0
	s_cbranch_scc1 .LBB48_3
; %bb.2:
	s_load_dword s12, s[4:5], 0x20
	s_mul_i32 s13, s8, s7
	s_mul_hi_u32 s14, s8, s6
	s_mul_i32 s9, s9, s6
	s_add_i32 s14, s14, s13
	s_add_i32 s9, s14, s9
	s_mul_i32 s8, s8, s6
	s_waitcnt lgkmcnt(0)
	s_ashr_i32 s13, s12, 31
	s_lshl_b64 s[8:9], s[8:9], 2
	s_add_u32 s14, s18, s8
	s_addc_u32 s15, s19, s9
	s_lshl_b64 s[8:9], s[12:13], 2
	s_add_u32 s20, s14, s8
	s_addc_u32 s21, s15, s9
.LBB48_3:
	s_load_dwordx4 s[12:15], s[4:5], 0x0
	s_load_dword s8, s[4:5], 0x38
	s_mul_i32 s9, s16, s7
	s_mul_hi_u32 s18, s16, s6
	s_add_i32 s9, s18, s9
	s_waitcnt lgkmcnt(0)
	s_ashr_i32 s5, s14, 31
	s_mov_b32 s4, s14
	s_mul_i32 s14, s17, s6
	s_add_i32 s17, s9, s14
	s_mul_i32 s16, s16, s6
	s_lshl_b64 s[16:17], s[16:17], 3
	s_add_u32 s9, s12, s16
	s_addc_u32 s12, s13, s17
	s_lshl_b64 s[4:5], s[4:5], 3
	s_add_u32 s4, s9, s4
	s_addc_u32 s5, s12, s5
	s_add_i32 s9, s15, s15
	v_add_u32_e32 v3, s9, v0
	v_ashrrev_i32_e32 v4, 31, v3
	v_lshlrev_b64 v[1:2], 3, v[3:4]
	v_add_u32_e32 v5, s15, v3
	v_mov_b32_e32 v4, s5
	v_add_co_u32_e32 v1, vcc, s4, v1
	v_ashrrev_i32_e32 v6, 31, v5
	v_addc_co_u32_e32 v2, vcc, v4, v2, vcc
	v_lshlrev_b64 v[3:4], 3, v[5:6]
	v_add_u32_e32 v7, s15, v5
	v_mov_b32_e32 v6, s5
	v_add_co_u32_e32 v3, vcc, s4, v3
	v_ashrrev_i32_e32 v8, 31, v7
	v_addc_co_u32_e32 v4, vcc, v6, v4, vcc
	v_lshlrev_b64 v[5:6], 3, v[7:8]
	v_add_u32_e32 v9, s15, v7
	v_mov_b32_e32 v8, s5
	v_add_co_u32_e32 v5, vcc, s4, v5
	v_ashrrev_i32_e32 v10, 31, v9
	v_addc_co_u32_e32 v6, vcc, v8, v6, vcc
	v_lshlrev_b64 v[7:8], 3, v[9:10]
	v_add_u32_e32 v11, s15, v9
	v_mov_b32_e32 v10, s5
	v_add_co_u32_e32 v7, vcc, s4, v7
	v_ashrrev_i32_e32 v12, 31, v11
	v_addc_co_u32_e32 v8, vcc, v10, v8, vcc
	v_lshlrev_b64 v[9:10], 3, v[11:12]
	v_add_u32_e32 v13, s15, v11
	v_mov_b32_e32 v12, s5
	v_add_co_u32_e32 v9, vcc, s4, v9
	v_ashrrev_i32_e32 v14, 31, v13
	v_addc_co_u32_e32 v10, vcc, v12, v10, vcc
	v_lshlrev_b64 v[11:12], 3, v[13:14]
	v_add_u32_e32 v15, s15, v13
	v_mov_b32_e32 v14, s5
	v_add_co_u32_e32 v11, vcc, s4, v11
	v_ashrrev_i32_e32 v16, 31, v15
	v_addc_co_u32_e32 v12, vcc, v14, v12, vcc
	v_lshlrev_b64 v[13:14], 3, v[15:16]
	v_add_u32_e32 v17, s15, v15
	v_mov_b32_e32 v16, s5
	v_add_co_u32_e32 v13, vcc, s4, v13
	v_ashrrev_i32_e32 v18, 31, v17
	v_addc_co_u32_e32 v14, vcc, v16, v14, vcc
	v_lshlrev_b64 v[15:16], 3, v[17:18]
	v_add_u32_e32 v19, s15, v17
	v_mov_b32_e32 v18, s5
	v_add_co_u32_e32 v15, vcc, s4, v15
	v_ashrrev_i32_e32 v20, 31, v19
	v_addc_co_u32_e32 v16, vcc, v18, v16, vcc
	v_lshlrev_b64 v[17:18], 3, v[19:20]
	v_mov_b32_e32 v21, s5
	v_add_co_u32_e32 v17, vcc, s4, v17
	v_addc_co_u32_e32 v18, vcc, v21, v18, vcc
	v_add_u32_e32 v21, s15, v19
	v_ashrrev_i32_e32 v22, 31, v21
	v_lshlrev_b64 v[19:20], 3, v[21:22]
	v_mov_b32_e32 v23, s5
	v_add_co_u32_e32 v19, vcc, s4, v19
	v_addc_co_u32_e32 v20, vcc, v23, v20, vcc
	v_add_u32_e32 v23, s15, v21
	v_ashrrev_i32_e32 v24, 31, v23
	;; [unrolled: 6-line block ×32, first 2 shown]
	v_lshlrev_b64 v[81:82], 3, v[83:84]
	v_mov_b32_e32 v85, s5
	v_add_co_u32_e32 v81, vcc, s4, v81
	v_addc_co_u32_e32 v82, vcc, v85, v82, vcc
	v_lshlrev_b32_e32 v101, 3, v0
	v_add_u32_e32 v85, s15, v83
	global_load_dwordx2 v[99:100], v101, s[4:5]
	global_load_dwordx2 v[104:105], v[1:2], off
	global_load_dwordx2 v[106:107], v[3:4], off
	v_mov_b32_e32 v83, s5
	v_add_co_u32_e32 v89, vcc, s4, v101
	s_ashr_i32 s13, s15, 31
	s_mov_b32 s12, s15
	v_addc_co_u32_e32 v90, vcc, 0, v83, vcc
	s_lshl_b64 s[12:13], s[12:13], 3
	v_mov_b32_e32 v83, s13
	v_add_co_u32_e32 v91, vcc, s12, v89
	v_addc_co_u32_e32 v92, vcc, v90, v83, vcc
	global_load_dwordx2 v[102:103], v[91:92], off
	v_ashrrev_i32_e32 v86, 31, v85
	v_lshlrev_b64 v[83:84], 3, v[85:86]
	v_mov_b32_e32 v87, s5
	v_add_co_u32_e32 v83, vcc, s4, v83
	v_addc_co_u32_e32 v84, vcc, v87, v84, vcc
	v_add_u32_e32 v87, s15, v85
	v_ashrrev_i32_e32 v88, 31, v87
	v_lshlrev_b64 v[85:86], 3, v[87:88]
	v_mov_b32_e32 v93, s5
	v_add_co_u32_e32 v85, vcc, s4, v85
	v_addc_co_u32_e32 v86, vcc, v93, v86, vcc
	v_add_u32_e32 v93, s15, v87
	global_load_dwordx2 v[108:109], v[5:6], off
	global_load_dwordx2 v[110:111], v[7:8], off
	v_ashrrev_i32_e32 v94, 31, v93
	v_lshlrev_b64 v[87:88], 3, v[93:94]
	v_mov_b32_e32 v95, s5
	v_add_co_u32_e32 v87, vcc, s4, v87
	v_addc_co_u32_e32 v88, vcc, v95, v88, vcc
	v_add_u32_e32 v95, s15, v93
	v_ashrrev_i32_e32 v96, 31, v95
	v_lshlrev_b64 v[93:94], 3, v[95:96]
	global_load_dwordx2 v[112:113], v[9:10], off
	global_load_dwordx2 v[114:115], v[11:12], off
	global_load_dwordx2 v[116:117], v[13:14], off
	global_load_dwordx2 v[118:119], v[15:16], off
	v_mov_b32_e32 v97, s5
	v_add_co_u32_e32 v93, vcc, s4, v93
	v_addc_co_u32_e32 v94, vcc, v97, v94, vcc
	v_add_u32_e32 v97, s15, v95
	v_ashrrev_i32_e32 v98, 31, v97
	v_lshlrev_b64 v[95:96], 3, v[97:98]
	v_mov_b32_e32 v146, s5
	v_add_co_u32_e32 v95, vcc, s4, v95
	global_load_dwordx2 v[120:121], v[17:18], off
	global_load_dwordx2 v[122:123], v[19:20], off
	;; [unrolled: 1-line block ×13, first 2 shown]
	v_addc_co_u32_e32 v96, vcc, v146, v96, vcc
	global_load_dwordx2 v[146:147], v[43:44], off
	global_load_dwordx2 v[148:149], v[45:46], off
	;; [unrolled: 1-line block ×8, first 2 shown]
	v_add_u32_e32 v97, s15, v97
	v_ashrrev_i32_e32 v98, 31, v97
	v_lshlrev_b64 v[97:98], 3, v[97:98]
	v_mov_b32_e32 v162, s5
	v_add_co_u32_e32 v97, vcc, s4, v97
	v_addc_co_u32_e32 v98, vcc, v162, v98, vcc
	global_load_dwordx2 v[162:163], v[59:60], off
	global_load_dwordx2 v[164:165], v[61:62], off
	;; [unrolled: 1-line block ×10, first 2 shown]
	s_bitcmp0_b32 s8, 0
	s_waitcnt vmcnt(40)
	buffer_store_dword v100, off, s[0:3], 0 offset:4
	buffer_store_dword v99, off, s[0:3], 0
	global_load_dwordx2 v[99:100], v[63:64], off
	s_mov_b64 s[8:9], -1
	s_waitcnt vmcnt(40)
	buffer_store_dword v103, off, s[0:3], 0 offset:12
	buffer_store_dword v102, off, s[0:3], 0 offset:8
	global_load_dwordx2 v[102:103], v[67:68], off
	s_nop 0
	buffer_store_dword v105, off, s[0:3], 0 offset:20
	buffer_store_dword v104, off, s[0:3], 0 offset:16
	global_load_dwordx2 v[104:105], v[71:72], off
	s_nop 0
	buffer_store_dword v107, off, s[0:3], 0 offset:28
	buffer_store_dword v106, off, s[0:3], 0 offset:24
	global_load_dwordx2 v[106:107], v[75:76], off
	s_waitcnt vmcnt(48)
	buffer_store_dword v109, off, s[0:3], 0 offset:36
	buffer_store_dword v108, off, s[0:3], 0 offset:32
	global_load_dwordx2 v[108:109], v[79:80], off
	s_waitcnt vmcnt(50)
	;; [unrolled: 4-line block ×5, first 2 shown]
	buffer_store_dword v117, off, s[0:3], 0 offset:68
	buffer_store_dword v116, off, s[0:3], 0 offset:64
	s_waitcnt vmcnt(57)
	buffer_store_dword v118, off, s[0:3], 0 offset:72
	buffer_store_dword v119, off, s[0:3], 0 offset:76
	s_waitcnt vmcnt(58)
	;; [unrolled: 3-line block ×7, first 2 shown]
	buffer_store_dword v130, off, s[0:3], 0 offset:120
	buffer_store_dword v131, off, s[0:3], 0 offset:124
	;; [unrolled: 1-line block ×4, first 2 shown]
	s_waitcnt vmcnt(62)
	buffer_store_dword v134, off, s[0:3], 0 offset:136
	buffer_store_dword v135, off, s[0:3], 0 offset:140
	;; [unrolled: 1-line block ×8, first 2 shown]
	s_waitcnt vmcnt(62)
	buffer_store_dword v142, off, s[0:3], 0 offset:168
	buffer_store_dword v143, off, s[0:3], 0 offset:172
	;; [unrolled: 1-line block ×16, first 2 shown]
	s_waitcnt vmcnt(62)
	buffer_store_dword v158, off, s[0:3], 0 offset:232
	buffer_store_dword v159, off, s[0:3], 0 offset:236
	;; [unrolled: 1-line block ×12, first 2 shown]
	s_waitcnt vmcnt(62)
	buffer_store_dword v102, off, s[0:3], 0 offset:280
	buffer_store_dword v103, off, s[0:3], 0 offset:284
	;; [unrolled: 1-line block ×16, first 2 shown]
	s_waitcnt vmcnt(62)
	buffer_store_dword v111, off, s[0:3], 0 offset:348
	buffer_store_dword v110, off, s[0:3], 0 offset:344
	;; [unrolled: 1-line block ×12, first 2 shown]
	s_cbranch_scc1 .LBB48_202
; %bb.4:
	v_cmp_eq_u32_e64 s[4:5], 0, v0
	s_and_saveexec_b64 s[8:9], s[4:5]
; %bb.5:
	v_mov_b32_e32 v99, 0
	ds_write_b32 v99, v99 offset:392
; %bb.6:
	s_or_b64 exec, exec, s[8:9]
	v_mov_b32_e32 v99, 0
	v_lshl_add_u32 v99, v0, 3, v99
	s_waitcnt lgkmcnt(0)
	; wave barrier
	buffer_load_dword v102, v99, s[0:3], 0 offen
	buffer_load_dword v103, v99, s[0:3], 0 offen offset:4
	s_waitcnt vmcnt(0)
	v_cmp_eq_f64_e32 vcc, 0, v[102:103]
	s_and_saveexec_b64 s[12:13], vcc
	s_cbranch_execz .LBB48_10
; %bb.7:
	v_mov_b32_e32 v100, 0
	ds_read_b32 v103, v100 offset:392
	v_add_u32_e32 v102, 1, v0
	s_waitcnt lgkmcnt(0)
	v_readfirstlane_b32 s8, v103
	s_cmp_eq_u32 s8, 0
	s_cselect_b64 s[14:15], -1, 0
	v_cmp_gt_i32_e32 vcc, s8, v102
	s_or_b64 s[14:15], s[14:15], vcc
	s_and_b64 exec, exec, s[14:15]
	s_cbranch_execz .LBB48_10
; %bb.8:
	s_mov_b64 s[14:15], 0
	v_mov_b32_e32 v103, s8
.LBB48_9:                               ; =>This Inner Loop Header: Depth=1
	ds_cmpst_rtn_b32 v103, v100, v103, v102 offset:392
	s_waitcnt lgkmcnt(0)
	v_cmp_ne_u32_e32 vcc, 0, v103
	v_cmp_le_i32_e64 s[8:9], v103, v102
	s_and_b64 s[8:9], vcc, s[8:9]
	s_and_b64 s[8:9], exec, s[8:9]
	s_or_b64 s[14:15], s[8:9], s[14:15]
	s_andn2_b64 exec, exec, s[14:15]
	s_cbranch_execnz .LBB48_9
.LBB48_10:
	s_or_b64 exec, exec, s[12:13]
	v_mov_b32_e32 v102, 0
	; wave barrier
	ds_read_b32 v100, v102 offset:392
	s_and_saveexec_b64 s[8:9], s[4:5]
	s_cbranch_execz .LBB48_12
; %bb.11:
	s_lshl_b64 s[12:13], s[6:7], 2
	s_add_u32 s12, s10, s12
	s_addc_u32 s13, s11, s13
	s_waitcnt lgkmcnt(0)
	global_store_dword v102, v100, s[12:13]
.LBB48_12:
	s_or_b64 exec, exec, s[8:9]
	s_waitcnt lgkmcnt(0)
	v_cmp_ne_u32_e32 vcc, 0, v100
	s_mov_b64 s[8:9], 0
	s_cbranch_vccnz .LBB48_202
; %bb.13:
	buffer_load_dword v102, v99, s[0:3], 0 offen
	buffer_load_dword v103, v99, s[0:3], 0 offen offset:4
	s_waitcnt vmcnt(0)
	v_div_scale_f64 v[104:105], s[8:9], v[102:103], v[102:103], 1.0
	v_rcp_f64_e32 v[106:107], v[104:105]
	v_fma_f64 v[108:109], -v[104:105], v[106:107], 1.0
	v_fma_f64 v[106:107], v[106:107], v[108:109], v[106:107]
	v_div_scale_f64 v[108:109], vcc, 1.0, v[102:103], 1.0
	v_fma_f64 v[110:111], -v[104:105], v[106:107], 1.0
	v_fma_f64 v[106:107], v[106:107], v[110:111], v[106:107]
	v_mul_f64 v[110:111], v[108:109], v[106:107]
	v_fma_f64 v[104:105], -v[104:105], v[110:111], v[108:109]
	v_div_fmas_f64 v[104:105], v[104:105], v[106:107], v[110:111]
	v_div_fixup_f64 v[103:104], v[104:105], v[102:103], 1.0
	v_add_u32_e32 v102, 0x190, v101
	buffer_store_dword v104, v99, s[0:3], 0 offen offset:4
	buffer_store_dword v103, v99, s[0:3], 0 offen
	buffer_load_dword v106, off, s[0:3], 0 offset:12
	buffer_load_dword v105, off, s[0:3], 0 offset:8
	v_xor_b32_e32 v104, 0x80000000, v104
	s_waitcnt vmcnt(0)
	ds_write2_b64 v101, v[103:104], v[105:106] offset1:50
	s_waitcnt lgkmcnt(0)
	; wave barrier
	s_and_saveexec_b64 s[8:9], s[4:5]
	s_cbranch_execz .LBB48_15
; %bb.14:
	buffer_load_dword v103, v99, s[0:3], 0 offen
	buffer_load_dword v104, v99, s[0:3], 0 offen offset:4
	ds_read_b64 v[105:106], v102
	v_mov_b32_e32 v100, 0
	ds_read_b64 v[107:108], v100 offset:8
	s_waitcnt vmcnt(0) lgkmcnt(1)
	v_fma_f64 v[103:104], v[103:104], v[105:106], 0
	s_waitcnt lgkmcnt(0)
	v_mul_f64 v[103:104], v[103:104], v[107:108]
	buffer_store_dword v103, off, s[0:3], 0 offset:8
	buffer_store_dword v104, off, s[0:3], 0 offset:12
.LBB48_15:
	s_or_b64 exec, exec, s[8:9]
	; wave barrier
	buffer_load_dword v103, off, s[0:3], 0 offset:16
	buffer_load_dword v104, off, s[0:3], 0 offset:20
	v_cmp_gt_u32_e32 vcc, 2, v0
	s_waitcnt vmcnt(0)
	ds_write_b64 v102, v[103:104]
	s_waitcnt lgkmcnt(0)
	; wave barrier
	s_and_saveexec_b64 s[8:9], vcc
	s_cbranch_execz .LBB48_17
; %bb.16:
	buffer_load_dword v103, v99, s[0:3], 0 offen
	buffer_load_dword v104, v99, s[0:3], 0 offen offset:4
                                        ; kill: killed $vgpr99
	s_nop 0
	buffer_load_dword v99, off, s[0:3], 0 offset:8
	buffer_load_dword v100, off, s[0:3], 0 offset:12
	ds_read_b64 v[105:106], v102
	s_waitcnt vmcnt(2) lgkmcnt(0)
	v_fma_f64 v[107:108], v[103:104], v[105:106], 0
	v_mov_b32_e32 v103, 0
	ds_read2_b64 v[103:106], v103 offset0:2 offset1:51
	s_waitcnt vmcnt(0) lgkmcnt(0)
	v_fma_f64 v[99:100], v[99:100], v[105:106], v[107:108]
	v_cndmask_b32_e64 v100, v108, v100, s[4:5]
	v_cndmask_b32_e64 v99, v107, v99, s[4:5]
	v_mul_f64 v[99:100], v[99:100], v[103:104]
	buffer_store_dword v100, off, s[0:3], 0 offset:20
	buffer_store_dword v99, off, s[0:3], 0 offset:16
.LBB48_17:
	s_or_b64 exec, exec, s[8:9]
	; wave barrier
	buffer_load_dword v99, off, s[0:3], 0 offset:24
	buffer_load_dword v100, off, s[0:3], 0 offset:28
	v_cmp_gt_u32_e32 vcc, 3, v0
	v_add_u32_e32 v103, -1, v0
	s_waitcnt vmcnt(0)
	ds_write_b64 v102, v[99:100]
	s_waitcnt lgkmcnt(0)
	; wave barrier
	s_and_saveexec_b64 s[4:5], vcc
	s_cbranch_execz .LBB48_21
; %bb.18:
	v_mov_b32_e32 v99, 0
	v_add_u32_e32 v104, -1, v0
	v_add_u32_e32 v105, 0x190, v101
	v_mov_b32_e32 v106, v101
	v_mov_b32_e32 v100, 0
	s_mov_b64 s[8:9], 0
.LBB48_19:                              ; =>This Inner Loop Header: Depth=1
	buffer_load_dword v107, v106, s[0:3], 0 offen
	buffer_load_dword v108, v106, s[0:3], 0 offen offset:4
	ds_read_b64 v[109:110], v105
	v_add_u32_e32 v104, 1, v104
	v_cmp_lt_u32_e32 vcc, 1, v104
	v_add_u32_e32 v105, 8, v105
	s_or_b64 s[8:9], vcc, s[8:9]
	v_add_u32_e32 v106, 8, v106
	s_waitcnt vmcnt(0) lgkmcnt(0)
	v_fma_f64 v[99:100], v[107:108], v[109:110], v[99:100]
	s_andn2_b64 exec, exec, s[8:9]
	s_cbranch_execnz .LBB48_19
; %bb.20:
	s_or_b64 exec, exec, s[8:9]
	v_mov_b32_e32 v104, 0
	ds_read_b64 v[104:105], v104 offset:24
	s_waitcnt lgkmcnt(0)
	v_mul_f64 v[99:100], v[99:100], v[104:105]
	buffer_store_dword v100, off, s[0:3], 0 offset:28
	buffer_store_dword v99, off, s[0:3], 0 offset:24
.LBB48_21:
	s_or_b64 exec, exec, s[4:5]
	; wave barrier
	buffer_load_dword v99, off, s[0:3], 0 offset:32
	buffer_load_dword v100, off, s[0:3], 0 offset:36
	v_cmp_gt_u32_e32 vcc, 4, v0
	s_waitcnt vmcnt(0)
	ds_write_b64 v102, v[99:100]
	s_waitcnt lgkmcnt(0)
	; wave barrier
	s_and_saveexec_b64 s[4:5], vcc
	s_cbranch_execz .LBB48_25
; %bb.22:
	v_mov_b32_e32 v99, 0
	v_add_u32_e32 v104, -1, v0
	v_add_u32_e32 v105, 0x190, v101
	v_mov_b32_e32 v106, v101
	v_mov_b32_e32 v100, 0
	s_mov_b64 s[8:9], 0
.LBB48_23:                              ; =>This Inner Loop Header: Depth=1
	buffer_load_dword v107, v106, s[0:3], 0 offen
	buffer_load_dword v108, v106, s[0:3], 0 offen offset:4
	ds_read_b64 v[109:110], v105
	v_add_u32_e32 v104, 1, v104
	v_cmp_lt_u32_e32 vcc, 2, v104
	v_add_u32_e32 v105, 8, v105
	s_or_b64 s[8:9], vcc, s[8:9]
	v_add_u32_e32 v106, 8, v106
	s_waitcnt vmcnt(0) lgkmcnt(0)
	v_fma_f64 v[99:100], v[107:108], v[109:110], v[99:100]
	s_andn2_b64 exec, exec, s[8:9]
	s_cbranch_execnz .LBB48_23
; %bb.24:
	s_or_b64 exec, exec, s[8:9]
	v_mov_b32_e32 v104, 0
	ds_read_b64 v[104:105], v104 offset:32
	s_waitcnt lgkmcnt(0)
	v_mul_f64 v[99:100], v[99:100], v[104:105]
	buffer_store_dword v100, off, s[0:3], 0 offset:36
	buffer_store_dword v99, off, s[0:3], 0 offset:32
.LBB48_25:
	s_or_b64 exec, exec, s[4:5]
	; wave barrier
	buffer_load_dword v99, off, s[0:3], 0 offset:40
	buffer_load_dword v100, off, s[0:3], 0 offset:44
	v_cmp_gt_u32_e32 vcc, 5, v0
	;; [unrolled: 40-line block ×21, first 2 shown]
	s_waitcnt vmcnt(0)
	ds_write_b64 v102, v[99:100]
	s_waitcnt lgkmcnt(0)
	; wave barrier
	s_and_saveexec_b64 s[4:5], vcc
	s_cbranch_execz .LBB48_105
; %bb.102:
	v_mov_b32_e32 v99, 0
	v_add_u32_e32 v104, -1, v0
	v_add_u32_e32 v105, 0x190, v101
	v_mov_b32_e32 v106, v101
	v_mov_b32_e32 v100, 0
	s_mov_b64 s[8:9], 0
.LBB48_103:                             ; =>This Inner Loop Header: Depth=1
	buffer_load_dword v107, v106, s[0:3], 0 offen
	buffer_load_dword v108, v106, s[0:3], 0 offen offset:4
	ds_read_b64 v[109:110], v105
	v_add_u32_e32 v104, 1, v104
	v_cmp_lt_u32_e32 vcc, 22, v104
	v_add_u32_e32 v105, 8, v105
	s_or_b64 s[8:9], vcc, s[8:9]
	v_add_u32_e32 v106, 8, v106
	s_waitcnt vmcnt(0) lgkmcnt(0)
	v_fma_f64 v[99:100], v[107:108], v[109:110], v[99:100]
	s_andn2_b64 exec, exec, s[8:9]
	s_cbranch_execnz .LBB48_103
; %bb.104:
	s_or_b64 exec, exec, s[8:9]
	v_mov_b32_e32 v104, 0
	ds_read_b64 v[104:105], v104 offset:192
	s_waitcnt lgkmcnt(0)
	v_mul_f64 v[99:100], v[99:100], v[104:105]
	buffer_store_dword v100, off, s[0:3], 0 offset:196
	buffer_store_dword v99, off, s[0:3], 0 offset:192
.LBB48_105:
	s_or_b64 exec, exec, s[4:5]
	; wave barrier
	buffer_load_dword v99, off, s[0:3], 0 offset:200
	buffer_load_dword v100, off, s[0:3], 0 offset:204
	v_cmp_gt_u32_e32 vcc, 25, v0
	s_waitcnt vmcnt(0)
	ds_write_b64 v102, v[99:100]
	s_waitcnt lgkmcnt(0)
	; wave barrier
	s_and_saveexec_b64 s[4:5], vcc
	s_cbranch_execz .LBB48_109
; %bb.106:
	v_mov_b32_e32 v99, 0
	v_add_u32_e32 v104, -1, v0
	v_add_u32_e32 v105, 0x190, v101
	v_mov_b32_e32 v106, v101
	v_mov_b32_e32 v100, 0
	s_mov_b64 s[8:9], 0
.LBB48_107:                             ; =>This Inner Loop Header: Depth=1
	buffer_load_dword v107, v106, s[0:3], 0 offen
	buffer_load_dword v108, v106, s[0:3], 0 offen offset:4
	ds_read_b64 v[109:110], v105
	v_add_u32_e32 v104, 1, v104
	v_cmp_lt_u32_e32 vcc, 23, v104
	v_add_u32_e32 v105, 8, v105
	s_or_b64 s[8:9], vcc, s[8:9]
	v_add_u32_e32 v106, 8, v106
	s_waitcnt vmcnt(0) lgkmcnt(0)
	v_fma_f64 v[99:100], v[107:108], v[109:110], v[99:100]
	s_andn2_b64 exec, exec, s[8:9]
	s_cbranch_execnz .LBB48_107
; %bb.108:
	s_or_b64 exec, exec, s[8:9]
	v_mov_b32_e32 v104, 0
	ds_read_b64 v[104:105], v104 offset:200
	s_waitcnt lgkmcnt(0)
	v_mul_f64 v[99:100], v[99:100], v[104:105]
	buffer_store_dword v100, off, s[0:3], 0 offset:204
	buffer_store_dword v99, off, s[0:3], 0 offset:200
.LBB48_109:
	s_or_b64 exec, exec, s[4:5]
	; wave barrier
	buffer_load_dword v99, off, s[0:3], 0 offset:208
	buffer_load_dword v100, off, s[0:3], 0 offset:212
	v_cmp_gt_u32_e32 vcc, 26, v0
	;; [unrolled: 40-line block ×23, first 2 shown]
	s_waitcnt vmcnt(0)
	ds_write_b64 v102, v[99:100]
	s_waitcnt lgkmcnt(0)
	; wave barrier
	s_and_saveexec_b64 s[4:5], vcc
	s_cbranch_execz .LBB48_197
; %bb.194:
	v_mov_b32_e32 v99, 0
	v_add_u32_e32 v104, -1, v0
	v_add_u32_e32 v105, 0x190, v101
	v_mov_b32_e32 v106, v101
	v_mov_b32_e32 v100, 0
	s_mov_b64 s[8:9], 0
.LBB48_195:                             ; =>This Inner Loop Header: Depth=1
	buffer_load_dword v107, v106, s[0:3], 0 offen
	buffer_load_dword v108, v106, s[0:3], 0 offen offset:4
	ds_read_b64 v[109:110], v105
	v_add_u32_e32 v104, 1, v104
	v_cmp_lt_u32_e32 vcc, 45, v104
	v_add_u32_e32 v105, 8, v105
	s_or_b64 s[8:9], vcc, s[8:9]
	v_add_u32_e32 v106, 8, v106
	s_waitcnt vmcnt(0) lgkmcnt(0)
	v_fma_f64 v[99:100], v[107:108], v[109:110], v[99:100]
	s_andn2_b64 exec, exec, s[8:9]
	s_cbranch_execnz .LBB48_195
; %bb.196:
	s_or_b64 exec, exec, s[8:9]
	v_mov_b32_e32 v104, 0
	ds_read_b64 v[104:105], v104 offset:376
	s_waitcnt lgkmcnt(0)
	v_mul_f64 v[99:100], v[99:100], v[104:105]
	buffer_store_dword v100, off, s[0:3], 0 offset:380
	buffer_store_dword v99, off, s[0:3], 0 offset:376
.LBB48_197:
	s_or_b64 exec, exec, s[4:5]
	; wave barrier
	buffer_load_dword v99, off, s[0:3], 0 offset:384
	buffer_load_dword v100, off, s[0:3], 0 offset:388
	v_cmp_ne_u32_e32 vcc, 48, v0
	s_waitcnt vmcnt(0)
	ds_write_b64 v102, v[99:100]
	s_waitcnt lgkmcnt(0)
	; wave barrier
	s_and_saveexec_b64 s[4:5], vcc
	s_cbranch_execz .LBB48_201
; %bb.198:
	v_mov_b32_e32 v99, 0
	v_add_u32_e32 v102, 0x190, v101
	v_mov_b32_e32 v100, 0
	s_mov_b64 s[8:9], 0
.LBB48_199:                             ; =>This Inner Loop Header: Depth=1
	buffer_load_dword v104, v101, s[0:3], 0 offen
	buffer_load_dword v105, v101, s[0:3], 0 offen offset:4
	ds_read_b64 v[106:107], v102
	v_add_u32_e32 v103, 1, v103
	v_cmp_lt_u32_e32 vcc, 46, v103
	v_add_u32_e32 v102, 8, v102
	s_or_b64 s[8:9], vcc, s[8:9]
	v_add_u32_e32 v101, 8, v101
	s_waitcnt vmcnt(0) lgkmcnt(0)
	v_fma_f64 v[99:100], v[104:105], v[106:107], v[99:100]
	s_andn2_b64 exec, exec, s[8:9]
	s_cbranch_execnz .LBB48_199
; %bb.200:
	s_or_b64 exec, exec, s[8:9]
	v_mov_b32_e32 v101, 0
	ds_read_b64 v[101:102], v101 offset:384
	s_waitcnt lgkmcnt(0)
	v_mul_f64 v[99:100], v[99:100], v[101:102]
	buffer_store_dword v100, off, s[0:3], 0 offset:388
	buffer_store_dword v99, off, s[0:3], 0 offset:384
.LBB48_201:
	s_or_b64 exec, exec, s[4:5]
	s_mov_b64 s[8:9], -1
	; wave barrier
.LBB48_202:
	s_and_b64 vcc, exec, s[8:9]
	s_cbranch_vccz .LBB48_204
; %bb.203:
	s_lshl_b64 s[4:5], s[6:7], 2
	s_add_u32 s4, s10, s4
	s_addc_u32 s5, s11, s5
	v_mov_b32_e32 v99, 0
	global_load_dword v99, v99, s[4:5]
	s_waitcnt vmcnt(0)
	v_cmp_ne_u32_e32 vcc, 0, v99
	s_cbranch_vccz .LBB48_205
.LBB48_204:
	s_endpgm
.LBB48_205:
	v_mov_b32_e32 v99, 0x190
	v_lshl_add_u32 v99, v0, 3, v99
	v_cmp_eq_u32_e32 vcc, 48, v0
	s_and_saveexec_b64 s[4:5], vcc
	s_cbranch_execz .LBB48_207
; %bb.206:
	buffer_load_dword v100, off, s[0:3], 0 offset:376
	buffer_load_dword v101, off, s[0:3], 0 offset:380
	v_mov_b32_e32 v102, 0
	buffer_store_dword v102, off, s[0:3], 0 offset:376
	buffer_store_dword v102, off, s[0:3], 0 offset:380
	s_waitcnt vmcnt(2)
	ds_write_b64 v99, v[100:101]
.LBB48_207:
	s_or_b64 exec, exec, s[4:5]
	s_waitcnt lgkmcnt(0)
	; wave barrier
	buffer_load_dword v101, off, s[0:3], 0 offset:384
	buffer_load_dword v102, off, s[0:3], 0 offset:388
	;; [unrolled: 1-line block ×4, first 2 shown]
	v_mov_b32_e32 v100, 0
	ds_read_b64 v[105:106], v100 offset:784
	v_cmp_lt_u32_e32 vcc, 46, v0
	s_waitcnt vmcnt(2) lgkmcnt(0)
	v_fma_f64 v[101:102], v[101:102], v[105:106], 0
	s_waitcnt vmcnt(0)
	v_add_f64 v[101:102], v[103:104], -v[101:102]
	buffer_store_dword v101, off, s[0:3], 0 offset:376
	buffer_store_dword v102, off, s[0:3], 0 offset:380
	s_and_saveexec_b64 s[4:5], vcc
	s_cbranch_execz .LBB48_209
; %bb.208:
	buffer_load_dword v101, off, s[0:3], 0 offset:368
	buffer_load_dword v102, off, s[0:3], 0 offset:372
	s_waitcnt vmcnt(0)
	ds_write_b64 v99, v[101:102]
	buffer_store_dword v100, off, s[0:3], 0 offset:368
	buffer_store_dword v100, off, s[0:3], 0 offset:372
.LBB48_209:
	s_or_b64 exec, exec, s[4:5]
	s_waitcnt lgkmcnt(0)
	; wave barrier
	buffer_load_dword v104, off, s[0:3], 0 offset:376
	buffer_load_dword v105, off, s[0:3], 0 offset:380
	;; [unrolled: 1-line block ×6, first 2 shown]
	ds_read2_b64 v[100:103], v100 offset0:97 offset1:98
	v_cmp_lt_u32_e32 vcc, 45, v0
	s_waitcnt vmcnt(4) lgkmcnt(0)
	v_fma_f64 v[100:101], v[104:105], v[100:101], 0
	s_waitcnt vmcnt(2)
	v_fma_f64 v[100:101], v[106:107], v[102:103], v[100:101]
	s_waitcnt vmcnt(0)
	v_add_f64 v[100:101], v[108:109], -v[100:101]
	buffer_store_dword v100, off, s[0:3], 0 offset:368
	buffer_store_dword v101, off, s[0:3], 0 offset:372
	s_and_saveexec_b64 s[4:5], vcc
	s_cbranch_execz .LBB48_211
; %bb.210:
	buffer_load_dword v100, off, s[0:3], 0 offset:360
	buffer_load_dword v101, off, s[0:3], 0 offset:364
	v_mov_b32_e32 v102, 0
	buffer_store_dword v102, off, s[0:3], 0 offset:360
	buffer_store_dword v102, off, s[0:3], 0 offset:364
	s_waitcnt vmcnt(2)
	ds_write_b64 v99, v[100:101]
.LBB48_211:
	s_or_b64 exec, exec, s[4:5]
	s_waitcnt lgkmcnt(0)
	; wave barrier
	buffer_load_dword v105, off, s[0:3], 0 offset:368
	buffer_load_dword v106, off, s[0:3], 0 offset:372
	;; [unrolled: 1-line block ×8, first 2 shown]
	v_mov_b32_e32 v100, 0
	ds_read_b128 v[101:104], v100 offset:768
	ds_read_b64 v[113:114], v100 offset:784
	v_cmp_lt_u32_e32 vcc, 44, v0
	s_waitcnt vmcnt(6) lgkmcnt(1)
	v_fma_f64 v[101:102], v[105:106], v[101:102], 0
	s_waitcnt vmcnt(4)
	v_fma_f64 v[101:102], v[107:108], v[103:104], v[101:102]
	s_waitcnt vmcnt(2) lgkmcnt(0)
	v_fma_f64 v[101:102], v[109:110], v[113:114], v[101:102]
	s_waitcnt vmcnt(0)
	v_add_f64 v[101:102], v[111:112], -v[101:102]
	buffer_store_dword v101, off, s[0:3], 0 offset:360
	buffer_store_dword v102, off, s[0:3], 0 offset:364
	s_and_saveexec_b64 s[4:5], vcc
	s_cbranch_execz .LBB48_213
; %bb.212:
	buffer_load_dword v101, off, s[0:3], 0 offset:352
	buffer_load_dword v102, off, s[0:3], 0 offset:356
	s_waitcnt vmcnt(0)
	ds_write_b64 v99, v[101:102]
	buffer_store_dword v100, off, s[0:3], 0 offset:352
	buffer_store_dword v100, off, s[0:3], 0 offset:356
.LBB48_213:
	s_or_b64 exec, exec, s[4:5]
	s_waitcnt lgkmcnt(0)
	; wave barrier
	buffer_load_dword v109, off, s[0:3], 0 offset:360
	buffer_load_dword v110, off, s[0:3], 0 offset:364
	;; [unrolled: 1-line block ×10, first 2 shown]
	ds_read2_b64 v[101:104], v100 offset0:95 offset1:96
	ds_read2_b64 v[105:108], v100 offset0:97 offset1:98
	v_cmp_lt_u32_e32 vcc, 43, v0
	s_waitcnt vmcnt(8) lgkmcnt(1)
	v_fma_f64 v[100:101], v[109:110], v[101:102], 0
	s_waitcnt vmcnt(6)
	v_fma_f64 v[100:101], v[111:112], v[103:104], v[100:101]
	s_waitcnt vmcnt(4) lgkmcnt(0)
	v_fma_f64 v[100:101], v[113:114], v[105:106], v[100:101]
	s_waitcnt vmcnt(2)
	v_fma_f64 v[100:101], v[115:116], v[107:108], v[100:101]
	s_waitcnt vmcnt(0)
	v_add_f64 v[100:101], v[117:118], -v[100:101]
	buffer_store_dword v100, off, s[0:3], 0 offset:352
	buffer_store_dword v101, off, s[0:3], 0 offset:356
	s_and_saveexec_b64 s[4:5], vcc
	s_cbranch_execz .LBB48_215
; %bb.214:
	buffer_load_dword v100, off, s[0:3], 0 offset:344
	buffer_load_dword v101, off, s[0:3], 0 offset:348
	v_mov_b32_e32 v102, 0
	buffer_store_dword v102, off, s[0:3], 0 offset:344
	buffer_store_dword v102, off, s[0:3], 0 offset:348
	s_waitcnt vmcnt(2)
	ds_write_b64 v99, v[100:101]
.LBB48_215:
	s_or_b64 exec, exec, s[4:5]
	s_waitcnt lgkmcnt(0)
	; wave barrier
	buffer_load_dword v109, off, s[0:3], 0 offset:352
	buffer_load_dword v110, off, s[0:3], 0 offset:356
	;; [unrolled: 1-line block ×12, first 2 shown]
	v_mov_b32_e32 v100, 0
	ds_read_b128 v[101:104], v100 offset:752
	ds_read_b128 v[105:108], v100 offset:768
	v_cmp_lt_u32_e32 vcc, 42, v0
	s_waitcnt vmcnt(10) lgkmcnt(1)
	v_fma_f64 v[101:102], v[109:110], v[101:102], 0
	s_waitcnt vmcnt(8)
	v_fma_f64 v[101:102], v[111:112], v[103:104], v[101:102]
	ds_read_b64 v[103:104], v100 offset:784
	s_waitcnt vmcnt(6) lgkmcnt(1)
	v_fma_f64 v[101:102], v[113:114], v[105:106], v[101:102]
	s_waitcnt vmcnt(4)
	v_fma_f64 v[101:102], v[115:116], v[107:108], v[101:102]
	s_waitcnt vmcnt(2) lgkmcnt(0)
	v_fma_f64 v[101:102], v[117:118], v[103:104], v[101:102]
	s_waitcnt vmcnt(0)
	v_add_f64 v[101:102], v[119:120], -v[101:102]
	buffer_store_dword v101, off, s[0:3], 0 offset:344
	buffer_store_dword v102, off, s[0:3], 0 offset:348
	s_and_saveexec_b64 s[4:5], vcc
	s_cbranch_execz .LBB48_217
; %bb.216:
	buffer_load_dword v101, off, s[0:3], 0 offset:336
	buffer_load_dword v102, off, s[0:3], 0 offset:340
	s_waitcnt vmcnt(0)
	ds_write_b64 v99, v[101:102]
	buffer_store_dword v100, off, s[0:3], 0 offset:336
	buffer_store_dword v100, off, s[0:3], 0 offset:340
.LBB48_217:
	s_or_b64 exec, exec, s[4:5]
	s_waitcnt lgkmcnt(0)
	; wave barrier
	buffer_load_dword v109, off, s[0:3], 0 offset:344
	buffer_load_dword v110, off, s[0:3], 0 offset:348
	;; [unrolled: 1-line block ×14, first 2 shown]
	ds_read2_b64 v[101:104], v100 offset0:93 offset1:94
	ds_read2_b64 v[105:108], v100 offset0:95 offset1:96
	v_cmp_lt_u32_e32 vcc, 41, v0
	s_waitcnt vmcnt(12) lgkmcnt(1)
	v_fma_f64 v[101:102], v[109:110], v[101:102], 0
	s_waitcnt vmcnt(10)
	v_fma_f64 v[101:102], v[111:112], v[103:104], v[101:102]
	s_waitcnt vmcnt(8) lgkmcnt(0)
	v_fma_f64 v[101:102], v[113:114], v[105:106], v[101:102]
	s_waitcnt vmcnt(6)
	v_fma_f64 v[104:105], v[115:116], v[107:108], v[101:102]
	ds_read2_b64 v[100:103], v100 offset0:97 offset1:98
	s_waitcnt vmcnt(4) lgkmcnt(0)
	v_fma_f64 v[100:101], v[117:118], v[100:101], v[104:105]
	s_waitcnt vmcnt(2)
	v_fma_f64 v[100:101], v[119:120], v[102:103], v[100:101]
	s_waitcnt vmcnt(0)
	v_add_f64 v[100:101], v[121:122], -v[100:101]
	buffer_store_dword v100, off, s[0:3], 0 offset:336
	buffer_store_dword v101, off, s[0:3], 0 offset:340
	s_and_saveexec_b64 s[4:5], vcc
	s_cbranch_execz .LBB48_219
; %bb.218:
	buffer_load_dword v100, off, s[0:3], 0 offset:328
	buffer_load_dword v101, off, s[0:3], 0 offset:332
	v_mov_b32_e32 v102, 0
	buffer_store_dword v102, off, s[0:3], 0 offset:328
	buffer_store_dword v102, off, s[0:3], 0 offset:332
	s_waitcnt vmcnt(2)
	ds_write_b64 v99, v[100:101]
.LBB48_219:
	s_or_b64 exec, exec, s[4:5]
	s_waitcnt lgkmcnt(0)
	; wave barrier
	buffer_load_dword v109, off, s[0:3], 0 offset:336
	buffer_load_dword v110, off, s[0:3], 0 offset:340
	;; [unrolled: 1-line block ×16, first 2 shown]
	v_mov_b32_e32 v100, 0
	ds_read_b128 v[101:104], v100 offset:736
	ds_read_b128 v[105:108], v100 offset:752
	v_cmp_lt_u32_e32 vcc, 40, v0
	s_waitcnt vmcnt(14) lgkmcnt(1)
	v_fma_f64 v[101:102], v[109:110], v[101:102], 0
	s_waitcnt vmcnt(12)
	v_fma_f64 v[101:102], v[111:112], v[103:104], v[101:102]
	s_waitcnt vmcnt(10) lgkmcnt(0)
	v_fma_f64 v[101:102], v[113:114], v[105:106], v[101:102]
	s_waitcnt vmcnt(8)
	v_fma_f64 v[105:106], v[115:116], v[107:108], v[101:102]
	ds_read_b128 v[101:104], v100 offset:768
	ds_read_b64 v[107:108], v100 offset:784
	s_waitcnt vmcnt(6) lgkmcnt(1)
	v_fma_f64 v[101:102], v[117:118], v[101:102], v[105:106]
	s_waitcnt vmcnt(4)
	v_fma_f64 v[101:102], v[119:120], v[103:104], v[101:102]
	s_waitcnt vmcnt(2) lgkmcnt(0)
	v_fma_f64 v[101:102], v[121:122], v[107:108], v[101:102]
	s_waitcnt vmcnt(0)
	v_add_f64 v[101:102], v[123:124], -v[101:102]
	buffer_store_dword v101, off, s[0:3], 0 offset:328
	buffer_store_dword v102, off, s[0:3], 0 offset:332
	s_and_saveexec_b64 s[4:5], vcc
	s_cbranch_execz .LBB48_221
; %bb.220:
	buffer_load_dword v101, off, s[0:3], 0 offset:320
	buffer_load_dword v102, off, s[0:3], 0 offset:324
	s_waitcnt vmcnt(0)
	ds_write_b64 v99, v[101:102]
	buffer_store_dword v100, off, s[0:3], 0 offset:320
	buffer_store_dword v100, off, s[0:3], 0 offset:324
.LBB48_221:
	s_or_b64 exec, exec, s[4:5]
	s_waitcnt lgkmcnt(0)
	; wave barrier
	buffer_load_dword v105, off, s[0:3], 0 offset:320
	buffer_load_dword v106, off, s[0:3], 0 offset:324
	;; [unrolled: 1-line block ×16, first 2 shown]
	ds_read2_b64 v[101:104], v100 offset0:91 offset1:92
	v_cmp_lt_u32_e32 vcc, 39, v0
	s_waitcnt vmcnt(12) lgkmcnt(0)
	v_fma_f64 v[101:102], v[107:108], v[101:102], 0
	s_waitcnt vmcnt(10)
	v_fma_f64 v[107:108], v[109:110], v[103:104], v[101:102]
	ds_read2_b64 v[101:104], v100 offset0:93 offset1:94
	s_waitcnt vmcnt(8) lgkmcnt(0)
	v_fma_f64 v[101:102], v[111:112], v[101:102], v[107:108]
	s_waitcnt vmcnt(6)
	v_fma_f64 v[107:108], v[113:114], v[103:104], v[101:102]
	ds_read2_b64 v[101:104], v100 offset0:95 offset1:96
	;; [unrolled: 5-line block ×3, first 2 shown]
	s_waitcnt vmcnt(0) lgkmcnt(0)
	v_fma_f64 v[100:101], v[119:120], v[100:101], v[107:108]
	buffer_load_dword v108, off, s[0:3], 0 offset:388
	buffer_load_dword v107, off, s[0:3], 0 offset:384
	s_waitcnt vmcnt(0)
	v_fma_f64 v[100:101], v[107:108], v[102:103], v[100:101]
	v_add_f64 v[100:101], v[105:106], -v[100:101]
	buffer_store_dword v100, off, s[0:3], 0 offset:320
	buffer_store_dword v101, off, s[0:3], 0 offset:324
	s_and_saveexec_b64 s[4:5], vcc
	s_cbranch_execz .LBB48_223
; %bb.222:
	buffer_load_dword v100, off, s[0:3], 0 offset:312
	buffer_load_dword v101, off, s[0:3], 0 offset:316
	v_mov_b32_e32 v102, 0
	buffer_store_dword v102, off, s[0:3], 0 offset:312
	buffer_store_dword v102, off, s[0:3], 0 offset:316
	s_waitcnt vmcnt(2)
	ds_write_b64 v99, v[100:101]
.LBB48_223:
	s_or_b64 exec, exec, s[4:5]
	s_waitcnt lgkmcnt(0)
	; wave barrier
	buffer_load_dword v105, off, s[0:3], 0 offset:320
	buffer_load_dword v106, off, s[0:3], 0 offset:324
	;; [unrolled: 1-line block ×20, first 2 shown]
	v_mov_b32_e32 v100, 0
	ds_read_b128 v[101:104], v100 offset:720
	v_cmp_lt_u32_e32 vcc, 38, v0
	s_waitcnt vmcnt(18) lgkmcnt(0)
	v_fma_f64 v[101:102], v[105:106], v[101:102], 0
	s_waitcnt vmcnt(16)
	v_fma_f64 v[105:106], v[107:108], v[103:104], v[101:102]
	ds_read_b128 v[101:104], v100 offset:736
	s_waitcnt vmcnt(14) lgkmcnt(0)
	v_fma_f64 v[101:102], v[109:110], v[101:102], v[105:106]
	s_waitcnt vmcnt(12)
	v_fma_f64 v[105:106], v[111:112], v[103:104], v[101:102]
	ds_read_b128 v[101:104], v100 offset:752
	;; [unrolled: 5-line block ×3, first 2 shown]
	s_waitcnt vmcnt(6) lgkmcnt(0)
	v_fma_f64 v[101:102], v[117:118], v[101:102], v[105:106]
	s_waitcnt vmcnt(4)
	v_fma_f64 v[101:102], v[119:120], v[103:104], v[101:102]
	ds_read_b64 v[103:104], v100 offset:784
	s_waitcnt vmcnt(2) lgkmcnt(0)
	v_fma_f64 v[101:102], v[121:122], v[103:104], v[101:102]
	s_waitcnt vmcnt(0)
	v_add_f64 v[101:102], v[123:124], -v[101:102]
	buffer_store_dword v101, off, s[0:3], 0 offset:312
	buffer_store_dword v102, off, s[0:3], 0 offset:316
	s_and_saveexec_b64 s[4:5], vcc
	s_cbranch_execz .LBB48_225
; %bb.224:
	buffer_load_dword v101, off, s[0:3], 0 offset:304
	buffer_load_dword v102, off, s[0:3], 0 offset:308
	s_waitcnt vmcnt(0)
	ds_write_b64 v99, v[101:102]
	buffer_store_dword v100, off, s[0:3], 0 offset:304
	buffer_store_dword v100, off, s[0:3], 0 offset:308
.LBB48_225:
	s_or_b64 exec, exec, s[4:5]
	s_waitcnt lgkmcnt(0)
	; wave barrier
	buffer_load_dword v105, off, s[0:3], 0 offset:312
	buffer_load_dword v106, off, s[0:3], 0 offset:316
	buffer_load_dword v107, off, s[0:3], 0 offset:320
	buffer_load_dword v108, off, s[0:3], 0 offset:324
	buffer_load_dword v109, off, s[0:3], 0 offset:328
	buffer_load_dword v110, off, s[0:3], 0 offset:332
	buffer_load_dword v111, off, s[0:3], 0 offset:336
	buffer_load_dword v112, off, s[0:3], 0 offset:340
	buffer_load_dword v113, off, s[0:3], 0 offset:344
	buffer_load_dword v114, off, s[0:3], 0 offset:348
	buffer_load_dword v115, off, s[0:3], 0 offset:352
	buffer_load_dword v116, off, s[0:3], 0 offset:356
	buffer_load_dword v117, off, s[0:3], 0 offset:360
	buffer_load_dword v118, off, s[0:3], 0 offset:364
	buffer_load_dword v120, off, s[0:3], 0 offset:372
	buffer_load_dword v119, off, s[0:3], 0 offset:368
	buffer_load_dword v121, off, s[0:3], 0 offset:376
	buffer_load_dword v122, off, s[0:3], 0 offset:380
	buffer_load_dword v123, off, s[0:3], 0 offset:384
	buffer_load_dword v124, off, s[0:3], 0 offset:388
	ds_read2_b64 v[101:104], v100 offset0:89 offset1:90
	buffer_load_dword v125, off, s[0:3], 0 offset:304
	buffer_load_dword v126, off, s[0:3], 0 offset:308
	v_cmp_lt_u32_e32 vcc, 37, v0
	s_waitcnt vmcnt(20) lgkmcnt(0)
	v_fma_f64 v[101:102], v[105:106], v[101:102], 0
	s_waitcnt vmcnt(18)
	v_fma_f64 v[105:106], v[107:108], v[103:104], v[101:102]
	ds_read2_b64 v[101:104], v100 offset0:91 offset1:92
	s_waitcnt vmcnt(16) lgkmcnt(0)
	v_fma_f64 v[101:102], v[109:110], v[101:102], v[105:106]
	s_waitcnt vmcnt(14)
	v_fma_f64 v[105:106], v[111:112], v[103:104], v[101:102]
	ds_read2_b64 v[101:104], v100 offset0:93 offset1:94
	;; [unrolled: 5-line block ×4, first 2 shown]
	s_waitcnt vmcnt(4) lgkmcnt(0)
	v_fma_f64 v[100:101], v[121:122], v[100:101], v[104:105]
	s_waitcnt vmcnt(2)
	v_fma_f64 v[100:101], v[123:124], v[102:103], v[100:101]
	s_waitcnt vmcnt(0)
	v_add_f64 v[100:101], v[125:126], -v[100:101]
	buffer_store_dword v100, off, s[0:3], 0 offset:304
	buffer_store_dword v101, off, s[0:3], 0 offset:308
	s_and_saveexec_b64 s[4:5], vcc
	s_cbranch_execz .LBB48_227
; %bb.226:
	buffer_load_dword v100, off, s[0:3], 0 offset:296
	buffer_load_dword v101, off, s[0:3], 0 offset:300
	v_mov_b32_e32 v102, 0
	buffer_store_dword v102, off, s[0:3], 0 offset:296
	buffer_store_dword v102, off, s[0:3], 0 offset:300
	s_waitcnt vmcnt(2)
	ds_write_b64 v99, v[100:101]
.LBB48_227:
	s_or_b64 exec, exec, s[4:5]
	s_waitcnt lgkmcnt(0)
	; wave barrier
	buffer_load_dword v109, off, s[0:3], 0 offset:304
	buffer_load_dword v110, off, s[0:3], 0 offset:308
	;; [unrolled: 1-line block ×21, first 2 shown]
	v_mov_b32_e32 v100, 0
	ds_read_b128 v[101:104], v100 offset:704
	ds_read_b128 v[105:108], v100 offset:720
	buffer_load_dword v126, off, s[0:3], 0 offset:388
	v_cmp_lt_u32_e32 vcc, 36, v0
	s_waitcnt vmcnt(20) lgkmcnt(1)
	v_fma_f64 v[101:102], v[109:110], v[101:102], 0
	buffer_load_dword v109, off, s[0:3], 0 offset:296
	buffer_load_dword v110, off, s[0:3], 0 offset:300
	s_waitcnt vmcnt(20)
	v_fma_f64 v[101:102], v[111:112], v[103:104], v[101:102]
	s_waitcnt vmcnt(18) lgkmcnt(0)
	v_fma_f64 v[101:102], v[113:114], v[105:106], v[101:102]
	s_waitcnt vmcnt(16)
	v_fma_f64 v[111:112], v[115:116], v[107:108], v[101:102]
	ds_read_b128 v[101:104], v100 offset:736
	ds_read_b128 v[105:108], v100 offset:752
	s_waitcnt vmcnt(14) lgkmcnt(1)
	v_fma_f64 v[101:102], v[117:118], v[101:102], v[111:112]
	s_waitcnt vmcnt(12)
	v_fma_f64 v[101:102], v[119:120], v[103:104], v[101:102]
	s_waitcnt vmcnt(10) lgkmcnt(0)
	v_fma_f64 v[101:102], v[121:122], v[105:106], v[101:102]
	s_waitcnt vmcnt(5)
	v_fma_f64 v[105:106], v[123:124], v[107:108], v[101:102]
	ds_read_b128 v[101:104], v100 offset:768
	ds_read_b64 v[107:108], v100 offset:784
	s_waitcnt vmcnt(4) lgkmcnt(1)
	v_fma_f64 v[101:102], v[129:130], v[101:102], v[105:106]
	s_waitcnt vmcnt(3)
	v_fma_f64 v[101:102], v[127:128], v[103:104], v[101:102]
	s_waitcnt vmcnt(2) lgkmcnt(0)
	v_fma_f64 v[101:102], v[125:126], v[107:108], v[101:102]
	s_waitcnt vmcnt(0)
	v_add_f64 v[101:102], v[109:110], -v[101:102]
	buffer_store_dword v102, off, s[0:3], 0 offset:300
	buffer_store_dword v101, off, s[0:3], 0 offset:296
	s_and_saveexec_b64 s[4:5], vcc
	s_cbranch_execz .LBB48_229
; %bb.228:
	buffer_load_dword v101, off, s[0:3], 0 offset:288
	buffer_load_dword v102, off, s[0:3], 0 offset:292
	s_waitcnt vmcnt(0)
	ds_write_b64 v99, v[101:102]
	buffer_store_dword v100, off, s[0:3], 0 offset:288
	buffer_store_dword v100, off, s[0:3], 0 offset:292
.LBB48_229:
	s_or_b64 exec, exec, s[4:5]
	s_waitcnt lgkmcnt(0)
	; wave barrier
	buffer_load_dword v109, off, s[0:3], 0 offset:296
	buffer_load_dword v110, off, s[0:3], 0 offset:300
	;; [unrolled: 1-line block ×21, first 2 shown]
	ds_read2_b64 v[101:104], v100 offset0:87 offset1:88
	ds_read2_b64 v[105:108], v100 offset0:89 offset1:90
	buffer_load_dword v126, off, s[0:3], 0 offset:380
	v_cmp_lt_u32_e32 vcc, 35, v0
	s_waitcnt vmcnt(20) lgkmcnt(1)
	v_fma_f64 v[101:102], v[109:110], v[101:102], 0
	buffer_load_dword v110, off, s[0:3], 0 offset:388
	buffer_load_dword v109, off, s[0:3], 0 offset:384
	s_waitcnt vmcnt(20)
	v_fma_f64 v[101:102], v[111:112], v[103:104], v[101:102]
	buffer_load_dword v111, off, s[0:3], 0 offset:288
	buffer_load_dword v112, off, s[0:3], 0 offset:292
	s_waitcnt vmcnt(20) lgkmcnt(0)
	v_fma_f64 v[101:102], v[113:114], v[105:106], v[101:102]
	s_waitcnt vmcnt(18)
	v_fma_f64 v[113:114], v[115:116], v[107:108], v[101:102]
	ds_read2_b64 v[101:104], v100 offset0:91 offset1:92
	ds_read2_b64 v[105:108], v100 offset0:93 offset1:94
	s_waitcnt vmcnt(16) lgkmcnt(1)
	v_fma_f64 v[101:102], v[117:118], v[101:102], v[113:114]
	s_waitcnt vmcnt(14)
	v_fma_f64 v[101:102], v[119:120], v[103:104], v[101:102]
	s_waitcnt vmcnt(12) lgkmcnt(0)
	v_fma_f64 v[101:102], v[121:122], v[105:106], v[101:102]
	s_waitcnt vmcnt(7)
	v_fma_f64 v[113:114], v[123:124], v[107:108], v[101:102]
	ds_read2_b64 v[101:104], v100 offset0:95 offset1:96
	ds_read2_b64 v[105:108], v100 offset0:97 offset1:98
	s_waitcnt vmcnt(6) lgkmcnt(1)
	v_fma_f64 v[100:101], v[129:130], v[101:102], v[113:114]
	s_waitcnt vmcnt(5)
	v_fma_f64 v[100:101], v[127:128], v[103:104], v[100:101]
	s_waitcnt vmcnt(4) lgkmcnt(0)
	v_fma_f64 v[100:101], v[125:126], v[105:106], v[100:101]
	s_waitcnt vmcnt(2)
	v_fma_f64 v[100:101], v[109:110], v[107:108], v[100:101]
	s_waitcnt vmcnt(0)
	v_add_f64 v[100:101], v[111:112], -v[100:101]
	buffer_store_dword v101, off, s[0:3], 0 offset:292
	buffer_store_dword v100, off, s[0:3], 0 offset:288
	s_and_saveexec_b64 s[4:5], vcc
	s_cbranch_execz .LBB48_231
; %bb.230:
	buffer_load_dword v100, off, s[0:3], 0 offset:280
	buffer_load_dword v101, off, s[0:3], 0 offset:284
	v_mov_b32_e32 v102, 0
	buffer_store_dword v102, off, s[0:3], 0 offset:280
	buffer_store_dword v102, off, s[0:3], 0 offset:284
	s_waitcnt vmcnt(2)
	ds_write_b64 v99, v[100:101]
.LBB48_231:
	s_or_b64 exec, exec, s[4:5]
	s_waitcnt lgkmcnt(0)
	; wave barrier
	buffer_load_dword v109, off, s[0:3], 0 offset:288
	buffer_load_dword v110, off, s[0:3], 0 offset:292
	;; [unrolled: 1-line block ×21, first 2 shown]
	v_mov_b32_e32 v100, 0
	ds_read_b128 v[101:104], v100 offset:688
	ds_read_b128 v[105:108], v100 offset:704
	buffer_load_dword v126, off, s[0:3], 0 offset:372
	v_cmp_lt_u32_e32 vcc, 34, v0
	s_waitcnt vmcnt(20) lgkmcnt(1)
	v_fma_f64 v[101:102], v[109:110], v[101:102], 0
	s_waitcnt vmcnt(18)
	v_fma_f64 v[101:102], v[111:112], v[103:104], v[101:102]
	buffer_load_dword v110, off, s[0:3], 0 offset:380
	buffer_load_dword v111, off, s[0:3], 0 offset:384
	;; [unrolled: 1-line block ×4, first 2 shown]
	s_waitcnt vmcnt(20) lgkmcnt(0)
	v_fma_f64 v[101:102], v[113:114], v[105:106], v[101:102]
	buffer_load_dword v113, off, s[0:3], 0 offset:280
	buffer_load_dword v114, off, s[0:3], 0 offset:284
	s_waitcnt vmcnt(20)
	v_fma_f64 v[115:116], v[115:116], v[107:108], v[101:102]
	ds_read_b128 v[101:104], v100 offset:720
	ds_read_b128 v[105:108], v100 offset:736
	s_waitcnt vmcnt(18) lgkmcnt(1)
	v_fma_f64 v[101:102], v[117:118], v[101:102], v[115:116]
	s_waitcnt vmcnt(16)
	v_fma_f64 v[101:102], v[119:120], v[103:104], v[101:102]
	s_waitcnt vmcnt(14) lgkmcnt(0)
	v_fma_f64 v[101:102], v[121:122], v[105:106], v[101:102]
	s_waitcnt vmcnt(9)
	v_fma_f64 v[115:116], v[123:124], v[107:108], v[101:102]
	ds_read_b128 v[101:104], v100 offset:752
	ds_read_b128 v[105:108], v100 offset:768
	s_waitcnt vmcnt(8) lgkmcnt(1)
	v_fma_f64 v[101:102], v[129:130], v[101:102], v[115:116]
	s_waitcnt vmcnt(7)
	v_fma_f64 v[101:102], v[127:128], v[103:104], v[101:102]
	ds_read_b64 v[103:104], v100 offset:784
	s_waitcnt vmcnt(6) lgkmcnt(1)
	v_fma_f64 v[101:102], v[125:126], v[105:106], v[101:102]
	s_waitcnt vmcnt(3)
	v_fma_f64 v[101:102], v[109:110], v[107:108], v[101:102]
	s_waitcnt vmcnt(2) lgkmcnt(0)
	v_fma_f64 v[101:102], v[111:112], v[103:104], v[101:102]
	s_waitcnt vmcnt(0)
	v_add_f64 v[101:102], v[113:114], -v[101:102]
	buffer_store_dword v102, off, s[0:3], 0 offset:284
	buffer_store_dword v101, off, s[0:3], 0 offset:280
	s_and_saveexec_b64 s[4:5], vcc
	s_cbranch_execz .LBB48_233
; %bb.232:
	buffer_load_dword v101, off, s[0:3], 0 offset:272
	buffer_load_dword v102, off, s[0:3], 0 offset:276
	s_waitcnt vmcnt(0)
	ds_write_b64 v99, v[101:102]
	buffer_store_dword v100, off, s[0:3], 0 offset:272
	buffer_store_dword v100, off, s[0:3], 0 offset:276
.LBB48_233:
	s_or_b64 exec, exec, s[4:5]
	s_waitcnt lgkmcnt(0)
	; wave barrier
	buffer_load_dword v109, off, s[0:3], 0 offset:280
	buffer_load_dword v110, off, s[0:3], 0 offset:284
	;; [unrolled: 1-line block ×22, first 2 shown]
	ds_read2_b64 v[101:104], v100 offset0:85 offset1:86
	ds_read2_b64 v[105:108], v100 offset0:87 offset1:88
	v_cmp_lt_u32_e32 vcc, 33, v0
	s_waitcnt vmcnt(20) lgkmcnt(1)
	v_fma_f64 v[101:102], v[109:110], v[101:102], 0
	s_waitcnt vmcnt(18)
	v_fma_f64 v[101:102], v[111:112], v[103:104], v[101:102]
	buffer_load_dword v110, off, s[0:3], 0 offset:372
	buffer_load_dword v111, off, s[0:3], 0 offset:384
	;; [unrolled: 1-line block ×6, first 2 shown]
	s_waitcnt vmcnt(22) lgkmcnt(0)
	v_fma_f64 v[101:102], v[113:114], v[105:106], v[101:102]
	s_waitcnt vmcnt(20)
	v_fma_f64 v[113:114], v[115:116], v[107:108], v[101:102]
	ds_read2_b64 v[101:104], v100 offset0:89 offset1:90
	buffer_load_dword v115, off, s[0:3], 0 offset:272
	buffer_load_dword v116, off, s[0:3], 0 offset:276
	ds_read2_b64 v[105:108], v100 offset0:91 offset1:92
	s_waitcnt vmcnt(20) lgkmcnt(1)
	v_fma_f64 v[101:102], v[117:118], v[101:102], v[113:114]
	s_waitcnt vmcnt(18)
	v_fma_f64 v[101:102], v[119:120], v[103:104], v[101:102]
	s_waitcnt vmcnt(16) lgkmcnt(0)
	v_fma_f64 v[101:102], v[121:122], v[105:106], v[101:102]
	s_waitcnt vmcnt(11)
	v_fma_f64 v[113:114], v[123:124], v[107:108], v[101:102]
	ds_read2_b64 v[101:104], v100 offset0:93 offset1:94
	ds_read2_b64 v[105:108], v100 offset0:95 offset1:96
	s_waitcnt vmcnt(10) lgkmcnt(1)
	v_fma_f64 v[101:102], v[129:130], v[101:102], v[113:114]
	s_waitcnt vmcnt(9)
	v_fma_f64 v[101:102], v[127:128], v[103:104], v[101:102]
	s_waitcnt vmcnt(8) lgkmcnt(0)
	v_fma_f64 v[101:102], v[125:126], v[105:106], v[101:102]
	s_waitcnt vmcnt(4)
	v_fma_f64 v[104:105], v[109:110], v[107:108], v[101:102]
	ds_read2_b64 v[100:103], v100 offset0:97 offset1:98
	s_waitcnt vmcnt(3) lgkmcnt(0)
	v_fma_f64 v[100:101], v[131:132], v[100:101], v[104:105]
	s_waitcnt vmcnt(2)
	v_fma_f64 v[100:101], v[111:112], v[102:103], v[100:101]
	s_waitcnt vmcnt(0)
	v_add_f64 v[100:101], v[115:116], -v[100:101]
	buffer_store_dword v101, off, s[0:3], 0 offset:276
	buffer_store_dword v100, off, s[0:3], 0 offset:272
	s_and_saveexec_b64 s[4:5], vcc
	s_cbranch_execz .LBB48_235
; %bb.234:
	buffer_load_dword v100, off, s[0:3], 0 offset:264
	buffer_load_dword v101, off, s[0:3], 0 offset:268
	v_mov_b32_e32 v102, 0
	buffer_store_dword v102, off, s[0:3], 0 offset:264
	buffer_store_dword v102, off, s[0:3], 0 offset:268
	s_waitcnt vmcnt(2)
	ds_write_b64 v99, v[100:101]
.LBB48_235:
	s_or_b64 exec, exec, s[4:5]
	s_waitcnt lgkmcnt(0)
	; wave barrier
	buffer_load_dword v109, off, s[0:3], 0 offset:272
	buffer_load_dword v110, off, s[0:3], 0 offset:276
	;; [unrolled: 1-line block ×22, first 2 shown]
	v_mov_b32_e32 v100, 0
	ds_read_b128 v[101:104], v100 offset:672
	ds_read_b128 v[105:108], v100 offset:688
	v_cmp_lt_u32_e32 vcc, 32, v0
	s_waitcnt vmcnt(20) lgkmcnt(1)
	v_fma_f64 v[101:102], v[109:110], v[101:102], 0
	s_waitcnt vmcnt(18)
	v_fma_f64 v[101:102], v[111:112], v[103:104], v[101:102]
	buffer_load_dword v110, off, s[0:3], 0 offset:364
	buffer_load_dword v111, off, s[0:3], 0 offset:384
	;; [unrolled: 1-line block ×8, first 2 shown]
	s_waitcnt vmcnt(24) lgkmcnt(0)
	v_fma_f64 v[101:102], v[113:114], v[105:106], v[101:102]
	s_waitcnt vmcnt(22)
	v_fma_f64 v[113:114], v[115:116], v[107:108], v[101:102]
	ds_read_b128 v[101:104], v100 offset:704
	ds_read_b128 v[105:108], v100 offset:720
	s_waitcnt vmcnt(20) lgkmcnt(1)
	v_fma_f64 v[101:102], v[117:118], v[101:102], v[113:114]
	buffer_load_dword v113, off, s[0:3], 0 offset:264
	buffer_load_dword v114, off, s[0:3], 0 offset:268
	s_waitcnt vmcnt(20)
	v_fma_f64 v[101:102], v[119:120], v[103:104], v[101:102]
	s_waitcnt vmcnt(18) lgkmcnt(0)
	v_fma_f64 v[101:102], v[121:122], v[105:106], v[101:102]
	s_waitcnt vmcnt(13)
	v_fma_f64 v[115:116], v[123:124], v[107:108], v[101:102]
	ds_read_b128 v[101:104], v100 offset:736
	ds_read_b128 v[105:108], v100 offset:752
	s_waitcnt vmcnt(12) lgkmcnt(1)
	v_fma_f64 v[101:102], v[129:130], v[101:102], v[115:116]
	s_waitcnt vmcnt(11)
	v_fma_f64 v[101:102], v[127:128], v[103:104], v[101:102]
	s_waitcnt vmcnt(10) lgkmcnt(0)
	v_fma_f64 v[101:102], v[125:126], v[105:106], v[101:102]
	s_waitcnt vmcnt(5)
	v_fma_f64 v[105:106], v[109:110], v[107:108], v[101:102]
	ds_read_b128 v[101:104], v100 offset:768
	ds_read_b64 v[107:108], v100 offset:784
	s_waitcnt vmcnt(4) lgkmcnt(1)
	v_fma_f64 v[101:102], v[133:134], v[101:102], v[105:106]
	s_waitcnt vmcnt(3)
	v_fma_f64 v[101:102], v[131:132], v[103:104], v[101:102]
	s_waitcnt vmcnt(2) lgkmcnt(0)
	v_fma_f64 v[101:102], v[111:112], v[107:108], v[101:102]
	s_waitcnt vmcnt(0)
	v_add_f64 v[101:102], v[113:114], -v[101:102]
	buffer_store_dword v102, off, s[0:3], 0 offset:268
	buffer_store_dword v101, off, s[0:3], 0 offset:264
	s_and_saveexec_b64 s[4:5], vcc
	s_cbranch_execz .LBB48_237
; %bb.236:
	buffer_load_dword v101, off, s[0:3], 0 offset:256
	buffer_load_dword v102, off, s[0:3], 0 offset:260
	s_waitcnt vmcnt(0)
	ds_write_b64 v99, v[101:102]
	buffer_store_dword v100, off, s[0:3], 0 offset:256
	buffer_store_dword v100, off, s[0:3], 0 offset:260
.LBB48_237:
	s_or_b64 exec, exec, s[4:5]
	s_waitcnt lgkmcnt(0)
	; wave barrier
	buffer_load_dword v109, off, s[0:3], 0 offset:264
	buffer_load_dword v110, off, s[0:3], 0 offset:268
	buffer_load_dword v111, off, s[0:3], 0 offset:272
	buffer_load_dword v112, off, s[0:3], 0 offset:276
	buffer_load_dword v113, off, s[0:3], 0 offset:280
	buffer_load_dword v114, off, s[0:3], 0 offset:284
	buffer_load_dword v115, off, s[0:3], 0 offset:288
	buffer_load_dword v116, off, s[0:3], 0 offset:292
	buffer_load_dword v117, off, s[0:3], 0 offset:296
	buffer_load_dword v118, off, s[0:3], 0 offset:300
	buffer_load_dword v119, off, s[0:3], 0 offset:304
	buffer_load_dword v120, off, s[0:3], 0 offset:308
	buffer_load_dword v121, off, s[0:3], 0 offset:312
	buffer_load_dword v122, off, s[0:3], 0 offset:316
	buffer_load_dword v124, off, s[0:3], 0 offset:324
	buffer_load_dword v125, off, s[0:3], 0 offset:344
	buffer_load_dword v127, off, s[0:3], 0 offset:336
	buffer_load_dword v129, off, s[0:3], 0 offset:328
	buffer_load_dword v123, off, s[0:3], 0 offset:320
	buffer_load_dword v130, off, s[0:3], 0 offset:332
	buffer_load_dword v128, off, s[0:3], 0 offset:340
	buffer_load_dword v126, off, s[0:3], 0 offset:348
	ds_read2_b64 v[101:104], v100 offset0:83 offset1:84
	ds_read2_b64 v[105:108], v100 offset0:85 offset1:86
	v_cmp_lt_u32_e32 vcc, 31, v0
	s_waitcnt vmcnt(20) lgkmcnt(1)
	v_fma_f64 v[101:102], v[109:110], v[101:102], 0
	s_waitcnt vmcnt(18)
	v_fma_f64 v[101:102], v[111:112], v[103:104], v[101:102]
	buffer_load_dword v110, off, s[0:3], 0 offset:356
	buffer_load_dword v111, off, s[0:3], 0 offset:376
	;; [unrolled: 1-line block ×8, first 2 shown]
	s_waitcnt vmcnt(24) lgkmcnt(0)
	v_fma_f64 v[101:102], v[113:114], v[105:106], v[101:102]
	s_waitcnt vmcnt(22)
	v_fma_f64 v[113:114], v[115:116], v[107:108], v[101:102]
	ds_read2_b64 v[101:104], v100 offset0:87 offset1:88
	ds_read2_b64 v[105:108], v100 offset0:89 offset1:90
	s_waitcnt vmcnt(20) lgkmcnt(1)
	v_fma_f64 v[101:102], v[117:118], v[101:102], v[113:114]
	buffer_load_dword v114, off, s[0:3], 0 offset:388
	buffer_load_dword v113, off, s[0:3], 0 offset:384
	;; [unrolled: 1-line block ×4, first 2 shown]
	s_waitcnt vmcnt(22)
	v_fma_f64 v[101:102], v[119:120], v[103:104], v[101:102]
	s_waitcnt vmcnt(20) lgkmcnt(0)
	v_fma_f64 v[101:102], v[121:122], v[105:106], v[101:102]
	s_waitcnt vmcnt(15)
	v_fma_f64 v[117:118], v[123:124], v[107:108], v[101:102]
	ds_read2_b64 v[101:104], v100 offset0:91 offset1:92
	ds_read2_b64 v[105:108], v100 offset0:93 offset1:94
	s_waitcnt vmcnt(14) lgkmcnt(1)
	v_fma_f64 v[101:102], v[129:130], v[101:102], v[117:118]
	s_waitcnt vmcnt(13)
	v_fma_f64 v[101:102], v[127:128], v[103:104], v[101:102]
	s_waitcnt vmcnt(12) lgkmcnt(0)
	v_fma_f64 v[101:102], v[125:126], v[105:106], v[101:102]
	s_waitcnt vmcnt(7)
	v_fma_f64 v[109:110], v[109:110], v[107:108], v[101:102]
	ds_read2_b64 v[101:104], v100 offset0:95 offset1:96
	ds_read2_b64 v[105:108], v100 offset0:97 offset1:98
	s_waitcnt vmcnt(6) lgkmcnt(1)
	v_fma_f64 v[100:101], v[133:134], v[101:102], v[109:110]
	s_waitcnt vmcnt(5)
	v_fma_f64 v[100:101], v[131:132], v[103:104], v[100:101]
	s_waitcnt vmcnt(4) lgkmcnt(0)
	v_fma_f64 v[100:101], v[111:112], v[105:106], v[100:101]
	s_waitcnt vmcnt(2)
	v_fma_f64 v[100:101], v[113:114], v[107:108], v[100:101]
	s_waitcnt vmcnt(0)
	v_add_f64 v[100:101], v[115:116], -v[100:101]
	buffer_store_dword v101, off, s[0:3], 0 offset:260
	buffer_store_dword v100, off, s[0:3], 0 offset:256
	s_and_saveexec_b64 s[4:5], vcc
	s_cbranch_execz .LBB48_239
; %bb.238:
	buffer_load_dword v100, off, s[0:3], 0 offset:248
	buffer_load_dword v101, off, s[0:3], 0 offset:252
	v_mov_b32_e32 v102, 0
	buffer_store_dword v102, off, s[0:3], 0 offset:248
	buffer_store_dword v102, off, s[0:3], 0 offset:252
	s_waitcnt vmcnt(2)
	ds_write_b64 v99, v[100:101]
.LBB48_239:
	s_or_b64 exec, exec, s[4:5]
	s_waitcnt lgkmcnt(0)
	; wave barrier
	buffer_load_dword v109, off, s[0:3], 0 offset:256
	buffer_load_dword v110, off, s[0:3], 0 offset:260
	buffer_load_dword v111, off, s[0:3], 0 offset:264
	buffer_load_dword v112, off, s[0:3], 0 offset:268
	buffer_load_dword v113, off, s[0:3], 0 offset:272
	buffer_load_dword v114, off, s[0:3], 0 offset:276
	buffer_load_dword v115, off, s[0:3], 0 offset:280
	buffer_load_dword v116, off, s[0:3], 0 offset:284
	buffer_load_dword v117, off, s[0:3], 0 offset:288
	buffer_load_dword v118, off, s[0:3], 0 offset:292
	buffer_load_dword v119, off, s[0:3], 0 offset:296
	buffer_load_dword v120, off, s[0:3], 0 offset:300
	buffer_load_dword v121, off, s[0:3], 0 offset:304
	buffer_load_dword v122, off, s[0:3], 0 offset:308
	buffer_load_dword v124, off, s[0:3], 0 offset:316
	buffer_load_dword v125, off, s[0:3], 0 offset:336
	buffer_load_dword v127, off, s[0:3], 0 offset:328
	buffer_load_dword v129, off, s[0:3], 0 offset:320
	buffer_load_dword v123, off, s[0:3], 0 offset:312
	buffer_load_dword v130, off, s[0:3], 0 offset:324
	buffer_load_dword v128, off, s[0:3], 0 offset:332
	buffer_load_dword v126, off, s[0:3], 0 offset:340
	v_mov_b32_e32 v100, 0
	ds_read_b128 v[101:104], v100 offset:656
	ds_read_b128 v[105:108], v100 offset:672
	v_cmp_lt_u32_e32 vcc, 30, v0
	s_waitcnt vmcnt(20) lgkmcnt(1)
	v_fma_f64 v[101:102], v[109:110], v[101:102], 0
	s_waitcnt vmcnt(18)
	v_fma_f64 v[101:102], v[111:112], v[103:104], v[101:102]
	buffer_load_dword v110, off, s[0:3], 0 offset:348
	buffer_load_dword v111, off, s[0:3], 0 offset:368
	;; [unrolled: 1-line block ×7, first 2 shown]
	s_waitcnt vmcnt(23) lgkmcnt(0)
	v_fma_f64 v[101:102], v[113:114], v[105:106], v[101:102]
	s_waitcnt vmcnt(21)
	v_fma_f64 v[112:113], v[115:116], v[107:108], v[101:102]
	ds_read_b128 v[101:104], v100 offset:688
	ds_read_b128 v[105:108], v100 offset:704
	s_waitcnt vmcnt(19) lgkmcnt(1)
	v_fma_f64 v[101:102], v[117:118], v[101:102], v[112:113]
	buffer_load_dword v112, off, s[0:3], 0 offset:372
	buffer_load_dword v114, off, s[0:3], 0 offset:380
	;; [unrolled: 1-line block ×7, first 2 shown]
	s_waitcnt vmcnt(24)
	v_fma_f64 v[101:102], v[119:120], v[103:104], v[101:102]
	s_waitcnt vmcnt(22) lgkmcnt(0)
	v_fma_f64 v[101:102], v[121:122], v[105:106], v[101:102]
	s_waitcnt vmcnt(17)
	v_fma_f64 v[119:120], v[123:124], v[107:108], v[101:102]
	ds_read_b128 v[101:104], v100 offset:720
	ds_read_b128 v[105:108], v100 offset:736
	s_waitcnt vmcnt(16) lgkmcnt(1)
	v_fma_f64 v[101:102], v[129:130], v[101:102], v[119:120]
	s_waitcnt vmcnt(15)
	v_fma_f64 v[101:102], v[127:128], v[103:104], v[101:102]
	s_waitcnt vmcnt(14) lgkmcnt(0)
	v_fma_f64 v[101:102], v[125:126], v[105:106], v[101:102]
	s_waitcnt vmcnt(9)
	v_fma_f64 v[109:110], v[109:110], v[107:108], v[101:102]
	ds_read_b128 v[101:104], v100 offset:752
	ds_read_b128 v[105:108], v100 offset:768
	s_waitcnt vmcnt(8) lgkmcnt(1)
	v_fma_f64 v[101:102], v[133:134], v[101:102], v[109:110]
	s_waitcnt vmcnt(7)
	v_fma_f64 v[101:102], v[131:132], v[103:104], v[101:102]
	ds_read_b64 v[103:104], v100 offset:784
	s_waitcnt vmcnt(6) lgkmcnt(1)
	v_fma_f64 v[101:102], v[111:112], v[105:106], v[101:102]
	s_waitcnt vmcnt(3)
	v_fma_f64 v[101:102], v[113:114], v[107:108], v[101:102]
	s_waitcnt vmcnt(2) lgkmcnt(0)
	v_fma_f64 v[101:102], v[115:116], v[103:104], v[101:102]
	s_waitcnt vmcnt(0)
	v_add_f64 v[101:102], v[117:118], -v[101:102]
	buffer_store_dword v102, off, s[0:3], 0 offset:252
	buffer_store_dword v101, off, s[0:3], 0 offset:248
	s_and_saveexec_b64 s[4:5], vcc
	s_cbranch_execz .LBB48_241
; %bb.240:
	buffer_load_dword v101, off, s[0:3], 0 offset:240
	buffer_load_dword v102, off, s[0:3], 0 offset:244
	s_waitcnt vmcnt(0)
	ds_write_b64 v99, v[101:102]
	buffer_store_dword v100, off, s[0:3], 0 offset:240
	buffer_store_dword v100, off, s[0:3], 0 offset:244
.LBB48_241:
	s_or_b64 exec, exec, s[4:5]
	s_waitcnt lgkmcnt(0)
	; wave barrier
	buffer_load_dword v109, off, s[0:3], 0 offset:248
	buffer_load_dword v110, off, s[0:3], 0 offset:252
	;; [unrolled: 1-line block ×22, first 2 shown]
	ds_read2_b64 v[101:104], v100 offset0:81 offset1:82
	ds_read2_b64 v[105:108], v100 offset0:83 offset1:84
	v_cmp_lt_u32_e32 vcc, 29, v0
	s_waitcnt vmcnt(20) lgkmcnt(1)
	v_fma_f64 v[101:102], v[109:110], v[101:102], 0
	s_waitcnt vmcnt(18)
	v_fma_f64 v[101:102], v[111:112], v[103:104], v[101:102]
	buffer_load_dword v110, off, s[0:3], 0 offset:340
	buffer_load_dword v111, off, s[0:3], 0 offset:360
	;; [unrolled: 1-line block ×7, first 2 shown]
	s_waitcnt vmcnt(23) lgkmcnt(0)
	v_fma_f64 v[101:102], v[113:114], v[105:106], v[101:102]
	s_waitcnt vmcnt(21)
	v_fma_f64 v[112:113], v[115:116], v[107:108], v[101:102]
	ds_read2_b64 v[101:104], v100 offset0:85 offset1:86
	ds_read2_b64 v[105:108], v100 offset0:87 offset1:88
	s_waitcnt vmcnt(19) lgkmcnt(1)
	v_fma_f64 v[101:102], v[117:118], v[101:102], v[112:113]
	buffer_load_dword v112, off, s[0:3], 0 offset:364
	buffer_load_dword v114, off, s[0:3], 0 offset:372
	;; [unrolled: 1-line block ×7, first 2 shown]
	s_waitcnt vmcnt(24)
	v_fma_f64 v[101:102], v[119:120], v[103:104], v[101:102]
	s_waitcnt vmcnt(22) lgkmcnt(0)
	v_fma_f64 v[101:102], v[121:122], v[105:106], v[101:102]
	s_waitcnt vmcnt(17)
	v_fma_f64 v[119:120], v[123:124], v[107:108], v[101:102]
	ds_read2_b64 v[101:104], v100 offset0:89 offset1:90
	buffer_load_dword v121, off, s[0:3], 0 offset:240
	buffer_load_dword v122, off, s[0:3], 0 offset:244
	ds_read2_b64 v[105:108], v100 offset0:91 offset1:92
	s_waitcnt vmcnt(18) lgkmcnt(1)
	v_fma_f64 v[101:102], v[129:130], v[101:102], v[119:120]
	s_waitcnt vmcnt(17)
	v_fma_f64 v[101:102], v[127:128], v[103:104], v[101:102]
	s_waitcnt vmcnt(16) lgkmcnt(0)
	v_fma_f64 v[101:102], v[125:126], v[105:106], v[101:102]
	s_waitcnt vmcnt(11)
	v_fma_f64 v[109:110], v[109:110], v[107:108], v[101:102]
	ds_read2_b64 v[101:104], v100 offset0:93 offset1:94
	ds_read2_b64 v[105:108], v100 offset0:95 offset1:96
	s_waitcnt vmcnt(10) lgkmcnt(1)
	v_fma_f64 v[101:102], v[133:134], v[101:102], v[109:110]
	s_waitcnt vmcnt(9)
	v_fma_f64 v[101:102], v[131:132], v[103:104], v[101:102]
	s_waitcnt vmcnt(8) lgkmcnt(0)
	v_fma_f64 v[101:102], v[111:112], v[105:106], v[101:102]
	s_waitcnt vmcnt(4)
	v_fma_f64 v[104:105], v[113:114], v[107:108], v[101:102]
	ds_read2_b64 v[100:103], v100 offset0:97 offset1:98
	s_waitcnt vmcnt(3) lgkmcnt(0)
	v_fma_f64 v[100:101], v[117:118], v[100:101], v[104:105]
	s_waitcnt vmcnt(2)
	v_fma_f64 v[100:101], v[115:116], v[102:103], v[100:101]
	s_waitcnt vmcnt(0)
	v_add_f64 v[100:101], v[121:122], -v[100:101]
	buffer_store_dword v101, off, s[0:3], 0 offset:244
	buffer_store_dword v100, off, s[0:3], 0 offset:240
	s_and_saveexec_b64 s[4:5], vcc
	s_cbranch_execz .LBB48_243
; %bb.242:
	buffer_load_dword v100, off, s[0:3], 0 offset:232
	buffer_load_dword v101, off, s[0:3], 0 offset:236
	v_mov_b32_e32 v102, 0
	buffer_store_dword v102, off, s[0:3], 0 offset:232
	buffer_store_dword v102, off, s[0:3], 0 offset:236
	s_waitcnt vmcnt(2)
	ds_write_b64 v99, v[100:101]
.LBB48_243:
	s_or_b64 exec, exec, s[4:5]
	s_waitcnt lgkmcnt(0)
	; wave barrier
	buffer_load_dword v109, off, s[0:3], 0 offset:240
	buffer_load_dword v110, off, s[0:3], 0 offset:244
	;; [unrolled: 1-line block ×22, first 2 shown]
	v_mov_b32_e32 v100, 0
	ds_read_b128 v[101:104], v100 offset:640
	ds_read_b128 v[105:108], v100 offset:656
	v_cmp_lt_u32_e32 vcc, 28, v0
	s_waitcnt vmcnt(20) lgkmcnt(1)
	v_fma_f64 v[101:102], v[109:110], v[101:102], 0
	s_waitcnt vmcnt(18)
	v_fma_f64 v[101:102], v[111:112], v[103:104], v[101:102]
	buffer_load_dword v110, off, s[0:3], 0 offset:332
	buffer_load_dword v111, off, s[0:3], 0 offset:352
	;; [unrolled: 1-line block ×7, first 2 shown]
	s_waitcnt vmcnt(23) lgkmcnt(0)
	v_fma_f64 v[101:102], v[113:114], v[105:106], v[101:102]
	s_waitcnt vmcnt(21)
	v_fma_f64 v[112:113], v[115:116], v[107:108], v[101:102]
	ds_read_b128 v[101:104], v100 offset:672
	ds_read_b128 v[105:108], v100 offset:688
	s_waitcnt vmcnt(19) lgkmcnt(1)
	v_fma_f64 v[101:102], v[117:118], v[101:102], v[112:113]
	buffer_load_dword v112, off, s[0:3], 0 offset:356
	s_waitcnt vmcnt(18)
	v_fma_f64 v[101:102], v[119:120], v[103:104], v[101:102]
	buffer_load_dword v114, off, s[0:3], 0 offset:364
	buffer_load_dword v115, off, s[0:3], 0 offset:384
	;; [unrolled: 1-line block ×8, first 2 shown]
	s_waitcnt vmcnt(24) lgkmcnt(0)
	v_fma_f64 v[101:102], v[121:122], v[105:106], v[101:102]
	s_waitcnt vmcnt(19)
	v_fma_f64 v[121:122], v[123:124], v[107:108], v[101:102]
	ds_read_b128 v[101:104], v100 offset:704
	ds_read_b128 v[105:108], v100 offset:720
	s_waitcnt vmcnt(18) lgkmcnt(1)
	v_fma_f64 v[101:102], v[129:130], v[101:102], v[121:122]
	buffer_load_dword v121, off, s[0:3], 0 offset:232
	buffer_load_dword v122, off, s[0:3], 0 offset:236
	s_waitcnt vmcnt(19)
	v_fma_f64 v[101:102], v[127:128], v[103:104], v[101:102]
	s_waitcnt vmcnt(18) lgkmcnt(0)
	v_fma_f64 v[101:102], v[125:126], v[105:106], v[101:102]
	s_waitcnt vmcnt(13)
	v_fma_f64 v[109:110], v[109:110], v[107:108], v[101:102]
	ds_read_b128 v[101:104], v100 offset:736
	ds_read_b128 v[105:108], v100 offset:752
	s_waitcnt vmcnt(12) lgkmcnt(1)
	v_fma_f64 v[101:102], v[133:134], v[101:102], v[109:110]
	s_waitcnt vmcnt(11)
	v_fma_f64 v[101:102], v[131:132], v[103:104], v[101:102]
	s_waitcnt vmcnt(10) lgkmcnt(0)
	v_fma_f64 v[101:102], v[111:112], v[105:106], v[101:102]
	s_waitcnt vmcnt(5)
	v_fma_f64 v[105:106], v[113:114], v[107:108], v[101:102]
	ds_read_b128 v[101:104], v100 offset:768
	ds_read_b64 v[107:108], v100 offset:784
	s_waitcnt vmcnt(4) lgkmcnt(1)
	v_fma_f64 v[101:102], v[119:120], v[101:102], v[105:106]
	s_waitcnt vmcnt(3)
	v_fma_f64 v[101:102], v[117:118], v[103:104], v[101:102]
	s_waitcnt vmcnt(2) lgkmcnt(0)
	v_fma_f64 v[101:102], v[115:116], v[107:108], v[101:102]
	s_waitcnt vmcnt(0)
	v_add_f64 v[101:102], v[121:122], -v[101:102]
	buffer_store_dword v102, off, s[0:3], 0 offset:236
	buffer_store_dword v101, off, s[0:3], 0 offset:232
	s_and_saveexec_b64 s[4:5], vcc
	s_cbranch_execz .LBB48_245
; %bb.244:
	buffer_load_dword v101, off, s[0:3], 0 offset:224
	buffer_load_dword v102, off, s[0:3], 0 offset:228
	s_waitcnt vmcnt(0)
	ds_write_b64 v99, v[101:102]
	buffer_store_dword v100, off, s[0:3], 0 offset:224
	buffer_store_dword v100, off, s[0:3], 0 offset:228
.LBB48_245:
	s_or_b64 exec, exec, s[4:5]
	s_waitcnt lgkmcnt(0)
	; wave barrier
	buffer_load_dword v109, off, s[0:3], 0 offset:232
	buffer_load_dword v110, off, s[0:3], 0 offset:236
	;; [unrolled: 1-line block ×22, first 2 shown]
	ds_read2_b64 v[101:104], v100 offset0:79 offset1:80
	ds_read2_b64 v[105:108], v100 offset0:81 offset1:82
	v_cmp_lt_u32_e32 vcc, 27, v0
	s_waitcnt vmcnt(20) lgkmcnt(1)
	v_fma_f64 v[101:102], v[109:110], v[101:102], 0
	s_waitcnt vmcnt(18)
	v_fma_f64 v[101:102], v[111:112], v[103:104], v[101:102]
	buffer_load_dword v110, off, s[0:3], 0 offset:324
	buffer_load_dword v111, off, s[0:3], 0 offset:344
	;; [unrolled: 1-line block ×7, first 2 shown]
	s_waitcnt vmcnt(23) lgkmcnt(0)
	v_fma_f64 v[101:102], v[113:114], v[105:106], v[101:102]
	s_waitcnt vmcnt(21)
	v_fma_f64 v[112:113], v[115:116], v[107:108], v[101:102]
	ds_read2_b64 v[101:104], v100 offset0:83 offset1:84
	ds_read2_b64 v[105:108], v100 offset0:85 offset1:86
	s_waitcnt vmcnt(19) lgkmcnt(1)
	v_fma_f64 v[101:102], v[117:118], v[101:102], v[112:113]
	buffer_load_dword v112, off, s[0:3], 0 offset:348
	s_waitcnt vmcnt(18)
	v_fma_f64 v[101:102], v[119:120], v[103:104], v[101:102]
	buffer_load_dword v114, off, s[0:3], 0 offset:356
	buffer_load_dword v115, off, s[0:3], 0 offset:376
	;; [unrolled: 1-line block ×8, first 2 shown]
	s_waitcnt vmcnt(24) lgkmcnt(0)
	v_fma_f64 v[101:102], v[121:122], v[105:106], v[101:102]
	s_waitcnt vmcnt(19)
	v_fma_f64 v[121:122], v[123:124], v[107:108], v[101:102]
	ds_read2_b64 v[101:104], v100 offset0:87 offset1:88
	ds_read2_b64 v[105:108], v100 offset0:89 offset1:90
	s_waitcnt vmcnt(18) lgkmcnt(1)
	v_fma_f64 v[101:102], v[129:130], v[101:102], v[121:122]
	buffer_load_dword v122, off, s[0:3], 0 offset:388
	buffer_load_dword v121, off, s[0:3], 0 offset:384
	;; [unrolled: 1-line block ×4, first 2 shown]
	s_waitcnt vmcnt(21)
	v_fma_f64 v[101:102], v[127:128], v[103:104], v[101:102]
	s_waitcnt vmcnt(20) lgkmcnt(0)
	v_fma_f64 v[101:102], v[125:126], v[105:106], v[101:102]
	s_waitcnt vmcnt(15)
	v_fma_f64 v[109:110], v[109:110], v[107:108], v[101:102]
	ds_read2_b64 v[101:104], v100 offset0:91 offset1:92
	ds_read2_b64 v[105:108], v100 offset0:93 offset1:94
	s_waitcnt vmcnt(14) lgkmcnt(1)
	v_fma_f64 v[101:102], v[133:134], v[101:102], v[109:110]
	s_waitcnt vmcnt(13)
	v_fma_f64 v[101:102], v[131:132], v[103:104], v[101:102]
	s_waitcnt vmcnt(12) lgkmcnt(0)
	v_fma_f64 v[101:102], v[111:112], v[105:106], v[101:102]
	s_waitcnt vmcnt(7)
	v_fma_f64 v[109:110], v[113:114], v[107:108], v[101:102]
	ds_read2_b64 v[101:104], v100 offset0:95 offset1:96
	ds_read2_b64 v[105:108], v100 offset0:97 offset1:98
	s_waitcnt vmcnt(6) lgkmcnt(1)
	v_fma_f64 v[100:101], v[119:120], v[101:102], v[109:110]
	s_waitcnt vmcnt(5)
	v_fma_f64 v[100:101], v[117:118], v[103:104], v[100:101]
	s_waitcnt vmcnt(4) lgkmcnt(0)
	v_fma_f64 v[100:101], v[115:116], v[105:106], v[100:101]
	s_waitcnt vmcnt(2)
	v_fma_f64 v[100:101], v[121:122], v[107:108], v[100:101]
	s_waitcnt vmcnt(0)
	v_add_f64 v[100:101], v[123:124], -v[100:101]
	buffer_store_dword v101, off, s[0:3], 0 offset:228
	buffer_store_dword v100, off, s[0:3], 0 offset:224
	s_and_saveexec_b64 s[4:5], vcc
	s_cbranch_execz .LBB48_247
; %bb.246:
	buffer_load_dword v100, off, s[0:3], 0 offset:216
	buffer_load_dword v101, off, s[0:3], 0 offset:220
	v_mov_b32_e32 v102, 0
	buffer_store_dword v102, off, s[0:3], 0 offset:216
	buffer_store_dword v102, off, s[0:3], 0 offset:220
	s_waitcnt vmcnt(2)
	ds_write_b64 v99, v[100:101]
.LBB48_247:
	s_or_b64 exec, exec, s[4:5]
	s_waitcnt lgkmcnt(0)
	; wave barrier
	buffer_load_dword v109, off, s[0:3], 0 offset:224
	buffer_load_dword v110, off, s[0:3], 0 offset:228
	;; [unrolled: 1-line block ×21, first 2 shown]
	v_mov_b32_e32 v100, 0
	ds_read_b128 v[101:104], v100 offset:624
	ds_read_b128 v[105:108], v100 offset:640
	buffer_load_dword v126, off, s[0:3], 0 offset:308
	v_cmp_lt_u32_e32 vcc, 26, v0
	s_waitcnt vmcnt(20) lgkmcnt(1)
	v_fma_f64 v[101:102], v[109:110], v[101:102], 0
	s_waitcnt vmcnt(18)
	v_fma_f64 v[101:102], v[111:112], v[103:104], v[101:102]
	buffer_load_dword v110, off, s[0:3], 0 offset:316
	buffer_load_dword v111, off, s[0:3], 0 offset:336
	;; [unrolled: 1-line block ×7, first 2 shown]
	s_waitcnt vmcnt(23) lgkmcnt(0)
	v_fma_f64 v[101:102], v[113:114], v[105:106], v[101:102]
	s_waitcnt vmcnt(21)
	v_fma_f64 v[112:113], v[115:116], v[107:108], v[101:102]
	ds_read_b128 v[101:104], v100 offset:656
	ds_read_b128 v[105:108], v100 offset:672
	s_waitcnt vmcnt(19) lgkmcnt(1)
	v_fma_f64 v[101:102], v[117:118], v[101:102], v[112:113]
	buffer_load_dword v112, off, s[0:3], 0 offset:340
	s_waitcnt vmcnt(18)
	v_fma_f64 v[101:102], v[119:120], v[103:104], v[101:102]
	buffer_load_dword v114, off, s[0:3], 0 offset:348
	buffer_load_dword v115, off, s[0:3], 0 offset:368
	buffer_load_dword v117, off, s[0:3], 0 offset:360
	buffer_load_dword v119, off, s[0:3], 0 offset:352
	buffer_load_dword v113, off, s[0:3], 0 offset:344
	buffer_load_dword v120, off, s[0:3], 0 offset:356
	buffer_load_dword v118, off, s[0:3], 0 offset:364
	s_waitcnt vmcnt(23) lgkmcnt(0)
	v_fma_f64 v[101:102], v[121:122], v[105:106], v[101:102]
	s_waitcnt vmcnt(18)
	v_fma_f64 v[121:122], v[123:124], v[107:108], v[101:102]
	ds_read_b128 v[101:104], v100 offset:688
	ds_read_b128 v[105:108], v100 offset:704
	buffer_load_dword v116, off, s[0:3], 0 offset:372
	s_waitcnt vmcnt(18) lgkmcnt(1)
	v_fma_f64 v[101:102], v[129:130], v[101:102], v[121:122]
	buffer_load_dword v122, off, s[0:3], 0 offset:380
	buffer_load_dword v123, off, s[0:3], 0 offset:384
	;; [unrolled: 1-line block ×4, first 2 shown]
	s_waitcnt vmcnt(21)
	v_fma_f64 v[101:102], v[127:128], v[103:104], v[101:102]
	s_waitcnt vmcnt(20) lgkmcnt(0)
	v_fma_f64 v[101:102], v[125:126], v[105:106], v[101:102]
	buffer_load_dword v125, off, s[0:3], 0 offset:216
	buffer_load_dword v126, off, s[0:3], 0 offset:220
	s_waitcnt vmcnt(17)
	v_fma_f64 v[109:110], v[109:110], v[107:108], v[101:102]
	ds_read_b128 v[101:104], v100 offset:720
	ds_read_b128 v[105:108], v100 offset:736
	s_waitcnt vmcnt(16) lgkmcnt(1)
	v_fma_f64 v[101:102], v[133:134], v[101:102], v[109:110]
	s_waitcnt vmcnt(15)
	v_fma_f64 v[101:102], v[131:132], v[103:104], v[101:102]
	s_waitcnt vmcnt(14) lgkmcnt(0)
	v_fma_f64 v[101:102], v[111:112], v[105:106], v[101:102]
	s_waitcnt vmcnt(9)
	v_fma_f64 v[109:110], v[113:114], v[107:108], v[101:102]
	ds_read_b128 v[101:104], v100 offset:752
	ds_read_b128 v[105:108], v100 offset:768
	s_waitcnt vmcnt(8) lgkmcnt(1)
	v_fma_f64 v[101:102], v[119:120], v[101:102], v[109:110]
	s_waitcnt vmcnt(7)
	v_fma_f64 v[101:102], v[117:118], v[103:104], v[101:102]
	ds_read_b64 v[103:104], v100 offset:784
	s_waitcnt vmcnt(6) lgkmcnt(1)
	v_fma_f64 v[101:102], v[115:116], v[105:106], v[101:102]
	s_waitcnt vmcnt(3)
	v_fma_f64 v[101:102], v[121:122], v[107:108], v[101:102]
	s_waitcnt vmcnt(2) lgkmcnt(0)
	v_fma_f64 v[101:102], v[123:124], v[103:104], v[101:102]
	s_waitcnt vmcnt(0)
	v_add_f64 v[101:102], v[125:126], -v[101:102]
	buffer_store_dword v102, off, s[0:3], 0 offset:220
	buffer_store_dword v101, off, s[0:3], 0 offset:216
	s_and_saveexec_b64 s[4:5], vcc
	s_cbranch_execz .LBB48_249
; %bb.248:
	buffer_load_dword v101, off, s[0:3], 0 offset:208
	buffer_load_dword v102, off, s[0:3], 0 offset:212
	s_waitcnt vmcnt(0)
	ds_write_b64 v99, v[101:102]
	buffer_store_dword v100, off, s[0:3], 0 offset:208
	buffer_store_dword v100, off, s[0:3], 0 offset:212
.LBB48_249:
	s_or_b64 exec, exec, s[4:5]
	s_waitcnt lgkmcnt(0)
	; wave barrier
	buffer_load_dword v109, off, s[0:3], 0 offset:216
	buffer_load_dword v110, off, s[0:3], 0 offset:220
	;; [unrolled: 1-line block ×21, first 2 shown]
	ds_read2_b64 v[101:104], v100 offset0:77 offset1:78
	ds_read2_b64 v[105:108], v100 offset0:79 offset1:80
	buffer_load_dword v126, off, s[0:3], 0 offset:300
	v_cmp_lt_u32_e32 vcc, 25, v0
	s_waitcnt vmcnt(20) lgkmcnt(1)
	v_fma_f64 v[101:102], v[109:110], v[101:102], 0
	s_waitcnt vmcnt(18)
	v_fma_f64 v[101:102], v[111:112], v[103:104], v[101:102]
	buffer_load_dword v110, off, s[0:3], 0 offset:308
	buffer_load_dword v111, off, s[0:3], 0 offset:328
	;; [unrolled: 1-line block ×7, first 2 shown]
	s_waitcnt vmcnt(23) lgkmcnt(0)
	v_fma_f64 v[101:102], v[113:114], v[105:106], v[101:102]
	s_waitcnt vmcnt(21)
	v_fma_f64 v[112:113], v[115:116], v[107:108], v[101:102]
	ds_read2_b64 v[101:104], v100 offset0:81 offset1:82
	ds_read2_b64 v[105:108], v100 offset0:83 offset1:84
	s_waitcnt vmcnt(19) lgkmcnt(1)
	v_fma_f64 v[101:102], v[117:118], v[101:102], v[112:113]
	buffer_load_dword v112, off, s[0:3], 0 offset:332
	s_waitcnt vmcnt(18)
	v_fma_f64 v[101:102], v[119:120], v[103:104], v[101:102]
	buffer_load_dword v114, off, s[0:3], 0 offset:340
	buffer_load_dword v115, off, s[0:3], 0 offset:360
	;; [unrolled: 1-line block ×8, first 2 shown]
	s_waitcnt vmcnt(24) lgkmcnt(0)
	v_fma_f64 v[101:102], v[121:122], v[105:106], v[101:102]
	s_waitcnt vmcnt(19)
	v_fma_f64 v[121:122], v[123:124], v[107:108], v[101:102]
	ds_read2_b64 v[101:104], v100 offset0:85 offset1:86
	ds_read2_b64 v[105:108], v100 offset0:87 offset1:88
	s_waitcnt vmcnt(18) lgkmcnt(1)
	v_fma_f64 v[101:102], v[129:130], v[101:102], v[121:122]
	s_waitcnt vmcnt(17)
	v_fma_f64 v[101:102], v[127:128], v[103:104], v[101:102]
	buffer_load_dword v122, off, s[0:3], 0 offset:372
	buffer_load_dword v123, off, s[0:3], 0 offset:384
	buffer_load_dword v127, off, s[0:3], 0 offset:376
	buffer_load_dword v121, off, s[0:3], 0 offset:368
	buffer_load_dword v128, off, s[0:3], 0 offset:380
	buffer_load_dword v124, off, s[0:3], 0 offset:388
	s_waitcnt vmcnt(22) lgkmcnt(0)
	v_fma_f64 v[101:102], v[125:126], v[105:106], v[101:102]
	s_waitcnt vmcnt(17)
	v_fma_f64 v[109:110], v[109:110], v[107:108], v[101:102]
	ds_read2_b64 v[101:104], v100 offset0:89 offset1:90
	buffer_load_dword v125, off, s[0:3], 0 offset:208
	buffer_load_dword v126, off, s[0:3], 0 offset:212
	ds_read2_b64 v[105:108], v100 offset0:91 offset1:92
	s_waitcnt vmcnt(18) lgkmcnt(1)
	v_fma_f64 v[101:102], v[133:134], v[101:102], v[109:110]
	s_waitcnt vmcnt(17)
	v_fma_f64 v[101:102], v[131:132], v[103:104], v[101:102]
	s_waitcnt vmcnt(16) lgkmcnt(0)
	v_fma_f64 v[101:102], v[111:112], v[105:106], v[101:102]
	s_waitcnt vmcnt(11)
	v_fma_f64 v[109:110], v[113:114], v[107:108], v[101:102]
	ds_read2_b64 v[101:104], v100 offset0:93 offset1:94
	ds_read2_b64 v[105:108], v100 offset0:95 offset1:96
	s_waitcnt vmcnt(10) lgkmcnt(1)
	v_fma_f64 v[101:102], v[119:120], v[101:102], v[109:110]
	s_waitcnt vmcnt(9)
	v_fma_f64 v[101:102], v[117:118], v[103:104], v[101:102]
	s_waitcnt vmcnt(8) lgkmcnt(0)
	v_fma_f64 v[101:102], v[115:116], v[105:106], v[101:102]
	s_waitcnt vmcnt(4)
	v_fma_f64 v[104:105], v[121:122], v[107:108], v[101:102]
	ds_read2_b64 v[100:103], v100 offset0:97 offset1:98
	s_waitcnt vmcnt(3) lgkmcnt(0)
	v_fma_f64 v[100:101], v[127:128], v[100:101], v[104:105]
	s_waitcnt vmcnt(2)
	v_fma_f64 v[100:101], v[123:124], v[102:103], v[100:101]
	s_waitcnt vmcnt(0)
	v_add_f64 v[100:101], v[125:126], -v[100:101]
	buffer_store_dword v101, off, s[0:3], 0 offset:212
	buffer_store_dword v100, off, s[0:3], 0 offset:208
	s_and_saveexec_b64 s[4:5], vcc
	s_cbranch_execz .LBB48_251
; %bb.250:
	buffer_load_dword v100, off, s[0:3], 0 offset:200
	buffer_load_dword v101, off, s[0:3], 0 offset:204
	v_mov_b32_e32 v102, 0
	buffer_store_dword v102, off, s[0:3], 0 offset:200
	buffer_store_dword v102, off, s[0:3], 0 offset:204
	s_waitcnt vmcnt(2)
	ds_write_b64 v99, v[100:101]
.LBB48_251:
	s_or_b64 exec, exec, s[4:5]
	s_waitcnt lgkmcnt(0)
	; wave barrier
	buffer_load_dword v109, off, s[0:3], 0 offset:208
	buffer_load_dword v110, off, s[0:3], 0 offset:212
	buffer_load_dword v111, off, s[0:3], 0 offset:216
	buffer_load_dword v112, off, s[0:3], 0 offset:220
	buffer_load_dword v113, off, s[0:3], 0 offset:224
	buffer_load_dword v114, off, s[0:3], 0 offset:228
	buffer_load_dword v115, off, s[0:3], 0 offset:232
	buffer_load_dword v116, off, s[0:3], 0 offset:236
	buffer_load_dword v117, off, s[0:3], 0 offset:240
	buffer_load_dword v118, off, s[0:3], 0 offset:244
	buffer_load_dword v119, off, s[0:3], 0 offset:248
	buffer_load_dword v120, off, s[0:3], 0 offset:252
	buffer_load_dword v121, off, s[0:3], 0 offset:256
	buffer_load_dword v122, off, s[0:3], 0 offset:260
	buffer_load_dword v124, off, s[0:3], 0 offset:268
	buffer_load_dword v125, off, s[0:3], 0 offset:288
	buffer_load_dword v127, off, s[0:3], 0 offset:280
	buffer_load_dword v129, off, s[0:3], 0 offset:272
	buffer_load_dword v123, off, s[0:3], 0 offset:264
	buffer_load_dword v130, off, s[0:3], 0 offset:276
	buffer_load_dword v128, off, s[0:3], 0 offset:284
	v_mov_b32_e32 v100, 0
	ds_read_b128 v[101:104], v100 offset:608
	ds_read_b128 v[105:108], v100 offset:624
	buffer_load_dword v126, off, s[0:3], 0 offset:292
	v_cmp_lt_u32_e32 vcc, 24, v0
	s_waitcnt vmcnt(20) lgkmcnt(1)
	v_fma_f64 v[101:102], v[109:110], v[101:102], 0
	s_waitcnt vmcnt(18)
	v_fma_f64 v[101:102], v[111:112], v[103:104], v[101:102]
	buffer_load_dword v110, off, s[0:3], 0 offset:300
	buffer_load_dword v111, off, s[0:3], 0 offset:320
	;; [unrolled: 1-line block ×7, first 2 shown]
	s_waitcnt vmcnt(23) lgkmcnt(0)
	v_fma_f64 v[101:102], v[113:114], v[105:106], v[101:102]
	s_waitcnt vmcnt(21)
	v_fma_f64 v[112:113], v[115:116], v[107:108], v[101:102]
	ds_read_b128 v[101:104], v100 offset:640
	ds_read_b128 v[105:108], v100 offset:656
	s_waitcnt vmcnt(19) lgkmcnt(1)
	v_fma_f64 v[101:102], v[117:118], v[101:102], v[112:113]
	buffer_load_dword v112, off, s[0:3], 0 offset:324
	s_waitcnt vmcnt(18)
	v_fma_f64 v[101:102], v[119:120], v[103:104], v[101:102]
	buffer_load_dword v114, off, s[0:3], 0 offset:332
	buffer_load_dword v115, off, s[0:3], 0 offset:352
	;; [unrolled: 1-line block ×8, first 2 shown]
	s_waitcnt vmcnt(24) lgkmcnt(0)
	v_fma_f64 v[101:102], v[121:122], v[105:106], v[101:102]
	s_waitcnt vmcnt(19)
	v_fma_f64 v[121:122], v[123:124], v[107:108], v[101:102]
	ds_read_b128 v[101:104], v100 offset:672
	ds_read_b128 v[105:108], v100 offset:688
	s_waitcnt vmcnt(18) lgkmcnt(1)
	v_fma_f64 v[101:102], v[129:130], v[101:102], v[121:122]
	s_waitcnt vmcnt(17)
	v_fma_f64 v[101:102], v[127:128], v[103:104], v[101:102]
	buffer_load_dword v122, off, s[0:3], 0 offset:364
	buffer_load_dword v123, off, s[0:3], 0 offset:384
	;; [unrolled: 1-line block ×8, first 2 shown]
	s_waitcnt vmcnt(24) lgkmcnt(0)
	v_fma_f64 v[101:102], v[125:126], v[105:106], v[101:102]
	s_waitcnt vmcnt(19)
	v_fma_f64 v[109:110], v[109:110], v[107:108], v[101:102]
	ds_read_b128 v[101:104], v100 offset:704
	ds_read_b128 v[105:108], v100 offset:720
	s_waitcnt vmcnt(18) lgkmcnt(1)
	v_fma_f64 v[101:102], v[133:134], v[101:102], v[109:110]
	buffer_load_dword v109, off, s[0:3], 0 offset:200
	buffer_load_dword v110, off, s[0:3], 0 offset:204
	s_waitcnt vmcnt(19)
	v_fma_f64 v[101:102], v[131:132], v[103:104], v[101:102]
	s_waitcnt vmcnt(18) lgkmcnt(0)
	v_fma_f64 v[101:102], v[111:112], v[105:106], v[101:102]
	s_waitcnt vmcnt(13)
	v_fma_f64 v[111:112], v[113:114], v[107:108], v[101:102]
	ds_read_b128 v[101:104], v100 offset:736
	ds_read_b128 v[105:108], v100 offset:752
	s_waitcnt vmcnt(12) lgkmcnt(1)
	v_fma_f64 v[101:102], v[119:120], v[101:102], v[111:112]
	s_waitcnt vmcnt(11)
	v_fma_f64 v[101:102], v[117:118], v[103:104], v[101:102]
	s_waitcnt vmcnt(10) lgkmcnt(0)
	v_fma_f64 v[101:102], v[115:116], v[105:106], v[101:102]
	s_waitcnt vmcnt(5)
	v_fma_f64 v[105:106], v[121:122], v[107:108], v[101:102]
	ds_read_b128 v[101:104], v100 offset:768
	ds_read_b64 v[107:108], v100 offset:784
	s_waitcnt vmcnt(4) lgkmcnt(1)
	v_fma_f64 v[101:102], v[129:130], v[101:102], v[105:106]
	s_waitcnt vmcnt(3)
	v_fma_f64 v[101:102], v[127:128], v[103:104], v[101:102]
	s_waitcnt vmcnt(2) lgkmcnt(0)
	v_fma_f64 v[101:102], v[123:124], v[107:108], v[101:102]
	s_waitcnt vmcnt(0)
	v_add_f64 v[101:102], v[109:110], -v[101:102]
	buffer_store_dword v102, off, s[0:3], 0 offset:204
	buffer_store_dword v101, off, s[0:3], 0 offset:200
	s_and_saveexec_b64 s[4:5], vcc
	s_cbranch_execz .LBB48_253
; %bb.252:
	buffer_load_dword v101, off, s[0:3], 0 offset:192
	buffer_load_dword v102, off, s[0:3], 0 offset:196
	s_waitcnt vmcnt(0)
	ds_write_b64 v99, v[101:102]
	buffer_store_dword v100, off, s[0:3], 0 offset:192
	buffer_store_dword v100, off, s[0:3], 0 offset:196
.LBB48_253:
	s_or_b64 exec, exec, s[4:5]
	s_waitcnt lgkmcnt(0)
	; wave barrier
	buffer_load_dword v109, off, s[0:3], 0 offset:200
	buffer_load_dword v110, off, s[0:3], 0 offset:204
	;; [unrolled: 1-line block ×21, first 2 shown]
	ds_read2_b64 v[101:104], v100 offset0:75 offset1:76
	ds_read2_b64 v[105:108], v100 offset0:77 offset1:78
	buffer_load_dword v126, off, s[0:3], 0 offset:284
	v_cmp_lt_u32_e32 vcc, 23, v0
	s_waitcnt vmcnt(20) lgkmcnt(1)
	v_fma_f64 v[101:102], v[109:110], v[101:102], 0
	s_waitcnt vmcnt(18)
	v_fma_f64 v[101:102], v[111:112], v[103:104], v[101:102]
	buffer_load_dword v110, off, s[0:3], 0 offset:292
	buffer_load_dword v111, off, s[0:3], 0 offset:312
	;; [unrolled: 1-line block ×7, first 2 shown]
	s_waitcnt vmcnt(23) lgkmcnt(0)
	v_fma_f64 v[101:102], v[113:114], v[105:106], v[101:102]
	s_waitcnt vmcnt(21)
	v_fma_f64 v[112:113], v[115:116], v[107:108], v[101:102]
	ds_read2_b64 v[101:104], v100 offset0:79 offset1:80
	ds_read2_b64 v[105:108], v100 offset0:81 offset1:82
	s_waitcnt vmcnt(19) lgkmcnt(1)
	v_fma_f64 v[101:102], v[117:118], v[101:102], v[112:113]
	buffer_load_dword v112, off, s[0:3], 0 offset:316
	s_waitcnt vmcnt(18)
	v_fma_f64 v[101:102], v[119:120], v[103:104], v[101:102]
	buffer_load_dword v114, off, s[0:3], 0 offset:324
	buffer_load_dword v115, off, s[0:3], 0 offset:344
	;; [unrolled: 1-line block ×8, first 2 shown]
	s_waitcnt vmcnt(24) lgkmcnt(0)
	v_fma_f64 v[101:102], v[121:122], v[105:106], v[101:102]
	s_waitcnt vmcnt(19)
	v_fma_f64 v[121:122], v[123:124], v[107:108], v[101:102]
	ds_read2_b64 v[101:104], v100 offset0:83 offset1:84
	ds_read2_b64 v[105:108], v100 offset0:85 offset1:86
	s_waitcnt vmcnt(18) lgkmcnt(1)
	v_fma_f64 v[101:102], v[129:130], v[101:102], v[121:122]
	s_waitcnt vmcnt(17)
	v_fma_f64 v[101:102], v[127:128], v[103:104], v[101:102]
	buffer_load_dword v122, off, s[0:3], 0 offset:356
	buffer_load_dword v123, off, s[0:3], 0 offset:376
	;; [unrolled: 1-line block ×8, first 2 shown]
	s_waitcnt vmcnt(24) lgkmcnt(0)
	v_fma_f64 v[101:102], v[125:126], v[105:106], v[101:102]
	s_waitcnt vmcnt(19)
	v_fma_f64 v[109:110], v[109:110], v[107:108], v[101:102]
	ds_read2_b64 v[101:104], v100 offset0:87 offset1:88
	ds_read2_b64 v[105:108], v100 offset0:89 offset1:90
	s_waitcnt vmcnt(18) lgkmcnt(1)
	v_fma_f64 v[101:102], v[133:134], v[101:102], v[109:110]
	buffer_load_dword v110, off, s[0:3], 0 offset:388
	buffer_load_dword v109, off, s[0:3], 0 offset:384
	;; [unrolled: 1-line block ×4, first 2 shown]
	s_waitcnt vmcnt(21)
	v_fma_f64 v[101:102], v[131:132], v[103:104], v[101:102]
	s_waitcnt vmcnt(20) lgkmcnt(0)
	v_fma_f64 v[101:102], v[111:112], v[105:106], v[101:102]
	s_waitcnt vmcnt(15)
	v_fma_f64 v[111:112], v[113:114], v[107:108], v[101:102]
	ds_read2_b64 v[101:104], v100 offset0:91 offset1:92
	ds_read2_b64 v[105:108], v100 offset0:93 offset1:94
	s_waitcnt vmcnt(14) lgkmcnt(1)
	v_fma_f64 v[101:102], v[119:120], v[101:102], v[111:112]
	s_waitcnt vmcnt(13)
	v_fma_f64 v[101:102], v[117:118], v[103:104], v[101:102]
	s_waitcnt vmcnt(12) lgkmcnt(0)
	v_fma_f64 v[101:102], v[115:116], v[105:106], v[101:102]
	s_waitcnt vmcnt(7)
	v_fma_f64 v[111:112], v[121:122], v[107:108], v[101:102]
	ds_read2_b64 v[101:104], v100 offset0:95 offset1:96
	ds_read2_b64 v[105:108], v100 offset0:97 offset1:98
	s_waitcnt vmcnt(6) lgkmcnt(1)
	v_fma_f64 v[100:101], v[129:130], v[101:102], v[111:112]
	s_waitcnt vmcnt(5)
	v_fma_f64 v[100:101], v[127:128], v[103:104], v[100:101]
	s_waitcnt vmcnt(4) lgkmcnt(0)
	v_fma_f64 v[100:101], v[123:124], v[105:106], v[100:101]
	s_waitcnt vmcnt(2)
	v_fma_f64 v[100:101], v[109:110], v[107:108], v[100:101]
	s_waitcnt vmcnt(0)
	v_add_f64 v[100:101], v[125:126], -v[100:101]
	buffer_store_dword v101, off, s[0:3], 0 offset:196
	buffer_store_dword v100, off, s[0:3], 0 offset:192
	s_and_saveexec_b64 s[4:5], vcc
	s_cbranch_execz .LBB48_255
; %bb.254:
	buffer_load_dword v100, off, s[0:3], 0 offset:184
	buffer_load_dword v101, off, s[0:3], 0 offset:188
	v_mov_b32_e32 v102, 0
	buffer_store_dword v102, off, s[0:3], 0 offset:184
	buffer_store_dword v102, off, s[0:3], 0 offset:188
	s_waitcnt vmcnt(2)
	ds_write_b64 v99, v[100:101]
.LBB48_255:
	s_or_b64 exec, exec, s[4:5]
	s_waitcnt lgkmcnt(0)
	; wave barrier
	buffer_load_dword v109, off, s[0:3], 0 offset:192
	buffer_load_dword v110, off, s[0:3], 0 offset:196
	;; [unrolled: 1-line block ×21, first 2 shown]
	v_mov_b32_e32 v100, 0
	ds_read_b128 v[101:104], v100 offset:592
	ds_read_b128 v[105:108], v100 offset:608
	buffer_load_dword v126, off, s[0:3], 0 offset:276
	v_cmp_lt_u32_e32 vcc, 22, v0
	s_waitcnt vmcnt(20) lgkmcnt(1)
	v_fma_f64 v[101:102], v[109:110], v[101:102], 0
	s_waitcnt vmcnt(18)
	v_fma_f64 v[101:102], v[111:112], v[103:104], v[101:102]
	buffer_load_dword v110, off, s[0:3], 0 offset:284
	buffer_load_dword v111, off, s[0:3], 0 offset:304
	;; [unrolled: 1-line block ×7, first 2 shown]
	s_waitcnt vmcnt(23) lgkmcnt(0)
	v_fma_f64 v[101:102], v[113:114], v[105:106], v[101:102]
	s_waitcnt vmcnt(21)
	v_fma_f64 v[112:113], v[115:116], v[107:108], v[101:102]
	ds_read_b128 v[101:104], v100 offset:624
	ds_read_b128 v[105:108], v100 offset:640
	s_waitcnt vmcnt(19) lgkmcnt(1)
	v_fma_f64 v[101:102], v[117:118], v[101:102], v[112:113]
	buffer_load_dword v112, off, s[0:3], 0 offset:308
	s_waitcnt vmcnt(18)
	v_fma_f64 v[101:102], v[119:120], v[103:104], v[101:102]
	buffer_load_dword v114, off, s[0:3], 0 offset:316
	buffer_load_dword v115, off, s[0:3], 0 offset:336
	;; [unrolled: 1-line block ×8, first 2 shown]
	s_waitcnt vmcnt(24) lgkmcnt(0)
	v_fma_f64 v[101:102], v[121:122], v[105:106], v[101:102]
	s_waitcnt vmcnt(19)
	v_fma_f64 v[121:122], v[123:124], v[107:108], v[101:102]
	ds_read_b128 v[101:104], v100 offset:656
	ds_read_b128 v[105:108], v100 offset:672
	s_waitcnt vmcnt(18) lgkmcnt(1)
	v_fma_f64 v[101:102], v[129:130], v[101:102], v[121:122]
	s_waitcnt vmcnt(17)
	v_fma_f64 v[101:102], v[127:128], v[103:104], v[101:102]
	buffer_load_dword v122, off, s[0:3], 0 offset:348
	buffer_load_dword v123, off, s[0:3], 0 offset:368
	;; [unrolled: 1-line block ×7, first 2 shown]
	s_waitcnt vmcnt(23) lgkmcnt(0)
	v_fma_f64 v[101:102], v[125:126], v[105:106], v[101:102]
	s_waitcnt vmcnt(18)
	v_fma_f64 v[109:110], v[109:110], v[107:108], v[101:102]
	ds_read_b128 v[101:104], v100 offset:688
	ds_read_b128 v[105:108], v100 offset:704
	buffer_load_dword v124, off, s[0:3], 0 offset:372
	s_waitcnt vmcnt(18) lgkmcnt(1)
	v_fma_f64 v[101:102], v[133:134], v[101:102], v[109:110]
	buffer_load_dword v110, off, s[0:3], 0 offset:380
	buffer_load_dword v125, off, s[0:3], 0 offset:384
	;; [unrolled: 1-line block ×4, first 2 shown]
	s_waitcnt vmcnt(21)
	v_fma_f64 v[101:102], v[131:132], v[103:104], v[101:102]
	s_waitcnt vmcnt(20) lgkmcnt(0)
	v_fma_f64 v[101:102], v[111:112], v[105:106], v[101:102]
	buffer_load_dword v111, off, s[0:3], 0 offset:184
	buffer_load_dword v112, off, s[0:3], 0 offset:188
	s_waitcnt vmcnt(17)
	v_fma_f64 v[113:114], v[113:114], v[107:108], v[101:102]
	ds_read_b128 v[101:104], v100 offset:720
	ds_read_b128 v[105:108], v100 offset:736
	s_waitcnt vmcnt(16) lgkmcnt(1)
	v_fma_f64 v[101:102], v[119:120], v[101:102], v[113:114]
	s_waitcnt vmcnt(15)
	v_fma_f64 v[101:102], v[117:118], v[103:104], v[101:102]
	s_waitcnt vmcnt(14) lgkmcnt(0)
	v_fma_f64 v[101:102], v[115:116], v[105:106], v[101:102]
	s_waitcnt vmcnt(9)
	v_fma_f64 v[113:114], v[121:122], v[107:108], v[101:102]
	ds_read_b128 v[101:104], v100 offset:752
	ds_read_b128 v[105:108], v100 offset:768
	s_waitcnt vmcnt(8) lgkmcnt(1)
	v_fma_f64 v[101:102], v[129:130], v[101:102], v[113:114]
	s_waitcnt vmcnt(7)
	v_fma_f64 v[101:102], v[127:128], v[103:104], v[101:102]
	ds_read_b64 v[103:104], v100 offset:784
	s_waitcnt vmcnt(6) lgkmcnt(1)
	v_fma_f64 v[101:102], v[123:124], v[105:106], v[101:102]
	s_waitcnt vmcnt(3)
	v_fma_f64 v[101:102], v[109:110], v[107:108], v[101:102]
	s_waitcnt vmcnt(2) lgkmcnt(0)
	v_fma_f64 v[101:102], v[125:126], v[103:104], v[101:102]
	s_waitcnt vmcnt(0)
	v_add_f64 v[101:102], v[111:112], -v[101:102]
	buffer_store_dword v102, off, s[0:3], 0 offset:188
	buffer_store_dword v101, off, s[0:3], 0 offset:184
	s_and_saveexec_b64 s[4:5], vcc
	s_cbranch_execz .LBB48_257
; %bb.256:
	buffer_load_dword v101, off, s[0:3], 0 offset:176
	buffer_load_dword v102, off, s[0:3], 0 offset:180
	s_waitcnt vmcnt(0)
	ds_write_b64 v99, v[101:102]
	buffer_store_dword v100, off, s[0:3], 0 offset:176
	buffer_store_dword v100, off, s[0:3], 0 offset:180
.LBB48_257:
	s_or_b64 exec, exec, s[4:5]
	s_waitcnt lgkmcnt(0)
	; wave barrier
	buffer_load_dword v109, off, s[0:3], 0 offset:184
	buffer_load_dword v110, off, s[0:3], 0 offset:188
	;; [unrolled: 1-line block ×22, first 2 shown]
	ds_read2_b64 v[101:104], v100 offset0:73 offset1:74
	ds_read2_b64 v[105:108], v100 offset0:75 offset1:76
	v_cmp_lt_u32_e32 vcc, 21, v0
	s_waitcnt vmcnt(20) lgkmcnt(1)
	v_fma_f64 v[101:102], v[109:110], v[101:102], 0
	s_waitcnt vmcnt(18)
	v_fma_f64 v[101:102], v[111:112], v[103:104], v[101:102]
	buffer_load_dword v110, off, s[0:3], 0 offset:276
	buffer_load_dword v111, off, s[0:3], 0 offset:296
	;; [unrolled: 1-line block ×7, first 2 shown]
	s_waitcnt vmcnt(23) lgkmcnt(0)
	v_fma_f64 v[101:102], v[113:114], v[105:106], v[101:102]
	s_waitcnt vmcnt(21)
	v_fma_f64 v[112:113], v[115:116], v[107:108], v[101:102]
	ds_read2_b64 v[101:104], v100 offset0:77 offset1:78
	ds_read2_b64 v[105:108], v100 offset0:79 offset1:80
	s_waitcnt vmcnt(19) lgkmcnt(1)
	v_fma_f64 v[101:102], v[117:118], v[101:102], v[112:113]
	buffer_load_dword v112, off, s[0:3], 0 offset:300
	s_waitcnt vmcnt(18)
	v_fma_f64 v[101:102], v[119:120], v[103:104], v[101:102]
	buffer_load_dword v114, off, s[0:3], 0 offset:308
	buffer_load_dword v115, off, s[0:3], 0 offset:328
	;; [unrolled: 1-line block ×8, first 2 shown]
	s_waitcnt vmcnt(24) lgkmcnt(0)
	v_fma_f64 v[101:102], v[121:122], v[105:106], v[101:102]
	s_waitcnt vmcnt(19)
	v_fma_f64 v[121:122], v[123:124], v[107:108], v[101:102]
	ds_read2_b64 v[101:104], v100 offset0:81 offset1:82
	ds_read2_b64 v[105:108], v100 offset0:83 offset1:84
	s_waitcnt vmcnt(18) lgkmcnt(1)
	v_fma_f64 v[101:102], v[129:130], v[101:102], v[121:122]
	s_waitcnt vmcnt(17)
	v_fma_f64 v[101:102], v[127:128], v[103:104], v[101:102]
	buffer_load_dword v122, off, s[0:3], 0 offset:340
	buffer_load_dword v123, off, s[0:3], 0 offset:360
	;; [unrolled: 1-line block ×8, first 2 shown]
	s_waitcnt vmcnt(24) lgkmcnt(0)
	v_fma_f64 v[101:102], v[125:126], v[105:106], v[101:102]
	s_waitcnt vmcnt(19)
	v_fma_f64 v[109:110], v[109:110], v[107:108], v[101:102]
	ds_read2_b64 v[101:104], v100 offset0:85 offset1:86
	ds_read2_b64 v[105:108], v100 offset0:87 offset1:88
	s_waitcnt vmcnt(18) lgkmcnt(1)
	v_fma_f64 v[101:102], v[133:134], v[101:102], v[109:110]
	s_waitcnt vmcnt(17)
	v_fma_f64 v[101:102], v[131:132], v[103:104], v[101:102]
	buffer_load_dword v110, off, s[0:3], 0 offset:372
	buffer_load_dword v125, off, s[0:3], 0 offset:384
	;; [unrolled: 1-line block ×6, first 2 shown]
	s_waitcnt vmcnt(22) lgkmcnt(0)
	v_fma_f64 v[101:102], v[111:112], v[105:106], v[101:102]
	s_waitcnt vmcnt(17)
	v_fma_f64 v[111:112], v[113:114], v[107:108], v[101:102]
	ds_read2_b64 v[101:104], v100 offset0:89 offset1:90
	buffer_load_dword v113, off, s[0:3], 0 offset:176
	buffer_load_dword v114, off, s[0:3], 0 offset:180
	ds_read2_b64 v[105:108], v100 offset0:91 offset1:92
	s_waitcnt vmcnt(18) lgkmcnt(1)
	v_fma_f64 v[101:102], v[119:120], v[101:102], v[111:112]
	s_waitcnt vmcnt(17)
	v_fma_f64 v[101:102], v[117:118], v[103:104], v[101:102]
	s_waitcnt vmcnt(16) lgkmcnt(0)
	v_fma_f64 v[101:102], v[115:116], v[105:106], v[101:102]
	s_waitcnt vmcnt(11)
	v_fma_f64 v[111:112], v[121:122], v[107:108], v[101:102]
	ds_read2_b64 v[101:104], v100 offset0:93 offset1:94
	ds_read2_b64 v[105:108], v100 offset0:95 offset1:96
	s_waitcnt vmcnt(10) lgkmcnt(1)
	v_fma_f64 v[101:102], v[129:130], v[101:102], v[111:112]
	s_waitcnt vmcnt(9)
	v_fma_f64 v[101:102], v[127:128], v[103:104], v[101:102]
	s_waitcnt vmcnt(8) lgkmcnt(0)
	v_fma_f64 v[101:102], v[123:124], v[105:106], v[101:102]
	s_waitcnt vmcnt(4)
	v_fma_f64 v[104:105], v[109:110], v[107:108], v[101:102]
	ds_read2_b64 v[100:103], v100 offset0:97 offset1:98
	s_waitcnt vmcnt(3) lgkmcnt(0)
	v_fma_f64 v[100:101], v[131:132], v[100:101], v[104:105]
	s_waitcnt vmcnt(2)
	v_fma_f64 v[100:101], v[125:126], v[102:103], v[100:101]
	s_waitcnt vmcnt(0)
	v_add_f64 v[100:101], v[113:114], -v[100:101]
	buffer_store_dword v101, off, s[0:3], 0 offset:180
	buffer_store_dword v100, off, s[0:3], 0 offset:176
	s_and_saveexec_b64 s[4:5], vcc
	s_cbranch_execz .LBB48_259
; %bb.258:
	buffer_load_dword v100, off, s[0:3], 0 offset:168
	buffer_load_dword v101, off, s[0:3], 0 offset:172
	v_mov_b32_e32 v102, 0
	buffer_store_dword v102, off, s[0:3], 0 offset:168
	buffer_store_dword v102, off, s[0:3], 0 offset:172
	s_waitcnt vmcnt(2)
	ds_write_b64 v99, v[100:101]
.LBB48_259:
	s_or_b64 exec, exec, s[4:5]
	s_waitcnt lgkmcnt(0)
	; wave barrier
	buffer_load_dword v109, off, s[0:3], 0 offset:176
	buffer_load_dword v110, off, s[0:3], 0 offset:180
	;; [unrolled: 1-line block ×22, first 2 shown]
	v_mov_b32_e32 v100, 0
	ds_read_b128 v[101:104], v100 offset:576
	ds_read_b128 v[105:108], v100 offset:592
	v_cmp_lt_u32_e32 vcc, 20, v0
	s_waitcnt vmcnt(20) lgkmcnt(1)
	v_fma_f64 v[101:102], v[109:110], v[101:102], 0
	s_waitcnt vmcnt(18)
	v_fma_f64 v[101:102], v[111:112], v[103:104], v[101:102]
	buffer_load_dword v110, off, s[0:3], 0 offset:268
	buffer_load_dword v111, off, s[0:3], 0 offset:288
	;; [unrolled: 1-line block ×7, first 2 shown]
	s_waitcnt vmcnt(23) lgkmcnt(0)
	v_fma_f64 v[101:102], v[113:114], v[105:106], v[101:102]
	s_waitcnt vmcnt(21)
	v_fma_f64 v[112:113], v[115:116], v[107:108], v[101:102]
	ds_read_b128 v[101:104], v100 offset:608
	ds_read_b128 v[105:108], v100 offset:624
	s_waitcnt vmcnt(19) lgkmcnt(1)
	v_fma_f64 v[101:102], v[117:118], v[101:102], v[112:113]
	buffer_load_dword v112, off, s[0:3], 0 offset:292
	s_waitcnt vmcnt(18)
	v_fma_f64 v[101:102], v[119:120], v[103:104], v[101:102]
	buffer_load_dword v114, off, s[0:3], 0 offset:300
	buffer_load_dword v115, off, s[0:3], 0 offset:320
	buffer_load_dword v117, off, s[0:3], 0 offset:312
	buffer_load_dword v119, off, s[0:3], 0 offset:304
	buffer_load_dword v113, off, s[0:3], 0 offset:296
	buffer_load_dword v120, off, s[0:3], 0 offset:308
	buffer_load_dword v118, off, s[0:3], 0 offset:316
	buffer_load_dword v116, off, s[0:3], 0 offset:324
	s_waitcnt vmcnt(24) lgkmcnt(0)
	v_fma_f64 v[101:102], v[121:122], v[105:106], v[101:102]
	s_waitcnt vmcnt(19)
	v_fma_f64 v[121:122], v[123:124], v[107:108], v[101:102]
	ds_read_b128 v[101:104], v100 offset:640
	ds_read_b128 v[105:108], v100 offset:656
	s_waitcnt vmcnt(18) lgkmcnt(1)
	v_fma_f64 v[101:102], v[129:130], v[101:102], v[121:122]
	s_waitcnt vmcnt(17)
	v_fma_f64 v[101:102], v[127:128], v[103:104], v[101:102]
	buffer_load_dword v122, off, s[0:3], 0 offset:332
	buffer_load_dword v123, off, s[0:3], 0 offset:352
	buffer_load_dword v127, off, s[0:3], 0 offset:344
	buffer_load_dword v129, off, s[0:3], 0 offset:336
	buffer_load_dword v121, off, s[0:3], 0 offset:328
	buffer_load_dword v130, off, s[0:3], 0 offset:340
	buffer_load_dword v128, off, s[0:3], 0 offset:348
	buffer_load_dword v124, off, s[0:3], 0 offset:356
	s_waitcnt vmcnt(24) lgkmcnt(0)
	v_fma_f64 v[101:102], v[125:126], v[105:106], v[101:102]
	s_waitcnt vmcnt(19)
	v_fma_f64 v[109:110], v[109:110], v[107:108], v[101:102]
	ds_read_b128 v[101:104], v100 offset:672
	ds_read_b128 v[105:108], v100 offset:688
	s_waitcnt vmcnt(18) lgkmcnt(1)
	v_fma_f64 v[101:102], v[133:134], v[101:102], v[109:110]
	;; [unrolled: 18-line block ×3, first 2 shown]
	buffer_load_dword v111, off, s[0:3], 0 offset:168
	buffer_load_dword v112, off, s[0:3], 0 offset:172
	s_waitcnt vmcnt(19)
	v_fma_f64 v[101:102], v[117:118], v[103:104], v[101:102]
	s_waitcnt vmcnt(18) lgkmcnt(0)
	v_fma_f64 v[101:102], v[115:116], v[105:106], v[101:102]
	s_waitcnt vmcnt(13)
	v_fma_f64 v[113:114], v[121:122], v[107:108], v[101:102]
	ds_read_b128 v[101:104], v100 offset:736
	ds_read_b128 v[105:108], v100 offset:752
	s_waitcnt vmcnt(12) lgkmcnt(1)
	v_fma_f64 v[101:102], v[129:130], v[101:102], v[113:114]
	s_waitcnt vmcnt(11)
	v_fma_f64 v[101:102], v[127:128], v[103:104], v[101:102]
	s_waitcnt vmcnt(10) lgkmcnt(0)
	v_fma_f64 v[101:102], v[123:124], v[105:106], v[101:102]
	s_waitcnt vmcnt(5)
	v_fma_f64 v[105:106], v[109:110], v[107:108], v[101:102]
	ds_read_b128 v[101:104], v100 offset:768
	ds_read_b64 v[107:108], v100 offset:784
	s_waitcnt vmcnt(4) lgkmcnt(1)
	v_fma_f64 v[101:102], v[133:134], v[101:102], v[105:106]
	s_waitcnt vmcnt(3)
	v_fma_f64 v[101:102], v[131:132], v[103:104], v[101:102]
	s_waitcnt vmcnt(2) lgkmcnt(0)
	v_fma_f64 v[101:102], v[125:126], v[107:108], v[101:102]
	s_waitcnt vmcnt(0)
	v_add_f64 v[101:102], v[111:112], -v[101:102]
	buffer_store_dword v102, off, s[0:3], 0 offset:172
	buffer_store_dword v101, off, s[0:3], 0 offset:168
	s_and_saveexec_b64 s[4:5], vcc
	s_cbranch_execz .LBB48_261
; %bb.260:
	buffer_load_dword v101, off, s[0:3], 0 offset:160
	buffer_load_dword v102, off, s[0:3], 0 offset:164
	s_waitcnt vmcnt(0)
	ds_write_b64 v99, v[101:102]
	buffer_store_dword v100, off, s[0:3], 0 offset:160
	buffer_store_dword v100, off, s[0:3], 0 offset:164
.LBB48_261:
	s_or_b64 exec, exec, s[4:5]
	s_waitcnt lgkmcnt(0)
	; wave barrier
	buffer_load_dword v109, off, s[0:3], 0 offset:168
	buffer_load_dword v110, off, s[0:3], 0 offset:172
	;; [unrolled: 1-line block ×22, first 2 shown]
	ds_read2_b64 v[101:104], v100 offset0:71 offset1:72
	ds_read2_b64 v[105:108], v100 offset0:73 offset1:74
	v_cmp_lt_u32_e32 vcc, 19, v0
	s_waitcnt vmcnt(20) lgkmcnt(1)
	v_fma_f64 v[101:102], v[109:110], v[101:102], 0
	s_waitcnt vmcnt(18)
	v_fma_f64 v[101:102], v[111:112], v[103:104], v[101:102]
	buffer_load_dword v110, off, s[0:3], 0 offset:260
	buffer_load_dword v111, off, s[0:3], 0 offset:280
	;; [unrolled: 1-line block ×7, first 2 shown]
	s_waitcnt vmcnt(23) lgkmcnt(0)
	v_fma_f64 v[101:102], v[113:114], v[105:106], v[101:102]
	s_waitcnt vmcnt(21)
	v_fma_f64 v[112:113], v[115:116], v[107:108], v[101:102]
	ds_read2_b64 v[101:104], v100 offset0:75 offset1:76
	ds_read2_b64 v[105:108], v100 offset0:77 offset1:78
	s_waitcnt vmcnt(19) lgkmcnt(1)
	v_fma_f64 v[101:102], v[117:118], v[101:102], v[112:113]
	buffer_load_dword v112, off, s[0:3], 0 offset:284
	s_waitcnt vmcnt(18)
	v_fma_f64 v[101:102], v[119:120], v[103:104], v[101:102]
	buffer_load_dword v114, off, s[0:3], 0 offset:292
	buffer_load_dword v115, off, s[0:3], 0 offset:312
	buffer_load_dword v117, off, s[0:3], 0 offset:304
	buffer_load_dword v119, off, s[0:3], 0 offset:296
	buffer_load_dword v113, off, s[0:3], 0 offset:288
	buffer_load_dword v120, off, s[0:3], 0 offset:300
	buffer_load_dword v118, off, s[0:3], 0 offset:308
	buffer_load_dword v116, off, s[0:3], 0 offset:316
	s_waitcnt vmcnt(24) lgkmcnt(0)
	v_fma_f64 v[101:102], v[121:122], v[105:106], v[101:102]
	s_waitcnt vmcnt(19)
	v_fma_f64 v[121:122], v[123:124], v[107:108], v[101:102]
	ds_read2_b64 v[101:104], v100 offset0:79 offset1:80
	ds_read2_b64 v[105:108], v100 offset0:81 offset1:82
	s_waitcnt vmcnt(18) lgkmcnt(1)
	v_fma_f64 v[101:102], v[129:130], v[101:102], v[121:122]
	s_waitcnt vmcnt(17)
	v_fma_f64 v[101:102], v[127:128], v[103:104], v[101:102]
	buffer_load_dword v122, off, s[0:3], 0 offset:324
	buffer_load_dword v123, off, s[0:3], 0 offset:344
	buffer_load_dword v127, off, s[0:3], 0 offset:336
	buffer_load_dword v129, off, s[0:3], 0 offset:328
	buffer_load_dword v121, off, s[0:3], 0 offset:320
	buffer_load_dword v130, off, s[0:3], 0 offset:332
	buffer_load_dword v128, off, s[0:3], 0 offset:340
	buffer_load_dword v124, off, s[0:3], 0 offset:348
	s_waitcnt vmcnt(24) lgkmcnt(0)
	v_fma_f64 v[101:102], v[125:126], v[105:106], v[101:102]
	s_waitcnt vmcnt(19)
	v_fma_f64 v[109:110], v[109:110], v[107:108], v[101:102]
	ds_read2_b64 v[101:104], v100 offset0:83 offset1:84
	ds_read2_b64 v[105:108], v100 offset0:85 offset1:86
	s_waitcnt vmcnt(18) lgkmcnt(1)
	v_fma_f64 v[101:102], v[133:134], v[101:102], v[109:110]
	;; [unrolled: 18-line block ×3, first 2 shown]
	buffer_load_dword v112, off, s[0:3], 0 offset:388
	buffer_load_dword v111, off, s[0:3], 0 offset:384
	;; [unrolled: 1-line block ×4, first 2 shown]
	s_waitcnt vmcnt(21)
	v_fma_f64 v[101:102], v[117:118], v[103:104], v[101:102]
	s_waitcnt vmcnt(20) lgkmcnt(0)
	v_fma_f64 v[101:102], v[115:116], v[105:106], v[101:102]
	s_waitcnt vmcnt(15)
	v_fma_f64 v[115:116], v[121:122], v[107:108], v[101:102]
	ds_read2_b64 v[101:104], v100 offset0:91 offset1:92
	ds_read2_b64 v[105:108], v100 offset0:93 offset1:94
	s_waitcnt vmcnt(14) lgkmcnt(1)
	v_fma_f64 v[101:102], v[129:130], v[101:102], v[115:116]
	s_waitcnt vmcnt(13)
	v_fma_f64 v[101:102], v[127:128], v[103:104], v[101:102]
	s_waitcnt vmcnt(12) lgkmcnt(0)
	v_fma_f64 v[101:102], v[123:124], v[105:106], v[101:102]
	s_waitcnt vmcnt(7)
	v_fma_f64 v[109:110], v[109:110], v[107:108], v[101:102]
	ds_read2_b64 v[101:104], v100 offset0:95 offset1:96
	ds_read2_b64 v[105:108], v100 offset0:97 offset1:98
	s_waitcnt vmcnt(6) lgkmcnt(1)
	v_fma_f64 v[100:101], v[133:134], v[101:102], v[109:110]
	s_waitcnt vmcnt(5)
	v_fma_f64 v[100:101], v[131:132], v[103:104], v[100:101]
	s_waitcnt vmcnt(4) lgkmcnt(0)
	v_fma_f64 v[100:101], v[125:126], v[105:106], v[100:101]
	s_waitcnt vmcnt(2)
	v_fma_f64 v[100:101], v[111:112], v[107:108], v[100:101]
	s_waitcnt vmcnt(0)
	v_add_f64 v[100:101], v[113:114], -v[100:101]
	buffer_store_dword v101, off, s[0:3], 0 offset:164
	buffer_store_dword v100, off, s[0:3], 0 offset:160
	s_and_saveexec_b64 s[4:5], vcc
	s_cbranch_execz .LBB48_263
; %bb.262:
	buffer_load_dword v100, off, s[0:3], 0 offset:152
	buffer_load_dword v101, off, s[0:3], 0 offset:156
	v_mov_b32_e32 v102, 0
	buffer_store_dword v102, off, s[0:3], 0 offset:152
	buffer_store_dword v102, off, s[0:3], 0 offset:156
	s_waitcnt vmcnt(2)
	ds_write_b64 v99, v[100:101]
.LBB48_263:
	s_or_b64 exec, exec, s[4:5]
	s_waitcnt lgkmcnt(0)
	; wave barrier
	buffer_load_dword v109, off, s[0:3], 0 offset:160
	buffer_load_dword v110, off, s[0:3], 0 offset:164
	;; [unrolled: 1-line block ×22, first 2 shown]
	v_mov_b32_e32 v100, 0
	ds_read_b128 v[101:104], v100 offset:560
	ds_read_b128 v[105:108], v100 offset:576
	v_cmp_lt_u32_e32 vcc, 18, v0
	s_waitcnt vmcnt(20) lgkmcnt(1)
	v_fma_f64 v[101:102], v[109:110], v[101:102], 0
	s_waitcnt vmcnt(18)
	v_fma_f64 v[101:102], v[111:112], v[103:104], v[101:102]
	buffer_load_dword v110, off, s[0:3], 0 offset:252
	buffer_load_dword v111, off, s[0:3], 0 offset:272
	;; [unrolled: 1-line block ×7, first 2 shown]
	s_waitcnt vmcnt(23) lgkmcnt(0)
	v_fma_f64 v[101:102], v[113:114], v[105:106], v[101:102]
	s_waitcnt vmcnt(21)
	v_fma_f64 v[112:113], v[115:116], v[107:108], v[101:102]
	ds_read_b128 v[101:104], v100 offset:592
	ds_read_b128 v[105:108], v100 offset:608
	s_waitcnt vmcnt(19) lgkmcnt(1)
	v_fma_f64 v[101:102], v[117:118], v[101:102], v[112:113]
	buffer_load_dword v112, off, s[0:3], 0 offset:276
	s_waitcnt vmcnt(18)
	v_fma_f64 v[101:102], v[119:120], v[103:104], v[101:102]
	buffer_load_dword v114, off, s[0:3], 0 offset:284
	buffer_load_dword v115, off, s[0:3], 0 offset:304
	;; [unrolled: 1-line block ×7, first 2 shown]
	s_waitcnt vmcnt(23) lgkmcnt(0)
	v_fma_f64 v[101:102], v[121:122], v[105:106], v[101:102]
	s_waitcnt vmcnt(18)
	v_fma_f64 v[121:122], v[123:124], v[107:108], v[101:102]
	ds_read_b128 v[101:104], v100 offset:624
	ds_read_b128 v[105:108], v100 offset:640
	buffer_load_dword v116, off, s[0:3], 0 offset:308
	s_waitcnt vmcnt(18) lgkmcnt(1)
	v_fma_f64 v[101:102], v[129:130], v[101:102], v[121:122]
	s_waitcnt vmcnt(17)
	v_fma_f64 v[101:102], v[127:128], v[103:104], v[101:102]
	buffer_load_dword v122, off, s[0:3], 0 offset:316
	buffer_load_dword v123, off, s[0:3], 0 offset:336
	;; [unrolled: 1-line block ×8, first 2 shown]
	s_waitcnt vmcnt(24) lgkmcnt(0)
	v_fma_f64 v[101:102], v[125:126], v[105:106], v[101:102]
	s_waitcnt vmcnt(19)
	v_fma_f64 v[109:110], v[109:110], v[107:108], v[101:102]
	ds_read_b128 v[101:104], v100 offset:656
	ds_read_b128 v[105:108], v100 offset:672
	s_waitcnt vmcnt(18) lgkmcnt(1)
	v_fma_f64 v[101:102], v[133:134], v[101:102], v[109:110]
	s_waitcnt vmcnt(17)
	v_fma_f64 v[101:102], v[131:132], v[103:104], v[101:102]
	buffer_load_dword v110, off, s[0:3], 0 offset:348
	buffer_load_dword v125, off, s[0:3], 0 offset:368
	;; [unrolled: 1-line block ×7, first 2 shown]
	s_waitcnt vmcnt(23) lgkmcnt(0)
	v_fma_f64 v[101:102], v[111:112], v[105:106], v[101:102]
	s_waitcnt vmcnt(18)
	v_fma_f64 v[111:112], v[113:114], v[107:108], v[101:102]
	ds_read_b128 v[101:104], v100 offset:688
	ds_read_b128 v[105:108], v100 offset:704
	buffer_load_dword v126, off, s[0:3], 0 offset:372
	s_waitcnt vmcnt(18) lgkmcnt(1)
	v_fma_f64 v[101:102], v[119:120], v[101:102], v[111:112]
	buffer_load_dword v112, off, s[0:3], 0 offset:380
	buffer_load_dword v113, off, s[0:3], 0 offset:384
	;; [unrolled: 1-line block ×4, first 2 shown]
	s_waitcnt vmcnt(21)
	v_fma_f64 v[101:102], v[117:118], v[103:104], v[101:102]
	s_waitcnt vmcnt(20) lgkmcnt(0)
	v_fma_f64 v[101:102], v[115:116], v[105:106], v[101:102]
	buffer_load_dword v115, off, s[0:3], 0 offset:152
	buffer_load_dword v116, off, s[0:3], 0 offset:156
	s_waitcnt vmcnt(17)
	v_fma_f64 v[117:118], v[121:122], v[107:108], v[101:102]
	ds_read_b128 v[101:104], v100 offset:720
	ds_read_b128 v[105:108], v100 offset:736
	s_waitcnt vmcnt(16) lgkmcnt(1)
	v_fma_f64 v[101:102], v[129:130], v[101:102], v[117:118]
	s_waitcnt vmcnt(15)
	v_fma_f64 v[101:102], v[127:128], v[103:104], v[101:102]
	s_waitcnt vmcnt(14) lgkmcnt(0)
	v_fma_f64 v[101:102], v[123:124], v[105:106], v[101:102]
	s_waitcnt vmcnt(9)
	v_fma_f64 v[109:110], v[109:110], v[107:108], v[101:102]
	ds_read_b128 v[101:104], v100 offset:752
	ds_read_b128 v[105:108], v100 offset:768
	s_waitcnt vmcnt(8) lgkmcnt(1)
	v_fma_f64 v[101:102], v[133:134], v[101:102], v[109:110]
	s_waitcnt vmcnt(7)
	v_fma_f64 v[101:102], v[131:132], v[103:104], v[101:102]
	ds_read_b64 v[103:104], v100 offset:784
	s_waitcnt vmcnt(6) lgkmcnt(1)
	v_fma_f64 v[101:102], v[125:126], v[105:106], v[101:102]
	s_waitcnt vmcnt(3)
	v_fma_f64 v[101:102], v[111:112], v[107:108], v[101:102]
	s_waitcnt vmcnt(2) lgkmcnt(0)
	v_fma_f64 v[101:102], v[113:114], v[103:104], v[101:102]
	s_waitcnt vmcnt(0)
	v_add_f64 v[101:102], v[115:116], -v[101:102]
	buffer_store_dword v102, off, s[0:3], 0 offset:156
	buffer_store_dword v101, off, s[0:3], 0 offset:152
	s_and_saveexec_b64 s[4:5], vcc
	s_cbranch_execz .LBB48_265
; %bb.264:
	buffer_load_dword v101, off, s[0:3], 0 offset:144
	buffer_load_dword v102, off, s[0:3], 0 offset:148
	s_waitcnt vmcnt(0)
	ds_write_b64 v99, v[101:102]
	buffer_store_dword v100, off, s[0:3], 0 offset:144
	buffer_store_dword v100, off, s[0:3], 0 offset:148
.LBB48_265:
	s_or_b64 exec, exec, s[4:5]
	s_waitcnt lgkmcnt(0)
	; wave barrier
	buffer_load_dword v109, off, s[0:3], 0 offset:152
	buffer_load_dword v110, off, s[0:3], 0 offset:156
	buffer_load_dword v111, off, s[0:3], 0 offset:160
	buffer_load_dword v112, off, s[0:3], 0 offset:164
	buffer_load_dword v113, off, s[0:3], 0 offset:168
	buffer_load_dword v114, off, s[0:3], 0 offset:172
	buffer_load_dword v115, off, s[0:3], 0 offset:176
	buffer_load_dword v116, off, s[0:3], 0 offset:180
	buffer_load_dword v117, off, s[0:3], 0 offset:184
	buffer_load_dword v118, off, s[0:3], 0 offset:188
	buffer_load_dword v119, off, s[0:3], 0 offset:192
	buffer_load_dword v120, off, s[0:3], 0 offset:196
	buffer_load_dword v121, off, s[0:3], 0 offset:200
	buffer_load_dword v122, off, s[0:3], 0 offset:204
	buffer_load_dword v124, off, s[0:3], 0 offset:212
	buffer_load_dword v125, off, s[0:3], 0 offset:232
	buffer_load_dword v127, off, s[0:3], 0 offset:224
	buffer_load_dword v129, off, s[0:3], 0 offset:216
	buffer_load_dword v123, off, s[0:3], 0 offset:208
	buffer_load_dword v130, off, s[0:3], 0 offset:220
	buffer_load_dword v128, off, s[0:3], 0 offset:228
	buffer_load_dword v126, off, s[0:3], 0 offset:236
	ds_read2_b64 v[101:104], v100 offset0:69 offset1:70
	ds_read2_b64 v[105:108], v100 offset0:71 offset1:72
	v_cmp_lt_u32_e32 vcc, 17, v0
	s_waitcnt vmcnt(20) lgkmcnt(1)
	v_fma_f64 v[101:102], v[109:110], v[101:102], 0
	s_waitcnt vmcnt(18)
	v_fma_f64 v[101:102], v[111:112], v[103:104], v[101:102]
	buffer_load_dword v110, off, s[0:3], 0 offset:244
	buffer_load_dword v111, off, s[0:3], 0 offset:264
	;; [unrolled: 1-line block ×7, first 2 shown]
	s_waitcnt vmcnt(23) lgkmcnt(0)
	v_fma_f64 v[101:102], v[113:114], v[105:106], v[101:102]
	s_waitcnt vmcnt(21)
	v_fma_f64 v[112:113], v[115:116], v[107:108], v[101:102]
	ds_read2_b64 v[101:104], v100 offset0:73 offset1:74
	ds_read2_b64 v[105:108], v100 offset0:75 offset1:76
	s_waitcnt vmcnt(19) lgkmcnt(1)
	v_fma_f64 v[101:102], v[117:118], v[101:102], v[112:113]
	buffer_load_dword v112, off, s[0:3], 0 offset:268
	s_waitcnt vmcnt(18)
	v_fma_f64 v[101:102], v[119:120], v[103:104], v[101:102]
	buffer_load_dword v114, off, s[0:3], 0 offset:276
	buffer_load_dword v115, off, s[0:3], 0 offset:296
	;; [unrolled: 1-line block ×7, first 2 shown]
	s_waitcnt vmcnt(23) lgkmcnt(0)
	v_fma_f64 v[101:102], v[121:122], v[105:106], v[101:102]
	s_waitcnt vmcnt(18)
	v_fma_f64 v[121:122], v[123:124], v[107:108], v[101:102]
	ds_read2_b64 v[101:104], v100 offset0:77 offset1:78
	ds_read2_b64 v[105:108], v100 offset0:79 offset1:80
	buffer_load_dword v116, off, s[0:3], 0 offset:300
	s_waitcnt vmcnt(18) lgkmcnt(1)
	v_fma_f64 v[101:102], v[129:130], v[101:102], v[121:122]
	s_waitcnt vmcnt(17)
	v_fma_f64 v[101:102], v[127:128], v[103:104], v[101:102]
	buffer_load_dword v122, off, s[0:3], 0 offset:308
	buffer_load_dword v123, off, s[0:3], 0 offset:328
	;; [unrolled: 1-line block ×8, first 2 shown]
	s_waitcnt vmcnt(24) lgkmcnt(0)
	v_fma_f64 v[101:102], v[125:126], v[105:106], v[101:102]
	s_waitcnt vmcnt(19)
	v_fma_f64 v[109:110], v[109:110], v[107:108], v[101:102]
	ds_read2_b64 v[101:104], v100 offset0:81 offset1:82
	ds_read2_b64 v[105:108], v100 offset0:83 offset1:84
	s_waitcnt vmcnt(18) lgkmcnt(1)
	v_fma_f64 v[101:102], v[133:134], v[101:102], v[109:110]
	s_waitcnt vmcnt(17)
	v_fma_f64 v[101:102], v[131:132], v[103:104], v[101:102]
	buffer_load_dword v110, off, s[0:3], 0 offset:340
	buffer_load_dword v125, off, s[0:3], 0 offset:360
	;; [unrolled: 1-line block ×8, first 2 shown]
	s_waitcnt vmcnt(24) lgkmcnt(0)
	v_fma_f64 v[101:102], v[111:112], v[105:106], v[101:102]
	s_waitcnt vmcnt(19)
	v_fma_f64 v[111:112], v[113:114], v[107:108], v[101:102]
	ds_read2_b64 v[101:104], v100 offset0:85 offset1:86
	ds_read2_b64 v[105:108], v100 offset0:87 offset1:88
	s_waitcnt vmcnt(18) lgkmcnt(1)
	v_fma_f64 v[101:102], v[119:120], v[101:102], v[111:112]
	s_waitcnt vmcnt(17)
	v_fma_f64 v[101:102], v[117:118], v[103:104], v[101:102]
	buffer_load_dword v112, off, s[0:3], 0 offset:372
	buffer_load_dword v113, off, s[0:3], 0 offset:384
	;; [unrolled: 1-line block ×6, first 2 shown]
	s_waitcnt vmcnt(22) lgkmcnt(0)
	v_fma_f64 v[101:102], v[115:116], v[105:106], v[101:102]
	s_waitcnt vmcnt(17)
	v_fma_f64 v[115:116], v[121:122], v[107:108], v[101:102]
	ds_read2_b64 v[101:104], v100 offset0:89 offset1:90
	buffer_load_dword v119, off, s[0:3], 0 offset:144
	buffer_load_dword v120, off, s[0:3], 0 offset:148
	ds_read2_b64 v[105:108], v100 offset0:91 offset1:92
	s_waitcnt vmcnt(18) lgkmcnt(1)
	v_fma_f64 v[101:102], v[129:130], v[101:102], v[115:116]
	s_waitcnt vmcnt(17)
	v_fma_f64 v[101:102], v[127:128], v[103:104], v[101:102]
	s_waitcnt vmcnt(16) lgkmcnt(0)
	v_fma_f64 v[101:102], v[123:124], v[105:106], v[101:102]
	s_waitcnt vmcnt(11)
	v_fma_f64 v[109:110], v[109:110], v[107:108], v[101:102]
	ds_read2_b64 v[101:104], v100 offset0:93 offset1:94
	ds_read2_b64 v[105:108], v100 offset0:95 offset1:96
	s_waitcnt vmcnt(10) lgkmcnt(1)
	v_fma_f64 v[101:102], v[133:134], v[101:102], v[109:110]
	s_waitcnt vmcnt(9)
	v_fma_f64 v[101:102], v[131:132], v[103:104], v[101:102]
	s_waitcnt vmcnt(8) lgkmcnt(0)
	v_fma_f64 v[101:102], v[125:126], v[105:106], v[101:102]
	s_waitcnt vmcnt(4)
	v_fma_f64 v[104:105], v[111:112], v[107:108], v[101:102]
	ds_read2_b64 v[100:103], v100 offset0:97 offset1:98
	s_waitcnt vmcnt(3) lgkmcnt(0)
	v_fma_f64 v[100:101], v[117:118], v[100:101], v[104:105]
	s_waitcnt vmcnt(2)
	v_fma_f64 v[100:101], v[113:114], v[102:103], v[100:101]
	s_waitcnt vmcnt(0)
	v_add_f64 v[100:101], v[119:120], -v[100:101]
	buffer_store_dword v101, off, s[0:3], 0 offset:148
	buffer_store_dword v100, off, s[0:3], 0 offset:144
	s_and_saveexec_b64 s[4:5], vcc
	s_cbranch_execz .LBB48_267
; %bb.266:
	buffer_load_dword v100, off, s[0:3], 0 offset:136
	buffer_load_dword v101, off, s[0:3], 0 offset:140
	v_mov_b32_e32 v102, 0
	buffer_store_dword v102, off, s[0:3], 0 offset:136
	buffer_store_dword v102, off, s[0:3], 0 offset:140
	s_waitcnt vmcnt(2)
	ds_write_b64 v99, v[100:101]
.LBB48_267:
	s_or_b64 exec, exec, s[4:5]
	s_waitcnt lgkmcnt(0)
	; wave barrier
	buffer_load_dword v109, off, s[0:3], 0 offset:144
	buffer_load_dword v110, off, s[0:3], 0 offset:148
	;; [unrolled: 1-line block ×22, first 2 shown]
	v_mov_b32_e32 v100, 0
	ds_read_b128 v[101:104], v100 offset:544
	ds_read_b128 v[105:108], v100 offset:560
	v_cmp_lt_u32_e32 vcc, 16, v0
	s_waitcnt vmcnt(20) lgkmcnt(1)
	v_fma_f64 v[101:102], v[109:110], v[101:102], 0
	s_waitcnt vmcnt(18)
	v_fma_f64 v[101:102], v[111:112], v[103:104], v[101:102]
	buffer_load_dword v110, off, s[0:3], 0 offset:236
	buffer_load_dword v111, off, s[0:3], 0 offset:256
	buffer_load_dword v131, off, s[0:3], 0 offset:248
	buffer_load_dword v133, off, s[0:3], 0 offset:240
	buffer_load_dword v109, off, s[0:3], 0 offset:232
	buffer_load_dword v134, off, s[0:3], 0 offset:244
	buffer_load_dword v132, off, s[0:3], 0 offset:252
	s_waitcnt vmcnt(23) lgkmcnt(0)
	v_fma_f64 v[101:102], v[113:114], v[105:106], v[101:102]
	s_waitcnt vmcnt(21)
	v_fma_f64 v[112:113], v[115:116], v[107:108], v[101:102]
	ds_read_b128 v[101:104], v100 offset:576
	ds_read_b128 v[105:108], v100 offset:592
	s_waitcnt vmcnt(19) lgkmcnt(1)
	v_fma_f64 v[101:102], v[117:118], v[101:102], v[112:113]
	buffer_load_dword v112, off, s[0:3], 0 offset:260
	s_waitcnt vmcnt(18)
	v_fma_f64 v[101:102], v[119:120], v[103:104], v[101:102]
	buffer_load_dword v114, off, s[0:3], 0 offset:268
	buffer_load_dword v115, off, s[0:3], 0 offset:288
	;; [unrolled: 1-line block ×7, first 2 shown]
	s_waitcnt vmcnt(23) lgkmcnt(0)
	v_fma_f64 v[101:102], v[121:122], v[105:106], v[101:102]
	s_waitcnt vmcnt(18)
	v_fma_f64 v[121:122], v[123:124], v[107:108], v[101:102]
	ds_read_b128 v[101:104], v100 offset:608
	ds_read_b128 v[105:108], v100 offset:624
	buffer_load_dword v116, off, s[0:3], 0 offset:292
	s_waitcnt vmcnt(18) lgkmcnt(1)
	v_fma_f64 v[101:102], v[129:130], v[101:102], v[121:122]
	s_waitcnt vmcnt(17)
	v_fma_f64 v[101:102], v[127:128], v[103:104], v[101:102]
	buffer_load_dword v122, off, s[0:3], 0 offset:300
	buffer_load_dword v123, off, s[0:3], 0 offset:320
	buffer_load_dword v127, off, s[0:3], 0 offset:312
	buffer_load_dword v129, off, s[0:3], 0 offset:304
	buffer_load_dword v121, off, s[0:3], 0 offset:296
	buffer_load_dword v130, off, s[0:3], 0 offset:308
	buffer_load_dword v128, off, s[0:3], 0 offset:316
	buffer_load_dword v124, off, s[0:3], 0 offset:324
	s_waitcnt vmcnt(24) lgkmcnt(0)
	v_fma_f64 v[101:102], v[125:126], v[105:106], v[101:102]
	s_waitcnt vmcnt(19)
	v_fma_f64 v[109:110], v[109:110], v[107:108], v[101:102]
	ds_read_b128 v[101:104], v100 offset:640
	ds_read_b128 v[105:108], v100 offset:656
	s_waitcnt vmcnt(18) lgkmcnt(1)
	v_fma_f64 v[101:102], v[133:134], v[101:102], v[109:110]
	s_waitcnt vmcnt(17)
	v_fma_f64 v[101:102], v[131:132], v[103:104], v[101:102]
	buffer_load_dword v110, off, s[0:3], 0 offset:332
	buffer_load_dword v125, off, s[0:3], 0 offset:352
	buffer_load_dword v131, off, s[0:3], 0 offset:344
	buffer_load_dword v133, off, s[0:3], 0 offset:336
	buffer_load_dword v109, off, s[0:3], 0 offset:328
	buffer_load_dword v134, off, s[0:3], 0 offset:340
	buffer_load_dword v132, off, s[0:3], 0 offset:348
	buffer_load_dword v126, off, s[0:3], 0 offset:356
	s_waitcnt vmcnt(24) lgkmcnt(0)
	v_fma_f64 v[101:102], v[111:112], v[105:106], v[101:102]
	s_waitcnt vmcnt(19)
	v_fma_f64 v[111:112], v[113:114], v[107:108], v[101:102]
	ds_read_b128 v[101:104], v100 offset:672
	ds_read_b128 v[105:108], v100 offset:688
	;; [unrolled: 18-line block ×3, first 2 shown]
	s_waitcnt vmcnt(18) lgkmcnt(1)
	v_fma_f64 v[101:102], v[129:130], v[101:102], v[115:116]
	buffer_load_dword v115, off, s[0:3], 0 offset:136
	buffer_load_dword v116, off, s[0:3], 0 offset:140
	s_waitcnt vmcnt(19)
	v_fma_f64 v[101:102], v[127:128], v[103:104], v[101:102]
	s_waitcnt vmcnt(18) lgkmcnt(0)
	v_fma_f64 v[101:102], v[123:124], v[105:106], v[101:102]
	s_waitcnt vmcnt(13)
	v_fma_f64 v[109:110], v[109:110], v[107:108], v[101:102]
	ds_read_b128 v[101:104], v100 offset:736
	ds_read_b128 v[105:108], v100 offset:752
	s_waitcnt vmcnt(12) lgkmcnt(1)
	v_fma_f64 v[101:102], v[133:134], v[101:102], v[109:110]
	s_waitcnt vmcnt(11)
	v_fma_f64 v[101:102], v[131:132], v[103:104], v[101:102]
	s_waitcnt vmcnt(10) lgkmcnt(0)
	v_fma_f64 v[101:102], v[125:126], v[105:106], v[101:102]
	s_waitcnt vmcnt(5)
	v_fma_f64 v[105:106], v[111:112], v[107:108], v[101:102]
	ds_read_b128 v[101:104], v100 offset:768
	ds_read_b64 v[107:108], v100 offset:784
	s_waitcnt vmcnt(4) lgkmcnt(1)
	v_fma_f64 v[101:102], v[119:120], v[101:102], v[105:106]
	s_waitcnt vmcnt(3)
	v_fma_f64 v[101:102], v[117:118], v[103:104], v[101:102]
	s_waitcnt vmcnt(2) lgkmcnt(0)
	v_fma_f64 v[101:102], v[113:114], v[107:108], v[101:102]
	s_waitcnt vmcnt(0)
	v_add_f64 v[101:102], v[115:116], -v[101:102]
	buffer_store_dword v102, off, s[0:3], 0 offset:140
	buffer_store_dword v101, off, s[0:3], 0 offset:136
	s_and_saveexec_b64 s[4:5], vcc
	s_cbranch_execz .LBB48_269
; %bb.268:
	buffer_load_dword v101, off, s[0:3], 0 offset:128
	buffer_load_dword v102, off, s[0:3], 0 offset:132
	s_waitcnt vmcnt(0)
	ds_write_b64 v99, v[101:102]
	buffer_store_dword v100, off, s[0:3], 0 offset:128
	buffer_store_dword v100, off, s[0:3], 0 offset:132
.LBB48_269:
	s_or_b64 exec, exec, s[4:5]
	s_waitcnt lgkmcnt(0)
	; wave barrier
	buffer_load_dword v109, off, s[0:3], 0 offset:136
	buffer_load_dword v110, off, s[0:3], 0 offset:140
	;; [unrolled: 1-line block ×22, first 2 shown]
	ds_read2_b64 v[101:104], v100 offset0:67 offset1:68
	ds_read2_b64 v[105:108], v100 offset0:69 offset1:70
	v_cmp_lt_u32_e32 vcc, 15, v0
	s_waitcnt vmcnt(20) lgkmcnt(1)
	v_fma_f64 v[101:102], v[109:110], v[101:102], 0
	s_waitcnt vmcnt(18)
	v_fma_f64 v[101:102], v[111:112], v[103:104], v[101:102]
	buffer_load_dword v110, off, s[0:3], 0 offset:228
	buffer_load_dword v111, off, s[0:3], 0 offset:248
	;; [unrolled: 1-line block ×7, first 2 shown]
	s_waitcnt vmcnt(23) lgkmcnt(0)
	v_fma_f64 v[101:102], v[113:114], v[105:106], v[101:102]
	s_waitcnt vmcnt(21)
	v_fma_f64 v[112:113], v[115:116], v[107:108], v[101:102]
	ds_read2_b64 v[101:104], v100 offset0:71 offset1:72
	ds_read2_b64 v[105:108], v100 offset0:73 offset1:74
	s_waitcnt vmcnt(19) lgkmcnt(1)
	v_fma_f64 v[101:102], v[117:118], v[101:102], v[112:113]
	buffer_load_dword v112, off, s[0:3], 0 offset:252
	s_waitcnt vmcnt(18)
	v_fma_f64 v[101:102], v[119:120], v[103:104], v[101:102]
	buffer_load_dword v114, off, s[0:3], 0 offset:260
	buffer_load_dword v115, off, s[0:3], 0 offset:280
	;; [unrolled: 1-line block ×7, first 2 shown]
	s_waitcnt vmcnt(23) lgkmcnt(0)
	v_fma_f64 v[101:102], v[121:122], v[105:106], v[101:102]
	s_waitcnt vmcnt(18)
	v_fma_f64 v[121:122], v[123:124], v[107:108], v[101:102]
	ds_read2_b64 v[101:104], v100 offset0:75 offset1:76
	ds_read2_b64 v[105:108], v100 offset0:77 offset1:78
	buffer_load_dword v116, off, s[0:3], 0 offset:284
	s_waitcnt vmcnt(18) lgkmcnt(1)
	v_fma_f64 v[101:102], v[129:130], v[101:102], v[121:122]
	s_waitcnt vmcnt(17)
	v_fma_f64 v[101:102], v[127:128], v[103:104], v[101:102]
	buffer_load_dword v122, off, s[0:3], 0 offset:292
	buffer_load_dword v123, off, s[0:3], 0 offset:312
	buffer_load_dword v127, off, s[0:3], 0 offset:304
	buffer_load_dword v129, off, s[0:3], 0 offset:296
	buffer_load_dword v121, off, s[0:3], 0 offset:288
	buffer_load_dword v130, off, s[0:3], 0 offset:300
	buffer_load_dword v128, off, s[0:3], 0 offset:308
	buffer_load_dword v124, off, s[0:3], 0 offset:316
	s_waitcnt vmcnt(24) lgkmcnt(0)
	v_fma_f64 v[101:102], v[125:126], v[105:106], v[101:102]
	s_waitcnt vmcnt(19)
	v_fma_f64 v[109:110], v[109:110], v[107:108], v[101:102]
	ds_read2_b64 v[101:104], v100 offset0:79 offset1:80
	ds_read2_b64 v[105:108], v100 offset0:81 offset1:82
	s_waitcnt vmcnt(18) lgkmcnt(1)
	v_fma_f64 v[101:102], v[133:134], v[101:102], v[109:110]
	s_waitcnt vmcnt(17)
	v_fma_f64 v[101:102], v[131:132], v[103:104], v[101:102]
	buffer_load_dword v110, off, s[0:3], 0 offset:324
	buffer_load_dword v125, off, s[0:3], 0 offset:344
	buffer_load_dword v131, off, s[0:3], 0 offset:336
	buffer_load_dword v133, off, s[0:3], 0 offset:328
	buffer_load_dword v109, off, s[0:3], 0 offset:320
	buffer_load_dword v134, off, s[0:3], 0 offset:332
	buffer_load_dword v132, off, s[0:3], 0 offset:340
	buffer_load_dword v126, off, s[0:3], 0 offset:348
	s_waitcnt vmcnt(24) lgkmcnt(0)
	v_fma_f64 v[101:102], v[111:112], v[105:106], v[101:102]
	s_waitcnt vmcnt(19)
	v_fma_f64 v[111:112], v[113:114], v[107:108], v[101:102]
	ds_read2_b64 v[101:104], v100 offset0:83 offset1:84
	ds_read2_b64 v[105:108], v100 offset0:85 offset1:86
	;; [unrolled: 18-line block ×3, first 2 shown]
	s_waitcnt vmcnt(18) lgkmcnt(1)
	v_fma_f64 v[101:102], v[129:130], v[101:102], v[115:116]
	buffer_load_dword v116, off, s[0:3], 0 offset:388
	buffer_load_dword v115, off, s[0:3], 0 offset:384
	;; [unrolled: 1-line block ×4, first 2 shown]
	s_waitcnt vmcnt(21)
	v_fma_f64 v[101:102], v[127:128], v[103:104], v[101:102]
	s_waitcnt vmcnt(20) lgkmcnt(0)
	v_fma_f64 v[101:102], v[123:124], v[105:106], v[101:102]
	s_waitcnt vmcnt(15)
	v_fma_f64 v[109:110], v[109:110], v[107:108], v[101:102]
	ds_read2_b64 v[101:104], v100 offset0:91 offset1:92
	ds_read2_b64 v[105:108], v100 offset0:93 offset1:94
	s_waitcnt vmcnt(14) lgkmcnt(1)
	v_fma_f64 v[101:102], v[133:134], v[101:102], v[109:110]
	s_waitcnt vmcnt(13)
	v_fma_f64 v[101:102], v[131:132], v[103:104], v[101:102]
	s_waitcnt vmcnt(12) lgkmcnt(0)
	v_fma_f64 v[101:102], v[125:126], v[105:106], v[101:102]
	s_waitcnt vmcnt(7)
	v_fma_f64 v[109:110], v[111:112], v[107:108], v[101:102]
	ds_read2_b64 v[101:104], v100 offset0:95 offset1:96
	ds_read2_b64 v[105:108], v100 offset0:97 offset1:98
	s_waitcnt vmcnt(6) lgkmcnt(1)
	v_fma_f64 v[100:101], v[119:120], v[101:102], v[109:110]
	s_waitcnt vmcnt(5)
	v_fma_f64 v[100:101], v[117:118], v[103:104], v[100:101]
	s_waitcnt vmcnt(4) lgkmcnt(0)
	v_fma_f64 v[100:101], v[113:114], v[105:106], v[100:101]
	s_waitcnt vmcnt(2)
	v_fma_f64 v[100:101], v[115:116], v[107:108], v[100:101]
	s_waitcnt vmcnt(0)
	v_add_f64 v[100:101], v[121:122], -v[100:101]
	buffer_store_dword v101, off, s[0:3], 0 offset:132
	buffer_store_dword v100, off, s[0:3], 0 offset:128
	s_and_saveexec_b64 s[4:5], vcc
	s_cbranch_execz .LBB48_271
; %bb.270:
	buffer_load_dword v100, off, s[0:3], 0 offset:120
	buffer_load_dword v101, off, s[0:3], 0 offset:124
	v_mov_b32_e32 v102, 0
	buffer_store_dword v102, off, s[0:3], 0 offset:120
	buffer_store_dword v102, off, s[0:3], 0 offset:124
	s_waitcnt vmcnt(2)
	ds_write_b64 v99, v[100:101]
.LBB48_271:
	s_or_b64 exec, exec, s[4:5]
	s_waitcnt lgkmcnt(0)
	; wave barrier
	buffer_load_dword v109, off, s[0:3], 0 offset:128
	buffer_load_dword v110, off, s[0:3], 0 offset:132
	;; [unrolled: 1-line block ×21, first 2 shown]
	v_mov_b32_e32 v100, 0
	ds_read_b128 v[101:104], v100 offset:528
	ds_read_b128 v[105:108], v100 offset:544
	buffer_load_dword v126, off, s[0:3], 0 offset:212
	v_cmp_lt_u32_e32 vcc, 14, v0
	s_waitcnt vmcnt(20) lgkmcnt(1)
	v_fma_f64 v[101:102], v[109:110], v[101:102], 0
	s_waitcnt vmcnt(18)
	v_fma_f64 v[101:102], v[111:112], v[103:104], v[101:102]
	buffer_load_dword v110, off, s[0:3], 0 offset:220
	buffer_load_dword v111, off, s[0:3], 0 offset:240
	;; [unrolled: 1-line block ×7, first 2 shown]
	s_waitcnt vmcnt(23) lgkmcnt(0)
	v_fma_f64 v[101:102], v[113:114], v[105:106], v[101:102]
	s_waitcnt vmcnt(21)
	v_fma_f64 v[112:113], v[115:116], v[107:108], v[101:102]
	ds_read_b128 v[101:104], v100 offset:560
	ds_read_b128 v[105:108], v100 offset:576
	s_waitcnt vmcnt(19) lgkmcnt(1)
	v_fma_f64 v[101:102], v[117:118], v[101:102], v[112:113]
	buffer_load_dword v112, off, s[0:3], 0 offset:244
	s_waitcnt vmcnt(18)
	v_fma_f64 v[101:102], v[119:120], v[103:104], v[101:102]
	buffer_load_dword v114, off, s[0:3], 0 offset:252
	buffer_load_dword v115, off, s[0:3], 0 offset:272
	;; [unrolled: 1-line block ×7, first 2 shown]
	s_waitcnt vmcnt(23) lgkmcnt(0)
	v_fma_f64 v[101:102], v[121:122], v[105:106], v[101:102]
	s_waitcnt vmcnt(18)
	v_fma_f64 v[121:122], v[123:124], v[107:108], v[101:102]
	ds_read_b128 v[101:104], v100 offset:592
	ds_read_b128 v[105:108], v100 offset:608
	buffer_load_dword v116, off, s[0:3], 0 offset:276
	s_waitcnt vmcnt(18) lgkmcnt(1)
	v_fma_f64 v[101:102], v[129:130], v[101:102], v[121:122]
	s_waitcnt vmcnt(17)
	v_fma_f64 v[101:102], v[127:128], v[103:104], v[101:102]
	buffer_load_dword v122, off, s[0:3], 0 offset:284
	buffer_load_dword v123, off, s[0:3], 0 offset:304
	;; [unrolled: 1-line block ×7, first 2 shown]
	s_waitcnt vmcnt(23) lgkmcnt(0)
	v_fma_f64 v[101:102], v[125:126], v[105:106], v[101:102]
	s_waitcnt vmcnt(18)
	v_fma_f64 v[109:110], v[109:110], v[107:108], v[101:102]
	ds_read_b128 v[101:104], v100 offset:624
	ds_read_b128 v[105:108], v100 offset:640
	buffer_load_dword v124, off, s[0:3], 0 offset:308
	s_waitcnt vmcnt(18) lgkmcnt(1)
	v_fma_f64 v[101:102], v[133:134], v[101:102], v[109:110]
	s_waitcnt vmcnt(17)
	v_fma_f64 v[101:102], v[131:132], v[103:104], v[101:102]
	buffer_load_dword v110, off, s[0:3], 0 offset:316
	buffer_load_dword v125, off, s[0:3], 0 offset:336
	;; [unrolled: 1-line block ×8, first 2 shown]
	s_waitcnt vmcnt(24) lgkmcnt(0)
	v_fma_f64 v[101:102], v[111:112], v[105:106], v[101:102]
	s_waitcnt vmcnt(19)
	v_fma_f64 v[111:112], v[113:114], v[107:108], v[101:102]
	ds_read_b128 v[101:104], v100 offset:656
	ds_read_b128 v[105:108], v100 offset:672
	s_waitcnt vmcnt(18) lgkmcnt(1)
	v_fma_f64 v[101:102], v[119:120], v[101:102], v[111:112]
	s_waitcnt vmcnt(17)
	v_fma_f64 v[101:102], v[117:118], v[103:104], v[101:102]
	buffer_load_dword v112, off, s[0:3], 0 offset:348
	buffer_load_dword v113, off, s[0:3], 0 offset:368
	buffer_load_dword v117, off, s[0:3], 0 offset:360
	buffer_load_dword v119, off, s[0:3], 0 offset:352
	buffer_load_dword v111, off, s[0:3], 0 offset:344
	buffer_load_dword v120, off, s[0:3], 0 offset:356
	buffer_load_dword v118, off, s[0:3], 0 offset:364
	s_waitcnt vmcnt(23) lgkmcnt(0)
	v_fma_f64 v[101:102], v[115:116], v[105:106], v[101:102]
	s_waitcnt vmcnt(18)
	v_fma_f64 v[114:115], v[121:122], v[107:108], v[101:102]
	ds_read_b128 v[101:104], v100 offset:688
	ds_read_b128 v[105:108], v100 offset:704
	s_waitcnt vmcnt(17) lgkmcnt(1)
	v_fma_f64 v[101:102], v[129:130], v[101:102], v[114:115]
	buffer_load_dword v114, off, s[0:3], 0 offset:372
	buffer_load_dword v116, off, s[0:3], 0 offset:380
	buffer_load_dword v121, off, s[0:3], 0 offset:384
	buffer_load_dword v115, off, s[0:3], 0 offset:376
	buffer_load_dword v122, off, s[0:3], 0 offset:388
	s_waitcnt vmcnt(21)
	v_fma_f64 v[101:102], v[127:128], v[103:104], v[101:102]
	s_waitcnt vmcnt(20) lgkmcnt(0)
	v_fma_f64 v[101:102], v[123:124], v[105:106], v[101:102]
	buffer_load_dword v123, off, s[0:3], 0 offset:120
	buffer_load_dword v124, off, s[0:3], 0 offset:124
	s_waitcnt vmcnt(17)
	v_fma_f64 v[109:110], v[109:110], v[107:108], v[101:102]
	ds_read_b128 v[101:104], v100 offset:720
	ds_read_b128 v[105:108], v100 offset:736
	s_waitcnt vmcnt(16) lgkmcnt(1)
	v_fma_f64 v[101:102], v[133:134], v[101:102], v[109:110]
	s_waitcnt vmcnt(15)
	v_fma_f64 v[101:102], v[131:132], v[103:104], v[101:102]
	s_waitcnt vmcnt(14) lgkmcnt(0)
	v_fma_f64 v[101:102], v[125:126], v[105:106], v[101:102]
	s_waitcnt vmcnt(9)
	v_fma_f64 v[109:110], v[111:112], v[107:108], v[101:102]
	ds_read_b128 v[101:104], v100 offset:752
	ds_read_b128 v[105:108], v100 offset:768
	s_waitcnt vmcnt(8) lgkmcnt(1)
	v_fma_f64 v[101:102], v[119:120], v[101:102], v[109:110]
	s_waitcnt vmcnt(7)
	v_fma_f64 v[101:102], v[117:118], v[103:104], v[101:102]
	ds_read_b64 v[103:104], v100 offset:784
	s_waitcnt vmcnt(6) lgkmcnt(1)
	v_fma_f64 v[101:102], v[113:114], v[105:106], v[101:102]
	s_waitcnt vmcnt(3)
	v_fma_f64 v[101:102], v[115:116], v[107:108], v[101:102]
	s_waitcnt vmcnt(2) lgkmcnt(0)
	v_fma_f64 v[101:102], v[121:122], v[103:104], v[101:102]
	s_waitcnt vmcnt(0)
	v_add_f64 v[101:102], v[123:124], -v[101:102]
	buffer_store_dword v102, off, s[0:3], 0 offset:124
	buffer_store_dword v101, off, s[0:3], 0 offset:120
	s_and_saveexec_b64 s[4:5], vcc
	s_cbranch_execz .LBB48_273
; %bb.272:
	buffer_load_dword v101, off, s[0:3], 0 offset:112
	buffer_load_dword v102, off, s[0:3], 0 offset:116
	s_waitcnt vmcnt(0)
	ds_write_b64 v99, v[101:102]
	buffer_store_dword v100, off, s[0:3], 0 offset:112
	buffer_store_dword v100, off, s[0:3], 0 offset:116
.LBB48_273:
	s_or_b64 exec, exec, s[4:5]
	s_waitcnt lgkmcnt(0)
	; wave barrier
	buffer_load_dword v109, off, s[0:3], 0 offset:120
	buffer_load_dword v110, off, s[0:3], 0 offset:124
	buffer_load_dword v111, off, s[0:3], 0 offset:128
	buffer_load_dword v112, off, s[0:3], 0 offset:132
	buffer_load_dword v113, off, s[0:3], 0 offset:136
	buffer_load_dword v114, off, s[0:3], 0 offset:140
	buffer_load_dword v115, off, s[0:3], 0 offset:144
	buffer_load_dword v116, off, s[0:3], 0 offset:148
	buffer_load_dword v117, off, s[0:3], 0 offset:152
	buffer_load_dword v118, off, s[0:3], 0 offset:156
	buffer_load_dword v119, off, s[0:3], 0 offset:160
	buffer_load_dword v120, off, s[0:3], 0 offset:164
	buffer_load_dword v121, off, s[0:3], 0 offset:168
	buffer_load_dword v122, off, s[0:3], 0 offset:172
	buffer_load_dword v124, off, s[0:3], 0 offset:180
	buffer_load_dword v125, off, s[0:3], 0 offset:200
	buffer_load_dword v127, off, s[0:3], 0 offset:192
	buffer_load_dword v129, off, s[0:3], 0 offset:184
	buffer_load_dword v123, off, s[0:3], 0 offset:176
	buffer_load_dword v130, off, s[0:3], 0 offset:188
	buffer_load_dword v128, off, s[0:3], 0 offset:196
	ds_read2_b64 v[101:104], v100 offset0:65 offset1:66
	ds_read2_b64 v[105:108], v100 offset0:67 offset1:68
	buffer_load_dword v126, off, s[0:3], 0 offset:204
	v_cmp_lt_u32_e32 vcc, 13, v0
	s_waitcnt vmcnt(20) lgkmcnt(1)
	v_fma_f64 v[101:102], v[109:110], v[101:102], 0
	s_waitcnt vmcnt(18)
	v_fma_f64 v[101:102], v[111:112], v[103:104], v[101:102]
	buffer_load_dword v110, off, s[0:3], 0 offset:212
	buffer_load_dword v111, off, s[0:3], 0 offset:232
	;; [unrolled: 1-line block ×7, first 2 shown]
	s_waitcnt vmcnt(23) lgkmcnt(0)
	v_fma_f64 v[101:102], v[113:114], v[105:106], v[101:102]
	s_waitcnt vmcnt(21)
	v_fma_f64 v[112:113], v[115:116], v[107:108], v[101:102]
	ds_read2_b64 v[101:104], v100 offset0:69 offset1:70
	ds_read2_b64 v[105:108], v100 offset0:71 offset1:72
	s_waitcnt vmcnt(19) lgkmcnt(1)
	v_fma_f64 v[101:102], v[117:118], v[101:102], v[112:113]
	buffer_load_dword v112, off, s[0:3], 0 offset:236
	s_waitcnt vmcnt(18)
	v_fma_f64 v[101:102], v[119:120], v[103:104], v[101:102]
	buffer_load_dword v114, off, s[0:3], 0 offset:244
	buffer_load_dword v115, off, s[0:3], 0 offset:264
	;; [unrolled: 1-line block ×8, first 2 shown]
	s_waitcnt vmcnt(24) lgkmcnt(0)
	v_fma_f64 v[101:102], v[121:122], v[105:106], v[101:102]
	s_waitcnt vmcnt(19)
	v_fma_f64 v[121:122], v[123:124], v[107:108], v[101:102]
	ds_read2_b64 v[101:104], v100 offset0:73 offset1:74
	ds_read2_b64 v[105:108], v100 offset0:75 offset1:76
	s_waitcnt vmcnt(18) lgkmcnt(1)
	v_fma_f64 v[101:102], v[129:130], v[101:102], v[121:122]
	s_waitcnt vmcnt(17)
	v_fma_f64 v[101:102], v[127:128], v[103:104], v[101:102]
	buffer_load_dword v122, off, s[0:3], 0 offset:276
	buffer_load_dword v123, off, s[0:3], 0 offset:296
	buffer_load_dword v127, off, s[0:3], 0 offset:288
	buffer_load_dword v129, off, s[0:3], 0 offset:280
	buffer_load_dword v121, off, s[0:3], 0 offset:272
	buffer_load_dword v130, off, s[0:3], 0 offset:284
	buffer_load_dword v128, off, s[0:3], 0 offset:292
	s_waitcnt vmcnt(23) lgkmcnt(0)
	v_fma_f64 v[101:102], v[125:126], v[105:106], v[101:102]
	s_waitcnt vmcnt(18)
	v_fma_f64 v[109:110], v[109:110], v[107:108], v[101:102]
	ds_read2_b64 v[101:104], v100 offset0:77 offset1:78
	ds_read2_b64 v[105:108], v100 offset0:79 offset1:80
	buffer_load_dword v124, off, s[0:3], 0 offset:300
	s_waitcnt vmcnt(18) lgkmcnt(1)
	v_fma_f64 v[101:102], v[133:134], v[101:102], v[109:110]
	s_waitcnt vmcnt(17)
	v_fma_f64 v[101:102], v[131:132], v[103:104], v[101:102]
	buffer_load_dword v110, off, s[0:3], 0 offset:308
	buffer_load_dword v125, off, s[0:3], 0 offset:328
	;; [unrolled: 1-line block ×8, first 2 shown]
	s_waitcnt vmcnt(24) lgkmcnt(0)
	v_fma_f64 v[101:102], v[111:112], v[105:106], v[101:102]
	s_waitcnt vmcnt(19)
	v_fma_f64 v[111:112], v[113:114], v[107:108], v[101:102]
	ds_read2_b64 v[101:104], v100 offset0:81 offset1:82
	ds_read2_b64 v[105:108], v100 offset0:83 offset1:84
	s_waitcnt vmcnt(18) lgkmcnt(1)
	v_fma_f64 v[101:102], v[119:120], v[101:102], v[111:112]
	s_waitcnt vmcnt(17)
	v_fma_f64 v[101:102], v[117:118], v[103:104], v[101:102]
	buffer_load_dword v112, off, s[0:3], 0 offset:340
	buffer_load_dword v113, off, s[0:3], 0 offset:360
	;; [unrolled: 1-line block ×7, first 2 shown]
	s_waitcnt vmcnt(23) lgkmcnt(0)
	v_fma_f64 v[101:102], v[115:116], v[105:106], v[101:102]
	s_waitcnt vmcnt(18)
	v_fma_f64 v[114:115], v[121:122], v[107:108], v[101:102]
	ds_read2_b64 v[101:104], v100 offset0:85 offset1:86
	ds_read2_b64 v[105:108], v100 offset0:87 offset1:88
	s_waitcnt vmcnt(17) lgkmcnt(1)
	v_fma_f64 v[101:102], v[129:130], v[101:102], v[114:115]
	buffer_load_dword v114, off, s[0:3], 0 offset:364
	s_waitcnt vmcnt(17)
	v_fma_f64 v[101:102], v[127:128], v[103:104], v[101:102]
	buffer_load_dword v116, off, s[0:3], 0 offset:372
	buffer_load_dword v121, off, s[0:3], 0 offset:384
	;; [unrolled: 1-line block ×6, first 2 shown]
	s_waitcnt vmcnt(22) lgkmcnt(0)
	v_fma_f64 v[101:102], v[123:124], v[105:106], v[101:102]
	s_waitcnt vmcnt(17)
	v_fma_f64 v[109:110], v[109:110], v[107:108], v[101:102]
	ds_read2_b64 v[101:104], v100 offset0:89 offset1:90
	buffer_load_dword v123, off, s[0:3], 0 offset:112
	buffer_load_dword v124, off, s[0:3], 0 offset:116
	ds_read2_b64 v[105:108], v100 offset0:91 offset1:92
	s_waitcnt vmcnt(18) lgkmcnt(1)
	v_fma_f64 v[101:102], v[133:134], v[101:102], v[109:110]
	s_waitcnt vmcnt(17)
	v_fma_f64 v[101:102], v[131:132], v[103:104], v[101:102]
	s_waitcnt vmcnt(16) lgkmcnt(0)
	v_fma_f64 v[101:102], v[125:126], v[105:106], v[101:102]
	s_waitcnt vmcnt(11)
	v_fma_f64 v[109:110], v[111:112], v[107:108], v[101:102]
	ds_read2_b64 v[101:104], v100 offset0:93 offset1:94
	ds_read2_b64 v[105:108], v100 offset0:95 offset1:96
	s_waitcnt vmcnt(10) lgkmcnt(1)
	v_fma_f64 v[101:102], v[119:120], v[101:102], v[109:110]
	s_waitcnt vmcnt(9)
	v_fma_f64 v[101:102], v[117:118], v[103:104], v[101:102]
	s_waitcnt vmcnt(8) lgkmcnt(0)
	v_fma_f64 v[101:102], v[113:114], v[105:106], v[101:102]
	s_waitcnt vmcnt(4)
	v_fma_f64 v[104:105], v[115:116], v[107:108], v[101:102]
	ds_read2_b64 v[100:103], v100 offset0:97 offset1:98
	s_waitcnt vmcnt(3) lgkmcnt(0)
	v_fma_f64 v[100:101], v[127:128], v[100:101], v[104:105]
	s_waitcnt vmcnt(2)
	v_fma_f64 v[100:101], v[121:122], v[102:103], v[100:101]
	s_waitcnt vmcnt(0)
	v_add_f64 v[100:101], v[123:124], -v[100:101]
	buffer_store_dword v101, off, s[0:3], 0 offset:116
	buffer_store_dword v100, off, s[0:3], 0 offset:112
	s_and_saveexec_b64 s[4:5], vcc
	s_cbranch_execz .LBB48_275
; %bb.274:
	buffer_load_dword v100, off, s[0:3], 0 offset:104
	buffer_load_dword v101, off, s[0:3], 0 offset:108
	v_mov_b32_e32 v102, 0
	buffer_store_dword v102, off, s[0:3], 0 offset:104
	buffer_store_dword v102, off, s[0:3], 0 offset:108
	s_waitcnt vmcnt(2)
	ds_write_b64 v99, v[100:101]
.LBB48_275:
	s_or_b64 exec, exec, s[4:5]
	s_waitcnt lgkmcnt(0)
	; wave barrier
	buffer_load_dword v109, off, s[0:3], 0 offset:112
	buffer_load_dword v110, off, s[0:3], 0 offset:116
	;; [unrolled: 1-line block ×21, first 2 shown]
	v_mov_b32_e32 v100, 0
	ds_read_b128 v[101:104], v100 offset:512
	ds_read_b128 v[105:108], v100 offset:528
	buffer_load_dword v126, off, s[0:3], 0 offset:196
	v_cmp_lt_u32_e32 vcc, 12, v0
	s_waitcnt vmcnt(20) lgkmcnt(1)
	v_fma_f64 v[101:102], v[109:110], v[101:102], 0
	s_waitcnt vmcnt(18)
	v_fma_f64 v[101:102], v[111:112], v[103:104], v[101:102]
	buffer_load_dword v110, off, s[0:3], 0 offset:204
	buffer_load_dword v111, off, s[0:3], 0 offset:224
	;; [unrolled: 1-line block ×7, first 2 shown]
	s_waitcnt vmcnt(23) lgkmcnt(0)
	v_fma_f64 v[101:102], v[113:114], v[105:106], v[101:102]
	s_waitcnt vmcnt(21)
	v_fma_f64 v[112:113], v[115:116], v[107:108], v[101:102]
	ds_read_b128 v[101:104], v100 offset:544
	ds_read_b128 v[105:108], v100 offset:560
	s_waitcnt vmcnt(19) lgkmcnt(1)
	v_fma_f64 v[101:102], v[117:118], v[101:102], v[112:113]
	buffer_load_dword v112, off, s[0:3], 0 offset:228
	s_waitcnt vmcnt(18)
	v_fma_f64 v[101:102], v[119:120], v[103:104], v[101:102]
	buffer_load_dword v114, off, s[0:3], 0 offset:236
	buffer_load_dword v115, off, s[0:3], 0 offset:256
	;; [unrolled: 1-line block ×8, first 2 shown]
	s_waitcnt vmcnt(24) lgkmcnt(0)
	v_fma_f64 v[101:102], v[121:122], v[105:106], v[101:102]
	s_waitcnt vmcnt(19)
	v_fma_f64 v[121:122], v[123:124], v[107:108], v[101:102]
	ds_read_b128 v[101:104], v100 offset:576
	ds_read_b128 v[105:108], v100 offset:592
	s_waitcnt vmcnt(18) lgkmcnt(1)
	v_fma_f64 v[101:102], v[129:130], v[101:102], v[121:122]
	s_waitcnt vmcnt(17)
	v_fma_f64 v[101:102], v[127:128], v[103:104], v[101:102]
	buffer_load_dword v122, off, s[0:3], 0 offset:268
	buffer_load_dword v123, off, s[0:3], 0 offset:288
	;; [unrolled: 1-line block ×7, first 2 shown]
	s_waitcnt vmcnt(23) lgkmcnt(0)
	v_fma_f64 v[101:102], v[125:126], v[105:106], v[101:102]
	s_waitcnt vmcnt(18)
	v_fma_f64 v[109:110], v[109:110], v[107:108], v[101:102]
	ds_read_b128 v[101:104], v100 offset:608
	ds_read_b128 v[105:108], v100 offset:624
	buffer_load_dword v124, off, s[0:3], 0 offset:292
	s_waitcnt vmcnt(18) lgkmcnt(1)
	v_fma_f64 v[101:102], v[133:134], v[101:102], v[109:110]
	s_waitcnt vmcnt(17)
	v_fma_f64 v[101:102], v[131:132], v[103:104], v[101:102]
	buffer_load_dword v110, off, s[0:3], 0 offset:300
	buffer_load_dword v125, off, s[0:3], 0 offset:320
	;; [unrolled: 1-line block ×8, first 2 shown]
	s_waitcnt vmcnt(24) lgkmcnt(0)
	v_fma_f64 v[101:102], v[111:112], v[105:106], v[101:102]
	s_waitcnt vmcnt(19)
	v_fma_f64 v[111:112], v[113:114], v[107:108], v[101:102]
	ds_read_b128 v[101:104], v100 offset:640
	ds_read_b128 v[105:108], v100 offset:656
	s_waitcnt vmcnt(18) lgkmcnt(1)
	v_fma_f64 v[101:102], v[119:120], v[101:102], v[111:112]
	s_waitcnt vmcnt(17)
	v_fma_f64 v[101:102], v[117:118], v[103:104], v[101:102]
	buffer_load_dword v112, off, s[0:3], 0 offset:332
	buffer_load_dword v113, off, s[0:3], 0 offset:352
	;; [unrolled: 1-line block ×7, first 2 shown]
	s_waitcnt vmcnt(23) lgkmcnt(0)
	v_fma_f64 v[101:102], v[115:116], v[105:106], v[101:102]
	s_waitcnt vmcnt(18)
	v_fma_f64 v[114:115], v[121:122], v[107:108], v[101:102]
	ds_read_b128 v[101:104], v100 offset:672
	ds_read_b128 v[105:108], v100 offset:688
	s_waitcnt vmcnt(17) lgkmcnt(1)
	v_fma_f64 v[101:102], v[129:130], v[101:102], v[114:115]
	buffer_load_dword v114, off, s[0:3], 0 offset:356
	s_waitcnt vmcnt(17)
	v_fma_f64 v[101:102], v[127:128], v[103:104], v[101:102]
	buffer_load_dword v116, off, s[0:3], 0 offset:364
	buffer_load_dword v121, off, s[0:3], 0 offset:384
	;; [unrolled: 1-line block ×8, first 2 shown]
	s_waitcnt vmcnt(24) lgkmcnt(0)
	v_fma_f64 v[101:102], v[123:124], v[105:106], v[101:102]
	s_waitcnt vmcnt(19)
	v_fma_f64 v[109:110], v[109:110], v[107:108], v[101:102]
	ds_read_b128 v[101:104], v100 offset:704
	ds_read_b128 v[105:108], v100 offset:720
	s_waitcnt vmcnt(18) lgkmcnt(1)
	v_fma_f64 v[101:102], v[133:134], v[101:102], v[109:110]
	buffer_load_dword v109, off, s[0:3], 0 offset:104
	buffer_load_dword v110, off, s[0:3], 0 offset:108
	s_waitcnt vmcnt(19)
	v_fma_f64 v[101:102], v[131:132], v[103:104], v[101:102]
	s_waitcnt vmcnt(18) lgkmcnt(0)
	v_fma_f64 v[101:102], v[125:126], v[105:106], v[101:102]
	s_waitcnt vmcnt(13)
	v_fma_f64 v[111:112], v[111:112], v[107:108], v[101:102]
	ds_read_b128 v[101:104], v100 offset:736
	ds_read_b128 v[105:108], v100 offset:752
	s_waitcnt vmcnt(12) lgkmcnt(1)
	v_fma_f64 v[101:102], v[119:120], v[101:102], v[111:112]
	s_waitcnt vmcnt(11)
	v_fma_f64 v[101:102], v[117:118], v[103:104], v[101:102]
	s_waitcnt vmcnt(10) lgkmcnt(0)
	v_fma_f64 v[101:102], v[113:114], v[105:106], v[101:102]
	s_waitcnt vmcnt(5)
	v_fma_f64 v[105:106], v[115:116], v[107:108], v[101:102]
	ds_read_b128 v[101:104], v100 offset:768
	ds_read_b64 v[107:108], v100 offset:784
	s_waitcnt vmcnt(4) lgkmcnt(1)
	v_fma_f64 v[101:102], v[129:130], v[101:102], v[105:106]
	s_waitcnt vmcnt(3)
	v_fma_f64 v[101:102], v[127:128], v[103:104], v[101:102]
	s_waitcnt vmcnt(2) lgkmcnt(0)
	v_fma_f64 v[101:102], v[121:122], v[107:108], v[101:102]
	s_waitcnt vmcnt(0)
	v_add_f64 v[101:102], v[109:110], -v[101:102]
	buffer_store_dword v102, off, s[0:3], 0 offset:108
	buffer_store_dword v101, off, s[0:3], 0 offset:104
	s_and_saveexec_b64 s[4:5], vcc
	s_cbranch_execz .LBB48_277
; %bb.276:
	buffer_load_dword v101, off, s[0:3], 0 offset:96
	buffer_load_dword v102, off, s[0:3], 0 offset:100
	s_waitcnt vmcnt(0)
	ds_write_b64 v99, v[101:102]
	buffer_store_dword v100, off, s[0:3], 0 offset:96
	buffer_store_dword v100, off, s[0:3], 0 offset:100
.LBB48_277:
	s_or_b64 exec, exec, s[4:5]
	s_waitcnt lgkmcnt(0)
	; wave barrier
	buffer_load_dword v109, off, s[0:3], 0 offset:104
	buffer_load_dword v110, off, s[0:3], 0 offset:108
	;; [unrolled: 1-line block ×21, first 2 shown]
	ds_read2_b64 v[101:104], v100 offset0:63 offset1:64
	ds_read2_b64 v[105:108], v100 offset0:65 offset1:66
	buffer_load_dword v126, off, s[0:3], 0 offset:188
	v_cmp_lt_u32_e32 vcc, 11, v0
	s_waitcnt vmcnt(20) lgkmcnt(1)
	v_fma_f64 v[101:102], v[109:110], v[101:102], 0
	s_waitcnt vmcnt(18)
	v_fma_f64 v[101:102], v[111:112], v[103:104], v[101:102]
	buffer_load_dword v110, off, s[0:3], 0 offset:196
	buffer_load_dword v111, off, s[0:3], 0 offset:216
	;; [unrolled: 1-line block ×7, first 2 shown]
	s_waitcnt vmcnt(23) lgkmcnt(0)
	v_fma_f64 v[101:102], v[113:114], v[105:106], v[101:102]
	s_waitcnt vmcnt(21)
	v_fma_f64 v[112:113], v[115:116], v[107:108], v[101:102]
	ds_read2_b64 v[101:104], v100 offset0:67 offset1:68
	ds_read2_b64 v[105:108], v100 offset0:69 offset1:70
	s_waitcnt vmcnt(19) lgkmcnt(1)
	v_fma_f64 v[101:102], v[117:118], v[101:102], v[112:113]
	buffer_load_dword v112, off, s[0:3], 0 offset:220
	s_waitcnt vmcnt(18)
	v_fma_f64 v[101:102], v[119:120], v[103:104], v[101:102]
	buffer_load_dword v114, off, s[0:3], 0 offset:228
	buffer_load_dword v115, off, s[0:3], 0 offset:248
	;; [unrolled: 1-line block ×8, first 2 shown]
	s_waitcnt vmcnt(24) lgkmcnt(0)
	v_fma_f64 v[101:102], v[121:122], v[105:106], v[101:102]
	s_waitcnt vmcnt(19)
	v_fma_f64 v[121:122], v[123:124], v[107:108], v[101:102]
	ds_read2_b64 v[101:104], v100 offset0:71 offset1:72
	ds_read2_b64 v[105:108], v100 offset0:73 offset1:74
	s_waitcnt vmcnt(18) lgkmcnt(1)
	v_fma_f64 v[101:102], v[129:130], v[101:102], v[121:122]
	s_waitcnt vmcnt(17)
	v_fma_f64 v[101:102], v[127:128], v[103:104], v[101:102]
	buffer_load_dword v122, off, s[0:3], 0 offset:260
	buffer_load_dword v123, off, s[0:3], 0 offset:280
	buffer_load_dword v127, off, s[0:3], 0 offset:272
	buffer_load_dword v129, off, s[0:3], 0 offset:264
	buffer_load_dword v121, off, s[0:3], 0 offset:256
	buffer_load_dword v130, off, s[0:3], 0 offset:268
	buffer_load_dword v128, off, s[0:3], 0 offset:276
	s_waitcnt vmcnt(23) lgkmcnt(0)
	v_fma_f64 v[101:102], v[125:126], v[105:106], v[101:102]
	s_waitcnt vmcnt(18)
	v_fma_f64 v[109:110], v[109:110], v[107:108], v[101:102]
	ds_read2_b64 v[101:104], v100 offset0:75 offset1:76
	ds_read2_b64 v[105:108], v100 offset0:77 offset1:78
	buffer_load_dword v124, off, s[0:3], 0 offset:284
	s_waitcnt vmcnt(18) lgkmcnt(1)
	v_fma_f64 v[101:102], v[133:134], v[101:102], v[109:110]
	s_waitcnt vmcnt(17)
	v_fma_f64 v[101:102], v[131:132], v[103:104], v[101:102]
	buffer_load_dword v110, off, s[0:3], 0 offset:292
	buffer_load_dword v125, off, s[0:3], 0 offset:312
	buffer_load_dword v131, off, s[0:3], 0 offset:304
	buffer_load_dword v133, off, s[0:3], 0 offset:296
	buffer_load_dword v109, off, s[0:3], 0 offset:288
	buffer_load_dword v134, off, s[0:3], 0 offset:300
	buffer_load_dword v132, off, s[0:3], 0 offset:308
	buffer_load_dword v126, off, s[0:3], 0 offset:316
	s_waitcnt vmcnt(24) lgkmcnt(0)
	v_fma_f64 v[101:102], v[111:112], v[105:106], v[101:102]
	s_waitcnt vmcnt(19)
	v_fma_f64 v[111:112], v[113:114], v[107:108], v[101:102]
	ds_read2_b64 v[101:104], v100 offset0:79 offset1:80
	ds_read2_b64 v[105:108], v100 offset0:81 offset1:82
	s_waitcnt vmcnt(18) lgkmcnt(1)
	v_fma_f64 v[101:102], v[119:120], v[101:102], v[111:112]
	s_waitcnt vmcnt(17)
	v_fma_f64 v[101:102], v[117:118], v[103:104], v[101:102]
	buffer_load_dword v112, off, s[0:3], 0 offset:324
	buffer_load_dword v113, off, s[0:3], 0 offset:344
	;; [unrolled: 1-line block ×7, first 2 shown]
	s_waitcnt vmcnt(23) lgkmcnt(0)
	v_fma_f64 v[101:102], v[115:116], v[105:106], v[101:102]
	s_waitcnt vmcnt(18)
	v_fma_f64 v[114:115], v[121:122], v[107:108], v[101:102]
	ds_read2_b64 v[101:104], v100 offset0:83 offset1:84
	ds_read2_b64 v[105:108], v100 offset0:85 offset1:86
	s_waitcnt vmcnt(17) lgkmcnt(1)
	v_fma_f64 v[101:102], v[129:130], v[101:102], v[114:115]
	buffer_load_dword v114, off, s[0:3], 0 offset:348
	s_waitcnt vmcnt(17)
	v_fma_f64 v[101:102], v[127:128], v[103:104], v[101:102]
	buffer_load_dword v116, off, s[0:3], 0 offset:356
	buffer_load_dword v121, off, s[0:3], 0 offset:376
	;; [unrolled: 1-line block ×8, first 2 shown]
	s_waitcnt vmcnt(24) lgkmcnt(0)
	v_fma_f64 v[101:102], v[123:124], v[105:106], v[101:102]
	s_waitcnt vmcnt(19)
	v_fma_f64 v[109:110], v[109:110], v[107:108], v[101:102]
	ds_read2_b64 v[101:104], v100 offset0:87 offset1:88
	ds_read2_b64 v[105:108], v100 offset0:89 offset1:90
	s_waitcnt vmcnt(18) lgkmcnt(1)
	v_fma_f64 v[101:102], v[133:134], v[101:102], v[109:110]
	buffer_load_dword v110, off, s[0:3], 0 offset:388
	buffer_load_dword v109, off, s[0:3], 0 offset:384
	;; [unrolled: 1-line block ×4, first 2 shown]
	s_waitcnt vmcnt(21)
	v_fma_f64 v[101:102], v[131:132], v[103:104], v[101:102]
	s_waitcnt vmcnt(20) lgkmcnt(0)
	v_fma_f64 v[101:102], v[125:126], v[105:106], v[101:102]
	s_waitcnt vmcnt(15)
	v_fma_f64 v[111:112], v[111:112], v[107:108], v[101:102]
	ds_read2_b64 v[101:104], v100 offset0:91 offset1:92
	ds_read2_b64 v[105:108], v100 offset0:93 offset1:94
	s_waitcnt vmcnt(14) lgkmcnt(1)
	v_fma_f64 v[101:102], v[119:120], v[101:102], v[111:112]
	s_waitcnt vmcnt(13)
	v_fma_f64 v[101:102], v[117:118], v[103:104], v[101:102]
	s_waitcnt vmcnt(12) lgkmcnt(0)
	v_fma_f64 v[101:102], v[113:114], v[105:106], v[101:102]
	s_waitcnt vmcnt(7)
	v_fma_f64 v[111:112], v[115:116], v[107:108], v[101:102]
	ds_read2_b64 v[101:104], v100 offset0:95 offset1:96
	ds_read2_b64 v[105:108], v100 offset0:97 offset1:98
	s_waitcnt vmcnt(6) lgkmcnt(1)
	v_fma_f64 v[100:101], v[129:130], v[101:102], v[111:112]
	s_waitcnt vmcnt(5)
	v_fma_f64 v[100:101], v[127:128], v[103:104], v[100:101]
	s_waitcnt vmcnt(4) lgkmcnt(0)
	v_fma_f64 v[100:101], v[121:122], v[105:106], v[100:101]
	s_waitcnt vmcnt(2)
	v_fma_f64 v[100:101], v[109:110], v[107:108], v[100:101]
	s_waitcnt vmcnt(0)
	v_add_f64 v[100:101], v[123:124], -v[100:101]
	buffer_store_dword v101, off, s[0:3], 0 offset:100
	buffer_store_dword v100, off, s[0:3], 0 offset:96
	s_and_saveexec_b64 s[4:5], vcc
	s_cbranch_execz .LBB48_279
; %bb.278:
	buffer_load_dword v100, off, s[0:3], 0 offset:88
	buffer_load_dword v101, off, s[0:3], 0 offset:92
	v_mov_b32_e32 v102, 0
	buffer_store_dword v102, off, s[0:3], 0 offset:88
	buffer_store_dword v102, off, s[0:3], 0 offset:92
	s_waitcnt vmcnt(2)
	ds_write_b64 v99, v[100:101]
.LBB48_279:
	s_or_b64 exec, exec, s[4:5]
	s_waitcnt lgkmcnt(0)
	; wave barrier
	buffer_load_dword v109, off, s[0:3], 0 offset:96
	buffer_load_dword v110, off, s[0:3], 0 offset:100
	;; [unrolled: 1-line block ×21, first 2 shown]
	v_mov_b32_e32 v100, 0
	ds_read_b128 v[101:104], v100 offset:496
	ds_read_b128 v[105:108], v100 offset:512
	buffer_load_dword v126, off, s[0:3], 0 offset:180
	v_cmp_lt_u32_e32 vcc, 10, v0
	s_waitcnt vmcnt(20) lgkmcnt(1)
	v_fma_f64 v[101:102], v[109:110], v[101:102], 0
	s_waitcnt vmcnt(18)
	v_fma_f64 v[101:102], v[111:112], v[103:104], v[101:102]
	buffer_load_dword v110, off, s[0:3], 0 offset:188
	buffer_load_dword v111, off, s[0:3], 0 offset:208
	;; [unrolled: 1-line block ×7, first 2 shown]
	s_waitcnt vmcnt(23) lgkmcnt(0)
	v_fma_f64 v[101:102], v[113:114], v[105:106], v[101:102]
	s_waitcnt vmcnt(21)
	v_fma_f64 v[112:113], v[115:116], v[107:108], v[101:102]
	ds_read_b128 v[101:104], v100 offset:528
	ds_read_b128 v[105:108], v100 offset:544
	s_waitcnt vmcnt(19) lgkmcnt(1)
	v_fma_f64 v[101:102], v[117:118], v[101:102], v[112:113]
	buffer_load_dword v112, off, s[0:3], 0 offset:212
	s_waitcnt vmcnt(18)
	v_fma_f64 v[101:102], v[119:120], v[103:104], v[101:102]
	buffer_load_dword v114, off, s[0:3], 0 offset:220
	buffer_load_dword v115, off, s[0:3], 0 offset:240
	;; [unrolled: 1-line block ×8, first 2 shown]
	s_waitcnt vmcnt(24) lgkmcnt(0)
	v_fma_f64 v[101:102], v[121:122], v[105:106], v[101:102]
	s_waitcnt vmcnt(19)
	v_fma_f64 v[121:122], v[123:124], v[107:108], v[101:102]
	ds_read_b128 v[101:104], v100 offset:560
	ds_read_b128 v[105:108], v100 offset:576
	s_waitcnt vmcnt(18) lgkmcnt(1)
	v_fma_f64 v[101:102], v[129:130], v[101:102], v[121:122]
	s_waitcnt vmcnt(17)
	v_fma_f64 v[101:102], v[127:128], v[103:104], v[101:102]
	buffer_load_dword v122, off, s[0:3], 0 offset:252
	buffer_load_dword v123, off, s[0:3], 0 offset:272
	;; [unrolled: 1-line block ×7, first 2 shown]
	s_waitcnt vmcnt(23) lgkmcnt(0)
	v_fma_f64 v[101:102], v[125:126], v[105:106], v[101:102]
	s_waitcnt vmcnt(18)
	v_fma_f64 v[109:110], v[109:110], v[107:108], v[101:102]
	ds_read_b128 v[101:104], v100 offset:592
	ds_read_b128 v[105:108], v100 offset:608
	buffer_load_dword v124, off, s[0:3], 0 offset:276
	s_waitcnt vmcnt(18) lgkmcnt(1)
	v_fma_f64 v[101:102], v[133:134], v[101:102], v[109:110]
	s_waitcnt vmcnt(17)
	v_fma_f64 v[101:102], v[131:132], v[103:104], v[101:102]
	buffer_load_dword v110, off, s[0:3], 0 offset:284
	buffer_load_dword v125, off, s[0:3], 0 offset:304
	;; [unrolled: 1-line block ×7, first 2 shown]
	s_waitcnt vmcnt(23) lgkmcnt(0)
	v_fma_f64 v[101:102], v[111:112], v[105:106], v[101:102]
	s_waitcnt vmcnt(18)
	v_fma_f64 v[111:112], v[113:114], v[107:108], v[101:102]
	ds_read_b128 v[101:104], v100 offset:624
	ds_read_b128 v[105:108], v100 offset:640
	buffer_load_dword v126, off, s[0:3], 0 offset:308
	s_waitcnt vmcnt(18) lgkmcnt(1)
	v_fma_f64 v[101:102], v[119:120], v[101:102], v[111:112]
	s_waitcnt vmcnt(17)
	v_fma_f64 v[101:102], v[117:118], v[103:104], v[101:102]
	buffer_load_dword v112, off, s[0:3], 0 offset:316
	buffer_load_dword v113, off, s[0:3], 0 offset:336
	buffer_load_dword v117, off, s[0:3], 0 offset:328
	buffer_load_dword v119, off, s[0:3], 0 offset:320
	buffer_load_dword v111, off, s[0:3], 0 offset:312
	buffer_load_dword v120, off, s[0:3], 0 offset:324
	buffer_load_dword v118, off, s[0:3], 0 offset:332
	s_waitcnt vmcnt(23) lgkmcnt(0)
	v_fma_f64 v[101:102], v[115:116], v[105:106], v[101:102]
	s_waitcnt vmcnt(18)
	v_fma_f64 v[114:115], v[121:122], v[107:108], v[101:102]
	ds_read_b128 v[101:104], v100 offset:656
	ds_read_b128 v[105:108], v100 offset:672
	s_waitcnt vmcnt(17) lgkmcnt(1)
	v_fma_f64 v[101:102], v[129:130], v[101:102], v[114:115]
	buffer_load_dword v114, off, s[0:3], 0 offset:340
	s_waitcnt vmcnt(17)
	v_fma_f64 v[101:102], v[127:128], v[103:104], v[101:102]
	buffer_load_dword v116, off, s[0:3], 0 offset:348
	buffer_load_dword v121, off, s[0:3], 0 offset:368
	;; [unrolled: 1-line block ×7, first 2 shown]
	s_waitcnt vmcnt(23) lgkmcnt(0)
	v_fma_f64 v[101:102], v[123:124], v[105:106], v[101:102]
	s_waitcnt vmcnt(18)
	v_fma_f64 v[109:110], v[109:110], v[107:108], v[101:102]
	ds_read_b128 v[101:104], v100 offset:688
	ds_read_b128 v[105:108], v100 offset:704
	buffer_load_dword v122, off, s[0:3], 0 offset:372
	s_waitcnt vmcnt(18) lgkmcnt(1)
	v_fma_f64 v[101:102], v[133:134], v[101:102], v[109:110]
	buffer_load_dword v110, off, s[0:3], 0 offset:380
	buffer_load_dword v123, off, s[0:3], 0 offset:384
	;; [unrolled: 1-line block ×4, first 2 shown]
	s_waitcnt vmcnt(21)
	v_fma_f64 v[101:102], v[131:132], v[103:104], v[101:102]
	s_waitcnt vmcnt(20) lgkmcnt(0)
	v_fma_f64 v[101:102], v[125:126], v[105:106], v[101:102]
	buffer_load_dword v125, off, s[0:3], 0 offset:88
	buffer_load_dword v126, off, s[0:3], 0 offset:92
	s_waitcnt vmcnt(17)
	v_fma_f64 v[111:112], v[111:112], v[107:108], v[101:102]
	ds_read_b128 v[101:104], v100 offset:720
	ds_read_b128 v[105:108], v100 offset:736
	s_waitcnt vmcnt(16) lgkmcnt(1)
	v_fma_f64 v[101:102], v[119:120], v[101:102], v[111:112]
	s_waitcnt vmcnt(15)
	v_fma_f64 v[101:102], v[117:118], v[103:104], v[101:102]
	s_waitcnt vmcnt(14) lgkmcnt(0)
	v_fma_f64 v[101:102], v[113:114], v[105:106], v[101:102]
	s_waitcnt vmcnt(9)
	v_fma_f64 v[111:112], v[115:116], v[107:108], v[101:102]
	ds_read_b128 v[101:104], v100 offset:752
	ds_read_b128 v[105:108], v100 offset:768
	s_waitcnt vmcnt(8) lgkmcnt(1)
	v_fma_f64 v[101:102], v[129:130], v[101:102], v[111:112]
	s_waitcnt vmcnt(7)
	v_fma_f64 v[101:102], v[127:128], v[103:104], v[101:102]
	ds_read_b64 v[103:104], v100 offset:784
	s_waitcnt vmcnt(6) lgkmcnt(1)
	v_fma_f64 v[101:102], v[121:122], v[105:106], v[101:102]
	s_waitcnt vmcnt(3)
	v_fma_f64 v[101:102], v[109:110], v[107:108], v[101:102]
	s_waitcnt vmcnt(2) lgkmcnt(0)
	v_fma_f64 v[101:102], v[123:124], v[103:104], v[101:102]
	s_waitcnt vmcnt(0)
	v_add_f64 v[101:102], v[125:126], -v[101:102]
	buffer_store_dword v102, off, s[0:3], 0 offset:92
	buffer_store_dword v101, off, s[0:3], 0 offset:88
	s_and_saveexec_b64 s[4:5], vcc
	s_cbranch_execz .LBB48_281
; %bb.280:
	buffer_load_dword v101, off, s[0:3], 0 offset:80
	buffer_load_dword v102, off, s[0:3], 0 offset:84
	s_waitcnt vmcnt(0)
	ds_write_b64 v99, v[101:102]
	buffer_store_dword v100, off, s[0:3], 0 offset:80
	buffer_store_dword v100, off, s[0:3], 0 offset:84
.LBB48_281:
	s_or_b64 exec, exec, s[4:5]
	s_waitcnt lgkmcnt(0)
	; wave barrier
	buffer_load_dword v109, off, s[0:3], 0 offset:88
	buffer_load_dword v110, off, s[0:3], 0 offset:92
	;; [unrolled: 1-line block ×22, first 2 shown]
	ds_read2_b64 v[101:104], v100 offset0:61 offset1:62
	ds_read2_b64 v[105:108], v100 offset0:63 offset1:64
	v_cmp_lt_u32_e32 vcc, 9, v0
	s_waitcnt vmcnt(20) lgkmcnt(1)
	v_fma_f64 v[101:102], v[109:110], v[101:102], 0
	s_waitcnt vmcnt(18)
	v_fma_f64 v[101:102], v[111:112], v[103:104], v[101:102]
	buffer_load_dword v110, off, s[0:3], 0 offset:180
	buffer_load_dword v111, off, s[0:3], 0 offset:200
	;; [unrolled: 1-line block ×7, first 2 shown]
	s_waitcnt vmcnt(23) lgkmcnt(0)
	v_fma_f64 v[101:102], v[113:114], v[105:106], v[101:102]
	s_waitcnt vmcnt(21)
	v_fma_f64 v[112:113], v[115:116], v[107:108], v[101:102]
	ds_read2_b64 v[101:104], v100 offset0:65 offset1:66
	ds_read2_b64 v[105:108], v100 offset0:67 offset1:68
	s_waitcnt vmcnt(19) lgkmcnt(1)
	v_fma_f64 v[101:102], v[117:118], v[101:102], v[112:113]
	buffer_load_dword v112, off, s[0:3], 0 offset:204
	s_waitcnt vmcnt(18)
	v_fma_f64 v[101:102], v[119:120], v[103:104], v[101:102]
	buffer_load_dword v114, off, s[0:3], 0 offset:212
	buffer_load_dword v115, off, s[0:3], 0 offset:232
	;; [unrolled: 1-line block ×8, first 2 shown]
	s_waitcnt vmcnt(24) lgkmcnt(0)
	v_fma_f64 v[101:102], v[121:122], v[105:106], v[101:102]
	s_waitcnt vmcnt(19)
	v_fma_f64 v[121:122], v[123:124], v[107:108], v[101:102]
	ds_read2_b64 v[101:104], v100 offset0:69 offset1:70
	ds_read2_b64 v[105:108], v100 offset0:71 offset1:72
	s_waitcnt vmcnt(18) lgkmcnt(1)
	v_fma_f64 v[101:102], v[129:130], v[101:102], v[121:122]
	s_waitcnt vmcnt(17)
	v_fma_f64 v[101:102], v[127:128], v[103:104], v[101:102]
	buffer_load_dword v122, off, s[0:3], 0 offset:244
	buffer_load_dword v123, off, s[0:3], 0 offset:264
	;; [unrolled: 1-line block ×8, first 2 shown]
	s_waitcnt vmcnt(24) lgkmcnt(0)
	v_fma_f64 v[101:102], v[125:126], v[105:106], v[101:102]
	s_waitcnt vmcnt(19)
	v_fma_f64 v[109:110], v[109:110], v[107:108], v[101:102]
	ds_read2_b64 v[101:104], v100 offset0:73 offset1:74
	ds_read2_b64 v[105:108], v100 offset0:75 offset1:76
	s_waitcnt vmcnt(18) lgkmcnt(1)
	v_fma_f64 v[101:102], v[133:134], v[101:102], v[109:110]
	s_waitcnt vmcnt(17)
	v_fma_f64 v[101:102], v[131:132], v[103:104], v[101:102]
	buffer_load_dword v110, off, s[0:3], 0 offset:276
	buffer_load_dword v125, off, s[0:3], 0 offset:296
	;; [unrolled: 1-line block ×7, first 2 shown]
	s_waitcnt vmcnt(23) lgkmcnt(0)
	v_fma_f64 v[101:102], v[111:112], v[105:106], v[101:102]
	s_waitcnt vmcnt(18)
	v_fma_f64 v[111:112], v[113:114], v[107:108], v[101:102]
	ds_read2_b64 v[101:104], v100 offset0:77 offset1:78
	ds_read2_b64 v[105:108], v100 offset0:79 offset1:80
	buffer_load_dword v126, off, s[0:3], 0 offset:300
	s_waitcnt vmcnt(18) lgkmcnt(1)
	v_fma_f64 v[101:102], v[119:120], v[101:102], v[111:112]
	s_waitcnt vmcnt(17)
	v_fma_f64 v[101:102], v[117:118], v[103:104], v[101:102]
	buffer_load_dword v112, off, s[0:3], 0 offset:308
	buffer_load_dword v113, off, s[0:3], 0 offset:328
	;; [unrolled: 1-line block ×7, first 2 shown]
	s_waitcnt vmcnt(23) lgkmcnt(0)
	v_fma_f64 v[101:102], v[115:116], v[105:106], v[101:102]
	s_waitcnt vmcnt(18)
	v_fma_f64 v[114:115], v[121:122], v[107:108], v[101:102]
	ds_read2_b64 v[101:104], v100 offset0:81 offset1:82
	ds_read2_b64 v[105:108], v100 offset0:83 offset1:84
	s_waitcnt vmcnt(17) lgkmcnt(1)
	v_fma_f64 v[101:102], v[129:130], v[101:102], v[114:115]
	buffer_load_dword v114, off, s[0:3], 0 offset:332
	s_waitcnt vmcnt(17)
	v_fma_f64 v[101:102], v[127:128], v[103:104], v[101:102]
	buffer_load_dword v116, off, s[0:3], 0 offset:340
	buffer_load_dword v121, off, s[0:3], 0 offset:360
	;; [unrolled: 1-line block ×8, first 2 shown]
	s_waitcnt vmcnt(24) lgkmcnt(0)
	v_fma_f64 v[101:102], v[123:124], v[105:106], v[101:102]
	s_waitcnt vmcnt(19)
	v_fma_f64 v[109:110], v[109:110], v[107:108], v[101:102]
	ds_read2_b64 v[101:104], v100 offset0:85 offset1:86
	ds_read2_b64 v[105:108], v100 offset0:87 offset1:88
	s_waitcnt vmcnt(18) lgkmcnt(1)
	v_fma_f64 v[101:102], v[133:134], v[101:102], v[109:110]
	s_waitcnt vmcnt(17)
	v_fma_f64 v[101:102], v[131:132], v[103:104], v[101:102]
	buffer_load_dword v110, off, s[0:3], 0 offset:372
	buffer_load_dword v123, off, s[0:3], 0 offset:384
	;; [unrolled: 1-line block ×6, first 2 shown]
	s_waitcnt vmcnt(22) lgkmcnt(0)
	v_fma_f64 v[101:102], v[125:126], v[105:106], v[101:102]
	s_waitcnt vmcnt(17)
	v_fma_f64 v[111:112], v[111:112], v[107:108], v[101:102]
	ds_read2_b64 v[101:104], v100 offset0:89 offset1:90
	buffer_load_dword v125, off, s[0:3], 0 offset:80
	buffer_load_dword v126, off, s[0:3], 0 offset:84
	ds_read2_b64 v[105:108], v100 offset0:91 offset1:92
	s_waitcnt vmcnt(18) lgkmcnt(1)
	v_fma_f64 v[101:102], v[119:120], v[101:102], v[111:112]
	s_waitcnt vmcnt(17)
	v_fma_f64 v[101:102], v[117:118], v[103:104], v[101:102]
	s_waitcnt vmcnt(16) lgkmcnt(0)
	v_fma_f64 v[101:102], v[113:114], v[105:106], v[101:102]
	s_waitcnt vmcnt(11)
	v_fma_f64 v[111:112], v[115:116], v[107:108], v[101:102]
	ds_read2_b64 v[101:104], v100 offset0:93 offset1:94
	ds_read2_b64 v[105:108], v100 offset0:95 offset1:96
	s_waitcnt vmcnt(10) lgkmcnt(1)
	v_fma_f64 v[101:102], v[129:130], v[101:102], v[111:112]
	s_waitcnt vmcnt(9)
	v_fma_f64 v[101:102], v[127:128], v[103:104], v[101:102]
	s_waitcnt vmcnt(8) lgkmcnt(0)
	v_fma_f64 v[101:102], v[121:122], v[105:106], v[101:102]
	s_waitcnt vmcnt(4)
	v_fma_f64 v[104:105], v[109:110], v[107:108], v[101:102]
	ds_read2_b64 v[100:103], v100 offset0:97 offset1:98
	s_waitcnt vmcnt(3) lgkmcnt(0)
	v_fma_f64 v[100:101], v[131:132], v[100:101], v[104:105]
	s_waitcnt vmcnt(2)
	v_fma_f64 v[100:101], v[123:124], v[102:103], v[100:101]
	s_waitcnt vmcnt(0)
	v_add_f64 v[100:101], v[125:126], -v[100:101]
	buffer_store_dword v101, off, s[0:3], 0 offset:84
	buffer_store_dword v100, off, s[0:3], 0 offset:80
	s_and_saveexec_b64 s[4:5], vcc
	s_cbranch_execz .LBB48_283
; %bb.282:
	buffer_load_dword v100, off, s[0:3], 0 offset:72
	buffer_load_dword v101, off, s[0:3], 0 offset:76
	v_mov_b32_e32 v102, 0
	buffer_store_dword v102, off, s[0:3], 0 offset:72
	buffer_store_dword v102, off, s[0:3], 0 offset:76
	s_waitcnt vmcnt(2)
	ds_write_b64 v99, v[100:101]
.LBB48_283:
	s_or_b64 exec, exec, s[4:5]
	s_waitcnt lgkmcnt(0)
	; wave barrier
	buffer_load_dword v109, off, s[0:3], 0 offset:80
	buffer_load_dword v110, off, s[0:3], 0 offset:84
	buffer_load_dword v111, off, s[0:3], 0 offset:88
	buffer_load_dword v112, off, s[0:3], 0 offset:92
	buffer_load_dword v113, off, s[0:3], 0 offset:96
	buffer_load_dword v114, off, s[0:3], 0 offset:100
	buffer_load_dword v115, off, s[0:3], 0 offset:104
	buffer_load_dword v116, off, s[0:3], 0 offset:108
	buffer_load_dword v117, off, s[0:3], 0 offset:112
	buffer_load_dword v118, off, s[0:3], 0 offset:116
	buffer_load_dword v119, off, s[0:3], 0 offset:120
	buffer_load_dword v120, off, s[0:3], 0 offset:124
	buffer_load_dword v121, off, s[0:3], 0 offset:128
	buffer_load_dword v122, off, s[0:3], 0 offset:132
	buffer_load_dword v124, off, s[0:3], 0 offset:140
	buffer_load_dword v125, off, s[0:3], 0 offset:160
	buffer_load_dword v127, off, s[0:3], 0 offset:152
	buffer_load_dword v129, off, s[0:3], 0 offset:144
	buffer_load_dword v123, off, s[0:3], 0 offset:136
	buffer_load_dword v130, off, s[0:3], 0 offset:148
	buffer_load_dword v128, off, s[0:3], 0 offset:156
	buffer_load_dword v126, off, s[0:3], 0 offset:164
	v_mov_b32_e32 v100, 0
	ds_read_b128 v[101:104], v100 offset:480
	ds_read_b128 v[105:108], v100 offset:496
	v_cmp_lt_u32_e32 vcc, 8, v0
	s_waitcnt vmcnt(20) lgkmcnt(1)
	v_fma_f64 v[101:102], v[109:110], v[101:102], 0
	s_waitcnt vmcnt(18)
	v_fma_f64 v[101:102], v[111:112], v[103:104], v[101:102]
	buffer_load_dword v110, off, s[0:3], 0 offset:172
	buffer_load_dword v111, off, s[0:3], 0 offset:192
	buffer_load_dword v131, off, s[0:3], 0 offset:184
	buffer_load_dword v133, off, s[0:3], 0 offset:176
	buffer_load_dword v109, off, s[0:3], 0 offset:168
	buffer_load_dword v134, off, s[0:3], 0 offset:180
	buffer_load_dword v132, off, s[0:3], 0 offset:188
	s_waitcnt vmcnt(23) lgkmcnt(0)
	v_fma_f64 v[101:102], v[113:114], v[105:106], v[101:102]
	s_waitcnt vmcnt(21)
	v_fma_f64 v[112:113], v[115:116], v[107:108], v[101:102]
	ds_read_b128 v[101:104], v100 offset:512
	ds_read_b128 v[105:108], v100 offset:528
	s_waitcnt vmcnt(19) lgkmcnt(1)
	v_fma_f64 v[101:102], v[117:118], v[101:102], v[112:113]
	buffer_load_dword v112, off, s[0:3], 0 offset:196
	s_waitcnt vmcnt(18)
	v_fma_f64 v[101:102], v[119:120], v[103:104], v[101:102]
	buffer_load_dword v114, off, s[0:3], 0 offset:204
	buffer_load_dword v115, off, s[0:3], 0 offset:224
	;; [unrolled: 1-line block ×8, first 2 shown]
	s_waitcnt vmcnt(24) lgkmcnt(0)
	v_fma_f64 v[101:102], v[121:122], v[105:106], v[101:102]
	s_waitcnt vmcnt(19)
	v_fma_f64 v[121:122], v[123:124], v[107:108], v[101:102]
	ds_read_b128 v[101:104], v100 offset:544
	ds_read_b128 v[105:108], v100 offset:560
	s_waitcnt vmcnt(18) lgkmcnt(1)
	v_fma_f64 v[101:102], v[129:130], v[101:102], v[121:122]
	s_waitcnt vmcnt(17)
	v_fma_f64 v[101:102], v[127:128], v[103:104], v[101:102]
	buffer_load_dword v122, off, s[0:3], 0 offset:236
	buffer_load_dword v123, off, s[0:3], 0 offset:256
	;; [unrolled: 1-line block ×8, first 2 shown]
	s_waitcnt vmcnt(24) lgkmcnt(0)
	v_fma_f64 v[101:102], v[125:126], v[105:106], v[101:102]
	s_waitcnt vmcnt(19)
	v_fma_f64 v[109:110], v[109:110], v[107:108], v[101:102]
	ds_read_b128 v[101:104], v100 offset:576
	ds_read_b128 v[105:108], v100 offset:592
	s_waitcnt vmcnt(18) lgkmcnt(1)
	v_fma_f64 v[101:102], v[133:134], v[101:102], v[109:110]
	s_waitcnt vmcnt(17)
	v_fma_f64 v[101:102], v[131:132], v[103:104], v[101:102]
	buffer_load_dword v110, off, s[0:3], 0 offset:268
	buffer_load_dword v125, off, s[0:3], 0 offset:288
	;; [unrolled: 1-line block ×7, first 2 shown]
	s_waitcnt vmcnt(23) lgkmcnt(0)
	v_fma_f64 v[101:102], v[111:112], v[105:106], v[101:102]
	s_waitcnt vmcnt(18)
	v_fma_f64 v[111:112], v[113:114], v[107:108], v[101:102]
	ds_read_b128 v[101:104], v100 offset:608
	ds_read_b128 v[105:108], v100 offset:624
	buffer_load_dword v126, off, s[0:3], 0 offset:292
	s_waitcnt vmcnt(18) lgkmcnt(1)
	v_fma_f64 v[101:102], v[119:120], v[101:102], v[111:112]
	s_waitcnt vmcnt(17)
	v_fma_f64 v[101:102], v[117:118], v[103:104], v[101:102]
	buffer_load_dword v112, off, s[0:3], 0 offset:300
	buffer_load_dword v113, off, s[0:3], 0 offset:320
	;; [unrolled: 1-line block ×7, first 2 shown]
	s_waitcnt vmcnt(23) lgkmcnt(0)
	v_fma_f64 v[101:102], v[115:116], v[105:106], v[101:102]
	s_waitcnt vmcnt(18)
	v_fma_f64 v[114:115], v[121:122], v[107:108], v[101:102]
	ds_read_b128 v[101:104], v100 offset:640
	ds_read_b128 v[105:108], v100 offset:656
	s_waitcnt vmcnt(17) lgkmcnt(1)
	v_fma_f64 v[101:102], v[129:130], v[101:102], v[114:115]
	buffer_load_dword v114, off, s[0:3], 0 offset:324
	s_waitcnt vmcnt(17)
	v_fma_f64 v[101:102], v[127:128], v[103:104], v[101:102]
	buffer_load_dword v116, off, s[0:3], 0 offset:332
	buffer_load_dword v121, off, s[0:3], 0 offset:352
	buffer_load_dword v127, off, s[0:3], 0 offset:344
	buffer_load_dword v129, off, s[0:3], 0 offset:336
	buffer_load_dword v115, off, s[0:3], 0 offset:328
	buffer_load_dword v130, off, s[0:3], 0 offset:340
	buffer_load_dword v128, off, s[0:3], 0 offset:348
	buffer_load_dword v122, off, s[0:3], 0 offset:356
	s_waitcnt vmcnt(24) lgkmcnt(0)
	v_fma_f64 v[101:102], v[123:124], v[105:106], v[101:102]
	s_waitcnt vmcnt(19)
	v_fma_f64 v[109:110], v[109:110], v[107:108], v[101:102]
	ds_read_b128 v[101:104], v100 offset:672
	ds_read_b128 v[105:108], v100 offset:688
	s_waitcnt vmcnt(18) lgkmcnt(1)
	v_fma_f64 v[101:102], v[133:134], v[101:102], v[109:110]
	s_waitcnt vmcnt(17)
	v_fma_f64 v[101:102], v[131:132], v[103:104], v[101:102]
	buffer_load_dword v110, off, s[0:3], 0 offset:364
	buffer_load_dword v123, off, s[0:3], 0 offset:384
	;; [unrolled: 1-line block ×8, first 2 shown]
	s_waitcnt vmcnt(24) lgkmcnt(0)
	v_fma_f64 v[101:102], v[125:126], v[105:106], v[101:102]
	s_waitcnt vmcnt(19)
	v_fma_f64 v[111:112], v[111:112], v[107:108], v[101:102]
	ds_read_b128 v[101:104], v100 offset:704
	ds_read_b128 v[105:108], v100 offset:720
	s_waitcnt vmcnt(18) lgkmcnt(1)
	v_fma_f64 v[101:102], v[119:120], v[101:102], v[111:112]
	buffer_load_dword v111, off, s[0:3], 0 offset:72
	buffer_load_dword v112, off, s[0:3], 0 offset:76
	s_waitcnt vmcnt(19)
	v_fma_f64 v[101:102], v[117:118], v[103:104], v[101:102]
	s_waitcnt vmcnt(18) lgkmcnt(0)
	v_fma_f64 v[101:102], v[113:114], v[105:106], v[101:102]
	s_waitcnt vmcnt(13)
	v_fma_f64 v[113:114], v[115:116], v[107:108], v[101:102]
	ds_read_b128 v[101:104], v100 offset:736
	ds_read_b128 v[105:108], v100 offset:752
	s_waitcnt vmcnt(12) lgkmcnt(1)
	v_fma_f64 v[101:102], v[129:130], v[101:102], v[113:114]
	s_waitcnt vmcnt(11)
	v_fma_f64 v[101:102], v[127:128], v[103:104], v[101:102]
	s_waitcnt vmcnt(10) lgkmcnt(0)
	v_fma_f64 v[101:102], v[121:122], v[105:106], v[101:102]
	s_waitcnt vmcnt(5)
	v_fma_f64 v[105:106], v[109:110], v[107:108], v[101:102]
	ds_read_b128 v[101:104], v100 offset:768
	ds_read_b64 v[107:108], v100 offset:784
	s_waitcnt vmcnt(4) lgkmcnt(1)
	v_fma_f64 v[101:102], v[133:134], v[101:102], v[105:106]
	s_waitcnt vmcnt(3)
	v_fma_f64 v[101:102], v[131:132], v[103:104], v[101:102]
	s_waitcnt vmcnt(2) lgkmcnt(0)
	v_fma_f64 v[101:102], v[123:124], v[107:108], v[101:102]
	s_waitcnt vmcnt(0)
	v_add_f64 v[101:102], v[111:112], -v[101:102]
	buffer_store_dword v102, off, s[0:3], 0 offset:76
	buffer_store_dword v101, off, s[0:3], 0 offset:72
	s_and_saveexec_b64 s[4:5], vcc
	s_cbranch_execz .LBB48_285
; %bb.284:
	buffer_load_dword v101, off, s[0:3], 0 offset:64
	buffer_load_dword v102, off, s[0:3], 0 offset:68
	s_waitcnt vmcnt(0)
	ds_write_b64 v99, v[101:102]
	buffer_store_dword v100, off, s[0:3], 0 offset:64
	buffer_store_dword v100, off, s[0:3], 0 offset:68
.LBB48_285:
	s_or_b64 exec, exec, s[4:5]
	s_waitcnt lgkmcnt(0)
	; wave barrier
	buffer_load_dword v109, off, s[0:3], 0 offset:72
	buffer_load_dword v110, off, s[0:3], 0 offset:76
	buffer_load_dword v111, off, s[0:3], 0 offset:80
	buffer_load_dword v112, off, s[0:3], 0 offset:84
	buffer_load_dword v113, off, s[0:3], 0 offset:88
	buffer_load_dword v114, off, s[0:3], 0 offset:92
	buffer_load_dword v115, off, s[0:3], 0 offset:96
	buffer_load_dword v116, off, s[0:3], 0 offset:100
	buffer_load_dword v117, off, s[0:3], 0 offset:104
	buffer_load_dword v118, off, s[0:3], 0 offset:108
	buffer_load_dword v119, off, s[0:3], 0 offset:112
	buffer_load_dword v120, off, s[0:3], 0 offset:116
	buffer_load_dword v121, off, s[0:3], 0 offset:120
	buffer_load_dword v122, off, s[0:3], 0 offset:124
	buffer_load_dword v124, off, s[0:3], 0 offset:132
	buffer_load_dword v125, off, s[0:3], 0 offset:152
	buffer_load_dword v127, off, s[0:3], 0 offset:144
	buffer_load_dword v129, off, s[0:3], 0 offset:136
	buffer_load_dword v123, off, s[0:3], 0 offset:128
	buffer_load_dword v130, off, s[0:3], 0 offset:140
	buffer_load_dword v128, off, s[0:3], 0 offset:148
	buffer_load_dword v126, off, s[0:3], 0 offset:156
	ds_read2_b64 v[101:104], v100 offset0:59 offset1:60
	ds_read2_b64 v[105:108], v100 offset0:61 offset1:62
	v_cmp_lt_u32_e32 vcc, 7, v0
	s_waitcnt vmcnt(20) lgkmcnt(1)
	v_fma_f64 v[101:102], v[109:110], v[101:102], 0
	s_waitcnt vmcnt(18)
	v_fma_f64 v[101:102], v[111:112], v[103:104], v[101:102]
	buffer_load_dword v110, off, s[0:3], 0 offset:164
	buffer_load_dword v111, off, s[0:3], 0 offset:184
	;; [unrolled: 1-line block ×7, first 2 shown]
	s_waitcnt vmcnt(23) lgkmcnt(0)
	v_fma_f64 v[101:102], v[113:114], v[105:106], v[101:102]
	s_waitcnt vmcnt(21)
	v_fma_f64 v[112:113], v[115:116], v[107:108], v[101:102]
	ds_read2_b64 v[101:104], v100 offset0:63 offset1:64
	ds_read2_b64 v[105:108], v100 offset0:65 offset1:66
	s_waitcnt vmcnt(19) lgkmcnt(1)
	v_fma_f64 v[101:102], v[117:118], v[101:102], v[112:113]
	buffer_load_dword v112, off, s[0:3], 0 offset:188
	s_waitcnt vmcnt(18)
	v_fma_f64 v[101:102], v[119:120], v[103:104], v[101:102]
	buffer_load_dword v114, off, s[0:3], 0 offset:196
	buffer_load_dword v115, off, s[0:3], 0 offset:216
	;; [unrolled: 1-line block ×8, first 2 shown]
	s_waitcnt vmcnt(24) lgkmcnt(0)
	v_fma_f64 v[101:102], v[121:122], v[105:106], v[101:102]
	s_waitcnt vmcnt(19)
	v_fma_f64 v[121:122], v[123:124], v[107:108], v[101:102]
	ds_read2_b64 v[101:104], v100 offset0:67 offset1:68
	ds_read2_b64 v[105:108], v100 offset0:69 offset1:70
	s_waitcnt vmcnt(18) lgkmcnt(1)
	v_fma_f64 v[101:102], v[129:130], v[101:102], v[121:122]
	s_waitcnt vmcnt(17)
	v_fma_f64 v[101:102], v[127:128], v[103:104], v[101:102]
	buffer_load_dword v122, off, s[0:3], 0 offset:228
	buffer_load_dword v123, off, s[0:3], 0 offset:248
	;; [unrolled: 1-line block ×8, first 2 shown]
	s_waitcnt vmcnt(24) lgkmcnt(0)
	v_fma_f64 v[101:102], v[125:126], v[105:106], v[101:102]
	s_waitcnt vmcnt(19)
	v_fma_f64 v[109:110], v[109:110], v[107:108], v[101:102]
	ds_read2_b64 v[101:104], v100 offset0:71 offset1:72
	ds_read2_b64 v[105:108], v100 offset0:73 offset1:74
	s_waitcnt vmcnt(18) lgkmcnt(1)
	v_fma_f64 v[101:102], v[133:134], v[101:102], v[109:110]
	s_waitcnt vmcnt(17)
	v_fma_f64 v[101:102], v[131:132], v[103:104], v[101:102]
	buffer_load_dword v110, off, s[0:3], 0 offset:260
	buffer_load_dword v125, off, s[0:3], 0 offset:280
	;; [unrolled: 1-line block ×7, first 2 shown]
	s_waitcnt vmcnt(23) lgkmcnt(0)
	v_fma_f64 v[101:102], v[111:112], v[105:106], v[101:102]
	s_waitcnt vmcnt(18)
	v_fma_f64 v[111:112], v[113:114], v[107:108], v[101:102]
	ds_read2_b64 v[101:104], v100 offset0:75 offset1:76
	ds_read2_b64 v[105:108], v100 offset0:77 offset1:78
	buffer_load_dword v126, off, s[0:3], 0 offset:284
	s_waitcnt vmcnt(18) lgkmcnt(1)
	v_fma_f64 v[101:102], v[119:120], v[101:102], v[111:112]
	s_waitcnt vmcnt(17)
	v_fma_f64 v[101:102], v[117:118], v[103:104], v[101:102]
	buffer_load_dword v112, off, s[0:3], 0 offset:292
	buffer_load_dword v113, off, s[0:3], 0 offset:312
	;; [unrolled: 1-line block ×7, first 2 shown]
	s_waitcnt vmcnt(23) lgkmcnt(0)
	v_fma_f64 v[101:102], v[115:116], v[105:106], v[101:102]
	s_waitcnt vmcnt(18)
	v_fma_f64 v[114:115], v[121:122], v[107:108], v[101:102]
	ds_read2_b64 v[101:104], v100 offset0:79 offset1:80
	ds_read2_b64 v[105:108], v100 offset0:81 offset1:82
	s_waitcnt vmcnt(17) lgkmcnt(1)
	v_fma_f64 v[101:102], v[129:130], v[101:102], v[114:115]
	buffer_load_dword v114, off, s[0:3], 0 offset:316
	s_waitcnt vmcnt(17)
	v_fma_f64 v[101:102], v[127:128], v[103:104], v[101:102]
	buffer_load_dword v116, off, s[0:3], 0 offset:324
	buffer_load_dword v121, off, s[0:3], 0 offset:344
	;; [unrolled: 1-line block ×8, first 2 shown]
	s_waitcnt vmcnt(24) lgkmcnt(0)
	v_fma_f64 v[101:102], v[123:124], v[105:106], v[101:102]
	s_waitcnt vmcnt(19)
	v_fma_f64 v[109:110], v[109:110], v[107:108], v[101:102]
	ds_read2_b64 v[101:104], v100 offset0:83 offset1:84
	ds_read2_b64 v[105:108], v100 offset0:85 offset1:86
	s_waitcnt vmcnt(18) lgkmcnt(1)
	v_fma_f64 v[101:102], v[133:134], v[101:102], v[109:110]
	s_waitcnt vmcnt(17)
	v_fma_f64 v[101:102], v[131:132], v[103:104], v[101:102]
	buffer_load_dword v110, off, s[0:3], 0 offset:356
	buffer_load_dword v123, off, s[0:3], 0 offset:376
	;; [unrolled: 1-line block ×8, first 2 shown]
	s_waitcnt vmcnt(24) lgkmcnt(0)
	v_fma_f64 v[101:102], v[125:126], v[105:106], v[101:102]
	s_waitcnt vmcnt(19)
	v_fma_f64 v[111:112], v[111:112], v[107:108], v[101:102]
	ds_read2_b64 v[101:104], v100 offset0:87 offset1:88
	ds_read2_b64 v[105:108], v100 offset0:89 offset1:90
	s_waitcnt vmcnt(18) lgkmcnt(1)
	v_fma_f64 v[101:102], v[119:120], v[101:102], v[111:112]
	buffer_load_dword v112, off, s[0:3], 0 offset:388
	buffer_load_dword v111, off, s[0:3], 0 offset:384
	s_waitcnt vmcnt(19)
	v_fma_f64 v[101:102], v[117:118], v[103:104], v[101:102]
	buffer_load_dword v117, off, s[0:3], 0 offset:64
	buffer_load_dword v118, off, s[0:3], 0 offset:68
	s_waitcnt vmcnt(20) lgkmcnt(0)
	v_fma_f64 v[101:102], v[113:114], v[105:106], v[101:102]
	s_waitcnt vmcnt(15)
	v_fma_f64 v[113:114], v[115:116], v[107:108], v[101:102]
	ds_read2_b64 v[101:104], v100 offset0:91 offset1:92
	ds_read2_b64 v[105:108], v100 offset0:93 offset1:94
	s_waitcnt vmcnt(14) lgkmcnt(1)
	v_fma_f64 v[101:102], v[129:130], v[101:102], v[113:114]
	s_waitcnt vmcnt(13)
	v_fma_f64 v[101:102], v[127:128], v[103:104], v[101:102]
	s_waitcnt vmcnt(12) lgkmcnt(0)
	v_fma_f64 v[101:102], v[121:122], v[105:106], v[101:102]
	s_waitcnt vmcnt(7)
	v_fma_f64 v[109:110], v[109:110], v[107:108], v[101:102]
	ds_read2_b64 v[101:104], v100 offset0:95 offset1:96
	ds_read2_b64 v[105:108], v100 offset0:97 offset1:98
	s_waitcnt vmcnt(6) lgkmcnt(1)
	v_fma_f64 v[100:101], v[133:134], v[101:102], v[109:110]
	s_waitcnt vmcnt(5)
	v_fma_f64 v[100:101], v[131:132], v[103:104], v[100:101]
	s_waitcnt vmcnt(4) lgkmcnt(0)
	v_fma_f64 v[100:101], v[123:124], v[105:106], v[100:101]
	s_waitcnt vmcnt(2)
	v_fma_f64 v[100:101], v[111:112], v[107:108], v[100:101]
	s_waitcnt vmcnt(0)
	v_add_f64 v[100:101], v[117:118], -v[100:101]
	buffer_store_dword v101, off, s[0:3], 0 offset:68
	buffer_store_dword v100, off, s[0:3], 0 offset:64
	s_and_saveexec_b64 s[4:5], vcc
	s_cbranch_execz .LBB48_287
; %bb.286:
	buffer_load_dword v100, off, s[0:3], 0 offset:56
	buffer_load_dword v101, off, s[0:3], 0 offset:60
	v_mov_b32_e32 v102, 0
	buffer_store_dword v102, off, s[0:3], 0 offset:56
	buffer_store_dword v102, off, s[0:3], 0 offset:60
	s_waitcnt vmcnt(2)
	ds_write_b64 v99, v[100:101]
.LBB48_287:
	s_or_b64 exec, exec, s[4:5]
	s_waitcnt lgkmcnt(0)
	; wave barrier
	buffer_load_dword v109, off, s[0:3], 0 offset:64
	buffer_load_dword v110, off, s[0:3], 0 offset:68
	;; [unrolled: 1-line block ×22, first 2 shown]
	v_mov_b32_e32 v100, 0
	ds_read_b128 v[101:104], v100 offset:464
	ds_read_b128 v[105:108], v100 offset:480
	v_cmp_lt_u32_e32 vcc, 6, v0
	s_waitcnt vmcnt(20) lgkmcnt(1)
	v_fma_f64 v[101:102], v[109:110], v[101:102], 0
	s_waitcnt vmcnt(18)
	v_fma_f64 v[101:102], v[111:112], v[103:104], v[101:102]
	buffer_load_dword v110, off, s[0:3], 0 offset:156
	buffer_load_dword v111, off, s[0:3], 0 offset:176
	;; [unrolled: 1-line block ×7, first 2 shown]
	s_waitcnt vmcnt(23) lgkmcnt(0)
	v_fma_f64 v[101:102], v[113:114], v[105:106], v[101:102]
	s_waitcnt vmcnt(21)
	v_fma_f64 v[112:113], v[115:116], v[107:108], v[101:102]
	ds_read_b128 v[101:104], v100 offset:496
	ds_read_b128 v[105:108], v100 offset:512
	s_waitcnt vmcnt(19) lgkmcnt(1)
	v_fma_f64 v[101:102], v[117:118], v[101:102], v[112:113]
	buffer_load_dword v112, off, s[0:3], 0 offset:180
	s_waitcnt vmcnt(18)
	v_fma_f64 v[101:102], v[119:120], v[103:104], v[101:102]
	buffer_load_dword v114, off, s[0:3], 0 offset:188
	buffer_load_dword v115, off, s[0:3], 0 offset:208
	;; [unrolled: 1-line block ×7, first 2 shown]
	s_waitcnt vmcnt(23) lgkmcnt(0)
	v_fma_f64 v[101:102], v[121:122], v[105:106], v[101:102]
	s_waitcnt vmcnt(18)
	v_fma_f64 v[121:122], v[123:124], v[107:108], v[101:102]
	ds_read_b128 v[101:104], v100 offset:528
	ds_read_b128 v[105:108], v100 offset:544
	buffer_load_dword v116, off, s[0:3], 0 offset:212
	s_waitcnt vmcnt(18) lgkmcnt(1)
	v_fma_f64 v[101:102], v[129:130], v[101:102], v[121:122]
	s_waitcnt vmcnt(17)
	v_fma_f64 v[101:102], v[127:128], v[103:104], v[101:102]
	buffer_load_dword v122, off, s[0:3], 0 offset:220
	buffer_load_dword v123, off, s[0:3], 0 offset:240
	;; [unrolled: 1-line block ×8, first 2 shown]
	s_waitcnt vmcnt(24) lgkmcnt(0)
	v_fma_f64 v[101:102], v[125:126], v[105:106], v[101:102]
	s_waitcnt vmcnt(19)
	v_fma_f64 v[109:110], v[109:110], v[107:108], v[101:102]
	ds_read_b128 v[101:104], v100 offset:560
	ds_read_b128 v[105:108], v100 offset:576
	s_waitcnt vmcnt(18) lgkmcnt(1)
	v_fma_f64 v[101:102], v[133:134], v[101:102], v[109:110]
	s_waitcnt vmcnt(17)
	v_fma_f64 v[101:102], v[131:132], v[103:104], v[101:102]
	buffer_load_dword v110, off, s[0:3], 0 offset:252
	buffer_load_dword v125, off, s[0:3], 0 offset:272
	;; [unrolled: 1-line block ×7, first 2 shown]
	s_waitcnt vmcnt(23) lgkmcnt(0)
	v_fma_f64 v[101:102], v[111:112], v[105:106], v[101:102]
	s_waitcnt vmcnt(18)
	v_fma_f64 v[111:112], v[113:114], v[107:108], v[101:102]
	ds_read_b128 v[101:104], v100 offset:592
	ds_read_b128 v[105:108], v100 offset:608
	buffer_load_dword v126, off, s[0:3], 0 offset:276
	s_waitcnt vmcnt(18) lgkmcnt(1)
	v_fma_f64 v[101:102], v[119:120], v[101:102], v[111:112]
	s_waitcnt vmcnt(17)
	v_fma_f64 v[101:102], v[117:118], v[103:104], v[101:102]
	buffer_load_dword v112, off, s[0:3], 0 offset:284
	buffer_load_dword v113, off, s[0:3], 0 offset:304
	;; [unrolled: 1-line block ×7, first 2 shown]
	s_waitcnt vmcnt(23) lgkmcnt(0)
	v_fma_f64 v[101:102], v[115:116], v[105:106], v[101:102]
	s_waitcnt vmcnt(18)
	v_fma_f64 v[114:115], v[121:122], v[107:108], v[101:102]
	ds_read_b128 v[101:104], v100 offset:624
	ds_read_b128 v[105:108], v100 offset:640
	s_waitcnt vmcnt(17) lgkmcnt(1)
	v_fma_f64 v[101:102], v[129:130], v[101:102], v[114:115]
	buffer_load_dword v114, off, s[0:3], 0 offset:308
	s_waitcnt vmcnt(17)
	v_fma_f64 v[101:102], v[127:128], v[103:104], v[101:102]
	buffer_load_dword v116, off, s[0:3], 0 offset:316
	buffer_load_dword v121, off, s[0:3], 0 offset:336
	;; [unrolled: 1-line block ×8, first 2 shown]
	s_waitcnt vmcnt(24) lgkmcnt(0)
	v_fma_f64 v[101:102], v[123:124], v[105:106], v[101:102]
	s_waitcnt vmcnt(19)
	v_fma_f64 v[109:110], v[109:110], v[107:108], v[101:102]
	ds_read_b128 v[101:104], v100 offset:656
	ds_read_b128 v[105:108], v100 offset:672
	s_waitcnt vmcnt(18) lgkmcnt(1)
	v_fma_f64 v[101:102], v[133:134], v[101:102], v[109:110]
	s_waitcnt vmcnt(17)
	v_fma_f64 v[101:102], v[131:132], v[103:104], v[101:102]
	buffer_load_dword v110, off, s[0:3], 0 offset:348
	buffer_load_dword v123, off, s[0:3], 0 offset:368
	;; [unrolled: 1-line block ×7, first 2 shown]
	s_waitcnt vmcnt(23) lgkmcnt(0)
	v_fma_f64 v[101:102], v[125:126], v[105:106], v[101:102]
	s_waitcnt vmcnt(18)
	v_fma_f64 v[111:112], v[111:112], v[107:108], v[101:102]
	ds_read_b128 v[101:104], v100 offset:688
	ds_read_b128 v[105:108], v100 offset:704
	buffer_load_dword v124, off, s[0:3], 0 offset:372
	s_waitcnt vmcnt(18) lgkmcnt(1)
	v_fma_f64 v[101:102], v[119:120], v[101:102], v[111:112]
	s_waitcnt vmcnt(17)
	v_fma_f64 v[101:102], v[117:118], v[103:104], v[101:102]
	buffer_load_dword v112, off, s[0:3], 0 offset:380
	buffer_load_dword v117, off, s[0:3], 0 offset:384
	;; [unrolled: 1-line block ×4, first 2 shown]
	s_waitcnt vmcnt(20) lgkmcnt(0)
	v_fma_f64 v[101:102], v[113:114], v[105:106], v[101:102]
	buffer_load_dword v113, off, s[0:3], 0 offset:56
	buffer_load_dword v114, off, s[0:3], 0 offset:60
	s_waitcnt vmcnt(17)
	v_fma_f64 v[115:116], v[115:116], v[107:108], v[101:102]
	ds_read_b128 v[101:104], v100 offset:720
	ds_read_b128 v[105:108], v100 offset:736
	s_waitcnt vmcnt(16) lgkmcnt(1)
	v_fma_f64 v[101:102], v[129:130], v[101:102], v[115:116]
	s_waitcnt vmcnt(15)
	v_fma_f64 v[101:102], v[127:128], v[103:104], v[101:102]
	s_waitcnt vmcnt(14) lgkmcnt(0)
	v_fma_f64 v[101:102], v[121:122], v[105:106], v[101:102]
	s_waitcnt vmcnt(9)
	v_fma_f64 v[109:110], v[109:110], v[107:108], v[101:102]
	ds_read_b128 v[101:104], v100 offset:752
	ds_read_b128 v[105:108], v100 offset:768
	s_waitcnt vmcnt(8) lgkmcnt(1)
	v_fma_f64 v[101:102], v[133:134], v[101:102], v[109:110]
	s_waitcnt vmcnt(7)
	v_fma_f64 v[101:102], v[131:132], v[103:104], v[101:102]
	ds_read_b64 v[103:104], v100 offset:784
	s_waitcnt vmcnt(6) lgkmcnt(1)
	v_fma_f64 v[101:102], v[123:124], v[105:106], v[101:102]
	s_waitcnt vmcnt(3)
	v_fma_f64 v[101:102], v[111:112], v[107:108], v[101:102]
	s_waitcnt vmcnt(2) lgkmcnt(0)
	v_fma_f64 v[101:102], v[117:118], v[103:104], v[101:102]
	s_waitcnt vmcnt(0)
	v_add_f64 v[101:102], v[113:114], -v[101:102]
	buffer_store_dword v102, off, s[0:3], 0 offset:60
	buffer_store_dword v101, off, s[0:3], 0 offset:56
	s_and_saveexec_b64 s[4:5], vcc
	s_cbranch_execz .LBB48_289
; %bb.288:
	buffer_load_dword v101, off, s[0:3], 0 offset:48
	buffer_load_dword v102, off, s[0:3], 0 offset:52
	s_waitcnt vmcnt(0)
	ds_write_b64 v99, v[101:102]
	buffer_store_dword v100, off, s[0:3], 0 offset:48
	buffer_store_dword v100, off, s[0:3], 0 offset:52
.LBB48_289:
	s_or_b64 exec, exec, s[4:5]
	s_waitcnt lgkmcnt(0)
	; wave barrier
	buffer_load_dword v109, off, s[0:3], 0 offset:56
	buffer_load_dword v110, off, s[0:3], 0 offset:60
	;; [unrolled: 1-line block ×22, first 2 shown]
	ds_read2_b64 v[101:104], v100 offset0:57 offset1:58
	ds_read2_b64 v[105:108], v100 offset0:59 offset1:60
	v_cmp_lt_u32_e32 vcc, 5, v0
	s_waitcnt vmcnt(20) lgkmcnt(1)
	v_fma_f64 v[101:102], v[109:110], v[101:102], 0
	s_waitcnt vmcnt(18)
	v_fma_f64 v[101:102], v[111:112], v[103:104], v[101:102]
	buffer_load_dword v110, off, s[0:3], 0 offset:148
	buffer_load_dword v111, off, s[0:3], 0 offset:168
	buffer_load_dword v131, off, s[0:3], 0 offset:160
	buffer_load_dword v133, off, s[0:3], 0 offset:152
	buffer_load_dword v109, off, s[0:3], 0 offset:144
	buffer_load_dword v134, off, s[0:3], 0 offset:156
	buffer_load_dword v132, off, s[0:3], 0 offset:164
	s_waitcnt vmcnt(23) lgkmcnt(0)
	v_fma_f64 v[101:102], v[113:114], v[105:106], v[101:102]
	s_waitcnt vmcnt(21)
	v_fma_f64 v[112:113], v[115:116], v[107:108], v[101:102]
	ds_read2_b64 v[101:104], v100 offset0:61 offset1:62
	ds_read2_b64 v[105:108], v100 offset0:63 offset1:64
	s_waitcnt vmcnt(19) lgkmcnt(1)
	v_fma_f64 v[101:102], v[117:118], v[101:102], v[112:113]
	buffer_load_dword v112, off, s[0:3], 0 offset:172
	s_waitcnt vmcnt(18)
	v_fma_f64 v[101:102], v[119:120], v[103:104], v[101:102]
	buffer_load_dword v114, off, s[0:3], 0 offset:180
	buffer_load_dword v115, off, s[0:3], 0 offset:200
	;; [unrolled: 1-line block ×7, first 2 shown]
	s_waitcnt vmcnt(23) lgkmcnt(0)
	v_fma_f64 v[101:102], v[121:122], v[105:106], v[101:102]
	s_waitcnt vmcnt(18)
	v_fma_f64 v[121:122], v[123:124], v[107:108], v[101:102]
	ds_read2_b64 v[101:104], v100 offset0:65 offset1:66
	ds_read2_b64 v[105:108], v100 offset0:67 offset1:68
	buffer_load_dword v116, off, s[0:3], 0 offset:204
	s_waitcnt vmcnt(18) lgkmcnt(1)
	v_fma_f64 v[101:102], v[129:130], v[101:102], v[121:122]
	s_waitcnt vmcnt(17)
	v_fma_f64 v[101:102], v[127:128], v[103:104], v[101:102]
	buffer_load_dword v122, off, s[0:3], 0 offset:212
	buffer_load_dword v123, off, s[0:3], 0 offset:232
	;; [unrolled: 1-line block ×8, first 2 shown]
	s_waitcnt vmcnt(24) lgkmcnt(0)
	v_fma_f64 v[101:102], v[125:126], v[105:106], v[101:102]
	s_waitcnt vmcnt(19)
	v_fma_f64 v[109:110], v[109:110], v[107:108], v[101:102]
	ds_read2_b64 v[101:104], v100 offset0:69 offset1:70
	ds_read2_b64 v[105:108], v100 offset0:71 offset1:72
	s_waitcnt vmcnt(18) lgkmcnt(1)
	v_fma_f64 v[101:102], v[133:134], v[101:102], v[109:110]
	s_waitcnt vmcnt(17)
	v_fma_f64 v[101:102], v[131:132], v[103:104], v[101:102]
	buffer_load_dword v110, off, s[0:3], 0 offset:244
	buffer_load_dword v125, off, s[0:3], 0 offset:264
	;; [unrolled: 1-line block ×8, first 2 shown]
	s_waitcnt vmcnt(24) lgkmcnt(0)
	v_fma_f64 v[101:102], v[111:112], v[105:106], v[101:102]
	s_waitcnt vmcnt(19)
	v_fma_f64 v[111:112], v[113:114], v[107:108], v[101:102]
	ds_read2_b64 v[101:104], v100 offset0:73 offset1:74
	ds_read2_b64 v[105:108], v100 offset0:75 offset1:76
	s_waitcnt vmcnt(18) lgkmcnt(1)
	v_fma_f64 v[101:102], v[119:120], v[101:102], v[111:112]
	s_waitcnt vmcnt(17)
	v_fma_f64 v[101:102], v[117:118], v[103:104], v[101:102]
	buffer_load_dword v112, off, s[0:3], 0 offset:276
	buffer_load_dword v113, off, s[0:3], 0 offset:296
	;; [unrolled: 1-line block ×7, first 2 shown]
	s_waitcnt vmcnt(23) lgkmcnt(0)
	v_fma_f64 v[101:102], v[115:116], v[105:106], v[101:102]
	s_waitcnt vmcnt(18)
	v_fma_f64 v[114:115], v[121:122], v[107:108], v[101:102]
	ds_read2_b64 v[101:104], v100 offset0:77 offset1:78
	ds_read2_b64 v[105:108], v100 offset0:79 offset1:80
	s_waitcnt vmcnt(17) lgkmcnt(1)
	v_fma_f64 v[101:102], v[129:130], v[101:102], v[114:115]
	buffer_load_dword v114, off, s[0:3], 0 offset:300
	s_waitcnt vmcnt(17)
	v_fma_f64 v[101:102], v[127:128], v[103:104], v[101:102]
	buffer_load_dword v116, off, s[0:3], 0 offset:308
	buffer_load_dword v121, off, s[0:3], 0 offset:328
	;; [unrolled: 1-line block ×8, first 2 shown]
	s_waitcnt vmcnt(24) lgkmcnt(0)
	v_fma_f64 v[101:102], v[123:124], v[105:106], v[101:102]
	s_waitcnt vmcnt(19)
	v_fma_f64 v[109:110], v[109:110], v[107:108], v[101:102]
	ds_read2_b64 v[101:104], v100 offset0:81 offset1:82
	ds_read2_b64 v[105:108], v100 offset0:83 offset1:84
	s_waitcnt vmcnt(18) lgkmcnt(1)
	v_fma_f64 v[101:102], v[133:134], v[101:102], v[109:110]
	s_waitcnt vmcnt(17)
	v_fma_f64 v[101:102], v[131:132], v[103:104], v[101:102]
	buffer_load_dword v110, off, s[0:3], 0 offset:340
	buffer_load_dword v123, off, s[0:3], 0 offset:360
	;; [unrolled: 1-line block ×8, first 2 shown]
	s_waitcnt vmcnt(24) lgkmcnt(0)
	v_fma_f64 v[101:102], v[125:126], v[105:106], v[101:102]
	s_waitcnt vmcnt(19)
	v_fma_f64 v[111:112], v[111:112], v[107:108], v[101:102]
	ds_read2_b64 v[101:104], v100 offset0:85 offset1:86
	ds_read2_b64 v[105:108], v100 offset0:87 offset1:88
	s_waitcnt vmcnt(18) lgkmcnt(1)
	v_fma_f64 v[101:102], v[119:120], v[101:102], v[111:112]
	s_waitcnt vmcnt(17)
	v_fma_f64 v[101:102], v[117:118], v[103:104], v[101:102]
	buffer_load_dword v112, off, s[0:3], 0 offset:372
	buffer_load_dword v117, off, s[0:3], 0 offset:384
	;; [unrolled: 1-line block ×6, first 2 shown]
	s_waitcnt vmcnt(22) lgkmcnt(0)
	v_fma_f64 v[101:102], v[113:114], v[105:106], v[101:102]
	s_waitcnt vmcnt(17)
	v_fma_f64 v[113:114], v[115:116], v[107:108], v[101:102]
	ds_read2_b64 v[101:104], v100 offset0:89 offset1:90
	buffer_load_dword v115, off, s[0:3], 0 offset:48
	buffer_load_dword v116, off, s[0:3], 0 offset:52
	ds_read2_b64 v[105:108], v100 offset0:91 offset1:92
	s_waitcnt vmcnt(18) lgkmcnt(1)
	v_fma_f64 v[101:102], v[129:130], v[101:102], v[113:114]
	s_waitcnt vmcnt(17)
	v_fma_f64 v[101:102], v[127:128], v[103:104], v[101:102]
	s_waitcnt vmcnt(16) lgkmcnt(0)
	v_fma_f64 v[101:102], v[121:122], v[105:106], v[101:102]
	s_waitcnt vmcnt(11)
	v_fma_f64 v[109:110], v[109:110], v[107:108], v[101:102]
	ds_read2_b64 v[101:104], v100 offset0:93 offset1:94
	ds_read2_b64 v[105:108], v100 offset0:95 offset1:96
	s_waitcnt vmcnt(10) lgkmcnt(1)
	v_fma_f64 v[101:102], v[133:134], v[101:102], v[109:110]
	s_waitcnt vmcnt(9)
	v_fma_f64 v[101:102], v[131:132], v[103:104], v[101:102]
	s_waitcnt vmcnt(8) lgkmcnt(0)
	v_fma_f64 v[101:102], v[123:124], v[105:106], v[101:102]
	s_waitcnt vmcnt(4)
	v_fma_f64 v[104:105], v[111:112], v[107:108], v[101:102]
	ds_read2_b64 v[100:103], v100 offset0:97 offset1:98
	s_waitcnt vmcnt(3) lgkmcnt(0)
	v_fma_f64 v[100:101], v[119:120], v[100:101], v[104:105]
	s_waitcnt vmcnt(2)
	v_fma_f64 v[100:101], v[117:118], v[102:103], v[100:101]
	s_waitcnt vmcnt(0)
	v_add_f64 v[100:101], v[115:116], -v[100:101]
	buffer_store_dword v101, off, s[0:3], 0 offset:52
	buffer_store_dword v100, off, s[0:3], 0 offset:48
	s_and_saveexec_b64 s[4:5], vcc
	s_cbranch_execz .LBB48_291
; %bb.290:
	buffer_load_dword v100, off, s[0:3], 0 offset:40
	buffer_load_dword v101, off, s[0:3], 0 offset:44
	v_mov_b32_e32 v102, 0
	buffer_store_dword v102, off, s[0:3], 0 offset:40
	buffer_store_dword v102, off, s[0:3], 0 offset:44
	s_waitcnt vmcnt(2)
	ds_write_b64 v99, v[100:101]
.LBB48_291:
	s_or_b64 exec, exec, s[4:5]
	s_waitcnt lgkmcnt(0)
	; wave barrier
	buffer_load_dword v109, off, s[0:3], 0 offset:48
	buffer_load_dword v110, off, s[0:3], 0 offset:52
	;; [unrolled: 1-line block ×22, first 2 shown]
	v_mov_b32_e32 v100, 0
	ds_read_b128 v[101:104], v100 offset:448
	ds_read_b128 v[105:108], v100 offset:464
	v_cmp_lt_u32_e32 vcc, 4, v0
	s_waitcnt vmcnt(20) lgkmcnt(1)
	v_fma_f64 v[101:102], v[109:110], v[101:102], 0
	s_waitcnt vmcnt(18)
	v_fma_f64 v[101:102], v[111:112], v[103:104], v[101:102]
	buffer_load_dword v110, off, s[0:3], 0 offset:140
	buffer_load_dword v111, off, s[0:3], 0 offset:160
	;; [unrolled: 1-line block ×7, first 2 shown]
	s_waitcnt vmcnt(23) lgkmcnt(0)
	v_fma_f64 v[101:102], v[113:114], v[105:106], v[101:102]
	s_waitcnt vmcnt(21)
	v_fma_f64 v[112:113], v[115:116], v[107:108], v[101:102]
	ds_read_b128 v[101:104], v100 offset:480
	ds_read_b128 v[105:108], v100 offset:496
	s_waitcnt vmcnt(19) lgkmcnt(1)
	v_fma_f64 v[101:102], v[117:118], v[101:102], v[112:113]
	buffer_load_dword v112, off, s[0:3], 0 offset:164
	s_waitcnt vmcnt(18)
	v_fma_f64 v[101:102], v[119:120], v[103:104], v[101:102]
	buffer_load_dword v114, off, s[0:3], 0 offset:172
	buffer_load_dword v115, off, s[0:3], 0 offset:192
	;; [unrolled: 1-line block ×7, first 2 shown]
	s_waitcnt vmcnt(23) lgkmcnt(0)
	v_fma_f64 v[101:102], v[121:122], v[105:106], v[101:102]
	s_waitcnt vmcnt(18)
	v_fma_f64 v[121:122], v[123:124], v[107:108], v[101:102]
	ds_read_b128 v[101:104], v100 offset:512
	ds_read_b128 v[105:108], v100 offset:528
	buffer_load_dword v116, off, s[0:3], 0 offset:196
	s_waitcnt vmcnt(18) lgkmcnt(1)
	v_fma_f64 v[101:102], v[129:130], v[101:102], v[121:122]
	s_waitcnt vmcnt(17)
	v_fma_f64 v[101:102], v[127:128], v[103:104], v[101:102]
	buffer_load_dword v122, off, s[0:3], 0 offset:204
	buffer_load_dword v123, off, s[0:3], 0 offset:224
	;; [unrolled: 1-line block ×8, first 2 shown]
	s_waitcnt vmcnt(24) lgkmcnt(0)
	v_fma_f64 v[101:102], v[125:126], v[105:106], v[101:102]
	s_waitcnt vmcnt(19)
	v_fma_f64 v[109:110], v[109:110], v[107:108], v[101:102]
	ds_read_b128 v[101:104], v100 offset:544
	ds_read_b128 v[105:108], v100 offset:560
	s_waitcnt vmcnt(18) lgkmcnt(1)
	v_fma_f64 v[101:102], v[133:134], v[101:102], v[109:110]
	s_waitcnt vmcnt(17)
	v_fma_f64 v[101:102], v[131:132], v[103:104], v[101:102]
	buffer_load_dword v110, off, s[0:3], 0 offset:236
	buffer_load_dword v125, off, s[0:3], 0 offset:256
	;; [unrolled: 1-line block ×8, first 2 shown]
	s_waitcnt vmcnt(24) lgkmcnt(0)
	v_fma_f64 v[101:102], v[111:112], v[105:106], v[101:102]
	s_waitcnt vmcnt(19)
	v_fma_f64 v[111:112], v[113:114], v[107:108], v[101:102]
	ds_read_b128 v[101:104], v100 offset:576
	ds_read_b128 v[105:108], v100 offset:592
	s_waitcnt vmcnt(18) lgkmcnt(1)
	v_fma_f64 v[101:102], v[119:120], v[101:102], v[111:112]
	s_waitcnt vmcnt(17)
	v_fma_f64 v[101:102], v[117:118], v[103:104], v[101:102]
	buffer_load_dword v112, off, s[0:3], 0 offset:268
	buffer_load_dword v113, off, s[0:3], 0 offset:288
	buffer_load_dword v117, off, s[0:3], 0 offset:280
	buffer_load_dword v119, off, s[0:3], 0 offset:272
	buffer_load_dword v111, off, s[0:3], 0 offset:264
	buffer_load_dword v120, off, s[0:3], 0 offset:276
	buffer_load_dword v118, off, s[0:3], 0 offset:284
	s_waitcnt vmcnt(23) lgkmcnt(0)
	v_fma_f64 v[101:102], v[115:116], v[105:106], v[101:102]
	s_waitcnt vmcnt(18)
	v_fma_f64 v[114:115], v[121:122], v[107:108], v[101:102]
	ds_read_b128 v[101:104], v100 offset:608
	ds_read_b128 v[105:108], v100 offset:624
	s_waitcnt vmcnt(17) lgkmcnt(1)
	v_fma_f64 v[101:102], v[129:130], v[101:102], v[114:115]
	buffer_load_dword v114, off, s[0:3], 0 offset:292
	s_waitcnt vmcnt(17)
	v_fma_f64 v[101:102], v[127:128], v[103:104], v[101:102]
	buffer_load_dword v116, off, s[0:3], 0 offset:300
	buffer_load_dword v121, off, s[0:3], 0 offset:320
	buffer_load_dword v127, off, s[0:3], 0 offset:312
	buffer_load_dword v129, off, s[0:3], 0 offset:304
	buffer_load_dword v115, off, s[0:3], 0 offset:296
	buffer_load_dword v130, off, s[0:3], 0 offset:308
	buffer_load_dword v128, off, s[0:3], 0 offset:316
	buffer_load_dword v122, off, s[0:3], 0 offset:324
	s_waitcnt vmcnt(24) lgkmcnt(0)
	v_fma_f64 v[101:102], v[123:124], v[105:106], v[101:102]
	s_waitcnt vmcnt(19)
	v_fma_f64 v[109:110], v[109:110], v[107:108], v[101:102]
	ds_read_b128 v[101:104], v100 offset:640
	ds_read_b128 v[105:108], v100 offset:656
	s_waitcnt vmcnt(18) lgkmcnt(1)
	v_fma_f64 v[101:102], v[133:134], v[101:102], v[109:110]
	s_waitcnt vmcnt(17)
	v_fma_f64 v[101:102], v[131:132], v[103:104], v[101:102]
	buffer_load_dword v110, off, s[0:3], 0 offset:332
	buffer_load_dword v123, off, s[0:3], 0 offset:352
	buffer_load_dword v131, off, s[0:3], 0 offset:344
	buffer_load_dword v133, off, s[0:3], 0 offset:336
	buffer_load_dword v109, off, s[0:3], 0 offset:328
	buffer_load_dword v134, off, s[0:3], 0 offset:340
	buffer_load_dword v132, off, s[0:3], 0 offset:348
	buffer_load_dword v124, off, s[0:3], 0 offset:356
	s_waitcnt vmcnt(24) lgkmcnt(0)
	v_fma_f64 v[101:102], v[125:126], v[105:106], v[101:102]
	s_waitcnt vmcnt(19)
	v_fma_f64 v[111:112], v[111:112], v[107:108], v[101:102]
	ds_read_b128 v[101:104], v100 offset:672
	ds_read_b128 v[105:108], v100 offset:688
	s_waitcnt vmcnt(18) lgkmcnt(1)
	v_fma_f64 v[101:102], v[119:120], v[101:102], v[111:112]
	;; [unrolled: 18-line block ×3, first 2 shown]
	buffer_load_dword v113, off, s[0:3], 0 offset:40
	buffer_load_dword v114, off, s[0:3], 0 offset:44
	s_waitcnt vmcnt(19)
	v_fma_f64 v[101:102], v[127:128], v[103:104], v[101:102]
	s_waitcnt vmcnt(18) lgkmcnt(0)
	v_fma_f64 v[101:102], v[121:122], v[105:106], v[101:102]
	s_waitcnt vmcnt(13)
	v_fma_f64 v[109:110], v[109:110], v[107:108], v[101:102]
	ds_read_b128 v[101:104], v100 offset:736
	ds_read_b128 v[105:108], v100 offset:752
	s_waitcnt vmcnt(12) lgkmcnt(1)
	v_fma_f64 v[101:102], v[133:134], v[101:102], v[109:110]
	s_waitcnt vmcnt(11)
	v_fma_f64 v[101:102], v[131:132], v[103:104], v[101:102]
	s_waitcnt vmcnt(10) lgkmcnt(0)
	v_fma_f64 v[101:102], v[123:124], v[105:106], v[101:102]
	s_waitcnt vmcnt(5)
	v_fma_f64 v[105:106], v[111:112], v[107:108], v[101:102]
	ds_read_b128 v[101:104], v100 offset:768
	ds_read_b64 v[107:108], v100 offset:784
	s_waitcnt vmcnt(4) lgkmcnt(1)
	v_fma_f64 v[101:102], v[125:126], v[101:102], v[105:106]
	s_waitcnt vmcnt(3)
	v_fma_f64 v[101:102], v[119:120], v[103:104], v[101:102]
	s_waitcnt vmcnt(2) lgkmcnt(0)
	v_fma_f64 v[101:102], v[117:118], v[107:108], v[101:102]
	s_waitcnt vmcnt(0)
	v_add_f64 v[101:102], v[113:114], -v[101:102]
	buffer_store_dword v102, off, s[0:3], 0 offset:44
	buffer_store_dword v101, off, s[0:3], 0 offset:40
	s_and_saveexec_b64 s[4:5], vcc
	s_cbranch_execz .LBB48_293
; %bb.292:
	buffer_load_dword v101, off, s[0:3], 0 offset:32
	buffer_load_dword v102, off, s[0:3], 0 offset:36
	s_waitcnt vmcnt(0)
	ds_write_b64 v99, v[101:102]
	buffer_store_dword v100, off, s[0:3], 0 offset:32
	buffer_store_dword v100, off, s[0:3], 0 offset:36
.LBB48_293:
	s_or_b64 exec, exec, s[4:5]
	s_waitcnt lgkmcnt(0)
	; wave barrier
	buffer_load_dword v109, off, s[0:3], 0 offset:40
	buffer_load_dword v110, off, s[0:3], 0 offset:44
	;; [unrolled: 1-line block ×22, first 2 shown]
	ds_read2_b64 v[101:104], v100 offset0:55 offset1:56
	ds_read2_b64 v[105:108], v100 offset0:57 offset1:58
	v_cmp_lt_u32_e32 vcc, 3, v0
	s_waitcnt vmcnt(20) lgkmcnt(1)
	v_fma_f64 v[101:102], v[109:110], v[101:102], 0
	s_waitcnt vmcnt(18)
	v_fma_f64 v[101:102], v[111:112], v[103:104], v[101:102]
	buffer_load_dword v110, off, s[0:3], 0 offset:132
	buffer_load_dword v111, off, s[0:3], 0 offset:152
	;; [unrolled: 1-line block ×7, first 2 shown]
	s_waitcnt vmcnt(23) lgkmcnt(0)
	v_fma_f64 v[101:102], v[113:114], v[105:106], v[101:102]
	s_waitcnt vmcnt(21)
	v_fma_f64 v[112:113], v[115:116], v[107:108], v[101:102]
	ds_read2_b64 v[101:104], v100 offset0:59 offset1:60
	ds_read2_b64 v[105:108], v100 offset0:61 offset1:62
	s_waitcnt vmcnt(19) lgkmcnt(1)
	v_fma_f64 v[101:102], v[117:118], v[101:102], v[112:113]
	buffer_load_dword v112, off, s[0:3], 0 offset:156
	s_waitcnt vmcnt(18)
	v_fma_f64 v[101:102], v[119:120], v[103:104], v[101:102]
	buffer_load_dword v114, off, s[0:3], 0 offset:164
	buffer_load_dword v115, off, s[0:3], 0 offset:184
	;; [unrolled: 1-line block ×7, first 2 shown]
	s_waitcnt vmcnt(23) lgkmcnt(0)
	v_fma_f64 v[101:102], v[121:122], v[105:106], v[101:102]
	s_waitcnt vmcnt(18)
	v_fma_f64 v[121:122], v[123:124], v[107:108], v[101:102]
	ds_read2_b64 v[101:104], v100 offset0:63 offset1:64
	ds_read2_b64 v[105:108], v100 offset0:65 offset1:66
	buffer_load_dword v116, off, s[0:3], 0 offset:188
	s_waitcnt vmcnt(18) lgkmcnt(1)
	v_fma_f64 v[101:102], v[129:130], v[101:102], v[121:122]
	s_waitcnt vmcnt(17)
	v_fma_f64 v[101:102], v[127:128], v[103:104], v[101:102]
	buffer_load_dword v122, off, s[0:3], 0 offset:196
	buffer_load_dword v123, off, s[0:3], 0 offset:216
	;; [unrolled: 1-line block ×8, first 2 shown]
	s_waitcnt vmcnt(24) lgkmcnt(0)
	v_fma_f64 v[101:102], v[125:126], v[105:106], v[101:102]
	s_waitcnt vmcnt(19)
	v_fma_f64 v[109:110], v[109:110], v[107:108], v[101:102]
	ds_read2_b64 v[101:104], v100 offset0:67 offset1:68
	ds_read2_b64 v[105:108], v100 offset0:69 offset1:70
	s_waitcnt vmcnt(18) lgkmcnt(1)
	v_fma_f64 v[101:102], v[133:134], v[101:102], v[109:110]
	s_waitcnt vmcnt(17)
	v_fma_f64 v[101:102], v[131:132], v[103:104], v[101:102]
	buffer_load_dword v110, off, s[0:3], 0 offset:228
	buffer_load_dword v125, off, s[0:3], 0 offset:248
	;; [unrolled: 1-line block ×8, first 2 shown]
	s_waitcnt vmcnt(24) lgkmcnt(0)
	v_fma_f64 v[101:102], v[111:112], v[105:106], v[101:102]
	s_waitcnt vmcnt(19)
	v_fma_f64 v[111:112], v[113:114], v[107:108], v[101:102]
	ds_read2_b64 v[101:104], v100 offset0:71 offset1:72
	ds_read2_b64 v[105:108], v100 offset0:73 offset1:74
	s_waitcnt vmcnt(18) lgkmcnt(1)
	v_fma_f64 v[101:102], v[119:120], v[101:102], v[111:112]
	s_waitcnt vmcnt(17)
	v_fma_f64 v[101:102], v[117:118], v[103:104], v[101:102]
	buffer_load_dword v112, off, s[0:3], 0 offset:260
	buffer_load_dword v113, off, s[0:3], 0 offset:280
	buffer_load_dword v117, off, s[0:3], 0 offset:272
	buffer_load_dword v119, off, s[0:3], 0 offset:264
	buffer_load_dword v111, off, s[0:3], 0 offset:256
	buffer_load_dword v120, off, s[0:3], 0 offset:268
	buffer_load_dword v118, off, s[0:3], 0 offset:276
	s_waitcnt vmcnt(23) lgkmcnt(0)
	v_fma_f64 v[101:102], v[115:116], v[105:106], v[101:102]
	s_waitcnt vmcnt(18)
	v_fma_f64 v[114:115], v[121:122], v[107:108], v[101:102]
	ds_read2_b64 v[101:104], v100 offset0:75 offset1:76
	ds_read2_b64 v[105:108], v100 offset0:77 offset1:78
	s_waitcnt vmcnt(17) lgkmcnt(1)
	v_fma_f64 v[101:102], v[129:130], v[101:102], v[114:115]
	buffer_load_dword v114, off, s[0:3], 0 offset:284
	s_waitcnt vmcnt(17)
	v_fma_f64 v[101:102], v[127:128], v[103:104], v[101:102]
	buffer_load_dword v116, off, s[0:3], 0 offset:292
	buffer_load_dword v121, off, s[0:3], 0 offset:312
	buffer_load_dword v127, off, s[0:3], 0 offset:304
	buffer_load_dword v129, off, s[0:3], 0 offset:296
	buffer_load_dword v115, off, s[0:3], 0 offset:288
	buffer_load_dword v130, off, s[0:3], 0 offset:300
	buffer_load_dword v128, off, s[0:3], 0 offset:308
	buffer_load_dword v122, off, s[0:3], 0 offset:316
	s_waitcnt vmcnt(24) lgkmcnt(0)
	v_fma_f64 v[101:102], v[123:124], v[105:106], v[101:102]
	s_waitcnt vmcnt(19)
	v_fma_f64 v[109:110], v[109:110], v[107:108], v[101:102]
	ds_read2_b64 v[101:104], v100 offset0:79 offset1:80
	ds_read2_b64 v[105:108], v100 offset0:81 offset1:82
	s_waitcnt vmcnt(18) lgkmcnt(1)
	v_fma_f64 v[101:102], v[133:134], v[101:102], v[109:110]
	s_waitcnt vmcnt(17)
	v_fma_f64 v[101:102], v[131:132], v[103:104], v[101:102]
	buffer_load_dword v110, off, s[0:3], 0 offset:324
	buffer_load_dword v123, off, s[0:3], 0 offset:344
	buffer_load_dword v131, off, s[0:3], 0 offset:336
	buffer_load_dword v133, off, s[0:3], 0 offset:328
	buffer_load_dword v109, off, s[0:3], 0 offset:320
	buffer_load_dword v134, off, s[0:3], 0 offset:332
	buffer_load_dword v132, off, s[0:3], 0 offset:340
	buffer_load_dword v124, off, s[0:3], 0 offset:348
	s_waitcnt vmcnt(24) lgkmcnt(0)
	v_fma_f64 v[101:102], v[125:126], v[105:106], v[101:102]
	s_waitcnt vmcnt(19)
	v_fma_f64 v[111:112], v[111:112], v[107:108], v[101:102]
	ds_read2_b64 v[101:104], v100 offset0:83 offset1:84
	ds_read2_b64 v[105:108], v100 offset0:85 offset1:86
	s_waitcnt vmcnt(18) lgkmcnt(1)
	v_fma_f64 v[101:102], v[119:120], v[101:102], v[111:112]
	;; [unrolled: 18-line block ×3, first 2 shown]
	buffer_load_dword v114, off, s[0:3], 0 offset:388
	buffer_load_dword v113, off, s[0:3], 0 offset:384
	;; [unrolled: 1-line block ×4, first 2 shown]
	s_waitcnt vmcnt(21)
	v_fma_f64 v[101:102], v[127:128], v[103:104], v[101:102]
	s_waitcnt vmcnt(20) lgkmcnt(0)
	v_fma_f64 v[101:102], v[121:122], v[105:106], v[101:102]
	s_waitcnt vmcnt(15)
	v_fma_f64 v[109:110], v[109:110], v[107:108], v[101:102]
	ds_read2_b64 v[101:104], v100 offset0:91 offset1:92
	ds_read2_b64 v[105:108], v100 offset0:93 offset1:94
	s_waitcnt vmcnt(14) lgkmcnt(1)
	v_fma_f64 v[101:102], v[133:134], v[101:102], v[109:110]
	s_waitcnt vmcnt(13)
	v_fma_f64 v[101:102], v[131:132], v[103:104], v[101:102]
	s_waitcnt vmcnt(12) lgkmcnt(0)
	v_fma_f64 v[101:102], v[123:124], v[105:106], v[101:102]
	s_waitcnt vmcnt(7)
	v_fma_f64 v[109:110], v[111:112], v[107:108], v[101:102]
	ds_read2_b64 v[101:104], v100 offset0:95 offset1:96
	ds_read2_b64 v[105:108], v100 offset0:97 offset1:98
	s_waitcnt vmcnt(6) lgkmcnt(1)
	v_fma_f64 v[100:101], v[125:126], v[101:102], v[109:110]
	s_waitcnt vmcnt(5)
	v_fma_f64 v[100:101], v[119:120], v[103:104], v[100:101]
	s_waitcnt vmcnt(4) lgkmcnt(0)
	v_fma_f64 v[100:101], v[117:118], v[105:106], v[100:101]
	s_waitcnt vmcnt(2)
	v_fma_f64 v[100:101], v[113:114], v[107:108], v[100:101]
	s_waitcnt vmcnt(0)
	v_add_f64 v[100:101], v[115:116], -v[100:101]
	buffer_store_dword v101, off, s[0:3], 0 offset:36
	buffer_store_dword v100, off, s[0:3], 0 offset:32
	s_and_saveexec_b64 s[4:5], vcc
	s_cbranch_execz .LBB48_295
; %bb.294:
	buffer_load_dword v100, off, s[0:3], 0 offset:24
	buffer_load_dword v101, off, s[0:3], 0 offset:28
	v_mov_b32_e32 v102, 0
	buffer_store_dword v102, off, s[0:3], 0 offset:24
	buffer_store_dword v102, off, s[0:3], 0 offset:28
	s_waitcnt vmcnt(2)
	ds_write_b64 v99, v[100:101]
.LBB48_295:
	s_or_b64 exec, exec, s[4:5]
	s_waitcnt lgkmcnt(0)
	; wave barrier
	buffer_load_dword v109, off, s[0:3], 0 offset:32
	buffer_load_dword v110, off, s[0:3], 0 offset:36
	;; [unrolled: 1-line block ×21, first 2 shown]
	v_mov_b32_e32 v100, 0
	ds_read_b128 v[101:104], v100 offset:432
	ds_read_b128 v[105:108], v100 offset:448
	buffer_load_dword v126, off, s[0:3], 0 offset:116
	v_cmp_lt_u32_e32 vcc, 2, v0
	s_waitcnt vmcnt(20) lgkmcnt(1)
	v_fma_f64 v[101:102], v[109:110], v[101:102], 0
	s_waitcnt vmcnt(18)
	v_fma_f64 v[101:102], v[111:112], v[103:104], v[101:102]
	buffer_load_dword v110, off, s[0:3], 0 offset:124
	buffer_load_dword v111, off, s[0:3], 0 offset:144
	;; [unrolled: 1-line block ×7, first 2 shown]
	s_waitcnt vmcnt(23) lgkmcnt(0)
	v_fma_f64 v[101:102], v[113:114], v[105:106], v[101:102]
	s_waitcnt vmcnt(21)
	v_fma_f64 v[112:113], v[115:116], v[107:108], v[101:102]
	ds_read_b128 v[101:104], v100 offset:464
	ds_read_b128 v[105:108], v100 offset:480
	s_waitcnt vmcnt(19) lgkmcnt(1)
	v_fma_f64 v[101:102], v[117:118], v[101:102], v[112:113]
	buffer_load_dword v112, off, s[0:3], 0 offset:148
	s_waitcnt vmcnt(18)
	v_fma_f64 v[101:102], v[119:120], v[103:104], v[101:102]
	buffer_load_dword v114, off, s[0:3], 0 offset:156
	buffer_load_dword v115, off, s[0:3], 0 offset:176
	;; [unrolled: 1-line block ×7, first 2 shown]
	s_waitcnt vmcnt(23) lgkmcnt(0)
	v_fma_f64 v[101:102], v[121:122], v[105:106], v[101:102]
	s_waitcnt vmcnt(18)
	v_fma_f64 v[121:122], v[123:124], v[107:108], v[101:102]
	ds_read_b128 v[101:104], v100 offset:496
	ds_read_b128 v[105:108], v100 offset:512
	buffer_load_dword v116, off, s[0:3], 0 offset:180
	s_waitcnt vmcnt(18) lgkmcnt(1)
	v_fma_f64 v[101:102], v[129:130], v[101:102], v[121:122]
	s_waitcnt vmcnt(17)
	v_fma_f64 v[101:102], v[127:128], v[103:104], v[101:102]
	buffer_load_dword v122, off, s[0:3], 0 offset:188
	buffer_load_dword v123, off, s[0:3], 0 offset:208
	buffer_load_dword v127, off, s[0:3], 0 offset:200
	buffer_load_dword v129, off, s[0:3], 0 offset:192
	buffer_load_dword v121, off, s[0:3], 0 offset:184
	buffer_load_dword v130, off, s[0:3], 0 offset:196
	buffer_load_dword v128, off, s[0:3], 0 offset:204
	s_waitcnt vmcnt(23) lgkmcnt(0)
	v_fma_f64 v[101:102], v[125:126], v[105:106], v[101:102]
	s_waitcnt vmcnt(18)
	v_fma_f64 v[109:110], v[109:110], v[107:108], v[101:102]
	ds_read_b128 v[101:104], v100 offset:528
	ds_read_b128 v[105:108], v100 offset:544
	buffer_load_dword v124, off, s[0:3], 0 offset:212
	s_waitcnt vmcnt(18) lgkmcnt(1)
	v_fma_f64 v[101:102], v[133:134], v[101:102], v[109:110]
	s_waitcnt vmcnt(17)
	v_fma_f64 v[101:102], v[131:132], v[103:104], v[101:102]
	buffer_load_dword v110, off, s[0:3], 0 offset:220
	buffer_load_dword v125, off, s[0:3], 0 offset:240
	;; [unrolled: 1-line block ×8, first 2 shown]
	s_waitcnt vmcnt(24) lgkmcnt(0)
	v_fma_f64 v[101:102], v[111:112], v[105:106], v[101:102]
	s_waitcnt vmcnt(19)
	v_fma_f64 v[111:112], v[113:114], v[107:108], v[101:102]
	ds_read_b128 v[101:104], v100 offset:560
	ds_read_b128 v[105:108], v100 offset:576
	s_waitcnt vmcnt(18) lgkmcnt(1)
	v_fma_f64 v[101:102], v[119:120], v[101:102], v[111:112]
	s_waitcnt vmcnt(17)
	v_fma_f64 v[101:102], v[117:118], v[103:104], v[101:102]
	buffer_load_dword v112, off, s[0:3], 0 offset:252
	buffer_load_dword v113, off, s[0:3], 0 offset:272
	;; [unrolled: 1-line block ×7, first 2 shown]
	s_waitcnt vmcnt(23) lgkmcnt(0)
	v_fma_f64 v[101:102], v[115:116], v[105:106], v[101:102]
	s_waitcnt vmcnt(18)
	v_fma_f64 v[114:115], v[121:122], v[107:108], v[101:102]
	ds_read_b128 v[101:104], v100 offset:592
	ds_read_b128 v[105:108], v100 offset:608
	s_waitcnt vmcnt(17) lgkmcnt(1)
	v_fma_f64 v[101:102], v[129:130], v[101:102], v[114:115]
	buffer_load_dword v114, off, s[0:3], 0 offset:276
	s_waitcnt vmcnt(17)
	v_fma_f64 v[101:102], v[127:128], v[103:104], v[101:102]
	buffer_load_dword v116, off, s[0:3], 0 offset:284
	buffer_load_dword v121, off, s[0:3], 0 offset:304
	;; [unrolled: 1-line block ×7, first 2 shown]
	s_waitcnt vmcnt(23) lgkmcnt(0)
	v_fma_f64 v[101:102], v[123:124], v[105:106], v[101:102]
	s_waitcnt vmcnt(18)
	v_fma_f64 v[109:110], v[109:110], v[107:108], v[101:102]
	ds_read_b128 v[101:104], v100 offset:624
	ds_read_b128 v[105:108], v100 offset:640
	buffer_load_dword v122, off, s[0:3], 0 offset:308
	s_waitcnt vmcnt(18) lgkmcnt(1)
	v_fma_f64 v[101:102], v[133:134], v[101:102], v[109:110]
	s_waitcnt vmcnt(17)
	v_fma_f64 v[101:102], v[131:132], v[103:104], v[101:102]
	buffer_load_dword v110, off, s[0:3], 0 offset:316
	buffer_load_dword v123, off, s[0:3], 0 offset:336
	;; [unrolled: 1-line block ×8, first 2 shown]
	s_waitcnt vmcnt(24) lgkmcnt(0)
	v_fma_f64 v[101:102], v[125:126], v[105:106], v[101:102]
	s_waitcnt vmcnt(19)
	v_fma_f64 v[111:112], v[111:112], v[107:108], v[101:102]
	ds_read_b128 v[101:104], v100 offset:656
	ds_read_b128 v[105:108], v100 offset:672
	s_waitcnt vmcnt(18) lgkmcnt(1)
	v_fma_f64 v[101:102], v[119:120], v[101:102], v[111:112]
	s_waitcnt vmcnt(17)
	v_fma_f64 v[101:102], v[117:118], v[103:104], v[101:102]
	buffer_load_dword v112, off, s[0:3], 0 offset:348
	buffer_load_dword v117, off, s[0:3], 0 offset:368
	;; [unrolled: 1-line block ×7, first 2 shown]
	s_waitcnt vmcnt(23) lgkmcnt(0)
	v_fma_f64 v[101:102], v[113:114], v[105:106], v[101:102]
	s_waitcnt vmcnt(18)
	v_fma_f64 v[113:114], v[115:116], v[107:108], v[101:102]
	ds_read_b128 v[101:104], v100 offset:688
	ds_read_b128 v[105:108], v100 offset:704
	buffer_load_dword v118, off, s[0:3], 0 offset:372
	s_waitcnt vmcnt(18) lgkmcnt(1)
	v_fma_f64 v[101:102], v[129:130], v[101:102], v[113:114]
	buffer_load_dword v114, off, s[0:3], 0 offset:380
	buffer_load_dword v115, off, s[0:3], 0 offset:384
	;; [unrolled: 1-line block ×4, first 2 shown]
	s_waitcnt vmcnt(21)
	v_fma_f64 v[101:102], v[127:128], v[103:104], v[101:102]
	s_waitcnt vmcnt(20) lgkmcnt(0)
	v_fma_f64 v[101:102], v[121:122], v[105:106], v[101:102]
	buffer_load_dword v121, off, s[0:3], 0 offset:24
	buffer_load_dword v122, off, s[0:3], 0 offset:28
	s_waitcnt vmcnt(17)
	v_fma_f64 v[109:110], v[109:110], v[107:108], v[101:102]
	ds_read_b128 v[101:104], v100 offset:720
	ds_read_b128 v[105:108], v100 offset:736
	s_waitcnt vmcnt(16) lgkmcnt(1)
	v_fma_f64 v[101:102], v[133:134], v[101:102], v[109:110]
	s_waitcnt vmcnt(15)
	v_fma_f64 v[101:102], v[131:132], v[103:104], v[101:102]
	s_waitcnt vmcnt(14) lgkmcnt(0)
	v_fma_f64 v[101:102], v[123:124], v[105:106], v[101:102]
	s_waitcnt vmcnt(9)
	v_fma_f64 v[109:110], v[111:112], v[107:108], v[101:102]
	ds_read_b128 v[101:104], v100 offset:752
	ds_read_b128 v[105:108], v100 offset:768
	s_waitcnt vmcnt(8) lgkmcnt(1)
	v_fma_f64 v[101:102], v[125:126], v[101:102], v[109:110]
	s_waitcnt vmcnt(7)
	v_fma_f64 v[101:102], v[119:120], v[103:104], v[101:102]
	ds_read_b64 v[103:104], v100 offset:784
	s_waitcnt vmcnt(6) lgkmcnt(1)
	v_fma_f64 v[101:102], v[117:118], v[105:106], v[101:102]
	s_waitcnt vmcnt(3)
	v_fma_f64 v[101:102], v[113:114], v[107:108], v[101:102]
	s_waitcnt vmcnt(2) lgkmcnt(0)
	v_fma_f64 v[101:102], v[115:116], v[103:104], v[101:102]
	s_waitcnt vmcnt(0)
	v_add_f64 v[101:102], v[121:122], -v[101:102]
	buffer_store_dword v102, off, s[0:3], 0 offset:28
	buffer_store_dword v101, off, s[0:3], 0 offset:24
	s_and_saveexec_b64 s[4:5], vcc
	s_cbranch_execz .LBB48_297
; %bb.296:
	buffer_load_dword v101, off, s[0:3], 0 offset:16
	buffer_load_dword v102, off, s[0:3], 0 offset:20
	s_waitcnt vmcnt(0)
	ds_write_b64 v99, v[101:102]
	buffer_store_dword v100, off, s[0:3], 0 offset:16
	buffer_store_dword v100, off, s[0:3], 0 offset:20
.LBB48_297:
	s_or_b64 exec, exec, s[4:5]
	s_waitcnt lgkmcnt(0)
	; wave barrier
	buffer_load_dword v109, off, s[0:3], 0 offset:24
	buffer_load_dword v110, off, s[0:3], 0 offset:28
	;; [unrolled: 1-line block ×21, first 2 shown]
	ds_read2_b64 v[101:104], v100 offset0:53 offset1:54
	ds_read2_b64 v[105:108], v100 offset0:55 offset1:56
	buffer_load_dword v126, off, s[0:3], 0 offset:108
	v_cmp_lt_u32_e32 vcc, 1, v0
	s_waitcnt vmcnt(20) lgkmcnt(1)
	v_fma_f64 v[101:102], v[109:110], v[101:102], 0
	s_waitcnt vmcnt(18)
	v_fma_f64 v[101:102], v[111:112], v[103:104], v[101:102]
	buffer_load_dword v110, off, s[0:3], 0 offset:116
	buffer_load_dword v111, off, s[0:3], 0 offset:136
	;; [unrolled: 1-line block ×7, first 2 shown]
	s_waitcnt vmcnt(23) lgkmcnt(0)
	v_fma_f64 v[101:102], v[113:114], v[105:106], v[101:102]
	s_waitcnt vmcnt(21)
	v_fma_f64 v[112:113], v[115:116], v[107:108], v[101:102]
	ds_read2_b64 v[101:104], v100 offset0:57 offset1:58
	ds_read2_b64 v[105:108], v100 offset0:59 offset1:60
	s_waitcnt vmcnt(19) lgkmcnt(1)
	v_fma_f64 v[101:102], v[117:118], v[101:102], v[112:113]
	buffer_load_dword v112, off, s[0:3], 0 offset:140
	s_waitcnt vmcnt(18)
	v_fma_f64 v[101:102], v[119:120], v[103:104], v[101:102]
	buffer_load_dword v114, off, s[0:3], 0 offset:148
	buffer_load_dword v115, off, s[0:3], 0 offset:168
	;; [unrolled: 1-line block ×8, first 2 shown]
	s_waitcnt vmcnt(24) lgkmcnt(0)
	v_fma_f64 v[101:102], v[121:122], v[105:106], v[101:102]
	s_waitcnt vmcnt(19)
	v_fma_f64 v[121:122], v[123:124], v[107:108], v[101:102]
	ds_read2_b64 v[101:104], v100 offset0:61 offset1:62
	ds_read2_b64 v[105:108], v100 offset0:63 offset1:64
	s_waitcnt vmcnt(18) lgkmcnt(1)
	v_fma_f64 v[101:102], v[129:130], v[101:102], v[121:122]
	s_waitcnt vmcnt(17)
	v_fma_f64 v[101:102], v[127:128], v[103:104], v[101:102]
	buffer_load_dword v122, off, s[0:3], 0 offset:180
	buffer_load_dword v123, off, s[0:3], 0 offset:200
	;; [unrolled: 1-line block ×7, first 2 shown]
	s_waitcnt vmcnt(23) lgkmcnt(0)
	v_fma_f64 v[101:102], v[125:126], v[105:106], v[101:102]
	s_waitcnt vmcnt(18)
	v_fma_f64 v[109:110], v[109:110], v[107:108], v[101:102]
	ds_read2_b64 v[101:104], v100 offset0:65 offset1:66
	ds_read2_b64 v[105:108], v100 offset0:67 offset1:68
	buffer_load_dword v124, off, s[0:3], 0 offset:204
	s_waitcnt vmcnt(18) lgkmcnt(1)
	v_fma_f64 v[101:102], v[133:134], v[101:102], v[109:110]
	s_waitcnt vmcnt(17)
	v_fma_f64 v[101:102], v[131:132], v[103:104], v[101:102]
	buffer_load_dword v110, off, s[0:3], 0 offset:212
	buffer_load_dword v125, off, s[0:3], 0 offset:232
	;; [unrolled: 1-line block ×8, first 2 shown]
	s_waitcnt vmcnt(24) lgkmcnt(0)
	v_fma_f64 v[101:102], v[111:112], v[105:106], v[101:102]
	s_waitcnt vmcnt(19)
	v_fma_f64 v[111:112], v[113:114], v[107:108], v[101:102]
	ds_read2_b64 v[101:104], v100 offset0:69 offset1:70
	ds_read2_b64 v[105:108], v100 offset0:71 offset1:72
	s_waitcnt vmcnt(18) lgkmcnt(1)
	v_fma_f64 v[101:102], v[119:120], v[101:102], v[111:112]
	s_waitcnt vmcnt(17)
	v_fma_f64 v[101:102], v[117:118], v[103:104], v[101:102]
	buffer_load_dword v112, off, s[0:3], 0 offset:244
	buffer_load_dword v113, off, s[0:3], 0 offset:264
	;; [unrolled: 1-line block ×7, first 2 shown]
	s_waitcnt vmcnt(23) lgkmcnt(0)
	v_fma_f64 v[101:102], v[115:116], v[105:106], v[101:102]
	s_waitcnt vmcnt(18)
	v_fma_f64 v[114:115], v[121:122], v[107:108], v[101:102]
	ds_read2_b64 v[101:104], v100 offset0:73 offset1:74
	ds_read2_b64 v[105:108], v100 offset0:75 offset1:76
	s_waitcnt vmcnt(17) lgkmcnt(1)
	v_fma_f64 v[101:102], v[129:130], v[101:102], v[114:115]
	buffer_load_dword v114, off, s[0:3], 0 offset:268
	s_waitcnt vmcnt(17)
	v_fma_f64 v[101:102], v[127:128], v[103:104], v[101:102]
	buffer_load_dword v116, off, s[0:3], 0 offset:276
	buffer_load_dword v121, off, s[0:3], 0 offset:296
	;; [unrolled: 1-line block ×7, first 2 shown]
	s_waitcnt vmcnt(23) lgkmcnt(0)
	v_fma_f64 v[101:102], v[123:124], v[105:106], v[101:102]
	s_waitcnt vmcnt(18)
	v_fma_f64 v[109:110], v[109:110], v[107:108], v[101:102]
	ds_read2_b64 v[101:104], v100 offset0:77 offset1:78
	ds_read2_b64 v[105:108], v100 offset0:79 offset1:80
	buffer_load_dword v122, off, s[0:3], 0 offset:300
	s_waitcnt vmcnt(18) lgkmcnt(1)
	v_fma_f64 v[101:102], v[133:134], v[101:102], v[109:110]
	s_waitcnt vmcnt(17)
	v_fma_f64 v[101:102], v[131:132], v[103:104], v[101:102]
	buffer_load_dword v110, off, s[0:3], 0 offset:308
	buffer_load_dword v123, off, s[0:3], 0 offset:328
	;; [unrolled: 1-line block ×8, first 2 shown]
	s_waitcnt vmcnt(24) lgkmcnt(0)
	v_fma_f64 v[101:102], v[125:126], v[105:106], v[101:102]
	s_waitcnt vmcnt(19)
	v_fma_f64 v[111:112], v[111:112], v[107:108], v[101:102]
	ds_read2_b64 v[101:104], v100 offset0:81 offset1:82
	ds_read2_b64 v[105:108], v100 offset0:83 offset1:84
	s_waitcnt vmcnt(18) lgkmcnt(1)
	v_fma_f64 v[101:102], v[119:120], v[101:102], v[111:112]
	s_waitcnt vmcnt(17)
	v_fma_f64 v[101:102], v[117:118], v[103:104], v[101:102]
	buffer_load_dword v112, off, s[0:3], 0 offset:340
	buffer_load_dword v117, off, s[0:3], 0 offset:360
	;; [unrolled: 1-line block ×8, first 2 shown]
	s_waitcnt vmcnt(24) lgkmcnt(0)
	v_fma_f64 v[101:102], v[113:114], v[105:106], v[101:102]
	s_waitcnt vmcnt(19)
	v_fma_f64 v[113:114], v[115:116], v[107:108], v[101:102]
	ds_read2_b64 v[101:104], v100 offset0:85 offset1:86
	ds_read2_b64 v[105:108], v100 offset0:87 offset1:88
	s_waitcnt vmcnt(18) lgkmcnt(1)
	v_fma_f64 v[101:102], v[129:130], v[101:102], v[113:114]
	s_waitcnt vmcnt(17)
	v_fma_f64 v[101:102], v[127:128], v[103:104], v[101:102]
	buffer_load_dword v114, off, s[0:3], 0 offset:372
	buffer_load_dword v115, off, s[0:3], 0 offset:384
	;; [unrolled: 1-line block ×6, first 2 shown]
	s_waitcnt vmcnt(22) lgkmcnt(0)
	v_fma_f64 v[101:102], v[121:122], v[105:106], v[101:102]
	s_waitcnt vmcnt(17)
	v_fma_f64 v[109:110], v[109:110], v[107:108], v[101:102]
	ds_read2_b64 v[101:104], v100 offset0:89 offset1:90
	buffer_load_dword v121, off, s[0:3], 0 offset:16
	buffer_load_dword v122, off, s[0:3], 0 offset:20
	ds_read2_b64 v[105:108], v100 offset0:91 offset1:92
	s_waitcnt vmcnt(18) lgkmcnt(1)
	v_fma_f64 v[101:102], v[133:134], v[101:102], v[109:110]
	s_waitcnt vmcnt(17)
	v_fma_f64 v[101:102], v[131:132], v[103:104], v[101:102]
	s_waitcnt vmcnt(16) lgkmcnt(0)
	v_fma_f64 v[101:102], v[123:124], v[105:106], v[101:102]
	s_waitcnt vmcnt(11)
	v_fma_f64 v[109:110], v[111:112], v[107:108], v[101:102]
	ds_read2_b64 v[101:104], v100 offset0:93 offset1:94
	ds_read2_b64 v[105:108], v100 offset0:95 offset1:96
	s_waitcnt vmcnt(10) lgkmcnt(1)
	v_fma_f64 v[101:102], v[125:126], v[101:102], v[109:110]
	s_waitcnt vmcnt(9)
	v_fma_f64 v[101:102], v[119:120], v[103:104], v[101:102]
	s_waitcnt vmcnt(8) lgkmcnt(0)
	v_fma_f64 v[101:102], v[117:118], v[105:106], v[101:102]
	s_waitcnt vmcnt(4)
	v_fma_f64 v[104:105], v[113:114], v[107:108], v[101:102]
	ds_read2_b64 v[100:103], v100 offset0:97 offset1:98
	s_waitcnt vmcnt(3) lgkmcnt(0)
	v_fma_f64 v[100:101], v[127:128], v[100:101], v[104:105]
	s_waitcnt vmcnt(2)
	v_fma_f64 v[100:101], v[115:116], v[102:103], v[100:101]
	s_waitcnt vmcnt(0)
	v_add_f64 v[100:101], v[121:122], -v[100:101]
	buffer_store_dword v101, off, s[0:3], 0 offset:20
	buffer_store_dword v100, off, s[0:3], 0 offset:16
	s_and_saveexec_b64 s[4:5], vcc
	s_cbranch_execz .LBB48_299
; %bb.298:
	buffer_load_dword v100, off, s[0:3], 0 offset:8
	buffer_load_dword v101, off, s[0:3], 0 offset:12
	v_mov_b32_e32 v102, 0
	buffer_store_dword v102, off, s[0:3], 0 offset:8
	buffer_store_dword v102, off, s[0:3], 0 offset:12
	s_waitcnt vmcnt(2)
	ds_write_b64 v99, v[100:101]
.LBB48_299:
	s_or_b64 exec, exec, s[4:5]
	s_waitcnt lgkmcnt(0)
	; wave barrier
	buffer_load_dword v109, off, s[0:3], 0 offset:16
	buffer_load_dword v110, off, s[0:3], 0 offset:20
	;; [unrolled: 1-line block ×21, first 2 shown]
	v_mov_b32_e32 v100, 0
	ds_read_b128 v[101:104], v100 offset:416
	ds_read_b128 v[105:108], v100 offset:432
	buffer_load_dword v126, off, s[0:3], 0 offset:100
	v_cmp_ne_u32_e32 vcc, 0, v0
	s_waitcnt vmcnt(20) lgkmcnt(1)
	v_fma_f64 v[101:102], v[109:110], v[101:102], 0
	s_waitcnt vmcnt(18)
	v_fma_f64 v[101:102], v[111:112], v[103:104], v[101:102]
	buffer_load_dword v110, off, s[0:3], 0 offset:108
	buffer_load_dword v111, off, s[0:3], 0 offset:128
	;; [unrolled: 1-line block ×7, first 2 shown]
	s_waitcnt vmcnt(23) lgkmcnt(0)
	v_fma_f64 v[101:102], v[113:114], v[105:106], v[101:102]
	s_waitcnt vmcnt(21)
	v_fma_f64 v[112:113], v[115:116], v[107:108], v[101:102]
	ds_read_b128 v[101:104], v100 offset:448
	ds_read_b128 v[105:108], v100 offset:464
	s_waitcnt vmcnt(19) lgkmcnt(1)
	v_fma_f64 v[101:102], v[117:118], v[101:102], v[112:113]
	buffer_load_dword v112, off, s[0:3], 0 offset:132
	s_waitcnt vmcnt(18)
	v_fma_f64 v[101:102], v[119:120], v[103:104], v[101:102]
	buffer_load_dword v114, off, s[0:3], 0 offset:140
	buffer_load_dword v115, off, s[0:3], 0 offset:160
	;; [unrolled: 1-line block ×8, first 2 shown]
	s_waitcnt vmcnt(24) lgkmcnt(0)
	v_fma_f64 v[101:102], v[121:122], v[105:106], v[101:102]
	s_waitcnt vmcnt(19)
	v_fma_f64 v[121:122], v[123:124], v[107:108], v[101:102]
	ds_read_b128 v[101:104], v100 offset:480
	ds_read_b128 v[105:108], v100 offset:496
	s_waitcnt vmcnt(18) lgkmcnt(1)
	v_fma_f64 v[101:102], v[129:130], v[101:102], v[121:122]
	s_waitcnt vmcnt(17)
	v_fma_f64 v[101:102], v[127:128], v[103:104], v[101:102]
	buffer_load_dword v122, off, s[0:3], 0 offset:172
	buffer_load_dword v123, off, s[0:3], 0 offset:192
	buffer_load_dword v127, off, s[0:3], 0 offset:184
	buffer_load_dword v129, off, s[0:3], 0 offset:176
	buffer_load_dword v121, off, s[0:3], 0 offset:168
	buffer_load_dword v130, off, s[0:3], 0 offset:180
	buffer_load_dword v128, off, s[0:3], 0 offset:188
	s_waitcnt vmcnt(23) lgkmcnt(0)
	v_fma_f64 v[101:102], v[125:126], v[105:106], v[101:102]
	s_waitcnt vmcnt(18)
	v_fma_f64 v[109:110], v[109:110], v[107:108], v[101:102]
	ds_read_b128 v[101:104], v100 offset:512
	ds_read_b128 v[105:108], v100 offset:528
	buffer_load_dword v124, off, s[0:3], 0 offset:196
	s_waitcnt vmcnt(18) lgkmcnt(1)
	v_fma_f64 v[101:102], v[133:134], v[101:102], v[109:110]
	s_waitcnt vmcnt(17)
	v_fma_f64 v[101:102], v[131:132], v[103:104], v[101:102]
	buffer_load_dword v110, off, s[0:3], 0 offset:204
	buffer_load_dword v125, off, s[0:3], 0 offset:224
	;; [unrolled: 1-line block ×8, first 2 shown]
	s_waitcnt vmcnt(24) lgkmcnt(0)
	v_fma_f64 v[101:102], v[111:112], v[105:106], v[101:102]
	s_waitcnt vmcnt(19)
	v_fma_f64 v[111:112], v[113:114], v[107:108], v[101:102]
	ds_read_b128 v[101:104], v100 offset:544
	ds_read_b128 v[105:108], v100 offset:560
	s_waitcnt vmcnt(18) lgkmcnt(1)
	v_fma_f64 v[101:102], v[119:120], v[101:102], v[111:112]
	s_waitcnt vmcnt(17)
	v_fma_f64 v[101:102], v[117:118], v[103:104], v[101:102]
	buffer_load_dword v112, off, s[0:3], 0 offset:236
	buffer_load_dword v113, off, s[0:3], 0 offset:256
	;; [unrolled: 1-line block ×7, first 2 shown]
	s_waitcnt vmcnt(23) lgkmcnt(0)
	v_fma_f64 v[101:102], v[115:116], v[105:106], v[101:102]
	s_waitcnt vmcnt(18)
	v_fma_f64 v[114:115], v[121:122], v[107:108], v[101:102]
	ds_read_b128 v[101:104], v100 offset:576
	ds_read_b128 v[105:108], v100 offset:592
	s_waitcnt vmcnt(17) lgkmcnt(1)
	v_fma_f64 v[101:102], v[129:130], v[101:102], v[114:115]
	buffer_load_dword v114, off, s[0:3], 0 offset:260
	s_waitcnt vmcnt(17)
	v_fma_f64 v[101:102], v[127:128], v[103:104], v[101:102]
	buffer_load_dword v116, off, s[0:3], 0 offset:268
	buffer_load_dword v121, off, s[0:3], 0 offset:288
	;; [unrolled: 1-line block ×7, first 2 shown]
	s_waitcnt vmcnt(23) lgkmcnt(0)
	v_fma_f64 v[101:102], v[123:124], v[105:106], v[101:102]
	s_waitcnt vmcnt(18)
	v_fma_f64 v[109:110], v[109:110], v[107:108], v[101:102]
	ds_read_b128 v[101:104], v100 offset:608
	ds_read_b128 v[105:108], v100 offset:624
	buffer_load_dword v122, off, s[0:3], 0 offset:292
	s_waitcnt vmcnt(18) lgkmcnt(1)
	v_fma_f64 v[101:102], v[133:134], v[101:102], v[109:110]
	s_waitcnt vmcnt(17)
	v_fma_f64 v[101:102], v[131:132], v[103:104], v[101:102]
	buffer_load_dword v110, off, s[0:3], 0 offset:300
	buffer_load_dword v123, off, s[0:3], 0 offset:320
	buffer_load_dword v131, off, s[0:3], 0 offset:312
	buffer_load_dword v133, off, s[0:3], 0 offset:304
	buffer_load_dword v109, off, s[0:3], 0 offset:296
	buffer_load_dword v134, off, s[0:3], 0 offset:308
	buffer_load_dword v132, off, s[0:3], 0 offset:316
	buffer_load_dword v124, off, s[0:3], 0 offset:324
	s_waitcnt vmcnt(24) lgkmcnt(0)
	v_fma_f64 v[101:102], v[125:126], v[105:106], v[101:102]
	s_waitcnt vmcnt(19)
	v_fma_f64 v[111:112], v[111:112], v[107:108], v[101:102]
	ds_read_b128 v[101:104], v100 offset:640
	ds_read_b128 v[105:108], v100 offset:656
	s_waitcnt vmcnt(18) lgkmcnt(1)
	v_fma_f64 v[101:102], v[119:120], v[101:102], v[111:112]
	s_waitcnt vmcnt(17)
	v_fma_f64 v[101:102], v[117:118], v[103:104], v[101:102]
	buffer_load_dword v112, off, s[0:3], 0 offset:332
	buffer_load_dword v117, off, s[0:3], 0 offset:352
	buffer_load_dword v119, off, s[0:3], 0 offset:344
	buffer_load_dword v125, off, s[0:3], 0 offset:336
	buffer_load_dword v111, off, s[0:3], 0 offset:328
	buffer_load_dword v126, off, s[0:3], 0 offset:340
	buffer_load_dword v120, off, s[0:3], 0 offset:348
	buffer_load_dword v118, off, s[0:3], 0 offset:356
	s_waitcnt vmcnt(24) lgkmcnt(0)
	v_fma_f64 v[101:102], v[113:114], v[105:106], v[101:102]
	s_waitcnt vmcnt(19)
	v_fma_f64 v[113:114], v[115:116], v[107:108], v[101:102]
	ds_read_b128 v[101:104], v100 offset:672
	ds_read_b128 v[105:108], v100 offset:688
	;; [unrolled: 18-line block ×3, first 2 shown]
	s_waitcnt vmcnt(18) lgkmcnt(1)
	v_fma_f64 v[101:102], v[133:134], v[101:102], v[109:110]
	buffer_load_dword v109, off, s[0:3], 0 offset:8
	buffer_load_dword v110, off, s[0:3], 0 offset:12
	s_waitcnt vmcnt(19)
	v_fma_f64 v[101:102], v[131:132], v[103:104], v[101:102]
	s_waitcnt vmcnt(18) lgkmcnt(0)
	v_fma_f64 v[101:102], v[123:124], v[105:106], v[101:102]
	s_waitcnt vmcnt(13)
	v_fma_f64 v[111:112], v[111:112], v[107:108], v[101:102]
	ds_read_b128 v[101:104], v100 offset:736
	ds_read_b128 v[105:108], v100 offset:752
	s_waitcnt vmcnt(12) lgkmcnt(1)
	v_fma_f64 v[101:102], v[125:126], v[101:102], v[111:112]
	s_waitcnt vmcnt(11)
	v_fma_f64 v[101:102], v[119:120], v[103:104], v[101:102]
	s_waitcnt vmcnt(10) lgkmcnt(0)
	v_fma_f64 v[101:102], v[117:118], v[105:106], v[101:102]
	s_waitcnt vmcnt(5)
	v_fma_f64 v[105:106], v[113:114], v[107:108], v[101:102]
	ds_read_b128 v[101:104], v100 offset:768
	ds_read_b64 v[107:108], v100 offset:784
	s_waitcnt vmcnt(4) lgkmcnt(1)
	v_fma_f64 v[101:102], v[129:130], v[101:102], v[105:106]
	s_waitcnt vmcnt(3)
	v_fma_f64 v[101:102], v[127:128], v[103:104], v[101:102]
	s_waitcnt vmcnt(2) lgkmcnt(0)
	v_fma_f64 v[101:102], v[115:116], v[107:108], v[101:102]
	s_waitcnt vmcnt(0)
	v_add_f64 v[101:102], v[109:110], -v[101:102]
	buffer_store_dword v102, off, s[0:3], 0 offset:12
	buffer_store_dword v101, off, s[0:3], 0 offset:8
	s_and_saveexec_b64 s[4:5], vcc
	s_cbranch_execz .LBB48_301
; %bb.300:
	buffer_load_dword v101, off, s[0:3], 0
	buffer_load_dword v102, off, s[0:3], 0 offset:4
	s_waitcnt vmcnt(0)
	ds_write_b64 v99, v[101:102]
	buffer_store_dword v100, off, s[0:3], 0
	buffer_store_dword v100, off, s[0:3], 0 offset:4
.LBB48_301:
	s_or_b64 exec, exec, s[4:5]
	s_waitcnt lgkmcnt(0)
	; wave barrier
	buffer_load_dword v109, off, s[0:3], 0 offset:8
	buffer_load_dword v110, off, s[0:3], 0 offset:12
	;; [unrolled: 1-line block ×21, first 2 shown]
	ds_read2_b64 v[101:104], v100 offset0:51 offset1:52
	ds_read2_b64 v[105:108], v100 offset0:53 offset1:54
	buffer_load_dword v126, off, s[0:3], 0 offset:92
	s_and_b64 vcc, exec, s[22:23]
	s_waitcnt vmcnt(20) lgkmcnt(1)
	v_fma_f64 v[101:102], v[109:110], v[101:102], 0
	s_waitcnt vmcnt(18)
	v_fma_f64 v[101:102], v[111:112], v[103:104], v[101:102]
	buffer_load_dword v110, off, s[0:3], 0 offset:100
	buffer_load_dword v111, off, s[0:3], 0 offset:120
	;; [unrolled: 1-line block ×7, first 2 shown]
	s_waitcnt vmcnt(23) lgkmcnt(0)
	v_fma_f64 v[101:102], v[113:114], v[105:106], v[101:102]
	s_waitcnt vmcnt(21)
	v_fma_f64 v[112:113], v[115:116], v[107:108], v[101:102]
	ds_read2_b64 v[101:104], v100 offset0:55 offset1:56
	ds_read2_b64 v[105:108], v100 offset0:57 offset1:58
	s_waitcnt vmcnt(19) lgkmcnt(1)
	v_fma_f64 v[101:102], v[117:118], v[101:102], v[112:113]
	buffer_load_dword v112, off, s[0:3], 0 offset:124
	s_waitcnt vmcnt(18)
	v_fma_f64 v[101:102], v[119:120], v[103:104], v[101:102]
	buffer_load_dword v114, off, s[0:3], 0 offset:132
	buffer_load_dword v115, off, s[0:3], 0 offset:152
	;; [unrolled: 1-line block ×8, first 2 shown]
	s_waitcnt vmcnt(24) lgkmcnt(0)
	v_fma_f64 v[101:102], v[121:122], v[105:106], v[101:102]
	s_waitcnt vmcnt(19)
	v_fma_f64 v[121:122], v[123:124], v[107:108], v[101:102]
	ds_read2_b64 v[101:104], v100 offset0:59 offset1:60
	ds_read2_b64 v[105:108], v100 offset0:61 offset1:62
	s_waitcnt vmcnt(18) lgkmcnt(1)
	v_fma_f64 v[101:102], v[129:130], v[101:102], v[121:122]
	s_waitcnt vmcnt(17)
	v_fma_f64 v[101:102], v[127:128], v[103:104], v[101:102]
	buffer_load_dword v122, off, s[0:3], 0 offset:164
	buffer_load_dword v123, off, s[0:3], 0 offset:184
	;; [unrolled: 1-line block ×7, first 2 shown]
	s_waitcnt vmcnt(23) lgkmcnt(0)
	v_fma_f64 v[101:102], v[125:126], v[105:106], v[101:102]
	s_waitcnt vmcnt(18)
	v_fma_f64 v[109:110], v[109:110], v[107:108], v[101:102]
	ds_read2_b64 v[101:104], v100 offset0:63 offset1:64
	ds_read2_b64 v[105:108], v100 offset0:65 offset1:66
	buffer_load_dword v124, off, s[0:3], 0 offset:188
	s_waitcnt vmcnt(18) lgkmcnt(1)
	v_fma_f64 v[101:102], v[133:134], v[101:102], v[109:110]
	s_waitcnt vmcnt(17)
	v_fma_f64 v[101:102], v[131:132], v[103:104], v[101:102]
	buffer_load_dword v110, off, s[0:3], 0 offset:196
	buffer_load_dword v125, off, s[0:3], 0 offset:216
	;; [unrolled: 1-line block ×8, first 2 shown]
	s_waitcnt vmcnt(24) lgkmcnt(0)
	v_fma_f64 v[101:102], v[111:112], v[105:106], v[101:102]
	s_waitcnt vmcnt(19)
	v_fma_f64 v[111:112], v[113:114], v[107:108], v[101:102]
	ds_read2_b64 v[101:104], v100 offset0:67 offset1:68
	ds_read2_b64 v[105:108], v100 offset0:69 offset1:70
	s_waitcnt vmcnt(18) lgkmcnt(1)
	v_fma_f64 v[101:102], v[119:120], v[101:102], v[111:112]
	s_waitcnt vmcnt(17)
	v_fma_f64 v[101:102], v[117:118], v[103:104], v[101:102]
	buffer_load_dword v112, off, s[0:3], 0 offset:228
	buffer_load_dword v113, off, s[0:3], 0 offset:248
	buffer_load_dword v117, off, s[0:3], 0 offset:240
	buffer_load_dword v119, off, s[0:3], 0 offset:232
	buffer_load_dword v111, off, s[0:3], 0 offset:224
	buffer_load_dword v120, off, s[0:3], 0 offset:236
	buffer_load_dword v118, off, s[0:3], 0 offset:244
	s_waitcnt vmcnt(23) lgkmcnt(0)
	v_fma_f64 v[101:102], v[115:116], v[105:106], v[101:102]
	s_waitcnt vmcnt(18)
	v_fma_f64 v[114:115], v[121:122], v[107:108], v[101:102]
	ds_read2_b64 v[101:104], v100 offset0:71 offset1:72
	ds_read2_b64 v[105:108], v100 offset0:73 offset1:74
	s_waitcnt vmcnt(17) lgkmcnt(1)
	v_fma_f64 v[101:102], v[129:130], v[101:102], v[114:115]
	buffer_load_dword v114, off, s[0:3], 0 offset:252
	s_waitcnt vmcnt(17)
	v_fma_f64 v[101:102], v[127:128], v[103:104], v[101:102]
	buffer_load_dword v116, off, s[0:3], 0 offset:260
	buffer_load_dword v121, off, s[0:3], 0 offset:280
	;; [unrolled: 1-line block ×7, first 2 shown]
	s_waitcnt vmcnt(23) lgkmcnt(0)
	v_fma_f64 v[101:102], v[123:124], v[105:106], v[101:102]
	s_waitcnt vmcnt(18)
	v_fma_f64 v[109:110], v[109:110], v[107:108], v[101:102]
	ds_read2_b64 v[101:104], v100 offset0:75 offset1:76
	ds_read2_b64 v[105:108], v100 offset0:77 offset1:78
	buffer_load_dword v122, off, s[0:3], 0 offset:284
	s_waitcnt vmcnt(18) lgkmcnt(1)
	v_fma_f64 v[101:102], v[133:134], v[101:102], v[109:110]
	s_waitcnt vmcnt(17)
	v_fma_f64 v[101:102], v[131:132], v[103:104], v[101:102]
	buffer_load_dword v110, off, s[0:3], 0 offset:292
	buffer_load_dword v123, off, s[0:3], 0 offset:312
	;; [unrolled: 1-line block ×8, first 2 shown]
	s_waitcnt vmcnt(24) lgkmcnt(0)
	v_fma_f64 v[101:102], v[125:126], v[105:106], v[101:102]
	s_waitcnt vmcnt(19)
	v_fma_f64 v[111:112], v[111:112], v[107:108], v[101:102]
	ds_read2_b64 v[101:104], v100 offset0:79 offset1:80
	ds_read2_b64 v[105:108], v100 offset0:81 offset1:82
	s_waitcnt vmcnt(18) lgkmcnt(1)
	v_fma_f64 v[101:102], v[119:120], v[101:102], v[111:112]
	s_waitcnt vmcnt(17)
	v_fma_f64 v[101:102], v[117:118], v[103:104], v[101:102]
	buffer_load_dword v112, off, s[0:3], 0 offset:324
	buffer_load_dword v117, off, s[0:3], 0 offset:344
	;; [unrolled: 1-line block ×8, first 2 shown]
	s_waitcnt vmcnt(24) lgkmcnt(0)
	v_fma_f64 v[101:102], v[113:114], v[105:106], v[101:102]
	s_waitcnt vmcnt(19)
	v_fma_f64 v[113:114], v[115:116], v[107:108], v[101:102]
	ds_read2_b64 v[101:104], v100 offset0:83 offset1:84
	ds_read2_b64 v[105:108], v100 offset0:85 offset1:86
	s_waitcnt vmcnt(18) lgkmcnt(1)
	v_fma_f64 v[101:102], v[129:130], v[101:102], v[113:114]
	s_waitcnt vmcnt(17)
	v_fma_f64 v[102:103], v[127:128], v[103:104], v[101:102]
	buffer_load_dword v114, off, s[0:3], 0 offset:356
	buffer_load_dword v101, off, s[0:3], 0 offset:376
	;; [unrolled: 1-line block ×7, first 2 shown]
	s_waitcnt vmcnt(23) lgkmcnt(0)
	v_fma_f64 v[102:103], v[121:122], v[105:106], v[102:103]
	s_waitcnt vmcnt(18)
	v_fma_f64 v[121:122], v[109:110], v[107:108], v[102:103]
	ds_read2_b64 v[103:106], v100 offset0:87 offset1:88
	ds_read2_b64 v[107:110], v100 offset0:89 offset1:90
	buffer_load_dword v102, off, s[0:3], 0 offset:380
	s_waitcnt vmcnt(18) lgkmcnt(1)
	v_fma_f64 v[103:104], v[133:134], v[103:104], v[121:122]
	buffer_load_dword v122, off, s[0:3], 0 offset:388
	buffer_load_dword v121, off, s[0:3], 0 offset:384
	buffer_load_dword v129, off, s[0:3], 0
	buffer_load_dword v130, off, s[0:3], 0 offset:4
	s_waitcnt vmcnt(21)
	v_fma_f64 v[103:104], v[131:132], v[105:106], v[103:104]
	s_waitcnt vmcnt(20) lgkmcnt(0)
	v_fma_f64 v[103:104], v[123:124], v[107:108], v[103:104]
	s_waitcnt vmcnt(15)
	v_fma_f64 v[111:112], v[111:112], v[109:110], v[103:104]
	ds_read2_b64 v[103:106], v100 offset0:91 offset1:92
	ds_read2_b64 v[107:110], v100 offset0:93 offset1:94
	s_waitcnt vmcnt(14) lgkmcnt(1)
	v_fma_f64 v[103:104], v[125:126], v[103:104], v[111:112]
	s_waitcnt vmcnt(13)
	v_fma_f64 v[103:104], v[119:120], v[105:106], v[103:104]
	s_waitcnt vmcnt(12) lgkmcnt(0)
	v_fma_f64 v[103:104], v[117:118], v[107:108], v[103:104]
	s_waitcnt vmcnt(7)
	v_fma_f64 v[111:112], v[113:114], v[109:110], v[103:104]
	ds_read2_b64 v[103:106], v100 offset0:95 offset1:96
	ds_read2_b64 v[107:110], v100 offset0:97 offset1:98
	s_waitcnt vmcnt(6) lgkmcnt(1)
	v_fma_f64 v[99:100], v[127:128], v[103:104], v[111:112]
	s_waitcnt vmcnt(5)
	v_fma_f64 v[99:100], v[115:116], v[105:106], v[99:100]
	s_waitcnt vmcnt(4) lgkmcnt(0)
	v_fma_f64 v[99:100], v[101:102], v[107:108], v[99:100]
	s_waitcnt vmcnt(2)
	v_fma_f64 v[99:100], v[121:122], v[109:110], v[99:100]
	s_waitcnt vmcnt(0)
	v_add_f64 v[99:100], v[129:130], -v[99:100]
	buffer_store_dword v100, off, s[0:3], 0 offset:4
	buffer_store_dword v99, off, s[0:3], 0
	s_cbranch_vccz .LBB48_398
; %bb.302:
	v_mov_b32_e32 v0, 0
	global_load_dword v99, v0, s[20:21] offset:188
	s_waitcnt vmcnt(0)
	v_add_u32_e32 v99, -1, v99
	v_cmp_ne_u32_e32 vcc, 47, v99
	s_cbranch_vccz .LBB48_304
; %bb.303:
	v_lshlrev_b32_e32 v99, 3, v99
	buffer_load_dword v100, v99, s[0:3], 0 offen
	buffer_load_dword v103, v99, s[0:3], 0 offen offset:4
	s_waitcnt vmcnt(1)
	buffer_store_dword v100, off, s[0:3], 0 offset:376
	s_waitcnt vmcnt(1)
	buffer_store_dword v103, off, s[0:3], 0 offset:380
	buffer_store_dword v101, v99, s[0:3], 0 offen
	buffer_store_dword v102, v99, s[0:3], 0 offen offset:4
.LBB48_304:
	global_load_dword v0, v0, s[20:21] offset:184
	s_waitcnt vmcnt(0)
	v_add_u32_e32 v0, -1, v0
	v_cmp_eq_u32_e32 vcc, 46, v0
	s_cbranch_vccnz .LBB48_306
; %bb.305:
	v_lshlrev_b32_e32 v0, 3, v0
	buffer_load_dword v99, v0, s[0:3], 0 offen
	buffer_load_dword v100, v0, s[0:3], 0 offen offset:4
	buffer_load_dword v101, off, s[0:3], 0 offset:372
	buffer_load_dword v102, off, s[0:3], 0 offset:368
	s_waitcnt vmcnt(3)
	buffer_store_dword v99, off, s[0:3], 0 offset:368
	s_waitcnt vmcnt(3)
	buffer_store_dword v100, off, s[0:3], 0 offset:372
	s_waitcnt vmcnt(3)
	buffer_store_dword v101, v0, s[0:3], 0 offen offset:4
	s_waitcnt vmcnt(3)
	buffer_store_dword v102, v0, s[0:3], 0 offen
.LBB48_306:
	v_mov_b32_e32 v0, 0
	global_load_dword v99, v0, s[20:21] offset:180
	s_waitcnt vmcnt(0)
	v_add_u32_e32 v99, -1, v99
	v_cmp_eq_u32_e32 vcc, 45, v99
	s_cbranch_vccnz .LBB48_308
; %bb.307:
	v_lshlrev_b32_e32 v99, 3, v99
	buffer_load_dword v100, v99, s[0:3], 0 offen
	buffer_load_dword v101, v99, s[0:3], 0 offen offset:4
	buffer_load_dword v102, off, s[0:3], 0 offset:360
	buffer_load_dword v103, off, s[0:3], 0 offset:364
	s_waitcnt vmcnt(3)
	buffer_store_dword v100, off, s[0:3], 0 offset:360
	s_waitcnt vmcnt(3)
	buffer_store_dword v101, off, s[0:3], 0 offset:364
	s_waitcnt vmcnt(3)
	buffer_store_dword v102, v99, s[0:3], 0 offen
	s_waitcnt vmcnt(3)
	buffer_store_dword v103, v99, s[0:3], 0 offen offset:4
.LBB48_308:
	global_load_dword v0, v0, s[20:21] offset:176
	s_waitcnt vmcnt(0)
	v_add_u32_e32 v0, -1, v0
	v_cmp_eq_u32_e32 vcc, 44, v0
	s_cbranch_vccnz .LBB48_310
; %bb.309:
	v_lshlrev_b32_e32 v0, 3, v0
	buffer_load_dword v99, v0, s[0:3], 0 offen
	buffer_load_dword v100, v0, s[0:3], 0 offen offset:4
	buffer_load_dword v101, off, s[0:3], 0 offset:356
	buffer_load_dword v102, off, s[0:3], 0 offset:352
	s_waitcnt vmcnt(3)
	buffer_store_dword v99, off, s[0:3], 0 offset:352
	s_waitcnt vmcnt(3)
	buffer_store_dword v100, off, s[0:3], 0 offset:356
	s_waitcnt vmcnt(3)
	buffer_store_dword v101, v0, s[0:3], 0 offen offset:4
	s_waitcnt vmcnt(3)
	buffer_store_dword v102, v0, s[0:3], 0 offen
.LBB48_310:
	v_mov_b32_e32 v0, 0
	global_load_dword v99, v0, s[20:21] offset:172
	s_waitcnt vmcnt(0)
	v_add_u32_e32 v99, -1, v99
	v_cmp_eq_u32_e32 vcc, 43, v99
	s_cbranch_vccnz .LBB48_312
; %bb.311:
	v_lshlrev_b32_e32 v99, 3, v99
	buffer_load_dword v100, v99, s[0:3], 0 offen
	buffer_load_dword v101, v99, s[0:3], 0 offen offset:4
	buffer_load_dword v102, off, s[0:3], 0 offset:344
	buffer_load_dword v103, off, s[0:3], 0 offset:348
	s_waitcnt vmcnt(3)
	buffer_store_dword v100, off, s[0:3], 0 offset:344
	s_waitcnt vmcnt(3)
	buffer_store_dword v101, off, s[0:3], 0 offset:348
	s_waitcnt vmcnt(3)
	buffer_store_dword v102, v99, s[0:3], 0 offen
	s_waitcnt vmcnt(3)
	buffer_store_dword v103, v99, s[0:3], 0 offen offset:4
.LBB48_312:
	;; [unrolled: 41-line block ×23, first 2 shown]
	global_load_dword v0, v0, s[20:21]
	s_nop 0
	buffer_load_dword v99, off, s[0:3], 0
	buffer_load_dword v100, off, s[0:3], 0 offset:4
	s_waitcnt vmcnt(2)
	v_add_u32_e32 v0, -1, v0
	v_cmp_eq_u32_e32 vcc, 0, v0
	s_cbranch_vccnz .LBB48_398
; %bb.397:
	v_lshlrev_b32_e32 v0, 3, v0
	buffer_load_dword v101, v0, s[0:3], 0 offen offset:4
	buffer_load_dword v102, v0, s[0:3], 0 offen
	s_waitcnt vmcnt(1)
	buffer_store_dword v101, off, s[0:3], 0 offset:4
	s_waitcnt vmcnt(1)
	buffer_store_dword v102, off, s[0:3], 0
	buffer_store_dword v100, v0, s[0:3], 0 offen offset:4
	buffer_store_dword v99, v0, s[0:3], 0 offen
	buffer_load_dword v99, off, s[0:3], 0
	s_nop 0
	buffer_load_dword v100, off, s[0:3], 0 offset:4
.LBB48_398:
	buffer_load_dword v101, off, s[0:3], 0 offset:8
	buffer_load_dword v102, off, s[0:3], 0 offset:12
	buffer_load_dword v103, off, s[0:3], 0 offset:16
	buffer_load_dword v104, off, s[0:3], 0 offset:20
	buffer_load_dword v105, off, s[0:3], 0 offset:24
	buffer_load_dword v106, off, s[0:3], 0 offset:28
	buffer_load_dword v107, off, s[0:3], 0 offset:32
	buffer_load_dword v108, off, s[0:3], 0 offset:36
	buffer_load_dword v109, off, s[0:3], 0 offset:40
	buffer_load_dword v110, off, s[0:3], 0 offset:44
	buffer_load_dword v111, off, s[0:3], 0 offset:48
	buffer_load_dword v112, off, s[0:3], 0 offset:52
	buffer_load_dword v113, off, s[0:3], 0 offset:56
	buffer_load_dword v114, off, s[0:3], 0 offset:60
	buffer_load_dword v115, off, s[0:3], 0 offset:64
	buffer_load_dword v116, off, s[0:3], 0 offset:68
	buffer_load_dword v117, off, s[0:3], 0 offset:72
	buffer_load_dword v118, off, s[0:3], 0 offset:76
	buffer_load_dword v119, off, s[0:3], 0 offset:80
	buffer_load_dword v120, off, s[0:3], 0 offset:84
	buffer_load_dword v121, off, s[0:3], 0 offset:88
	buffer_load_dword v122, off, s[0:3], 0 offset:92
	buffer_load_dword v123, off, s[0:3], 0 offset:96
	buffer_load_dword v124, off, s[0:3], 0 offset:100
	buffer_load_dword v125, off, s[0:3], 0 offset:104
	buffer_load_dword v126, off, s[0:3], 0 offset:108
	buffer_load_dword v127, off, s[0:3], 0 offset:112
	buffer_load_dword v128, off, s[0:3], 0 offset:116
	buffer_load_dword v129, off, s[0:3], 0 offset:120
	buffer_load_dword v130, off, s[0:3], 0 offset:124
	buffer_load_dword v131, off, s[0:3], 0 offset:128
	buffer_load_dword v132, off, s[0:3], 0 offset:132
	buffer_load_dword v133, off, s[0:3], 0 offset:136
	buffer_load_dword v134, off, s[0:3], 0 offset:140
	buffer_load_dword v135, off, s[0:3], 0 offset:144
	buffer_load_dword v136, off, s[0:3], 0 offset:148
	buffer_load_dword v137, off, s[0:3], 0 offset:152
	buffer_load_dword v138, off, s[0:3], 0 offset:156
	buffer_load_dword v139, off, s[0:3], 0 offset:160
	buffer_load_dword v140, off, s[0:3], 0 offset:164
	buffer_load_dword v141, off, s[0:3], 0 offset:168
	buffer_load_dword v142, off, s[0:3], 0 offset:172
	buffer_load_dword v143, off, s[0:3], 0 offset:176
	buffer_load_dword v144, off, s[0:3], 0 offset:180
	buffer_load_dword v145, off, s[0:3], 0 offset:184
	buffer_load_dword v146, off, s[0:3], 0 offset:188
	buffer_load_dword v147, off, s[0:3], 0 offset:192
	buffer_load_dword v148, off, s[0:3], 0 offset:196
	buffer_load_dword v149, off, s[0:3], 0 offset:200
	buffer_load_dword v150, off, s[0:3], 0 offset:204
	buffer_load_dword v151, off, s[0:3], 0 offset:208
	buffer_load_dword v152, off, s[0:3], 0 offset:212
	buffer_load_dword v153, off, s[0:3], 0 offset:216
	buffer_load_dword v154, off, s[0:3], 0 offset:220
	buffer_load_dword v155, off, s[0:3], 0 offset:224
	buffer_load_dword v156, off, s[0:3], 0 offset:228
	buffer_load_dword v157, off, s[0:3], 0 offset:232
	buffer_load_dword v158, off, s[0:3], 0 offset:236
	buffer_load_dword v159, off, s[0:3], 0 offset:240
	buffer_load_dword v160, off, s[0:3], 0 offset:244
	buffer_load_dword v161, off, s[0:3], 0 offset:248
	buffer_load_dword v162, off, s[0:3], 0 offset:252
	buffer_load_dword v163, off, s[0:3], 0 offset:256
	buffer_load_dword v164, off, s[0:3], 0 offset:260
	buffer_load_dword v165, off, s[0:3], 0 offset:264
	buffer_load_dword v166, off, s[0:3], 0 offset:268
	buffer_load_dword v167, off, s[0:3], 0 offset:272
	buffer_load_dword v168, off, s[0:3], 0 offset:276
	buffer_load_dword v169, off, s[0:3], 0 offset:280
	buffer_load_dword v170, off, s[0:3], 0 offset:284
	buffer_load_dword v171, off, s[0:3], 0 offset:288
	buffer_load_dword v172, off, s[0:3], 0 offset:292
	buffer_load_dword v173, off, s[0:3], 0 offset:296
	buffer_load_dword v174, off, s[0:3], 0 offset:300
	buffer_load_dword v175, off, s[0:3], 0 offset:304
	buffer_load_dword v176, off, s[0:3], 0 offset:308
	buffer_load_dword v177, off, s[0:3], 0 offset:312
	buffer_load_dword v178, off, s[0:3], 0 offset:316
	buffer_load_dword v179, off, s[0:3], 0 offset:320
	buffer_load_dword v180, off, s[0:3], 0 offset:324
	buffer_load_dword v181, off, s[0:3], 0 offset:328
	buffer_load_dword v182, off, s[0:3], 0 offset:332
	buffer_load_dword v183, off, s[0:3], 0 offset:336
	buffer_load_dword v184, off, s[0:3], 0 offset:340
	buffer_load_dword v185, off, s[0:3], 0 offset:344
	buffer_load_dword v186, off, s[0:3], 0 offset:348
	buffer_load_dword v187, off, s[0:3], 0 offset:352
	buffer_load_dword v188, off, s[0:3], 0 offset:356
	buffer_load_dword v189, off, s[0:3], 0 offset:360
	buffer_load_dword v190, off, s[0:3], 0 offset:364
	buffer_load_dword v191, off, s[0:3], 0 offset:368
	buffer_load_dword v192, off, s[0:3], 0 offset:372
	buffer_load_dword v193, off, s[0:3], 0 offset:376
	buffer_load_dword v194, off, s[0:3], 0 offset:380
	buffer_load_dword v195, off, s[0:3], 0 offset:384
	buffer_load_dword v196, off, s[0:3], 0 offset:388
	s_waitcnt vmcnt(62)
	global_store_dwordx2 v[89:90], v[99:100], off
	global_store_dwordx2 v[91:92], v[101:102], off
	;; [unrolled: 1-line block ×18, first 2 shown]
	s_waitcnt vmcnt(62)
	global_store_dwordx2 v[33:34], v[135:136], off
	global_store_dwordx2 v[35:36], v[137:138], off
	;; [unrolled: 1-line block ×9, first 2 shown]
	s_waitcnt vmcnt(62)
	global_store_dwordx2 v[51:52], v[153:154], off
	global_store_dwordx2 v[53:54], v[155:156], off
	;; [unrolled: 1-line block ×4, first 2 shown]
	s_waitcnt vmcnt(62)
	global_store_dwordx2 v[59:60], v[161:162], off
	global_store_dwordx2 v[61:62], v[163:164], off
	s_waitcnt vmcnt(62)
	global_store_dwordx2 v[63:64], v[165:166], off
	s_waitcnt vmcnt(62)
	;; [unrolled: 2-line block ×16, first 2 shown]
	global_store_dwordx2 v[97:98], v[195:196], off
	s_endpgm
	.section	.rodata,"a",@progbits
	.p2align	6, 0x0
	.amdhsa_kernel _ZN9rocsolver6v33100L18getri_kernel_smallILi49EdPdEEvT1_iilPiilS4_bb
		.amdhsa_group_segment_fixed_size 792
		.amdhsa_private_segment_fixed_size 400
		.amdhsa_kernarg_size 60
		.amdhsa_user_sgpr_count 6
		.amdhsa_user_sgpr_private_segment_buffer 1
		.amdhsa_user_sgpr_dispatch_ptr 0
		.amdhsa_user_sgpr_queue_ptr 0
		.amdhsa_user_sgpr_kernarg_segment_ptr 1
		.amdhsa_user_sgpr_dispatch_id 0
		.amdhsa_user_sgpr_flat_scratch_init 0
		.amdhsa_user_sgpr_private_segment_size 0
		.amdhsa_uses_dynamic_stack 0
		.amdhsa_system_sgpr_private_segment_wavefront_offset 1
		.amdhsa_system_sgpr_workgroup_id_x 1
		.amdhsa_system_sgpr_workgroup_id_y 0
		.amdhsa_system_sgpr_workgroup_id_z 0
		.amdhsa_system_sgpr_workgroup_info 0
		.amdhsa_system_vgpr_workitem_id 0
		.amdhsa_next_free_vgpr 197
		.amdhsa_next_free_sgpr 24
		.amdhsa_reserve_vcc 1
		.amdhsa_reserve_flat_scratch 0
		.amdhsa_float_round_mode_32 0
		.amdhsa_float_round_mode_16_64 0
		.amdhsa_float_denorm_mode_32 3
		.amdhsa_float_denorm_mode_16_64 3
		.amdhsa_dx10_clamp 1
		.amdhsa_ieee_mode 1
		.amdhsa_fp16_overflow 0
		.amdhsa_exception_fp_ieee_invalid_op 0
		.amdhsa_exception_fp_denorm_src 0
		.amdhsa_exception_fp_ieee_div_zero 0
		.amdhsa_exception_fp_ieee_overflow 0
		.amdhsa_exception_fp_ieee_underflow 0
		.amdhsa_exception_fp_ieee_inexact 0
		.amdhsa_exception_int_div_zero 0
	.end_amdhsa_kernel
	.section	.text._ZN9rocsolver6v33100L18getri_kernel_smallILi49EdPdEEvT1_iilPiilS4_bb,"axG",@progbits,_ZN9rocsolver6v33100L18getri_kernel_smallILi49EdPdEEvT1_iilPiilS4_bb,comdat
.Lfunc_end48:
	.size	_ZN9rocsolver6v33100L18getri_kernel_smallILi49EdPdEEvT1_iilPiilS4_bb, .Lfunc_end48-_ZN9rocsolver6v33100L18getri_kernel_smallILi49EdPdEEvT1_iilPiilS4_bb
                                        ; -- End function
	.set _ZN9rocsolver6v33100L18getri_kernel_smallILi49EdPdEEvT1_iilPiilS4_bb.num_vgpr, 197
	.set _ZN9rocsolver6v33100L18getri_kernel_smallILi49EdPdEEvT1_iilPiilS4_bb.num_agpr, 0
	.set _ZN9rocsolver6v33100L18getri_kernel_smallILi49EdPdEEvT1_iilPiilS4_bb.numbered_sgpr, 24
	.set _ZN9rocsolver6v33100L18getri_kernel_smallILi49EdPdEEvT1_iilPiilS4_bb.num_named_barrier, 0
	.set _ZN9rocsolver6v33100L18getri_kernel_smallILi49EdPdEEvT1_iilPiilS4_bb.private_seg_size, 400
	.set _ZN9rocsolver6v33100L18getri_kernel_smallILi49EdPdEEvT1_iilPiilS4_bb.uses_vcc, 1
	.set _ZN9rocsolver6v33100L18getri_kernel_smallILi49EdPdEEvT1_iilPiilS4_bb.uses_flat_scratch, 0
	.set _ZN9rocsolver6v33100L18getri_kernel_smallILi49EdPdEEvT1_iilPiilS4_bb.has_dyn_sized_stack, 0
	.set _ZN9rocsolver6v33100L18getri_kernel_smallILi49EdPdEEvT1_iilPiilS4_bb.has_recursion, 0
	.set _ZN9rocsolver6v33100L18getri_kernel_smallILi49EdPdEEvT1_iilPiilS4_bb.has_indirect_call, 0
	.section	.AMDGPU.csdata,"",@progbits
; Kernel info:
; codeLenInByte = 61668
; TotalNumSgprs: 28
; NumVgprs: 197
; ScratchSize: 400
; MemoryBound: 1
; FloatMode: 240
; IeeeMode: 1
; LDSByteSize: 792 bytes/workgroup (compile time only)
; SGPRBlocks: 3
; VGPRBlocks: 49
; NumSGPRsForWavesPerEU: 28
; NumVGPRsForWavesPerEU: 197
; Occupancy: 1
; WaveLimiterHint : 1
; COMPUTE_PGM_RSRC2:SCRATCH_EN: 1
; COMPUTE_PGM_RSRC2:USER_SGPR: 6
; COMPUTE_PGM_RSRC2:TRAP_HANDLER: 0
; COMPUTE_PGM_RSRC2:TGID_X_EN: 1
; COMPUTE_PGM_RSRC2:TGID_Y_EN: 0
; COMPUTE_PGM_RSRC2:TGID_Z_EN: 0
; COMPUTE_PGM_RSRC2:TIDIG_COMP_CNT: 0
	.section	.text._ZN9rocsolver6v33100L18getri_kernel_smallILi50EdPdEEvT1_iilPiilS4_bb,"axG",@progbits,_ZN9rocsolver6v33100L18getri_kernel_smallILi50EdPdEEvT1_iilPiilS4_bb,comdat
	.globl	_ZN9rocsolver6v33100L18getri_kernel_smallILi50EdPdEEvT1_iilPiilS4_bb ; -- Begin function _ZN9rocsolver6v33100L18getri_kernel_smallILi50EdPdEEvT1_iilPiilS4_bb
	.p2align	8
	.type	_ZN9rocsolver6v33100L18getri_kernel_smallILi50EdPdEEvT1_iilPiilS4_bb,@function
_ZN9rocsolver6v33100L18getri_kernel_smallILi50EdPdEEvT1_iilPiilS4_bb: ; @_ZN9rocsolver6v33100L18getri_kernel_smallILi50EdPdEEvT1_iilPiilS4_bb
; %bb.0:
	s_add_u32 s0, s0, s7
	s_addc_u32 s1, s1, 0
	v_cmp_gt_u32_e32 vcc, 50, v0
	s_and_saveexec_b64 s[8:9], vcc
	s_cbranch_execz .LBB49_208
; %bb.1:
	s_load_dword s12, s[4:5], 0x38
	s_load_dwordx4 s[16:19], s[4:5], 0x10
	s_load_dwordx4 s[8:11], s[4:5], 0x28
                                        ; implicit-def: $sgpr20_sgpr21
	s_waitcnt lgkmcnt(0)
	s_bitcmp1_b32 s12, 8
	s_cselect_b64 s[22:23], -1, 0
	s_ashr_i32 s7, s6, 31
	s_bfe_u32 s12, s12, 0x10008
	s_cmp_eq_u32 s12, 0
	s_cbranch_scc1 .LBB49_3
; %bb.2:
	s_load_dword s12, s[4:5], 0x20
	s_mul_i32 s13, s8, s7
	s_mul_hi_u32 s14, s8, s6
	s_mul_i32 s9, s9, s6
	s_add_i32 s14, s14, s13
	s_add_i32 s9, s14, s9
	s_mul_i32 s8, s8, s6
	s_waitcnt lgkmcnt(0)
	s_ashr_i32 s13, s12, 31
	s_lshl_b64 s[8:9], s[8:9], 2
	s_add_u32 s14, s18, s8
	s_addc_u32 s15, s19, s9
	s_lshl_b64 s[8:9], s[12:13], 2
	s_add_u32 s20, s14, s8
	s_addc_u32 s21, s15, s9
.LBB49_3:
	s_load_dwordx4 s[12:15], s[4:5], 0x0
	s_load_dword s8, s[4:5], 0x38
	s_mul_i32 s9, s16, s7
	s_mul_hi_u32 s18, s16, s6
	s_add_i32 s9, s18, s9
	s_waitcnt lgkmcnt(0)
	s_ashr_i32 s5, s14, 31
	s_mov_b32 s4, s14
	s_mul_i32 s14, s17, s6
	s_add_i32 s17, s9, s14
	s_mul_i32 s16, s16, s6
	s_lshl_b64 s[16:17], s[16:17], 3
	s_add_u32 s9, s12, s16
	s_addc_u32 s12, s13, s17
	s_lshl_b64 s[4:5], s[4:5], 3
	s_add_u32 s4, s9, s4
	s_addc_u32 s5, s12, s5
	s_add_i32 s9, s15, s15
	v_add_u32_e32 v3, s9, v0
	v_ashrrev_i32_e32 v4, 31, v3
	v_lshlrev_b64 v[1:2], 3, v[3:4]
	v_add_u32_e32 v5, s15, v3
	v_mov_b32_e32 v4, s5
	v_add_co_u32_e32 v1, vcc, s4, v1
	v_ashrrev_i32_e32 v6, 31, v5
	v_addc_co_u32_e32 v2, vcc, v4, v2, vcc
	v_lshlrev_b64 v[3:4], 3, v[5:6]
	v_add_u32_e32 v7, s15, v5
	v_mov_b32_e32 v6, s5
	v_add_co_u32_e32 v3, vcc, s4, v3
	v_ashrrev_i32_e32 v8, 31, v7
	v_addc_co_u32_e32 v4, vcc, v6, v4, vcc
	;; [unrolled: 6-line block ×8, first 2 shown]
	v_lshlrev_b64 v[17:18], 3, v[19:20]
	v_mov_b32_e32 v21, s5
	v_add_co_u32_e32 v17, vcc, s4, v17
	v_addc_co_u32_e32 v18, vcc, v21, v18, vcc
	v_add_u32_e32 v21, s15, v19
	v_ashrrev_i32_e32 v22, 31, v21
	v_lshlrev_b64 v[19:20], 3, v[21:22]
	v_mov_b32_e32 v23, s5
	v_add_co_u32_e32 v19, vcc, s4, v19
	v_addc_co_u32_e32 v20, vcc, v23, v20, vcc
	v_add_u32_e32 v23, s15, v21
	v_ashrrev_i32_e32 v24, 31, v23
	;; [unrolled: 6-line block ×33, first 2 shown]
	v_lshlrev_b64 v[83:84], 3, v[85:86]
	v_mov_b32_e32 v87, s5
	v_add_co_u32_e32 v83, vcc, s4, v83
	v_addc_co_u32_e32 v84, vcc, v87, v84, vcc
	v_lshlrev_b32_e32 v103, 3, v0
	v_add_u32_e32 v87, s15, v85
	global_load_dwordx2 v[101:102], v103, s[4:5]
	global_load_dwordx2 v[106:107], v[1:2], off
	global_load_dwordx2 v[108:109], v[3:4], off
	;; [unrolled: 1-line block ×3, first 2 shown]
	v_mov_b32_e32 v85, s5
	v_add_co_u32_e32 v91, vcc, s4, v103
	s_ashr_i32 s13, s15, 31
	s_mov_b32 s12, s15
	v_addc_co_u32_e32 v92, vcc, 0, v85, vcc
	s_lshl_b64 s[12:13], s[12:13], 3
	v_mov_b32_e32 v85, s13
	v_add_co_u32_e32 v93, vcc, s12, v91
	v_addc_co_u32_e32 v94, vcc, v92, v85, vcc
	global_load_dwordx2 v[104:105], v[93:94], off
	global_load_dwordx2 v[112:113], v[7:8], off
	;; [unrolled: 1-line block ×3, first 2 shown]
	v_ashrrev_i32_e32 v88, 31, v87
	v_lshlrev_b64 v[85:86], 3, v[87:88]
	v_mov_b32_e32 v89, s5
	v_add_co_u32_e32 v85, vcc, s4, v85
	v_addc_co_u32_e32 v86, vcc, v89, v86, vcc
	v_add_u32_e32 v89, s15, v87
	v_ashrrev_i32_e32 v90, 31, v89
	v_lshlrev_b64 v[87:88], 3, v[89:90]
	v_mov_b32_e32 v95, s5
	v_add_co_u32_e32 v87, vcc, s4, v87
	v_addc_co_u32_e32 v88, vcc, v95, v88, vcc
	v_add_u32_e32 v95, s15, v89
	;; [unrolled: 6-line block ×3, first 2 shown]
	v_ashrrev_i32_e32 v98, 31, v97
	v_lshlrev_b64 v[95:96], 3, v[97:98]
	global_load_dwordx2 v[116:117], v[11:12], off
	global_load_dwordx2 v[118:119], v[13:14], off
	v_mov_b32_e32 v99, s5
	v_add_co_u32_e32 v95, vcc, s4, v95
	v_addc_co_u32_e32 v96, vcc, v99, v96, vcc
	v_add_u32_e32 v99, s15, v97
	v_ashrrev_i32_e32 v100, 31, v99
	v_lshlrev_b64 v[97:98], 3, v[99:100]
	v_mov_b32_e32 v146, s5
	v_add_co_u32_e32 v97, vcc, s4, v97
	global_load_dwordx2 v[120:121], v[15:16], off
	global_load_dwordx2 v[122:123], v[17:18], off
	;; [unrolled: 1-line block ×13, first 2 shown]
	v_addc_co_u32_e32 v98, vcc, v146, v98, vcc
	global_load_dwordx2 v[146:147], v[41:42], off
	global_load_dwordx2 v[148:149], v[43:44], off
	;; [unrolled: 1-line block ×8, first 2 shown]
	v_add_u32_e32 v99, s15, v99
	v_ashrrev_i32_e32 v100, 31, v99
	v_lshlrev_b64 v[99:100], 3, v[99:100]
	v_mov_b32_e32 v162, s5
	v_add_co_u32_e32 v99, vcc, s4, v99
	v_addc_co_u32_e32 v100, vcc, v162, v100, vcc
	global_load_dwordx2 v[162:163], v[57:58], off
	global_load_dwordx2 v[164:165], v[59:60], off
	;; [unrolled: 1-line block ×11, first 2 shown]
	s_bitcmp0_b32 s8, 0
	s_waitcnt vmcnt(40)
	buffer_store_dword v102, off, s[0:3], 0 offset:4
	buffer_store_dword v101, off, s[0:3], 0
	global_load_dwordx2 v[101:102], v[61:62], off
	s_mov_b64 s[8:9], -1
	s_waitcnt vmcnt(42)
	buffer_store_dword v107, off, s[0:3], 0 offset:20
	s_waitcnt vmcnt(40)
	buffer_store_dword v105, off, s[0:3], 0 offset:12
	buffer_store_dword v104, off, s[0:3], 0 offset:8
	global_load_dwordx2 v[104:105], v[65:66], off
	s_nop 0
	buffer_store_dword v106, off, s[0:3], 0 offset:16
	global_load_dwordx2 v[106:107], v[69:70], off
	s_nop 0
	buffer_store_dword v109, off, s[0:3], 0 offset:28
	buffer_store_dword v108, off, s[0:3], 0 offset:24
	global_load_dwordx2 v[108:109], v[73:74], off
	s_nop 0
	buffer_store_dword v111, off, s[0:3], 0 offset:36
	buffer_store_dword v110, off, s[0:3], 0 offset:32
	global_load_dwordx2 v[110:111], v[77:78], off
	s_waitcnt vmcnt(50)
	buffer_store_dword v113, off, s[0:3], 0 offset:44
	buffer_store_dword v112, off, s[0:3], 0 offset:40
	global_load_dwordx2 v[112:113], v[81:82], off
	s_waitcnt vmcnt(52)
	;; [unrolled: 4-line block ×5, first 2 shown]
	buffer_store_dword v120, off, s[0:3], 0 offset:72
	buffer_store_dword v121, off, s[0:3], 0 offset:76
	s_waitcnt vmcnt(59)
	buffer_store_dword v122, off, s[0:3], 0 offset:80
	buffer_store_dword v123, off, s[0:3], 0 offset:84
	s_waitcnt vmcnt(60)
	;; [unrolled: 3-line block ×5, first 2 shown]
	buffer_store_dword v131, off, s[0:3], 0 offset:116
	buffer_store_dword v130, off, s[0:3], 0 offset:112
	;; [unrolled: 1-line block ×4, first 2 shown]
	s_waitcnt vmcnt(62)
	buffer_store_dword v134, off, s[0:3], 0 offset:128
	buffer_store_dword v135, off, s[0:3], 0 offset:132
	;; [unrolled: 1-line block ×8, first 2 shown]
	s_waitcnt vmcnt(62)
	buffer_store_dword v143, off, s[0:3], 0 offset:164
	buffer_store_dword v142, off, s[0:3], 0 offset:160
	;; [unrolled: 1-line block ×16, first 2 shown]
	s_waitcnt vmcnt(62)
	buffer_store_dword v158, off, s[0:3], 0 offset:224
	buffer_store_dword v159, off, s[0:3], 0 offset:228
	;; [unrolled: 1-line block ×12, first 2 shown]
	s_waitcnt vmcnt(62)
	buffer_store_dword v104, off, s[0:3], 0 offset:272
	buffer_store_dword v105, off, s[0:3], 0 offset:276
	;; [unrolled: 1-line block ×16, first 2 shown]
	s_waitcnt vmcnt(62)
	buffer_store_dword v112, off, s[0:3], 0 offset:336
	buffer_store_dword v113, off, s[0:3], 0 offset:340
	;; [unrolled: 1-line block ×16, first 2 shown]
	s_cbranch_scc1 .LBB49_206
; %bb.4:
	v_cmp_eq_u32_e64 s[4:5], 0, v0
	s_and_saveexec_b64 s[8:9], s[4:5]
; %bb.5:
	v_mov_b32_e32 v101, 0
	ds_write_b32 v101, v101 offset:800
; %bb.6:
	s_or_b64 exec, exec, s[8:9]
	v_mov_b32_e32 v101, 0
	v_lshl_add_u32 v101, v0, 3, v101
	s_waitcnt lgkmcnt(0)
	; wave barrier
	buffer_load_dword v104, v101, s[0:3], 0 offen
	buffer_load_dword v105, v101, s[0:3], 0 offen offset:4
	s_waitcnt vmcnt(0)
	v_cmp_eq_f64_e32 vcc, 0, v[104:105]
	s_and_saveexec_b64 s[12:13], vcc
	s_cbranch_execz .LBB49_10
; %bb.7:
	v_mov_b32_e32 v102, 0
	ds_read_b32 v105, v102 offset:800
	v_add_u32_e32 v104, 1, v0
	s_waitcnt lgkmcnt(0)
	v_readfirstlane_b32 s8, v105
	s_cmp_eq_u32 s8, 0
	s_cselect_b64 s[14:15], -1, 0
	v_cmp_gt_i32_e32 vcc, s8, v104
	s_or_b64 s[14:15], s[14:15], vcc
	s_and_b64 exec, exec, s[14:15]
	s_cbranch_execz .LBB49_10
; %bb.8:
	s_mov_b64 s[14:15], 0
	v_mov_b32_e32 v105, s8
.LBB49_9:                               ; =>This Inner Loop Header: Depth=1
	ds_cmpst_rtn_b32 v105, v102, v105, v104 offset:800
	s_waitcnt lgkmcnt(0)
	v_cmp_ne_u32_e32 vcc, 0, v105
	v_cmp_le_i32_e64 s[8:9], v105, v104
	s_and_b64 s[8:9], vcc, s[8:9]
	s_and_b64 s[8:9], exec, s[8:9]
	s_or_b64 s[14:15], s[8:9], s[14:15]
	s_andn2_b64 exec, exec, s[14:15]
	s_cbranch_execnz .LBB49_9
.LBB49_10:
	s_or_b64 exec, exec, s[12:13]
	v_mov_b32_e32 v104, 0
	; wave barrier
	ds_read_b32 v102, v104 offset:800
	s_and_saveexec_b64 s[8:9], s[4:5]
	s_cbranch_execz .LBB49_12
; %bb.11:
	s_lshl_b64 s[12:13], s[6:7], 2
	s_add_u32 s12, s10, s12
	s_addc_u32 s13, s11, s13
	s_waitcnt lgkmcnt(0)
	global_store_dword v104, v102, s[12:13]
.LBB49_12:
	s_or_b64 exec, exec, s[8:9]
	s_waitcnt lgkmcnt(0)
	v_cmp_ne_u32_e32 vcc, 0, v102
	s_mov_b64 s[8:9], 0
	s_cbranch_vccnz .LBB49_206
; %bb.13:
	buffer_load_dword v104, v101, s[0:3], 0 offen
	buffer_load_dword v105, v101, s[0:3], 0 offen offset:4
	s_waitcnt vmcnt(0)
	v_div_scale_f64 v[106:107], s[8:9], v[104:105], v[104:105], 1.0
	v_rcp_f64_e32 v[108:109], v[106:107]
	v_fma_f64 v[110:111], -v[106:107], v[108:109], 1.0
	v_fma_f64 v[108:109], v[108:109], v[110:111], v[108:109]
	v_div_scale_f64 v[110:111], vcc, 1.0, v[104:105], 1.0
	v_fma_f64 v[112:113], -v[106:107], v[108:109], 1.0
	v_fma_f64 v[108:109], v[108:109], v[112:113], v[108:109]
	v_mul_f64 v[112:113], v[110:111], v[108:109]
	v_fma_f64 v[106:107], -v[106:107], v[112:113], v[110:111]
	v_div_fmas_f64 v[106:107], v[106:107], v[108:109], v[112:113]
	v_div_fixup_f64 v[105:106], v[106:107], v[104:105], 1.0
	v_add_u32_e32 v104, 0x190, v103
	buffer_store_dword v106, v101, s[0:3], 0 offen offset:4
	buffer_store_dword v105, v101, s[0:3], 0 offen
	buffer_load_dword v108, off, s[0:3], 0 offset:12
	buffer_load_dword v107, off, s[0:3], 0 offset:8
	v_xor_b32_e32 v106, 0x80000000, v106
	s_waitcnt vmcnt(0)
	ds_write2_b64 v103, v[105:106], v[107:108] offset1:50
	s_waitcnt lgkmcnt(0)
	; wave barrier
	s_and_saveexec_b64 s[8:9], s[4:5]
	s_cbranch_execz .LBB49_15
; %bb.14:
	buffer_load_dword v105, v101, s[0:3], 0 offen
	buffer_load_dword v106, v101, s[0:3], 0 offen offset:4
	ds_read_b64 v[107:108], v104
	v_mov_b32_e32 v102, 0
	ds_read_b64 v[109:110], v102 offset:8
	s_waitcnt vmcnt(0) lgkmcnt(1)
	v_fma_f64 v[105:106], v[105:106], v[107:108], 0
	s_waitcnt lgkmcnt(0)
	v_mul_f64 v[105:106], v[105:106], v[109:110]
	buffer_store_dword v105, off, s[0:3], 0 offset:8
	buffer_store_dword v106, off, s[0:3], 0 offset:12
.LBB49_15:
	s_or_b64 exec, exec, s[8:9]
	; wave barrier
	buffer_load_dword v105, off, s[0:3], 0 offset:16
	buffer_load_dword v106, off, s[0:3], 0 offset:20
	v_cmp_gt_u32_e32 vcc, 2, v0
	s_waitcnt vmcnt(0)
	ds_write_b64 v104, v[105:106]
	s_waitcnt lgkmcnt(0)
	; wave barrier
	s_and_saveexec_b64 s[8:9], vcc
	s_cbranch_execz .LBB49_17
; %bb.16:
	buffer_load_dword v105, v101, s[0:3], 0 offen
	buffer_load_dword v106, v101, s[0:3], 0 offen offset:4
                                        ; kill: killed $vgpr101
	s_nop 0
	buffer_load_dword v101, off, s[0:3], 0 offset:8
	buffer_load_dword v102, off, s[0:3], 0 offset:12
	ds_read_b64 v[107:108], v104
	s_waitcnt vmcnt(2) lgkmcnt(0)
	v_fma_f64 v[109:110], v[105:106], v[107:108], 0
	v_mov_b32_e32 v105, 0
	ds_read2_b64 v[105:108], v105 offset0:2 offset1:51
	s_waitcnt vmcnt(0) lgkmcnt(0)
	v_fma_f64 v[101:102], v[101:102], v[107:108], v[109:110]
	v_cndmask_b32_e64 v102, v110, v102, s[4:5]
	v_cndmask_b32_e64 v101, v109, v101, s[4:5]
	v_mul_f64 v[101:102], v[101:102], v[105:106]
	buffer_store_dword v102, off, s[0:3], 0 offset:20
	buffer_store_dword v101, off, s[0:3], 0 offset:16
.LBB49_17:
	s_or_b64 exec, exec, s[8:9]
	; wave barrier
	buffer_load_dword v101, off, s[0:3], 0 offset:24
	buffer_load_dword v102, off, s[0:3], 0 offset:28
	v_cmp_gt_u32_e32 vcc, 3, v0
	v_add_u32_e32 v105, -1, v0
	s_waitcnt vmcnt(0)
	ds_write_b64 v104, v[101:102]
	s_waitcnt lgkmcnt(0)
	; wave barrier
	s_and_saveexec_b64 s[4:5], vcc
	s_cbranch_execz .LBB49_21
; %bb.18:
	v_mov_b32_e32 v101, 0
	v_add_u32_e32 v106, -1, v0
	v_add_u32_e32 v107, 0x190, v103
	v_mov_b32_e32 v108, v103
	v_mov_b32_e32 v102, 0
	s_mov_b64 s[8:9], 0
.LBB49_19:                              ; =>This Inner Loop Header: Depth=1
	buffer_load_dword v109, v108, s[0:3], 0 offen
	buffer_load_dword v110, v108, s[0:3], 0 offen offset:4
	ds_read_b64 v[111:112], v107
	v_add_u32_e32 v106, 1, v106
	v_cmp_lt_u32_e32 vcc, 1, v106
	v_add_u32_e32 v107, 8, v107
	s_or_b64 s[8:9], vcc, s[8:9]
	v_add_u32_e32 v108, 8, v108
	s_waitcnt vmcnt(0) lgkmcnt(0)
	v_fma_f64 v[101:102], v[109:110], v[111:112], v[101:102]
	s_andn2_b64 exec, exec, s[8:9]
	s_cbranch_execnz .LBB49_19
; %bb.20:
	s_or_b64 exec, exec, s[8:9]
	v_mov_b32_e32 v106, 0
	ds_read_b64 v[106:107], v106 offset:24
	s_waitcnt lgkmcnt(0)
	v_mul_f64 v[101:102], v[101:102], v[106:107]
	buffer_store_dword v102, off, s[0:3], 0 offset:28
	buffer_store_dword v101, off, s[0:3], 0 offset:24
.LBB49_21:
	s_or_b64 exec, exec, s[4:5]
	; wave barrier
	buffer_load_dword v101, off, s[0:3], 0 offset:32
	buffer_load_dword v102, off, s[0:3], 0 offset:36
	v_cmp_gt_u32_e32 vcc, 4, v0
	s_waitcnt vmcnt(0)
	ds_write_b64 v104, v[101:102]
	s_waitcnt lgkmcnt(0)
	; wave barrier
	s_and_saveexec_b64 s[4:5], vcc
	s_cbranch_execz .LBB49_25
; %bb.22:
	v_mov_b32_e32 v101, 0
	v_add_u32_e32 v106, -1, v0
	v_add_u32_e32 v107, 0x190, v103
	v_mov_b32_e32 v108, v103
	v_mov_b32_e32 v102, 0
	s_mov_b64 s[8:9], 0
.LBB49_23:                              ; =>This Inner Loop Header: Depth=1
	buffer_load_dword v109, v108, s[0:3], 0 offen
	buffer_load_dword v110, v108, s[0:3], 0 offen offset:4
	ds_read_b64 v[111:112], v107
	v_add_u32_e32 v106, 1, v106
	v_cmp_lt_u32_e32 vcc, 2, v106
	v_add_u32_e32 v107, 8, v107
	s_or_b64 s[8:9], vcc, s[8:9]
	v_add_u32_e32 v108, 8, v108
	s_waitcnt vmcnt(0) lgkmcnt(0)
	v_fma_f64 v[101:102], v[109:110], v[111:112], v[101:102]
	s_andn2_b64 exec, exec, s[8:9]
	s_cbranch_execnz .LBB49_23
; %bb.24:
	s_or_b64 exec, exec, s[8:9]
	v_mov_b32_e32 v106, 0
	ds_read_b64 v[106:107], v106 offset:32
	s_waitcnt lgkmcnt(0)
	v_mul_f64 v[101:102], v[101:102], v[106:107]
	buffer_store_dword v102, off, s[0:3], 0 offset:36
	buffer_store_dword v101, off, s[0:3], 0 offset:32
.LBB49_25:
	s_or_b64 exec, exec, s[4:5]
	; wave barrier
	buffer_load_dword v101, off, s[0:3], 0 offset:40
	buffer_load_dword v102, off, s[0:3], 0 offset:44
	v_cmp_gt_u32_e32 vcc, 5, v0
	;; [unrolled: 40-line block ×21, first 2 shown]
	s_waitcnt vmcnt(0)
	ds_write_b64 v104, v[101:102]
	s_waitcnt lgkmcnt(0)
	; wave barrier
	s_and_saveexec_b64 s[4:5], vcc
	s_cbranch_execz .LBB49_105
; %bb.102:
	v_mov_b32_e32 v101, 0
	v_add_u32_e32 v106, -1, v0
	v_add_u32_e32 v107, 0x190, v103
	v_mov_b32_e32 v108, v103
	v_mov_b32_e32 v102, 0
	s_mov_b64 s[8:9], 0
.LBB49_103:                             ; =>This Inner Loop Header: Depth=1
	buffer_load_dword v109, v108, s[0:3], 0 offen
	buffer_load_dword v110, v108, s[0:3], 0 offen offset:4
	ds_read_b64 v[111:112], v107
	v_add_u32_e32 v106, 1, v106
	v_cmp_lt_u32_e32 vcc, 22, v106
	v_add_u32_e32 v107, 8, v107
	s_or_b64 s[8:9], vcc, s[8:9]
	v_add_u32_e32 v108, 8, v108
	s_waitcnt vmcnt(0) lgkmcnt(0)
	v_fma_f64 v[101:102], v[109:110], v[111:112], v[101:102]
	s_andn2_b64 exec, exec, s[8:9]
	s_cbranch_execnz .LBB49_103
; %bb.104:
	s_or_b64 exec, exec, s[8:9]
	v_mov_b32_e32 v106, 0
	ds_read_b64 v[106:107], v106 offset:192
	s_waitcnt lgkmcnt(0)
	v_mul_f64 v[101:102], v[101:102], v[106:107]
	buffer_store_dword v102, off, s[0:3], 0 offset:196
	buffer_store_dword v101, off, s[0:3], 0 offset:192
.LBB49_105:
	s_or_b64 exec, exec, s[4:5]
	; wave barrier
	buffer_load_dword v101, off, s[0:3], 0 offset:200
	buffer_load_dword v102, off, s[0:3], 0 offset:204
	v_cmp_gt_u32_e32 vcc, 25, v0
	s_waitcnt vmcnt(0)
	ds_write_b64 v104, v[101:102]
	s_waitcnt lgkmcnt(0)
	; wave barrier
	s_and_saveexec_b64 s[4:5], vcc
	s_cbranch_execz .LBB49_109
; %bb.106:
	v_mov_b32_e32 v101, 0
	v_add_u32_e32 v106, -1, v0
	v_add_u32_e32 v107, 0x190, v103
	v_mov_b32_e32 v108, v103
	v_mov_b32_e32 v102, 0
	s_mov_b64 s[8:9], 0
.LBB49_107:                             ; =>This Inner Loop Header: Depth=1
	buffer_load_dword v109, v108, s[0:3], 0 offen
	buffer_load_dword v110, v108, s[0:3], 0 offen offset:4
	ds_read_b64 v[111:112], v107
	v_add_u32_e32 v106, 1, v106
	v_cmp_lt_u32_e32 vcc, 23, v106
	v_add_u32_e32 v107, 8, v107
	s_or_b64 s[8:9], vcc, s[8:9]
	v_add_u32_e32 v108, 8, v108
	s_waitcnt vmcnt(0) lgkmcnt(0)
	v_fma_f64 v[101:102], v[109:110], v[111:112], v[101:102]
	s_andn2_b64 exec, exec, s[8:9]
	s_cbranch_execnz .LBB49_107
; %bb.108:
	s_or_b64 exec, exec, s[8:9]
	v_mov_b32_e32 v106, 0
	ds_read_b64 v[106:107], v106 offset:200
	s_waitcnt lgkmcnt(0)
	v_mul_f64 v[101:102], v[101:102], v[106:107]
	buffer_store_dword v102, off, s[0:3], 0 offset:204
	buffer_store_dword v101, off, s[0:3], 0 offset:200
.LBB49_109:
	s_or_b64 exec, exec, s[4:5]
	; wave barrier
	buffer_load_dword v101, off, s[0:3], 0 offset:208
	buffer_load_dword v102, off, s[0:3], 0 offset:212
	v_cmp_gt_u32_e32 vcc, 26, v0
	;; [unrolled: 40-line block ×24, first 2 shown]
	s_waitcnt vmcnt(0)
	ds_write_b64 v104, v[101:102]
	s_waitcnt lgkmcnt(0)
	; wave barrier
	s_and_saveexec_b64 s[4:5], vcc
	s_cbranch_execz .LBB49_201
; %bb.198:
	v_mov_b32_e32 v101, 0
	v_add_u32_e32 v106, -1, v0
	v_add_u32_e32 v107, 0x190, v103
	v_mov_b32_e32 v108, v103
	v_mov_b32_e32 v102, 0
	s_mov_b64 s[8:9], 0
.LBB49_199:                             ; =>This Inner Loop Header: Depth=1
	buffer_load_dword v109, v108, s[0:3], 0 offen
	buffer_load_dword v110, v108, s[0:3], 0 offen offset:4
	ds_read_b64 v[111:112], v107
	v_add_u32_e32 v106, 1, v106
	v_cmp_lt_u32_e32 vcc, 46, v106
	v_add_u32_e32 v107, 8, v107
	s_or_b64 s[8:9], vcc, s[8:9]
	v_add_u32_e32 v108, 8, v108
	s_waitcnt vmcnt(0) lgkmcnt(0)
	v_fma_f64 v[101:102], v[109:110], v[111:112], v[101:102]
	s_andn2_b64 exec, exec, s[8:9]
	s_cbranch_execnz .LBB49_199
; %bb.200:
	s_or_b64 exec, exec, s[8:9]
	v_mov_b32_e32 v106, 0
	ds_read_b64 v[106:107], v106 offset:384
	s_waitcnt lgkmcnt(0)
	v_mul_f64 v[101:102], v[101:102], v[106:107]
	buffer_store_dword v102, off, s[0:3], 0 offset:388
	buffer_store_dword v101, off, s[0:3], 0 offset:384
.LBB49_201:
	s_or_b64 exec, exec, s[4:5]
	; wave barrier
	buffer_load_dword v101, off, s[0:3], 0 offset:392
	buffer_load_dword v102, off, s[0:3], 0 offset:396
	v_cmp_ne_u32_e32 vcc, 49, v0
	s_waitcnt vmcnt(0)
	ds_write_b64 v104, v[101:102]
	s_waitcnt lgkmcnt(0)
	; wave barrier
	s_and_saveexec_b64 s[4:5], vcc
	s_cbranch_execz .LBB49_205
; %bb.202:
	v_mov_b32_e32 v101, 0
	v_add_u32_e32 v104, 0x190, v103
	v_mov_b32_e32 v102, 0
	s_mov_b64 s[8:9], 0
.LBB49_203:                             ; =>This Inner Loop Header: Depth=1
	buffer_load_dword v106, v103, s[0:3], 0 offen
	buffer_load_dword v107, v103, s[0:3], 0 offen offset:4
	ds_read_b64 v[108:109], v104
	v_add_u32_e32 v105, 1, v105
	v_cmp_lt_u32_e32 vcc, 47, v105
	v_add_u32_e32 v104, 8, v104
	s_or_b64 s[8:9], vcc, s[8:9]
	v_add_u32_e32 v103, 8, v103
	s_waitcnt vmcnt(0) lgkmcnt(0)
	v_fma_f64 v[101:102], v[106:107], v[108:109], v[101:102]
	s_andn2_b64 exec, exec, s[8:9]
	s_cbranch_execnz .LBB49_203
; %bb.204:
	s_or_b64 exec, exec, s[8:9]
	v_mov_b32_e32 v103, 0
	ds_read_b64 v[103:104], v103 offset:392
	s_waitcnt lgkmcnt(0)
	v_mul_f64 v[101:102], v[101:102], v[103:104]
	buffer_store_dword v102, off, s[0:3], 0 offset:396
	buffer_store_dword v101, off, s[0:3], 0 offset:392
.LBB49_205:
	s_or_b64 exec, exec, s[4:5]
	s_mov_b64 s[8:9], -1
	; wave barrier
.LBB49_206:
	s_and_b64 vcc, exec, s[8:9]
	s_cbranch_vccz .LBB49_208
; %bb.207:
	s_lshl_b64 s[4:5], s[6:7], 2
	s_add_u32 s4, s10, s4
	s_addc_u32 s5, s11, s5
	v_mov_b32_e32 v101, 0
	global_load_dword v101, v101, s[4:5]
	s_waitcnt vmcnt(0)
	v_cmp_ne_u32_e32 vcc, 0, v101
	s_cbranch_vccz .LBB49_209
.LBB49_208:
	s_endpgm
.LBB49_209:
	v_mov_b32_e32 v101, 0x190
	v_lshl_add_u32 v101, v0, 3, v101
	v_cmp_eq_u32_e32 vcc, 49, v0
	s_and_saveexec_b64 s[4:5], vcc
	s_cbranch_execz .LBB49_211
; %bb.210:
	buffer_load_dword v102, off, s[0:3], 0 offset:384
	buffer_load_dword v103, off, s[0:3], 0 offset:388
	v_mov_b32_e32 v104, 0
	buffer_store_dword v104, off, s[0:3], 0 offset:384
	buffer_store_dword v104, off, s[0:3], 0 offset:388
	s_waitcnt vmcnt(2)
	ds_write_b64 v101, v[102:103]
.LBB49_211:
	s_or_b64 exec, exec, s[4:5]
	s_waitcnt lgkmcnt(0)
	; wave barrier
	buffer_load_dword v103, off, s[0:3], 0 offset:392
	buffer_load_dword v104, off, s[0:3], 0 offset:396
	;; [unrolled: 1-line block ×4, first 2 shown]
	v_mov_b32_e32 v102, 0
	ds_read_b64 v[107:108], v102 offset:792
	v_cmp_lt_u32_e32 vcc, 47, v0
	s_waitcnt vmcnt(2) lgkmcnt(0)
	v_fma_f64 v[103:104], v[103:104], v[107:108], 0
	s_waitcnt vmcnt(0)
	v_add_f64 v[103:104], v[105:106], -v[103:104]
	buffer_store_dword v103, off, s[0:3], 0 offset:384
	buffer_store_dword v104, off, s[0:3], 0 offset:388
	s_and_saveexec_b64 s[4:5], vcc
	s_cbranch_execz .LBB49_213
; %bb.212:
	buffer_load_dword v103, off, s[0:3], 0 offset:376
	buffer_load_dword v104, off, s[0:3], 0 offset:380
	s_waitcnt vmcnt(0)
	ds_write_b64 v101, v[103:104]
	buffer_store_dword v102, off, s[0:3], 0 offset:376
	buffer_store_dword v102, off, s[0:3], 0 offset:380
.LBB49_213:
	s_or_b64 exec, exec, s[4:5]
	s_waitcnt lgkmcnt(0)
	; wave barrier
	buffer_load_dword v106, off, s[0:3], 0 offset:384
	buffer_load_dword v107, off, s[0:3], 0 offset:388
	;; [unrolled: 1-line block ×6, first 2 shown]
	ds_read_b128 v[102:105], v102 offset:784
	v_cmp_lt_u32_e32 vcc, 46, v0
	s_waitcnt vmcnt(4) lgkmcnt(0)
	v_fma_f64 v[102:103], v[106:107], v[102:103], 0
	s_waitcnt vmcnt(2)
	v_fma_f64 v[102:103], v[108:109], v[104:105], v[102:103]
	s_waitcnt vmcnt(0)
	v_add_f64 v[102:103], v[110:111], -v[102:103]
	buffer_store_dword v102, off, s[0:3], 0 offset:376
	buffer_store_dword v103, off, s[0:3], 0 offset:380
	s_and_saveexec_b64 s[4:5], vcc
	s_cbranch_execz .LBB49_215
; %bb.214:
	buffer_load_dword v102, off, s[0:3], 0 offset:368
	buffer_load_dword v103, off, s[0:3], 0 offset:372
	v_mov_b32_e32 v104, 0
	buffer_store_dword v104, off, s[0:3], 0 offset:368
	buffer_store_dword v104, off, s[0:3], 0 offset:372
	s_waitcnt vmcnt(2)
	ds_write_b64 v101, v[102:103]
.LBB49_215:
	s_or_b64 exec, exec, s[4:5]
	s_waitcnt lgkmcnt(0)
	; wave barrier
	buffer_load_dword v107, off, s[0:3], 0 offset:376
	buffer_load_dword v108, off, s[0:3], 0 offset:380
	;; [unrolled: 1-line block ×8, first 2 shown]
	v_mov_b32_e32 v102, 0
	ds_read2_b64 v[103:106], v102 offset0:97 offset1:98
	ds_read_b64 v[115:116], v102 offset:792
	v_cmp_lt_u32_e32 vcc, 45, v0
	s_waitcnt vmcnt(6) lgkmcnt(1)
	v_fma_f64 v[103:104], v[107:108], v[103:104], 0
	s_waitcnt vmcnt(4)
	v_fma_f64 v[103:104], v[109:110], v[105:106], v[103:104]
	s_waitcnt vmcnt(2) lgkmcnt(0)
	v_fma_f64 v[103:104], v[111:112], v[115:116], v[103:104]
	s_waitcnt vmcnt(0)
	v_add_f64 v[103:104], v[113:114], -v[103:104]
	buffer_store_dword v103, off, s[0:3], 0 offset:368
	buffer_store_dword v104, off, s[0:3], 0 offset:372
	s_and_saveexec_b64 s[4:5], vcc
	s_cbranch_execz .LBB49_217
; %bb.216:
	buffer_load_dword v103, off, s[0:3], 0 offset:360
	buffer_load_dword v104, off, s[0:3], 0 offset:364
	s_waitcnt vmcnt(0)
	ds_write_b64 v101, v[103:104]
	buffer_store_dword v102, off, s[0:3], 0 offset:360
	buffer_store_dword v102, off, s[0:3], 0 offset:364
.LBB49_217:
	s_or_b64 exec, exec, s[4:5]
	s_waitcnt lgkmcnt(0)
	; wave barrier
	buffer_load_dword v111, off, s[0:3], 0 offset:368
	buffer_load_dword v112, off, s[0:3], 0 offset:372
	;; [unrolled: 1-line block ×10, first 2 shown]
	ds_read_b128 v[103:106], v102 offset:768
	ds_read_b128 v[107:110], v102 offset:784
	v_cmp_lt_u32_e32 vcc, 44, v0
	s_waitcnt vmcnt(8) lgkmcnt(1)
	v_fma_f64 v[102:103], v[111:112], v[103:104], 0
	s_waitcnt vmcnt(6)
	v_fma_f64 v[102:103], v[113:114], v[105:106], v[102:103]
	s_waitcnt vmcnt(4) lgkmcnt(0)
	v_fma_f64 v[102:103], v[115:116], v[107:108], v[102:103]
	s_waitcnt vmcnt(2)
	v_fma_f64 v[102:103], v[117:118], v[109:110], v[102:103]
	s_waitcnt vmcnt(0)
	v_add_f64 v[102:103], v[119:120], -v[102:103]
	buffer_store_dword v102, off, s[0:3], 0 offset:360
	buffer_store_dword v103, off, s[0:3], 0 offset:364
	s_and_saveexec_b64 s[4:5], vcc
	s_cbranch_execz .LBB49_219
; %bb.218:
	buffer_load_dword v102, off, s[0:3], 0 offset:352
	buffer_load_dword v103, off, s[0:3], 0 offset:356
	v_mov_b32_e32 v104, 0
	buffer_store_dword v104, off, s[0:3], 0 offset:352
	buffer_store_dword v104, off, s[0:3], 0 offset:356
	s_waitcnt vmcnt(2)
	ds_write_b64 v101, v[102:103]
.LBB49_219:
	s_or_b64 exec, exec, s[4:5]
	s_waitcnt lgkmcnt(0)
	; wave barrier
	buffer_load_dword v111, off, s[0:3], 0 offset:360
	buffer_load_dword v112, off, s[0:3], 0 offset:364
	;; [unrolled: 1-line block ×12, first 2 shown]
	v_mov_b32_e32 v102, 0
	ds_read2_b64 v[103:106], v102 offset0:95 offset1:96
	ds_read2_b64 v[107:110], v102 offset0:97 offset1:98
	v_cmp_lt_u32_e32 vcc, 43, v0
	s_waitcnt vmcnt(10) lgkmcnt(1)
	v_fma_f64 v[103:104], v[111:112], v[103:104], 0
	s_waitcnt vmcnt(8)
	v_fma_f64 v[103:104], v[113:114], v[105:106], v[103:104]
	ds_read_b64 v[105:106], v102 offset:792
	s_waitcnt vmcnt(6) lgkmcnt(1)
	v_fma_f64 v[103:104], v[115:116], v[107:108], v[103:104]
	s_waitcnt vmcnt(4)
	v_fma_f64 v[103:104], v[117:118], v[109:110], v[103:104]
	s_waitcnt vmcnt(2) lgkmcnt(0)
	v_fma_f64 v[103:104], v[119:120], v[105:106], v[103:104]
	s_waitcnt vmcnt(0)
	v_add_f64 v[103:104], v[121:122], -v[103:104]
	buffer_store_dword v103, off, s[0:3], 0 offset:352
	buffer_store_dword v104, off, s[0:3], 0 offset:356
	s_and_saveexec_b64 s[4:5], vcc
	s_cbranch_execz .LBB49_221
; %bb.220:
	buffer_load_dword v103, off, s[0:3], 0 offset:344
	buffer_load_dword v104, off, s[0:3], 0 offset:348
	s_waitcnt vmcnt(0)
	ds_write_b64 v101, v[103:104]
	buffer_store_dword v102, off, s[0:3], 0 offset:344
	buffer_store_dword v102, off, s[0:3], 0 offset:348
.LBB49_221:
	s_or_b64 exec, exec, s[4:5]
	s_waitcnt lgkmcnt(0)
	; wave barrier
	buffer_load_dword v111, off, s[0:3], 0 offset:352
	buffer_load_dword v112, off, s[0:3], 0 offset:356
	;; [unrolled: 1-line block ×14, first 2 shown]
	ds_read_b128 v[103:106], v102 offset:752
	ds_read_b128 v[107:110], v102 offset:768
	v_cmp_lt_u32_e32 vcc, 42, v0
	s_waitcnt vmcnt(12) lgkmcnt(1)
	v_fma_f64 v[103:104], v[111:112], v[103:104], 0
	s_waitcnt vmcnt(10)
	v_fma_f64 v[103:104], v[113:114], v[105:106], v[103:104]
	s_waitcnt vmcnt(8) lgkmcnt(0)
	v_fma_f64 v[103:104], v[115:116], v[107:108], v[103:104]
	s_waitcnt vmcnt(6)
	v_fma_f64 v[106:107], v[117:118], v[109:110], v[103:104]
	ds_read_b128 v[102:105], v102 offset:784
	s_waitcnt vmcnt(4) lgkmcnt(0)
	v_fma_f64 v[102:103], v[119:120], v[102:103], v[106:107]
	s_waitcnt vmcnt(2)
	v_fma_f64 v[102:103], v[121:122], v[104:105], v[102:103]
	s_waitcnt vmcnt(0)
	v_add_f64 v[102:103], v[123:124], -v[102:103]
	buffer_store_dword v102, off, s[0:3], 0 offset:344
	buffer_store_dword v103, off, s[0:3], 0 offset:348
	s_and_saveexec_b64 s[4:5], vcc
	s_cbranch_execz .LBB49_223
; %bb.222:
	buffer_load_dword v102, off, s[0:3], 0 offset:336
	buffer_load_dword v103, off, s[0:3], 0 offset:340
	v_mov_b32_e32 v104, 0
	buffer_store_dword v104, off, s[0:3], 0 offset:336
	buffer_store_dword v104, off, s[0:3], 0 offset:340
	s_waitcnt vmcnt(2)
	ds_write_b64 v101, v[102:103]
.LBB49_223:
	s_or_b64 exec, exec, s[4:5]
	s_waitcnt lgkmcnt(0)
	; wave barrier
	buffer_load_dword v107, off, s[0:3], 0 offset:336
	buffer_load_dword v108, off, s[0:3], 0 offset:340
	;; [unrolled: 1-line block ×16, first 2 shown]
	v_mov_b32_e32 v102, 0
	ds_read2_b64 v[103:106], v102 offset0:93 offset1:94
	v_cmp_lt_u32_e32 vcc, 41, v0
	s_waitcnt vmcnt(12) lgkmcnt(0)
	v_fma_f64 v[103:104], v[109:110], v[103:104], 0
	s_waitcnt vmcnt(10)
	v_fma_f64 v[109:110], v[111:112], v[105:106], v[103:104]
	ds_read2_b64 v[103:106], v102 offset0:95 offset1:96
	s_waitcnt vmcnt(8) lgkmcnt(0)
	v_fma_f64 v[103:104], v[113:114], v[103:104], v[109:110]
	s_waitcnt vmcnt(6)
	v_fma_f64 v[109:110], v[115:116], v[105:106], v[103:104]
	ds_read2_b64 v[103:106], v102 offset0:97 offset1:98
	s_waitcnt vmcnt(4) lgkmcnt(0)
	v_fma_f64 v[103:104], v[117:118], v[103:104], v[109:110]
	s_waitcnt vmcnt(2)
	v_fma_f64 v[103:104], v[119:120], v[105:106], v[103:104]
	ds_read_b64 v[105:106], v102 offset:792
	s_waitcnt vmcnt(0) lgkmcnt(0)
	v_fma_f64 v[103:104], v[121:122], v[105:106], v[103:104]
	v_add_f64 v[103:104], v[107:108], -v[103:104]
	buffer_store_dword v103, off, s[0:3], 0 offset:336
	buffer_store_dword v104, off, s[0:3], 0 offset:340
	s_and_saveexec_b64 s[4:5], vcc
	s_cbranch_execz .LBB49_225
; %bb.224:
	buffer_load_dword v103, off, s[0:3], 0 offset:328
	buffer_load_dword v104, off, s[0:3], 0 offset:332
	s_waitcnt vmcnt(0)
	ds_write_b64 v101, v[103:104]
	buffer_store_dword v102, off, s[0:3], 0 offset:328
	buffer_store_dword v102, off, s[0:3], 0 offset:332
.LBB49_225:
	s_or_b64 exec, exec, s[4:5]
	s_waitcnt lgkmcnt(0)
	; wave barrier
	buffer_load_dword v107, off, s[0:3], 0 offset:336
	buffer_load_dword v108, off, s[0:3], 0 offset:340
	;; [unrolled: 1-line block ×18, first 2 shown]
	ds_read_b128 v[103:106], v102 offset:736
	v_cmp_lt_u32_e32 vcc, 40, v0
	s_waitcnt vmcnt(16) lgkmcnt(0)
	v_fma_f64 v[103:104], v[107:108], v[103:104], 0
	s_waitcnt vmcnt(14)
	v_fma_f64 v[107:108], v[109:110], v[105:106], v[103:104]
	ds_read_b128 v[103:106], v102 offset:752
	s_waitcnt vmcnt(12) lgkmcnt(0)
	v_fma_f64 v[103:104], v[111:112], v[103:104], v[107:108]
	s_waitcnt vmcnt(10)
	v_fma_f64 v[107:108], v[113:114], v[105:106], v[103:104]
	ds_read_b128 v[103:106], v102 offset:768
	;; [unrolled: 5-line block ×3, first 2 shown]
	s_waitcnt vmcnt(4) lgkmcnt(0)
	v_fma_f64 v[102:103], v[119:120], v[102:103], v[106:107]
	s_waitcnt vmcnt(2)
	v_fma_f64 v[102:103], v[121:122], v[104:105], v[102:103]
	s_waitcnt vmcnt(0)
	v_add_f64 v[102:103], v[123:124], -v[102:103]
	buffer_store_dword v102, off, s[0:3], 0 offset:328
	buffer_store_dword v103, off, s[0:3], 0 offset:332
	s_and_saveexec_b64 s[4:5], vcc
	s_cbranch_execz .LBB49_227
; %bb.226:
	buffer_load_dword v102, off, s[0:3], 0 offset:320
	buffer_load_dword v103, off, s[0:3], 0 offset:324
	v_mov_b32_e32 v104, 0
	buffer_store_dword v104, off, s[0:3], 0 offset:320
	buffer_store_dword v104, off, s[0:3], 0 offset:324
	s_waitcnt vmcnt(2)
	ds_write_b64 v101, v[102:103]
.LBB49_227:
	s_or_b64 exec, exec, s[4:5]
	s_waitcnt lgkmcnt(0)
	; wave barrier
	buffer_load_dword v107, off, s[0:3], 0 offset:328
	buffer_load_dword v108, off, s[0:3], 0 offset:332
	;; [unrolled: 1-line block ×20, first 2 shown]
	v_mov_b32_e32 v102, 0
	ds_read2_b64 v[103:106], v102 offset0:91 offset1:92
	v_cmp_lt_u32_e32 vcc, 39, v0
	s_waitcnt vmcnt(18) lgkmcnt(0)
	v_fma_f64 v[103:104], v[107:108], v[103:104], 0
	s_waitcnt vmcnt(16)
	v_fma_f64 v[107:108], v[109:110], v[105:106], v[103:104]
	ds_read2_b64 v[103:106], v102 offset0:93 offset1:94
	s_waitcnt vmcnt(14) lgkmcnt(0)
	v_fma_f64 v[103:104], v[111:112], v[103:104], v[107:108]
	s_waitcnt vmcnt(12)
	v_fma_f64 v[107:108], v[113:114], v[105:106], v[103:104]
	ds_read2_b64 v[103:106], v102 offset0:95 offset1:96
	;; [unrolled: 5-line block ×3, first 2 shown]
	s_waitcnt vmcnt(6) lgkmcnt(0)
	v_fma_f64 v[103:104], v[119:120], v[103:104], v[107:108]
	s_waitcnt vmcnt(4)
	v_fma_f64 v[103:104], v[121:122], v[105:106], v[103:104]
	ds_read_b64 v[105:106], v102 offset:792
	s_waitcnt vmcnt(2) lgkmcnt(0)
	v_fma_f64 v[103:104], v[123:124], v[105:106], v[103:104]
	s_waitcnt vmcnt(0)
	v_add_f64 v[103:104], v[125:126], -v[103:104]
	buffer_store_dword v103, off, s[0:3], 0 offset:320
	buffer_store_dword v104, off, s[0:3], 0 offset:324
	s_and_saveexec_b64 s[4:5], vcc
	s_cbranch_execz .LBB49_229
; %bb.228:
	buffer_load_dword v103, off, s[0:3], 0 offset:312
	buffer_load_dword v104, off, s[0:3], 0 offset:316
	s_waitcnt vmcnt(0)
	ds_write_b64 v101, v[103:104]
	buffer_store_dword v102, off, s[0:3], 0 offset:312
	buffer_store_dword v102, off, s[0:3], 0 offset:316
.LBB49_229:
	s_or_b64 exec, exec, s[4:5]
	s_waitcnt lgkmcnt(0)
	; wave barrier
	buffer_load_dword v111, off, s[0:3], 0 offset:320
	buffer_load_dword v112, off, s[0:3], 0 offset:324
	;; [unrolled: 1-line block ×20, first 2 shown]
	ds_read_b128 v[103:106], v102 offset:720
	buffer_load_dword v131, off, s[0:3], 0 offset:312
	buffer_load_dword v132, off, s[0:3], 0 offset:316
	ds_read_b128 v[107:110], v102 offset:736
	v_cmp_lt_u32_e32 vcc, 38, v0
	s_waitcnt vmcnt(20) lgkmcnt(1)
	v_fma_f64 v[103:104], v[111:112], v[103:104], 0
	s_waitcnt vmcnt(18)
	v_fma_f64 v[103:104], v[113:114], v[105:106], v[103:104]
	s_waitcnt vmcnt(16) lgkmcnt(0)
	v_fma_f64 v[103:104], v[115:116], v[107:108], v[103:104]
	s_waitcnt vmcnt(14)
	v_fma_f64 v[111:112], v[117:118], v[109:110], v[103:104]
	ds_read_b128 v[103:106], v102 offset:752
	ds_read_b128 v[107:110], v102 offset:768
	s_waitcnt vmcnt(12) lgkmcnt(1)
	v_fma_f64 v[103:104], v[119:120], v[103:104], v[111:112]
	s_waitcnt vmcnt(10)
	v_fma_f64 v[103:104], v[121:122], v[105:106], v[103:104]
	s_waitcnt vmcnt(8) lgkmcnt(0)
	v_fma_f64 v[103:104], v[123:124], v[107:108], v[103:104]
	s_waitcnt vmcnt(4)
	v_fma_f64 v[106:107], v[125:126], v[109:110], v[103:104]
	ds_read_b128 v[102:105], v102 offset:784
	s_waitcnt vmcnt(3) lgkmcnt(0)
	v_fma_f64 v[102:103], v[129:130], v[102:103], v[106:107]
	s_waitcnt vmcnt(2)
	v_fma_f64 v[102:103], v[127:128], v[104:105], v[102:103]
	s_waitcnt vmcnt(0)
	v_add_f64 v[102:103], v[131:132], -v[102:103]
	buffer_store_dword v102, off, s[0:3], 0 offset:312
	buffer_store_dword v103, off, s[0:3], 0 offset:316
	s_and_saveexec_b64 s[4:5], vcc
	s_cbranch_execz .LBB49_231
; %bb.230:
	buffer_load_dword v102, off, s[0:3], 0 offset:304
	buffer_load_dword v103, off, s[0:3], 0 offset:308
	v_mov_b32_e32 v104, 0
	buffer_store_dword v104, off, s[0:3], 0 offset:304
	buffer_store_dword v104, off, s[0:3], 0 offset:308
	s_waitcnt vmcnt(2)
	ds_write_b64 v101, v[102:103]
.LBB49_231:
	s_or_b64 exec, exec, s[4:5]
	s_waitcnt lgkmcnt(0)
	; wave barrier
	buffer_load_dword v111, off, s[0:3], 0 offset:312
	buffer_load_dword v112, off, s[0:3], 0 offset:316
	;; [unrolled: 1-line block ×21, first 2 shown]
	v_mov_b32_e32 v102, 0
	ds_read2_b64 v[103:106], v102 offset0:89 offset1:90
	ds_read2_b64 v[107:110], v102 offset0:91 offset1:92
	buffer_load_dword v128, off, s[0:3], 0 offset:396
	v_cmp_lt_u32_e32 vcc, 37, v0
	s_waitcnt vmcnt(20) lgkmcnt(1)
	v_fma_f64 v[103:104], v[111:112], v[103:104], 0
	buffer_load_dword v111, off, s[0:3], 0 offset:304
	buffer_load_dword v112, off, s[0:3], 0 offset:308
	s_waitcnt vmcnt(20)
	v_fma_f64 v[103:104], v[113:114], v[105:106], v[103:104]
	s_waitcnt vmcnt(18) lgkmcnt(0)
	v_fma_f64 v[103:104], v[115:116], v[107:108], v[103:104]
	s_waitcnt vmcnt(16)
	v_fma_f64 v[113:114], v[117:118], v[109:110], v[103:104]
	ds_read2_b64 v[103:106], v102 offset0:93 offset1:94
	ds_read2_b64 v[107:110], v102 offset0:95 offset1:96
	s_waitcnt vmcnt(14) lgkmcnt(1)
	v_fma_f64 v[103:104], v[119:120], v[103:104], v[113:114]
	s_waitcnt vmcnt(12)
	v_fma_f64 v[103:104], v[121:122], v[105:106], v[103:104]
	s_waitcnt vmcnt(10) lgkmcnt(0)
	v_fma_f64 v[103:104], v[123:124], v[107:108], v[103:104]
	s_waitcnt vmcnt(5)
	v_fma_f64 v[107:108], v[125:126], v[109:110], v[103:104]
	ds_read2_b64 v[103:106], v102 offset0:97 offset1:98
	ds_read_b64 v[109:110], v102 offset:792
	s_waitcnt vmcnt(4) lgkmcnt(1)
	v_fma_f64 v[103:104], v[131:132], v[103:104], v[107:108]
	s_waitcnt vmcnt(3)
	v_fma_f64 v[103:104], v[129:130], v[105:106], v[103:104]
	s_waitcnt vmcnt(2) lgkmcnt(0)
	v_fma_f64 v[103:104], v[127:128], v[109:110], v[103:104]
	s_waitcnt vmcnt(0)
	v_add_f64 v[103:104], v[111:112], -v[103:104]
	buffer_store_dword v104, off, s[0:3], 0 offset:308
	buffer_store_dword v103, off, s[0:3], 0 offset:304
	s_and_saveexec_b64 s[4:5], vcc
	s_cbranch_execz .LBB49_233
; %bb.232:
	buffer_load_dword v103, off, s[0:3], 0 offset:296
	buffer_load_dword v104, off, s[0:3], 0 offset:300
	s_waitcnt vmcnt(0)
	ds_write_b64 v101, v[103:104]
	buffer_store_dword v102, off, s[0:3], 0 offset:296
	buffer_store_dword v102, off, s[0:3], 0 offset:300
.LBB49_233:
	s_or_b64 exec, exec, s[4:5]
	s_waitcnt lgkmcnt(0)
	; wave barrier
	buffer_load_dword v111, off, s[0:3], 0 offset:304
	buffer_load_dword v112, off, s[0:3], 0 offset:308
	;; [unrolled: 1-line block ×21, first 2 shown]
	ds_read_b128 v[103:106], v102 offset:704
	ds_read_b128 v[107:110], v102 offset:720
	buffer_load_dword v128, off, s[0:3], 0 offset:388
	v_cmp_lt_u32_e32 vcc, 36, v0
	s_waitcnt vmcnt(20) lgkmcnt(1)
	v_fma_f64 v[103:104], v[111:112], v[103:104], 0
	buffer_load_dword v112, off, s[0:3], 0 offset:396
	buffer_load_dword v111, off, s[0:3], 0 offset:392
	s_waitcnt vmcnt(20)
	v_fma_f64 v[103:104], v[113:114], v[105:106], v[103:104]
	buffer_load_dword v113, off, s[0:3], 0 offset:296
	buffer_load_dword v114, off, s[0:3], 0 offset:300
	s_waitcnt vmcnt(20) lgkmcnt(0)
	v_fma_f64 v[103:104], v[115:116], v[107:108], v[103:104]
	s_waitcnt vmcnt(18)
	v_fma_f64 v[115:116], v[117:118], v[109:110], v[103:104]
	ds_read_b128 v[103:106], v102 offset:736
	ds_read_b128 v[107:110], v102 offset:752
	s_waitcnt vmcnt(16) lgkmcnt(1)
	v_fma_f64 v[103:104], v[119:120], v[103:104], v[115:116]
	s_waitcnt vmcnt(14)
	v_fma_f64 v[103:104], v[121:122], v[105:106], v[103:104]
	s_waitcnt vmcnt(12) lgkmcnt(0)
	v_fma_f64 v[103:104], v[123:124], v[107:108], v[103:104]
	s_waitcnt vmcnt(7)
	v_fma_f64 v[115:116], v[125:126], v[109:110], v[103:104]
	ds_read_b128 v[103:106], v102 offset:768
	ds_read_b128 v[107:110], v102 offset:784
	s_waitcnt vmcnt(6) lgkmcnt(1)
	v_fma_f64 v[102:103], v[131:132], v[103:104], v[115:116]
	s_waitcnt vmcnt(5)
	v_fma_f64 v[102:103], v[129:130], v[105:106], v[102:103]
	s_waitcnt vmcnt(4) lgkmcnt(0)
	v_fma_f64 v[102:103], v[127:128], v[107:108], v[102:103]
	s_waitcnt vmcnt(2)
	v_fma_f64 v[102:103], v[111:112], v[109:110], v[102:103]
	s_waitcnt vmcnt(0)
	v_add_f64 v[102:103], v[113:114], -v[102:103]
	buffer_store_dword v103, off, s[0:3], 0 offset:300
	buffer_store_dword v102, off, s[0:3], 0 offset:296
	s_and_saveexec_b64 s[4:5], vcc
	s_cbranch_execz .LBB49_235
; %bb.234:
	buffer_load_dword v102, off, s[0:3], 0 offset:288
	buffer_load_dword v103, off, s[0:3], 0 offset:292
	v_mov_b32_e32 v104, 0
	buffer_store_dword v104, off, s[0:3], 0 offset:288
	buffer_store_dword v104, off, s[0:3], 0 offset:292
	s_waitcnt vmcnt(2)
	ds_write_b64 v101, v[102:103]
.LBB49_235:
	s_or_b64 exec, exec, s[4:5]
	s_waitcnt lgkmcnt(0)
	; wave barrier
	buffer_load_dword v111, off, s[0:3], 0 offset:296
	buffer_load_dword v112, off, s[0:3], 0 offset:300
	;; [unrolled: 1-line block ×21, first 2 shown]
	v_mov_b32_e32 v102, 0
	ds_read2_b64 v[103:106], v102 offset0:87 offset1:88
	ds_read2_b64 v[107:110], v102 offset0:89 offset1:90
	buffer_load_dword v128, off, s[0:3], 0 offset:380
	v_cmp_lt_u32_e32 vcc, 35, v0
	s_waitcnt vmcnt(20) lgkmcnt(1)
	v_fma_f64 v[103:104], v[111:112], v[103:104], 0
	s_waitcnt vmcnt(18)
	v_fma_f64 v[103:104], v[113:114], v[105:106], v[103:104]
	buffer_load_dword v112, off, s[0:3], 0 offset:388
	buffer_load_dword v113, off, s[0:3], 0 offset:392
	;; [unrolled: 1-line block ×4, first 2 shown]
	s_waitcnt vmcnt(20) lgkmcnt(0)
	v_fma_f64 v[103:104], v[115:116], v[107:108], v[103:104]
	buffer_load_dword v115, off, s[0:3], 0 offset:288
	buffer_load_dword v116, off, s[0:3], 0 offset:292
	s_waitcnt vmcnt(20)
	v_fma_f64 v[117:118], v[117:118], v[109:110], v[103:104]
	ds_read2_b64 v[103:106], v102 offset0:91 offset1:92
	ds_read2_b64 v[107:110], v102 offset0:93 offset1:94
	s_waitcnt vmcnt(18) lgkmcnt(1)
	v_fma_f64 v[103:104], v[119:120], v[103:104], v[117:118]
	s_waitcnt vmcnt(16)
	v_fma_f64 v[103:104], v[121:122], v[105:106], v[103:104]
	s_waitcnt vmcnt(14) lgkmcnt(0)
	v_fma_f64 v[103:104], v[123:124], v[107:108], v[103:104]
	s_waitcnt vmcnt(9)
	v_fma_f64 v[117:118], v[125:126], v[109:110], v[103:104]
	ds_read2_b64 v[103:106], v102 offset0:95 offset1:96
	ds_read2_b64 v[107:110], v102 offset0:97 offset1:98
	s_waitcnt vmcnt(8) lgkmcnt(1)
	v_fma_f64 v[103:104], v[131:132], v[103:104], v[117:118]
	s_waitcnt vmcnt(7)
	v_fma_f64 v[103:104], v[129:130], v[105:106], v[103:104]
	ds_read_b64 v[105:106], v102 offset:792
	s_waitcnt vmcnt(6) lgkmcnt(1)
	v_fma_f64 v[103:104], v[127:128], v[107:108], v[103:104]
	s_waitcnt vmcnt(3)
	v_fma_f64 v[103:104], v[111:112], v[109:110], v[103:104]
	s_waitcnt vmcnt(2) lgkmcnt(0)
	v_fma_f64 v[103:104], v[113:114], v[105:106], v[103:104]
	s_waitcnt vmcnt(0)
	v_add_f64 v[103:104], v[115:116], -v[103:104]
	buffer_store_dword v104, off, s[0:3], 0 offset:292
	buffer_store_dword v103, off, s[0:3], 0 offset:288
	s_and_saveexec_b64 s[4:5], vcc
	s_cbranch_execz .LBB49_237
; %bb.236:
	buffer_load_dword v103, off, s[0:3], 0 offset:280
	buffer_load_dword v104, off, s[0:3], 0 offset:284
	s_waitcnt vmcnt(0)
	ds_write_b64 v101, v[103:104]
	buffer_store_dword v102, off, s[0:3], 0 offset:280
	buffer_store_dword v102, off, s[0:3], 0 offset:284
.LBB49_237:
	s_or_b64 exec, exec, s[4:5]
	s_waitcnt lgkmcnt(0)
	; wave barrier
	buffer_load_dword v111, off, s[0:3], 0 offset:288
	buffer_load_dword v112, off, s[0:3], 0 offset:292
	;; [unrolled: 1-line block ×22, first 2 shown]
	ds_read_b128 v[103:106], v102 offset:688
	ds_read_b128 v[107:110], v102 offset:704
	v_cmp_lt_u32_e32 vcc, 34, v0
	s_waitcnt vmcnt(20) lgkmcnt(1)
	v_fma_f64 v[103:104], v[111:112], v[103:104], 0
	s_waitcnt vmcnt(18)
	v_fma_f64 v[103:104], v[113:114], v[105:106], v[103:104]
	buffer_load_dword v112, off, s[0:3], 0 offset:380
	buffer_load_dword v113, off, s[0:3], 0 offset:392
	;; [unrolled: 1-line block ×6, first 2 shown]
	s_waitcnt vmcnt(22) lgkmcnt(0)
	v_fma_f64 v[103:104], v[115:116], v[107:108], v[103:104]
	s_waitcnt vmcnt(20)
	v_fma_f64 v[115:116], v[117:118], v[109:110], v[103:104]
	ds_read_b128 v[103:106], v102 offset:720
	buffer_load_dword v117, off, s[0:3], 0 offset:280
	buffer_load_dword v118, off, s[0:3], 0 offset:284
	ds_read_b128 v[107:110], v102 offset:736
	s_waitcnt vmcnt(20) lgkmcnt(1)
	v_fma_f64 v[103:104], v[119:120], v[103:104], v[115:116]
	s_waitcnt vmcnt(18)
	v_fma_f64 v[103:104], v[121:122], v[105:106], v[103:104]
	s_waitcnt vmcnt(16) lgkmcnt(0)
	v_fma_f64 v[103:104], v[123:124], v[107:108], v[103:104]
	s_waitcnt vmcnt(11)
	v_fma_f64 v[115:116], v[125:126], v[109:110], v[103:104]
	ds_read_b128 v[103:106], v102 offset:752
	ds_read_b128 v[107:110], v102 offset:768
	s_waitcnt vmcnt(10) lgkmcnt(1)
	v_fma_f64 v[103:104], v[131:132], v[103:104], v[115:116]
	s_waitcnt vmcnt(9)
	v_fma_f64 v[103:104], v[129:130], v[105:106], v[103:104]
	s_waitcnt vmcnt(8) lgkmcnt(0)
	v_fma_f64 v[103:104], v[127:128], v[107:108], v[103:104]
	s_waitcnt vmcnt(4)
	v_fma_f64 v[106:107], v[111:112], v[109:110], v[103:104]
	ds_read_b128 v[102:105], v102 offset:784
	s_waitcnt vmcnt(3) lgkmcnt(0)
	v_fma_f64 v[102:103], v[133:134], v[102:103], v[106:107]
	s_waitcnt vmcnt(2)
	v_fma_f64 v[102:103], v[113:114], v[104:105], v[102:103]
	s_waitcnt vmcnt(0)
	v_add_f64 v[102:103], v[117:118], -v[102:103]
	buffer_store_dword v103, off, s[0:3], 0 offset:284
	buffer_store_dword v102, off, s[0:3], 0 offset:280
	s_and_saveexec_b64 s[4:5], vcc
	s_cbranch_execz .LBB49_239
; %bb.238:
	buffer_load_dword v102, off, s[0:3], 0 offset:272
	buffer_load_dword v103, off, s[0:3], 0 offset:276
	v_mov_b32_e32 v104, 0
	buffer_store_dword v104, off, s[0:3], 0 offset:272
	buffer_store_dword v104, off, s[0:3], 0 offset:276
	s_waitcnt vmcnt(2)
	ds_write_b64 v101, v[102:103]
.LBB49_239:
	s_or_b64 exec, exec, s[4:5]
	s_waitcnt lgkmcnt(0)
	; wave barrier
	buffer_load_dword v111, off, s[0:3], 0 offset:280
	buffer_load_dword v112, off, s[0:3], 0 offset:284
	;; [unrolled: 1-line block ×22, first 2 shown]
	v_mov_b32_e32 v102, 0
	ds_read2_b64 v[103:106], v102 offset0:85 offset1:86
	ds_read2_b64 v[107:110], v102 offset0:87 offset1:88
	v_cmp_lt_u32_e32 vcc, 33, v0
	s_waitcnt vmcnt(20) lgkmcnt(1)
	v_fma_f64 v[103:104], v[111:112], v[103:104], 0
	s_waitcnt vmcnt(18)
	v_fma_f64 v[103:104], v[113:114], v[105:106], v[103:104]
	buffer_load_dword v112, off, s[0:3], 0 offset:372
	buffer_load_dword v113, off, s[0:3], 0 offset:392
	;; [unrolled: 1-line block ×8, first 2 shown]
	s_waitcnt vmcnt(24) lgkmcnt(0)
	v_fma_f64 v[103:104], v[115:116], v[107:108], v[103:104]
	s_waitcnt vmcnt(22)
	v_fma_f64 v[115:116], v[117:118], v[109:110], v[103:104]
	ds_read2_b64 v[103:106], v102 offset0:89 offset1:90
	ds_read2_b64 v[107:110], v102 offset0:91 offset1:92
	s_waitcnt vmcnt(20) lgkmcnt(1)
	v_fma_f64 v[103:104], v[119:120], v[103:104], v[115:116]
	buffer_load_dword v115, off, s[0:3], 0 offset:272
	buffer_load_dword v116, off, s[0:3], 0 offset:276
	s_waitcnt vmcnt(20)
	v_fma_f64 v[103:104], v[121:122], v[105:106], v[103:104]
	s_waitcnt vmcnt(18) lgkmcnt(0)
	v_fma_f64 v[103:104], v[123:124], v[107:108], v[103:104]
	s_waitcnt vmcnt(13)
	v_fma_f64 v[117:118], v[125:126], v[109:110], v[103:104]
	ds_read2_b64 v[103:106], v102 offset0:93 offset1:94
	ds_read2_b64 v[107:110], v102 offset0:95 offset1:96
	s_waitcnt vmcnt(12) lgkmcnt(1)
	v_fma_f64 v[103:104], v[131:132], v[103:104], v[117:118]
	s_waitcnt vmcnt(11)
	v_fma_f64 v[103:104], v[129:130], v[105:106], v[103:104]
	s_waitcnt vmcnt(10) lgkmcnt(0)
	v_fma_f64 v[103:104], v[127:128], v[107:108], v[103:104]
	s_waitcnt vmcnt(5)
	v_fma_f64 v[107:108], v[111:112], v[109:110], v[103:104]
	ds_read2_b64 v[103:106], v102 offset0:97 offset1:98
	ds_read_b64 v[109:110], v102 offset:792
	s_waitcnt vmcnt(4) lgkmcnt(1)
	v_fma_f64 v[103:104], v[135:136], v[103:104], v[107:108]
	s_waitcnt vmcnt(3)
	v_fma_f64 v[103:104], v[133:134], v[105:106], v[103:104]
	s_waitcnt vmcnt(2) lgkmcnt(0)
	v_fma_f64 v[103:104], v[113:114], v[109:110], v[103:104]
	s_waitcnt vmcnt(0)
	v_add_f64 v[103:104], v[115:116], -v[103:104]
	buffer_store_dword v104, off, s[0:3], 0 offset:276
	buffer_store_dword v103, off, s[0:3], 0 offset:272
	s_and_saveexec_b64 s[4:5], vcc
	s_cbranch_execz .LBB49_241
; %bb.240:
	buffer_load_dword v103, off, s[0:3], 0 offset:264
	buffer_load_dword v104, off, s[0:3], 0 offset:268
	s_waitcnt vmcnt(0)
	ds_write_b64 v101, v[103:104]
	buffer_store_dword v102, off, s[0:3], 0 offset:264
	buffer_store_dword v102, off, s[0:3], 0 offset:268
.LBB49_241:
	s_or_b64 exec, exec, s[4:5]
	s_waitcnt lgkmcnt(0)
	; wave barrier
	buffer_load_dword v111, off, s[0:3], 0 offset:272
	buffer_load_dword v112, off, s[0:3], 0 offset:276
	;; [unrolled: 1-line block ×22, first 2 shown]
	ds_read_b128 v[103:106], v102 offset:672
	ds_read_b128 v[107:110], v102 offset:688
	v_cmp_lt_u32_e32 vcc, 32, v0
	s_waitcnt vmcnt(20) lgkmcnt(1)
	v_fma_f64 v[103:104], v[111:112], v[103:104], 0
	s_waitcnt vmcnt(18)
	v_fma_f64 v[103:104], v[113:114], v[105:106], v[103:104]
	buffer_load_dword v112, off, s[0:3], 0 offset:364
	buffer_load_dword v113, off, s[0:3], 0 offset:384
	;; [unrolled: 1-line block ×8, first 2 shown]
	s_waitcnt vmcnt(24) lgkmcnt(0)
	v_fma_f64 v[103:104], v[115:116], v[107:108], v[103:104]
	s_waitcnt vmcnt(22)
	v_fma_f64 v[115:116], v[117:118], v[109:110], v[103:104]
	ds_read_b128 v[103:106], v102 offset:704
	ds_read_b128 v[107:110], v102 offset:720
	s_waitcnt vmcnt(20) lgkmcnt(1)
	v_fma_f64 v[103:104], v[119:120], v[103:104], v[115:116]
	buffer_load_dword v116, off, s[0:3], 0 offset:396
	buffer_load_dword v115, off, s[0:3], 0 offset:392
	;; [unrolled: 1-line block ×4, first 2 shown]
	s_waitcnt vmcnt(22)
	v_fma_f64 v[103:104], v[121:122], v[105:106], v[103:104]
	s_waitcnt vmcnt(20) lgkmcnt(0)
	v_fma_f64 v[103:104], v[123:124], v[107:108], v[103:104]
	s_waitcnt vmcnt(15)
	v_fma_f64 v[119:120], v[125:126], v[109:110], v[103:104]
	ds_read_b128 v[103:106], v102 offset:736
	ds_read_b128 v[107:110], v102 offset:752
	s_waitcnt vmcnt(14) lgkmcnt(1)
	v_fma_f64 v[103:104], v[131:132], v[103:104], v[119:120]
	s_waitcnt vmcnt(13)
	v_fma_f64 v[103:104], v[129:130], v[105:106], v[103:104]
	s_waitcnt vmcnt(12) lgkmcnt(0)
	v_fma_f64 v[103:104], v[127:128], v[107:108], v[103:104]
	s_waitcnt vmcnt(7)
	v_fma_f64 v[111:112], v[111:112], v[109:110], v[103:104]
	ds_read_b128 v[103:106], v102 offset:768
	ds_read_b128 v[107:110], v102 offset:784
	s_waitcnt vmcnt(6) lgkmcnt(1)
	v_fma_f64 v[102:103], v[135:136], v[103:104], v[111:112]
	s_waitcnt vmcnt(5)
	v_fma_f64 v[102:103], v[133:134], v[105:106], v[102:103]
	s_waitcnt vmcnt(4) lgkmcnt(0)
	v_fma_f64 v[102:103], v[113:114], v[107:108], v[102:103]
	s_waitcnt vmcnt(2)
	v_fma_f64 v[102:103], v[115:116], v[109:110], v[102:103]
	s_waitcnt vmcnt(0)
	v_add_f64 v[102:103], v[117:118], -v[102:103]
	buffer_store_dword v103, off, s[0:3], 0 offset:268
	buffer_store_dword v102, off, s[0:3], 0 offset:264
	s_and_saveexec_b64 s[4:5], vcc
	s_cbranch_execz .LBB49_243
; %bb.242:
	buffer_load_dword v102, off, s[0:3], 0 offset:256
	buffer_load_dword v103, off, s[0:3], 0 offset:260
	v_mov_b32_e32 v104, 0
	buffer_store_dword v104, off, s[0:3], 0 offset:256
	buffer_store_dword v104, off, s[0:3], 0 offset:260
	s_waitcnt vmcnt(2)
	ds_write_b64 v101, v[102:103]
.LBB49_243:
	s_or_b64 exec, exec, s[4:5]
	s_waitcnt lgkmcnt(0)
	; wave barrier
	buffer_load_dword v111, off, s[0:3], 0 offset:264
	buffer_load_dword v112, off, s[0:3], 0 offset:268
	;; [unrolled: 1-line block ×22, first 2 shown]
	v_mov_b32_e32 v102, 0
	ds_read2_b64 v[103:106], v102 offset0:83 offset1:84
	ds_read2_b64 v[107:110], v102 offset0:85 offset1:86
	v_cmp_lt_u32_e32 vcc, 31, v0
	s_waitcnt vmcnt(20) lgkmcnt(1)
	v_fma_f64 v[103:104], v[111:112], v[103:104], 0
	s_waitcnt vmcnt(18)
	v_fma_f64 v[103:104], v[113:114], v[105:106], v[103:104]
	buffer_load_dword v112, off, s[0:3], 0 offset:356
	buffer_load_dword v113, off, s[0:3], 0 offset:376
	;; [unrolled: 1-line block ×7, first 2 shown]
	s_waitcnt vmcnt(23) lgkmcnt(0)
	v_fma_f64 v[103:104], v[115:116], v[107:108], v[103:104]
	s_waitcnt vmcnt(21)
	v_fma_f64 v[114:115], v[117:118], v[109:110], v[103:104]
	ds_read2_b64 v[103:106], v102 offset0:87 offset1:88
	ds_read2_b64 v[107:110], v102 offset0:89 offset1:90
	s_waitcnt vmcnt(19) lgkmcnt(1)
	v_fma_f64 v[103:104], v[119:120], v[103:104], v[114:115]
	buffer_load_dword v114, off, s[0:3], 0 offset:380
	buffer_load_dword v116, off, s[0:3], 0 offset:388
	;; [unrolled: 1-line block ×7, first 2 shown]
	s_waitcnt vmcnt(24)
	v_fma_f64 v[103:104], v[121:122], v[105:106], v[103:104]
	s_waitcnt vmcnt(22) lgkmcnt(0)
	v_fma_f64 v[103:104], v[123:124], v[107:108], v[103:104]
	s_waitcnt vmcnt(17)
	v_fma_f64 v[121:122], v[125:126], v[109:110], v[103:104]
	ds_read2_b64 v[103:106], v102 offset0:91 offset1:92
	ds_read2_b64 v[107:110], v102 offset0:93 offset1:94
	s_waitcnt vmcnt(16) lgkmcnt(1)
	v_fma_f64 v[103:104], v[131:132], v[103:104], v[121:122]
	s_waitcnt vmcnt(15)
	v_fma_f64 v[103:104], v[129:130], v[105:106], v[103:104]
	s_waitcnt vmcnt(14) lgkmcnt(0)
	v_fma_f64 v[103:104], v[127:128], v[107:108], v[103:104]
	s_waitcnt vmcnt(9)
	v_fma_f64 v[111:112], v[111:112], v[109:110], v[103:104]
	ds_read2_b64 v[103:106], v102 offset0:95 offset1:96
	ds_read2_b64 v[107:110], v102 offset0:97 offset1:98
	s_waitcnt vmcnt(8) lgkmcnt(1)
	v_fma_f64 v[103:104], v[135:136], v[103:104], v[111:112]
	s_waitcnt vmcnt(7)
	v_fma_f64 v[103:104], v[133:134], v[105:106], v[103:104]
	ds_read_b64 v[105:106], v102 offset:792
	s_waitcnt vmcnt(6) lgkmcnt(1)
	v_fma_f64 v[103:104], v[113:114], v[107:108], v[103:104]
	s_waitcnt vmcnt(3)
	v_fma_f64 v[103:104], v[115:116], v[109:110], v[103:104]
	s_waitcnt vmcnt(2) lgkmcnt(0)
	v_fma_f64 v[103:104], v[117:118], v[105:106], v[103:104]
	s_waitcnt vmcnt(0)
	v_add_f64 v[103:104], v[119:120], -v[103:104]
	buffer_store_dword v104, off, s[0:3], 0 offset:260
	buffer_store_dword v103, off, s[0:3], 0 offset:256
	s_and_saveexec_b64 s[4:5], vcc
	s_cbranch_execz .LBB49_245
; %bb.244:
	buffer_load_dword v103, off, s[0:3], 0 offset:248
	buffer_load_dword v104, off, s[0:3], 0 offset:252
	s_waitcnt vmcnt(0)
	ds_write_b64 v101, v[103:104]
	buffer_store_dword v102, off, s[0:3], 0 offset:248
	buffer_store_dword v102, off, s[0:3], 0 offset:252
.LBB49_245:
	s_or_b64 exec, exec, s[4:5]
	s_waitcnt lgkmcnt(0)
	; wave barrier
	buffer_load_dword v111, off, s[0:3], 0 offset:256
	buffer_load_dword v112, off, s[0:3], 0 offset:260
	;; [unrolled: 1-line block ×22, first 2 shown]
	ds_read_b128 v[103:106], v102 offset:656
	ds_read_b128 v[107:110], v102 offset:672
	v_cmp_lt_u32_e32 vcc, 30, v0
	s_waitcnt vmcnt(20) lgkmcnt(1)
	v_fma_f64 v[103:104], v[111:112], v[103:104], 0
	s_waitcnt vmcnt(18)
	v_fma_f64 v[103:104], v[113:114], v[105:106], v[103:104]
	buffer_load_dword v112, off, s[0:3], 0 offset:348
	buffer_load_dword v113, off, s[0:3], 0 offset:368
	;; [unrolled: 1-line block ×7, first 2 shown]
	s_waitcnt vmcnt(23) lgkmcnt(0)
	v_fma_f64 v[103:104], v[115:116], v[107:108], v[103:104]
	s_waitcnt vmcnt(21)
	v_fma_f64 v[114:115], v[117:118], v[109:110], v[103:104]
	ds_read_b128 v[103:106], v102 offset:688
	ds_read_b128 v[107:110], v102 offset:704
	s_waitcnt vmcnt(19) lgkmcnt(1)
	v_fma_f64 v[103:104], v[119:120], v[103:104], v[114:115]
	buffer_load_dword v114, off, s[0:3], 0 offset:372
	buffer_load_dword v116, off, s[0:3], 0 offset:380
	;; [unrolled: 1-line block ×7, first 2 shown]
	s_waitcnt vmcnt(24)
	v_fma_f64 v[103:104], v[121:122], v[105:106], v[103:104]
	s_waitcnt vmcnt(22) lgkmcnt(0)
	v_fma_f64 v[103:104], v[123:124], v[107:108], v[103:104]
	s_waitcnt vmcnt(17)
	v_fma_f64 v[121:122], v[125:126], v[109:110], v[103:104]
	ds_read_b128 v[103:106], v102 offset:720
	buffer_load_dword v123, off, s[0:3], 0 offset:248
	buffer_load_dword v124, off, s[0:3], 0 offset:252
	ds_read_b128 v[107:110], v102 offset:736
	s_waitcnt vmcnt(18) lgkmcnt(1)
	v_fma_f64 v[103:104], v[131:132], v[103:104], v[121:122]
	s_waitcnt vmcnt(17)
	v_fma_f64 v[103:104], v[129:130], v[105:106], v[103:104]
	s_waitcnt vmcnt(16) lgkmcnt(0)
	v_fma_f64 v[103:104], v[127:128], v[107:108], v[103:104]
	s_waitcnt vmcnt(11)
	v_fma_f64 v[111:112], v[111:112], v[109:110], v[103:104]
	ds_read_b128 v[103:106], v102 offset:752
	ds_read_b128 v[107:110], v102 offset:768
	s_waitcnt vmcnt(10) lgkmcnt(1)
	v_fma_f64 v[103:104], v[135:136], v[103:104], v[111:112]
	s_waitcnt vmcnt(9)
	v_fma_f64 v[103:104], v[133:134], v[105:106], v[103:104]
	s_waitcnt vmcnt(8) lgkmcnt(0)
	v_fma_f64 v[103:104], v[113:114], v[107:108], v[103:104]
	s_waitcnt vmcnt(4)
	v_fma_f64 v[106:107], v[115:116], v[109:110], v[103:104]
	ds_read_b128 v[102:105], v102 offset:784
	s_waitcnt vmcnt(3) lgkmcnt(0)
	v_fma_f64 v[102:103], v[119:120], v[102:103], v[106:107]
	s_waitcnt vmcnt(2)
	v_fma_f64 v[102:103], v[117:118], v[104:105], v[102:103]
	s_waitcnt vmcnt(0)
	v_add_f64 v[102:103], v[123:124], -v[102:103]
	buffer_store_dword v103, off, s[0:3], 0 offset:252
	buffer_store_dword v102, off, s[0:3], 0 offset:248
	s_and_saveexec_b64 s[4:5], vcc
	s_cbranch_execz .LBB49_247
; %bb.246:
	buffer_load_dword v102, off, s[0:3], 0 offset:240
	buffer_load_dword v103, off, s[0:3], 0 offset:244
	v_mov_b32_e32 v104, 0
	buffer_store_dword v104, off, s[0:3], 0 offset:240
	buffer_store_dword v104, off, s[0:3], 0 offset:244
	s_waitcnt vmcnt(2)
	ds_write_b64 v101, v[102:103]
.LBB49_247:
	s_or_b64 exec, exec, s[4:5]
	s_waitcnt lgkmcnt(0)
	; wave barrier
	buffer_load_dword v111, off, s[0:3], 0 offset:248
	buffer_load_dword v112, off, s[0:3], 0 offset:252
	;; [unrolled: 1-line block ×22, first 2 shown]
	v_mov_b32_e32 v102, 0
	ds_read2_b64 v[103:106], v102 offset0:81 offset1:82
	ds_read2_b64 v[107:110], v102 offset0:83 offset1:84
	v_cmp_lt_u32_e32 vcc, 29, v0
	s_waitcnt vmcnt(20) lgkmcnt(1)
	v_fma_f64 v[103:104], v[111:112], v[103:104], 0
	s_waitcnt vmcnt(18)
	v_fma_f64 v[103:104], v[113:114], v[105:106], v[103:104]
	buffer_load_dword v112, off, s[0:3], 0 offset:340
	buffer_load_dword v113, off, s[0:3], 0 offset:360
	;; [unrolled: 1-line block ×7, first 2 shown]
	s_waitcnt vmcnt(23) lgkmcnt(0)
	v_fma_f64 v[103:104], v[115:116], v[107:108], v[103:104]
	s_waitcnt vmcnt(21)
	v_fma_f64 v[114:115], v[117:118], v[109:110], v[103:104]
	ds_read2_b64 v[103:106], v102 offset0:85 offset1:86
	ds_read2_b64 v[107:110], v102 offset0:87 offset1:88
	s_waitcnt vmcnt(19) lgkmcnt(1)
	v_fma_f64 v[103:104], v[119:120], v[103:104], v[114:115]
	buffer_load_dword v114, off, s[0:3], 0 offset:364
	s_waitcnt vmcnt(18)
	v_fma_f64 v[103:104], v[121:122], v[105:106], v[103:104]
	buffer_load_dword v116, off, s[0:3], 0 offset:372
	buffer_load_dword v117, off, s[0:3], 0 offset:392
	;; [unrolled: 1-line block ×8, first 2 shown]
	s_waitcnt vmcnt(24) lgkmcnt(0)
	v_fma_f64 v[103:104], v[123:124], v[107:108], v[103:104]
	s_waitcnt vmcnt(19)
	v_fma_f64 v[123:124], v[125:126], v[109:110], v[103:104]
	ds_read2_b64 v[103:106], v102 offset0:89 offset1:90
	ds_read2_b64 v[107:110], v102 offset0:91 offset1:92
	s_waitcnt vmcnt(18) lgkmcnt(1)
	v_fma_f64 v[103:104], v[131:132], v[103:104], v[123:124]
	buffer_load_dword v123, off, s[0:3], 0 offset:240
	buffer_load_dword v124, off, s[0:3], 0 offset:244
	s_waitcnt vmcnt(19)
	v_fma_f64 v[103:104], v[129:130], v[105:106], v[103:104]
	s_waitcnt vmcnt(18) lgkmcnt(0)
	v_fma_f64 v[103:104], v[127:128], v[107:108], v[103:104]
	s_waitcnt vmcnt(13)
	v_fma_f64 v[111:112], v[111:112], v[109:110], v[103:104]
	ds_read2_b64 v[103:106], v102 offset0:93 offset1:94
	ds_read2_b64 v[107:110], v102 offset0:95 offset1:96
	s_waitcnt vmcnt(12) lgkmcnt(1)
	v_fma_f64 v[103:104], v[135:136], v[103:104], v[111:112]
	s_waitcnt vmcnt(11)
	v_fma_f64 v[103:104], v[133:134], v[105:106], v[103:104]
	s_waitcnt vmcnt(10) lgkmcnt(0)
	v_fma_f64 v[103:104], v[113:114], v[107:108], v[103:104]
	s_waitcnt vmcnt(5)
	v_fma_f64 v[107:108], v[115:116], v[109:110], v[103:104]
	ds_read2_b64 v[103:106], v102 offset0:97 offset1:98
	ds_read_b64 v[109:110], v102 offset:792
	s_waitcnt vmcnt(4) lgkmcnt(1)
	v_fma_f64 v[103:104], v[121:122], v[103:104], v[107:108]
	s_waitcnt vmcnt(3)
	v_fma_f64 v[103:104], v[119:120], v[105:106], v[103:104]
	s_waitcnt vmcnt(2) lgkmcnt(0)
	v_fma_f64 v[103:104], v[117:118], v[109:110], v[103:104]
	s_waitcnt vmcnt(0)
	v_add_f64 v[103:104], v[123:124], -v[103:104]
	buffer_store_dword v104, off, s[0:3], 0 offset:244
	buffer_store_dword v103, off, s[0:3], 0 offset:240
	s_and_saveexec_b64 s[4:5], vcc
	s_cbranch_execz .LBB49_249
; %bb.248:
	buffer_load_dword v103, off, s[0:3], 0 offset:232
	buffer_load_dword v104, off, s[0:3], 0 offset:236
	s_waitcnt vmcnt(0)
	ds_write_b64 v101, v[103:104]
	buffer_store_dword v102, off, s[0:3], 0 offset:232
	buffer_store_dword v102, off, s[0:3], 0 offset:236
.LBB49_249:
	s_or_b64 exec, exec, s[4:5]
	s_waitcnt lgkmcnt(0)
	; wave barrier
	buffer_load_dword v111, off, s[0:3], 0 offset:240
	buffer_load_dword v112, off, s[0:3], 0 offset:244
	;; [unrolled: 1-line block ×22, first 2 shown]
	ds_read_b128 v[103:106], v102 offset:640
	ds_read_b128 v[107:110], v102 offset:656
	v_cmp_lt_u32_e32 vcc, 28, v0
	s_waitcnt vmcnt(20) lgkmcnt(1)
	v_fma_f64 v[103:104], v[111:112], v[103:104], 0
	s_waitcnt vmcnt(18)
	v_fma_f64 v[103:104], v[113:114], v[105:106], v[103:104]
	buffer_load_dword v112, off, s[0:3], 0 offset:332
	buffer_load_dword v113, off, s[0:3], 0 offset:352
	buffer_load_dword v133, off, s[0:3], 0 offset:344
	buffer_load_dword v135, off, s[0:3], 0 offset:336
	buffer_load_dword v111, off, s[0:3], 0 offset:328
	buffer_load_dword v136, off, s[0:3], 0 offset:340
	buffer_load_dword v134, off, s[0:3], 0 offset:348
	s_waitcnt vmcnt(23) lgkmcnt(0)
	v_fma_f64 v[103:104], v[115:116], v[107:108], v[103:104]
	s_waitcnt vmcnt(21)
	v_fma_f64 v[114:115], v[117:118], v[109:110], v[103:104]
	ds_read_b128 v[103:106], v102 offset:672
	ds_read_b128 v[107:110], v102 offset:688
	s_waitcnt vmcnt(19) lgkmcnt(1)
	v_fma_f64 v[103:104], v[119:120], v[103:104], v[114:115]
	buffer_load_dword v114, off, s[0:3], 0 offset:356
	s_waitcnt vmcnt(18)
	v_fma_f64 v[103:104], v[121:122], v[105:106], v[103:104]
	buffer_load_dword v116, off, s[0:3], 0 offset:364
	buffer_load_dword v117, off, s[0:3], 0 offset:384
	;; [unrolled: 1-line block ×8, first 2 shown]
	s_waitcnt vmcnt(24) lgkmcnt(0)
	v_fma_f64 v[103:104], v[123:124], v[107:108], v[103:104]
	s_waitcnt vmcnt(19)
	v_fma_f64 v[123:124], v[125:126], v[109:110], v[103:104]
	ds_read_b128 v[103:106], v102 offset:704
	ds_read_b128 v[107:110], v102 offset:720
	s_waitcnt vmcnt(18) lgkmcnt(1)
	v_fma_f64 v[103:104], v[131:132], v[103:104], v[123:124]
	buffer_load_dword v124, off, s[0:3], 0 offset:396
	buffer_load_dword v123, off, s[0:3], 0 offset:392
	;; [unrolled: 1-line block ×4, first 2 shown]
	s_waitcnt vmcnt(21)
	v_fma_f64 v[103:104], v[129:130], v[105:106], v[103:104]
	s_waitcnt vmcnt(20) lgkmcnt(0)
	v_fma_f64 v[103:104], v[127:128], v[107:108], v[103:104]
	s_waitcnt vmcnt(15)
	v_fma_f64 v[111:112], v[111:112], v[109:110], v[103:104]
	ds_read_b128 v[103:106], v102 offset:736
	ds_read_b128 v[107:110], v102 offset:752
	s_waitcnt vmcnt(14) lgkmcnt(1)
	v_fma_f64 v[103:104], v[135:136], v[103:104], v[111:112]
	s_waitcnt vmcnt(13)
	v_fma_f64 v[103:104], v[133:134], v[105:106], v[103:104]
	s_waitcnt vmcnt(12) lgkmcnt(0)
	v_fma_f64 v[103:104], v[113:114], v[107:108], v[103:104]
	s_waitcnt vmcnt(7)
	v_fma_f64 v[111:112], v[115:116], v[109:110], v[103:104]
	ds_read_b128 v[103:106], v102 offset:768
	ds_read_b128 v[107:110], v102 offset:784
	s_waitcnt vmcnt(6) lgkmcnt(1)
	v_fma_f64 v[102:103], v[121:122], v[103:104], v[111:112]
	s_waitcnt vmcnt(5)
	v_fma_f64 v[102:103], v[119:120], v[105:106], v[102:103]
	s_waitcnt vmcnt(4) lgkmcnt(0)
	v_fma_f64 v[102:103], v[117:118], v[107:108], v[102:103]
	s_waitcnt vmcnt(2)
	v_fma_f64 v[102:103], v[123:124], v[109:110], v[102:103]
	s_waitcnt vmcnt(0)
	v_add_f64 v[102:103], v[125:126], -v[102:103]
	buffer_store_dword v103, off, s[0:3], 0 offset:236
	buffer_store_dword v102, off, s[0:3], 0 offset:232
	s_and_saveexec_b64 s[4:5], vcc
	s_cbranch_execz .LBB49_251
; %bb.250:
	buffer_load_dword v102, off, s[0:3], 0 offset:224
	buffer_load_dword v103, off, s[0:3], 0 offset:228
	v_mov_b32_e32 v104, 0
	buffer_store_dword v104, off, s[0:3], 0 offset:224
	buffer_store_dword v104, off, s[0:3], 0 offset:228
	s_waitcnt vmcnt(2)
	ds_write_b64 v101, v[102:103]
.LBB49_251:
	s_or_b64 exec, exec, s[4:5]
	s_waitcnt lgkmcnt(0)
	; wave barrier
	buffer_load_dword v111, off, s[0:3], 0 offset:232
	buffer_load_dword v112, off, s[0:3], 0 offset:236
	;; [unrolled: 1-line block ×21, first 2 shown]
	v_mov_b32_e32 v102, 0
	ds_read2_b64 v[103:106], v102 offset0:79 offset1:80
	ds_read2_b64 v[107:110], v102 offset0:81 offset1:82
	buffer_load_dword v128, off, s[0:3], 0 offset:316
	v_cmp_lt_u32_e32 vcc, 27, v0
	s_waitcnt vmcnt(20) lgkmcnt(1)
	v_fma_f64 v[103:104], v[111:112], v[103:104], 0
	s_waitcnt vmcnt(18)
	v_fma_f64 v[103:104], v[113:114], v[105:106], v[103:104]
	buffer_load_dword v112, off, s[0:3], 0 offset:324
	buffer_load_dword v113, off, s[0:3], 0 offset:344
	;; [unrolled: 1-line block ×7, first 2 shown]
	s_waitcnt vmcnt(23) lgkmcnt(0)
	v_fma_f64 v[103:104], v[115:116], v[107:108], v[103:104]
	s_waitcnt vmcnt(21)
	v_fma_f64 v[114:115], v[117:118], v[109:110], v[103:104]
	ds_read2_b64 v[103:106], v102 offset0:83 offset1:84
	ds_read2_b64 v[107:110], v102 offset0:85 offset1:86
	s_waitcnt vmcnt(19) lgkmcnt(1)
	v_fma_f64 v[103:104], v[119:120], v[103:104], v[114:115]
	buffer_load_dword v114, off, s[0:3], 0 offset:348
	s_waitcnt vmcnt(18)
	v_fma_f64 v[103:104], v[121:122], v[105:106], v[103:104]
	buffer_load_dword v116, off, s[0:3], 0 offset:356
	buffer_load_dword v117, off, s[0:3], 0 offset:376
	buffer_load_dword v119, off, s[0:3], 0 offset:368
	buffer_load_dword v121, off, s[0:3], 0 offset:360
	buffer_load_dword v115, off, s[0:3], 0 offset:352
	buffer_load_dword v122, off, s[0:3], 0 offset:364
	buffer_load_dword v120, off, s[0:3], 0 offset:372
	s_waitcnt vmcnt(23) lgkmcnt(0)
	v_fma_f64 v[103:104], v[123:124], v[107:108], v[103:104]
	s_waitcnt vmcnt(18)
	v_fma_f64 v[123:124], v[125:126], v[109:110], v[103:104]
	ds_read2_b64 v[103:106], v102 offset0:87 offset1:88
	ds_read2_b64 v[107:110], v102 offset0:89 offset1:90
	buffer_load_dword v118, off, s[0:3], 0 offset:380
	s_waitcnt vmcnt(18) lgkmcnt(1)
	v_fma_f64 v[103:104], v[131:132], v[103:104], v[123:124]
	buffer_load_dword v124, off, s[0:3], 0 offset:388
	buffer_load_dword v125, off, s[0:3], 0 offset:392
	;; [unrolled: 1-line block ×4, first 2 shown]
	s_waitcnt vmcnt(21)
	v_fma_f64 v[103:104], v[129:130], v[105:106], v[103:104]
	s_waitcnt vmcnt(20) lgkmcnt(0)
	v_fma_f64 v[103:104], v[127:128], v[107:108], v[103:104]
	buffer_load_dword v127, off, s[0:3], 0 offset:224
	buffer_load_dword v128, off, s[0:3], 0 offset:228
	s_waitcnt vmcnt(17)
	v_fma_f64 v[111:112], v[111:112], v[109:110], v[103:104]
	ds_read2_b64 v[103:106], v102 offset0:91 offset1:92
	ds_read2_b64 v[107:110], v102 offset0:93 offset1:94
	s_waitcnt vmcnt(16) lgkmcnt(1)
	v_fma_f64 v[103:104], v[135:136], v[103:104], v[111:112]
	s_waitcnt vmcnt(15)
	v_fma_f64 v[103:104], v[133:134], v[105:106], v[103:104]
	s_waitcnt vmcnt(14) lgkmcnt(0)
	v_fma_f64 v[103:104], v[113:114], v[107:108], v[103:104]
	s_waitcnt vmcnt(9)
	v_fma_f64 v[111:112], v[115:116], v[109:110], v[103:104]
	ds_read2_b64 v[103:106], v102 offset0:95 offset1:96
	ds_read2_b64 v[107:110], v102 offset0:97 offset1:98
	s_waitcnt vmcnt(8) lgkmcnt(1)
	v_fma_f64 v[103:104], v[121:122], v[103:104], v[111:112]
	s_waitcnt vmcnt(7)
	v_fma_f64 v[103:104], v[119:120], v[105:106], v[103:104]
	ds_read_b64 v[105:106], v102 offset:792
	s_waitcnt vmcnt(6) lgkmcnt(1)
	v_fma_f64 v[103:104], v[117:118], v[107:108], v[103:104]
	s_waitcnt vmcnt(3)
	v_fma_f64 v[103:104], v[123:124], v[109:110], v[103:104]
	s_waitcnt vmcnt(2) lgkmcnt(0)
	v_fma_f64 v[103:104], v[125:126], v[105:106], v[103:104]
	s_waitcnt vmcnt(0)
	v_add_f64 v[103:104], v[127:128], -v[103:104]
	buffer_store_dword v104, off, s[0:3], 0 offset:228
	buffer_store_dword v103, off, s[0:3], 0 offset:224
	s_and_saveexec_b64 s[4:5], vcc
	s_cbranch_execz .LBB49_253
; %bb.252:
	buffer_load_dword v103, off, s[0:3], 0 offset:216
	buffer_load_dword v104, off, s[0:3], 0 offset:220
	s_waitcnt vmcnt(0)
	ds_write_b64 v101, v[103:104]
	buffer_store_dword v102, off, s[0:3], 0 offset:216
	buffer_store_dword v102, off, s[0:3], 0 offset:220
.LBB49_253:
	s_or_b64 exec, exec, s[4:5]
	s_waitcnt lgkmcnt(0)
	; wave barrier
	buffer_load_dword v111, off, s[0:3], 0 offset:224
	buffer_load_dword v112, off, s[0:3], 0 offset:228
	buffer_load_dword v113, off, s[0:3], 0 offset:232
	buffer_load_dword v114, off, s[0:3], 0 offset:236
	buffer_load_dword v115, off, s[0:3], 0 offset:240
	buffer_load_dword v116, off, s[0:3], 0 offset:244
	buffer_load_dword v117, off, s[0:3], 0 offset:248
	buffer_load_dword v118, off, s[0:3], 0 offset:252
	buffer_load_dword v119, off, s[0:3], 0 offset:256
	buffer_load_dword v120, off, s[0:3], 0 offset:260
	buffer_load_dword v121, off, s[0:3], 0 offset:264
	buffer_load_dword v122, off, s[0:3], 0 offset:268
	buffer_load_dword v123, off, s[0:3], 0 offset:272
	buffer_load_dword v124, off, s[0:3], 0 offset:276
	buffer_load_dword v126, off, s[0:3], 0 offset:284
	buffer_load_dword v127, off, s[0:3], 0 offset:304
	buffer_load_dword v129, off, s[0:3], 0 offset:296
	buffer_load_dword v131, off, s[0:3], 0 offset:288
	buffer_load_dword v125, off, s[0:3], 0 offset:280
	buffer_load_dword v132, off, s[0:3], 0 offset:292
	buffer_load_dword v130, off, s[0:3], 0 offset:300
	ds_read_b128 v[103:106], v102 offset:624
	ds_read_b128 v[107:110], v102 offset:640
	buffer_load_dword v128, off, s[0:3], 0 offset:308
	v_cmp_lt_u32_e32 vcc, 26, v0
	s_waitcnt vmcnt(20) lgkmcnt(1)
	v_fma_f64 v[103:104], v[111:112], v[103:104], 0
	s_waitcnt vmcnt(18)
	v_fma_f64 v[103:104], v[113:114], v[105:106], v[103:104]
	buffer_load_dword v112, off, s[0:3], 0 offset:316
	buffer_load_dword v113, off, s[0:3], 0 offset:336
	;; [unrolled: 1-line block ×7, first 2 shown]
	s_waitcnt vmcnt(23) lgkmcnt(0)
	v_fma_f64 v[103:104], v[115:116], v[107:108], v[103:104]
	s_waitcnt vmcnt(21)
	v_fma_f64 v[114:115], v[117:118], v[109:110], v[103:104]
	ds_read_b128 v[103:106], v102 offset:656
	ds_read_b128 v[107:110], v102 offset:672
	s_waitcnt vmcnt(19) lgkmcnt(1)
	v_fma_f64 v[103:104], v[119:120], v[103:104], v[114:115]
	buffer_load_dword v114, off, s[0:3], 0 offset:340
	s_waitcnt vmcnt(18)
	v_fma_f64 v[103:104], v[121:122], v[105:106], v[103:104]
	buffer_load_dword v116, off, s[0:3], 0 offset:348
	buffer_load_dword v117, off, s[0:3], 0 offset:368
	buffer_load_dword v119, off, s[0:3], 0 offset:360
	buffer_load_dword v121, off, s[0:3], 0 offset:352
	buffer_load_dword v115, off, s[0:3], 0 offset:344
	buffer_load_dword v122, off, s[0:3], 0 offset:356
	buffer_load_dword v120, off, s[0:3], 0 offset:364
	buffer_load_dword v118, off, s[0:3], 0 offset:372
	s_waitcnt vmcnt(24) lgkmcnt(0)
	v_fma_f64 v[103:104], v[123:124], v[107:108], v[103:104]
	s_waitcnt vmcnt(19)
	v_fma_f64 v[123:124], v[125:126], v[109:110], v[103:104]
	ds_read_b128 v[103:106], v102 offset:688
	ds_read_b128 v[107:110], v102 offset:704
	s_waitcnt vmcnt(18) lgkmcnt(1)
	v_fma_f64 v[103:104], v[131:132], v[103:104], v[123:124]
	s_waitcnt vmcnt(17)
	v_fma_f64 v[103:104], v[129:130], v[105:106], v[103:104]
	buffer_load_dword v124, off, s[0:3], 0 offset:380
	buffer_load_dword v125, off, s[0:3], 0 offset:392
	;; [unrolled: 1-line block ×6, first 2 shown]
	s_waitcnt vmcnt(22) lgkmcnt(0)
	v_fma_f64 v[103:104], v[127:128], v[107:108], v[103:104]
	s_waitcnt vmcnt(17)
	v_fma_f64 v[111:112], v[111:112], v[109:110], v[103:104]
	ds_read_b128 v[103:106], v102 offset:720
	buffer_load_dword v127, off, s[0:3], 0 offset:216
	buffer_load_dword v128, off, s[0:3], 0 offset:220
	ds_read_b128 v[107:110], v102 offset:736
	s_waitcnt vmcnt(18) lgkmcnt(1)
	v_fma_f64 v[103:104], v[135:136], v[103:104], v[111:112]
	s_waitcnt vmcnt(17)
	v_fma_f64 v[103:104], v[133:134], v[105:106], v[103:104]
	s_waitcnt vmcnt(16) lgkmcnt(0)
	v_fma_f64 v[103:104], v[113:114], v[107:108], v[103:104]
	s_waitcnt vmcnt(11)
	v_fma_f64 v[111:112], v[115:116], v[109:110], v[103:104]
	ds_read_b128 v[103:106], v102 offset:752
	ds_read_b128 v[107:110], v102 offset:768
	s_waitcnt vmcnt(10) lgkmcnt(1)
	v_fma_f64 v[103:104], v[121:122], v[103:104], v[111:112]
	s_waitcnt vmcnt(9)
	v_fma_f64 v[103:104], v[119:120], v[105:106], v[103:104]
	s_waitcnt vmcnt(8) lgkmcnt(0)
	v_fma_f64 v[103:104], v[117:118], v[107:108], v[103:104]
	s_waitcnt vmcnt(4)
	v_fma_f64 v[106:107], v[123:124], v[109:110], v[103:104]
	ds_read_b128 v[102:105], v102 offset:784
	s_waitcnt vmcnt(3) lgkmcnt(0)
	v_fma_f64 v[102:103], v[129:130], v[102:103], v[106:107]
	s_waitcnt vmcnt(2)
	v_fma_f64 v[102:103], v[125:126], v[104:105], v[102:103]
	s_waitcnt vmcnt(0)
	v_add_f64 v[102:103], v[127:128], -v[102:103]
	buffer_store_dword v103, off, s[0:3], 0 offset:220
	buffer_store_dword v102, off, s[0:3], 0 offset:216
	s_and_saveexec_b64 s[4:5], vcc
	s_cbranch_execz .LBB49_255
; %bb.254:
	buffer_load_dword v102, off, s[0:3], 0 offset:208
	buffer_load_dword v103, off, s[0:3], 0 offset:212
	v_mov_b32_e32 v104, 0
	buffer_store_dword v104, off, s[0:3], 0 offset:208
	buffer_store_dword v104, off, s[0:3], 0 offset:212
	s_waitcnt vmcnt(2)
	ds_write_b64 v101, v[102:103]
.LBB49_255:
	s_or_b64 exec, exec, s[4:5]
	s_waitcnt lgkmcnt(0)
	; wave barrier
	buffer_load_dword v111, off, s[0:3], 0 offset:216
	buffer_load_dword v112, off, s[0:3], 0 offset:220
	buffer_load_dword v113, off, s[0:3], 0 offset:224
	buffer_load_dword v114, off, s[0:3], 0 offset:228
	buffer_load_dword v115, off, s[0:3], 0 offset:232
	buffer_load_dword v116, off, s[0:3], 0 offset:236
	buffer_load_dword v117, off, s[0:3], 0 offset:240
	buffer_load_dword v118, off, s[0:3], 0 offset:244
	buffer_load_dword v119, off, s[0:3], 0 offset:248
	buffer_load_dword v120, off, s[0:3], 0 offset:252
	buffer_load_dword v121, off, s[0:3], 0 offset:256
	buffer_load_dword v122, off, s[0:3], 0 offset:260
	buffer_load_dword v123, off, s[0:3], 0 offset:264
	buffer_load_dword v124, off, s[0:3], 0 offset:268
	buffer_load_dword v126, off, s[0:3], 0 offset:276
	buffer_load_dword v127, off, s[0:3], 0 offset:296
	buffer_load_dword v129, off, s[0:3], 0 offset:288
	buffer_load_dword v131, off, s[0:3], 0 offset:280
	buffer_load_dword v125, off, s[0:3], 0 offset:272
	buffer_load_dword v132, off, s[0:3], 0 offset:284
	buffer_load_dword v130, off, s[0:3], 0 offset:292
	v_mov_b32_e32 v102, 0
	ds_read2_b64 v[103:106], v102 offset0:77 offset1:78
	ds_read2_b64 v[107:110], v102 offset0:79 offset1:80
	buffer_load_dword v128, off, s[0:3], 0 offset:300
	v_cmp_lt_u32_e32 vcc, 25, v0
	s_waitcnt vmcnt(20) lgkmcnt(1)
	v_fma_f64 v[103:104], v[111:112], v[103:104], 0
	s_waitcnt vmcnt(18)
	v_fma_f64 v[103:104], v[113:114], v[105:106], v[103:104]
	buffer_load_dword v112, off, s[0:3], 0 offset:308
	buffer_load_dword v113, off, s[0:3], 0 offset:328
	;; [unrolled: 1-line block ×7, first 2 shown]
	s_waitcnt vmcnt(23) lgkmcnt(0)
	v_fma_f64 v[103:104], v[115:116], v[107:108], v[103:104]
	s_waitcnt vmcnt(21)
	v_fma_f64 v[114:115], v[117:118], v[109:110], v[103:104]
	ds_read2_b64 v[103:106], v102 offset0:81 offset1:82
	ds_read2_b64 v[107:110], v102 offset0:83 offset1:84
	s_waitcnt vmcnt(19) lgkmcnt(1)
	v_fma_f64 v[103:104], v[119:120], v[103:104], v[114:115]
	buffer_load_dword v114, off, s[0:3], 0 offset:332
	s_waitcnt vmcnt(18)
	v_fma_f64 v[103:104], v[121:122], v[105:106], v[103:104]
	buffer_load_dword v116, off, s[0:3], 0 offset:340
	buffer_load_dword v117, off, s[0:3], 0 offset:360
	;; [unrolled: 1-line block ×8, first 2 shown]
	s_waitcnt vmcnt(24) lgkmcnt(0)
	v_fma_f64 v[103:104], v[123:124], v[107:108], v[103:104]
	s_waitcnt vmcnt(19)
	v_fma_f64 v[123:124], v[125:126], v[109:110], v[103:104]
	ds_read2_b64 v[103:106], v102 offset0:85 offset1:86
	ds_read2_b64 v[107:110], v102 offset0:87 offset1:88
	s_waitcnt vmcnt(18) lgkmcnt(1)
	v_fma_f64 v[103:104], v[131:132], v[103:104], v[123:124]
	s_waitcnt vmcnt(17)
	v_fma_f64 v[103:104], v[129:130], v[105:106], v[103:104]
	buffer_load_dword v124, off, s[0:3], 0 offset:372
	buffer_load_dword v125, off, s[0:3], 0 offset:392
	;; [unrolled: 1-line block ×8, first 2 shown]
	s_waitcnt vmcnt(24) lgkmcnt(0)
	v_fma_f64 v[103:104], v[127:128], v[107:108], v[103:104]
	s_waitcnt vmcnt(19)
	v_fma_f64 v[111:112], v[111:112], v[109:110], v[103:104]
	ds_read2_b64 v[103:106], v102 offset0:89 offset1:90
	ds_read2_b64 v[107:110], v102 offset0:91 offset1:92
	s_waitcnt vmcnt(18) lgkmcnt(1)
	v_fma_f64 v[103:104], v[135:136], v[103:104], v[111:112]
	buffer_load_dword v111, off, s[0:3], 0 offset:208
	buffer_load_dword v112, off, s[0:3], 0 offset:212
	s_waitcnt vmcnt(19)
	v_fma_f64 v[103:104], v[133:134], v[105:106], v[103:104]
	s_waitcnt vmcnt(18) lgkmcnt(0)
	v_fma_f64 v[103:104], v[113:114], v[107:108], v[103:104]
	s_waitcnt vmcnt(13)
	v_fma_f64 v[113:114], v[115:116], v[109:110], v[103:104]
	ds_read2_b64 v[103:106], v102 offset0:93 offset1:94
	ds_read2_b64 v[107:110], v102 offset0:95 offset1:96
	s_waitcnt vmcnt(12) lgkmcnt(1)
	v_fma_f64 v[103:104], v[121:122], v[103:104], v[113:114]
	s_waitcnt vmcnt(11)
	v_fma_f64 v[103:104], v[119:120], v[105:106], v[103:104]
	s_waitcnt vmcnt(10) lgkmcnt(0)
	v_fma_f64 v[103:104], v[117:118], v[107:108], v[103:104]
	s_waitcnt vmcnt(5)
	v_fma_f64 v[107:108], v[123:124], v[109:110], v[103:104]
	ds_read2_b64 v[103:106], v102 offset0:97 offset1:98
	ds_read_b64 v[109:110], v102 offset:792
	s_waitcnt vmcnt(4) lgkmcnt(1)
	v_fma_f64 v[103:104], v[131:132], v[103:104], v[107:108]
	s_waitcnt vmcnt(3)
	v_fma_f64 v[103:104], v[129:130], v[105:106], v[103:104]
	s_waitcnt vmcnt(2) lgkmcnt(0)
	v_fma_f64 v[103:104], v[125:126], v[109:110], v[103:104]
	s_waitcnt vmcnt(0)
	v_add_f64 v[103:104], v[111:112], -v[103:104]
	buffer_store_dword v104, off, s[0:3], 0 offset:212
	buffer_store_dword v103, off, s[0:3], 0 offset:208
	s_and_saveexec_b64 s[4:5], vcc
	s_cbranch_execz .LBB49_257
; %bb.256:
	buffer_load_dword v103, off, s[0:3], 0 offset:200
	buffer_load_dword v104, off, s[0:3], 0 offset:204
	s_waitcnt vmcnt(0)
	ds_write_b64 v101, v[103:104]
	buffer_store_dword v102, off, s[0:3], 0 offset:200
	buffer_store_dword v102, off, s[0:3], 0 offset:204
.LBB49_257:
	s_or_b64 exec, exec, s[4:5]
	s_waitcnt lgkmcnt(0)
	; wave barrier
	buffer_load_dword v111, off, s[0:3], 0 offset:208
	buffer_load_dword v112, off, s[0:3], 0 offset:212
	;; [unrolled: 1-line block ×21, first 2 shown]
	ds_read_b128 v[103:106], v102 offset:608
	ds_read_b128 v[107:110], v102 offset:624
	buffer_load_dword v128, off, s[0:3], 0 offset:292
	v_cmp_lt_u32_e32 vcc, 24, v0
	s_waitcnt vmcnt(20) lgkmcnt(1)
	v_fma_f64 v[103:104], v[111:112], v[103:104], 0
	s_waitcnt vmcnt(18)
	v_fma_f64 v[103:104], v[113:114], v[105:106], v[103:104]
	buffer_load_dword v112, off, s[0:3], 0 offset:300
	buffer_load_dword v113, off, s[0:3], 0 offset:320
	;; [unrolled: 1-line block ×7, first 2 shown]
	s_waitcnt vmcnt(23) lgkmcnt(0)
	v_fma_f64 v[103:104], v[115:116], v[107:108], v[103:104]
	s_waitcnt vmcnt(21)
	v_fma_f64 v[114:115], v[117:118], v[109:110], v[103:104]
	ds_read_b128 v[103:106], v102 offset:640
	ds_read_b128 v[107:110], v102 offset:656
	s_waitcnt vmcnt(19) lgkmcnt(1)
	v_fma_f64 v[103:104], v[119:120], v[103:104], v[114:115]
	buffer_load_dword v114, off, s[0:3], 0 offset:324
	s_waitcnt vmcnt(18)
	v_fma_f64 v[103:104], v[121:122], v[105:106], v[103:104]
	buffer_load_dword v116, off, s[0:3], 0 offset:332
	buffer_load_dword v117, off, s[0:3], 0 offset:352
	;; [unrolled: 1-line block ×8, first 2 shown]
	s_waitcnt vmcnt(24) lgkmcnt(0)
	v_fma_f64 v[103:104], v[123:124], v[107:108], v[103:104]
	s_waitcnt vmcnt(19)
	v_fma_f64 v[123:124], v[125:126], v[109:110], v[103:104]
	ds_read_b128 v[103:106], v102 offset:672
	ds_read_b128 v[107:110], v102 offset:688
	s_waitcnt vmcnt(18) lgkmcnt(1)
	v_fma_f64 v[103:104], v[131:132], v[103:104], v[123:124]
	s_waitcnt vmcnt(17)
	v_fma_f64 v[103:104], v[129:130], v[105:106], v[103:104]
	buffer_load_dword v124, off, s[0:3], 0 offset:364
	buffer_load_dword v125, off, s[0:3], 0 offset:384
	buffer_load_dword v129, off, s[0:3], 0 offset:376
	buffer_load_dword v131, off, s[0:3], 0 offset:368
	buffer_load_dword v123, off, s[0:3], 0 offset:360
	buffer_load_dword v132, off, s[0:3], 0 offset:372
	buffer_load_dword v130, off, s[0:3], 0 offset:380
	buffer_load_dword v126, off, s[0:3], 0 offset:388
	s_waitcnt vmcnt(24) lgkmcnt(0)
	v_fma_f64 v[103:104], v[127:128], v[107:108], v[103:104]
	s_waitcnt vmcnt(19)
	v_fma_f64 v[111:112], v[111:112], v[109:110], v[103:104]
	ds_read_b128 v[103:106], v102 offset:704
	ds_read_b128 v[107:110], v102 offset:720
	s_waitcnt vmcnt(18) lgkmcnt(1)
	v_fma_f64 v[103:104], v[135:136], v[103:104], v[111:112]
	buffer_load_dword v112, off, s[0:3], 0 offset:396
	buffer_load_dword v111, off, s[0:3], 0 offset:392
	;; [unrolled: 1-line block ×4, first 2 shown]
	s_waitcnt vmcnt(21)
	v_fma_f64 v[103:104], v[133:134], v[105:106], v[103:104]
	s_waitcnt vmcnt(20) lgkmcnt(0)
	v_fma_f64 v[103:104], v[113:114], v[107:108], v[103:104]
	s_waitcnt vmcnt(15)
	v_fma_f64 v[113:114], v[115:116], v[109:110], v[103:104]
	ds_read_b128 v[103:106], v102 offset:736
	ds_read_b128 v[107:110], v102 offset:752
	s_waitcnt vmcnt(14) lgkmcnt(1)
	v_fma_f64 v[103:104], v[121:122], v[103:104], v[113:114]
	s_waitcnt vmcnt(13)
	v_fma_f64 v[103:104], v[119:120], v[105:106], v[103:104]
	s_waitcnt vmcnt(12) lgkmcnt(0)
	v_fma_f64 v[103:104], v[117:118], v[107:108], v[103:104]
	s_waitcnt vmcnt(7)
	v_fma_f64 v[113:114], v[123:124], v[109:110], v[103:104]
	ds_read_b128 v[103:106], v102 offset:768
	ds_read_b128 v[107:110], v102 offset:784
	s_waitcnt vmcnt(6) lgkmcnt(1)
	v_fma_f64 v[102:103], v[131:132], v[103:104], v[113:114]
	s_waitcnt vmcnt(5)
	v_fma_f64 v[102:103], v[129:130], v[105:106], v[102:103]
	s_waitcnt vmcnt(4) lgkmcnt(0)
	v_fma_f64 v[102:103], v[125:126], v[107:108], v[102:103]
	s_waitcnt vmcnt(2)
	v_fma_f64 v[102:103], v[111:112], v[109:110], v[102:103]
	s_waitcnt vmcnt(0)
	v_add_f64 v[102:103], v[127:128], -v[102:103]
	buffer_store_dword v103, off, s[0:3], 0 offset:204
	buffer_store_dword v102, off, s[0:3], 0 offset:200
	s_and_saveexec_b64 s[4:5], vcc
	s_cbranch_execz .LBB49_259
; %bb.258:
	buffer_load_dword v102, off, s[0:3], 0 offset:192
	buffer_load_dword v103, off, s[0:3], 0 offset:196
	v_mov_b32_e32 v104, 0
	buffer_store_dword v104, off, s[0:3], 0 offset:192
	buffer_store_dword v104, off, s[0:3], 0 offset:196
	s_waitcnt vmcnt(2)
	ds_write_b64 v101, v[102:103]
.LBB49_259:
	s_or_b64 exec, exec, s[4:5]
	s_waitcnt lgkmcnt(0)
	; wave barrier
	buffer_load_dword v111, off, s[0:3], 0 offset:200
	buffer_load_dword v112, off, s[0:3], 0 offset:204
	buffer_load_dword v113, off, s[0:3], 0 offset:208
	buffer_load_dword v114, off, s[0:3], 0 offset:212
	buffer_load_dword v115, off, s[0:3], 0 offset:216
	buffer_load_dword v116, off, s[0:3], 0 offset:220
	buffer_load_dword v117, off, s[0:3], 0 offset:224
	buffer_load_dword v118, off, s[0:3], 0 offset:228
	buffer_load_dword v119, off, s[0:3], 0 offset:232
	buffer_load_dword v120, off, s[0:3], 0 offset:236
	buffer_load_dword v121, off, s[0:3], 0 offset:240
	buffer_load_dword v122, off, s[0:3], 0 offset:244
	buffer_load_dword v123, off, s[0:3], 0 offset:248
	buffer_load_dword v124, off, s[0:3], 0 offset:252
	buffer_load_dword v126, off, s[0:3], 0 offset:260
	buffer_load_dword v127, off, s[0:3], 0 offset:280
	buffer_load_dword v129, off, s[0:3], 0 offset:272
	buffer_load_dword v131, off, s[0:3], 0 offset:264
	buffer_load_dword v125, off, s[0:3], 0 offset:256
	buffer_load_dword v132, off, s[0:3], 0 offset:268
	buffer_load_dword v130, off, s[0:3], 0 offset:276
	v_mov_b32_e32 v102, 0
	ds_read2_b64 v[103:106], v102 offset0:75 offset1:76
	ds_read2_b64 v[107:110], v102 offset0:77 offset1:78
	buffer_load_dword v128, off, s[0:3], 0 offset:284
	v_cmp_lt_u32_e32 vcc, 23, v0
	s_waitcnt vmcnt(20) lgkmcnt(1)
	v_fma_f64 v[103:104], v[111:112], v[103:104], 0
	s_waitcnt vmcnt(18)
	v_fma_f64 v[103:104], v[113:114], v[105:106], v[103:104]
	buffer_load_dword v112, off, s[0:3], 0 offset:292
	buffer_load_dword v113, off, s[0:3], 0 offset:312
	;; [unrolled: 1-line block ×7, first 2 shown]
	s_waitcnt vmcnt(23) lgkmcnt(0)
	v_fma_f64 v[103:104], v[115:116], v[107:108], v[103:104]
	s_waitcnt vmcnt(21)
	v_fma_f64 v[114:115], v[117:118], v[109:110], v[103:104]
	ds_read2_b64 v[103:106], v102 offset0:79 offset1:80
	ds_read2_b64 v[107:110], v102 offset0:81 offset1:82
	s_waitcnt vmcnt(19) lgkmcnt(1)
	v_fma_f64 v[103:104], v[119:120], v[103:104], v[114:115]
	buffer_load_dword v114, off, s[0:3], 0 offset:316
	s_waitcnt vmcnt(18)
	v_fma_f64 v[103:104], v[121:122], v[105:106], v[103:104]
	buffer_load_dword v116, off, s[0:3], 0 offset:324
	buffer_load_dword v117, off, s[0:3], 0 offset:344
	buffer_load_dword v119, off, s[0:3], 0 offset:336
	buffer_load_dword v121, off, s[0:3], 0 offset:328
	buffer_load_dword v115, off, s[0:3], 0 offset:320
	buffer_load_dword v122, off, s[0:3], 0 offset:332
	buffer_load_dword v120, off, s[0:3], 0 offset:340
	buffer_load_dword v118, off, s[0:3], 0 offset:348
	s_waitcnt vmcnt(24) lgkmcnt(0)
	v_fma_f64 v[103:104], v[123:124], v[107:108], v[103:104]
	s_waitcnt vmcnt(19)
	v_fma_f64 v[123:124], v[125:126], v[109:110], v[103:104]
	ds_read2_b64 v[103:106], v102 offset0:83 offset1:84
	ds_read2_b64 v[107:110], v102 offset0:85 offset1:86
	s_waitcnt vmcnt(18) lgkmcnt(1)
	v_fma_f64 v[103:104], v[131:132], v[103:104], v[123:124]
	s_waitcnt vmcnt(17)
	v_fma_f64 v[103:104], v[129:130], v[105:106], v[103:104]
	buffer_load_dword v124, off, s[0:3], 0 offset:356
	buffer_load_dword v125, off, s[0:3], 0 offset:376
	;; [unrolled: 1-line block ×7, first 2 shown]
	s_waitcnt vmcnt(23) lgkmcnt(0)
	v_fma_f64 v[103:104], v[127:128], v[107:108], v[103:104]
	s_waitcnt vmcnt(18)
	v_fma_f64 v[111:112], v[111:112], v[109:110], v[103:104]
	ds_read2_b64 v[103:106], v102 offset0:87 offset1:88
	ds_read2_b64 v[107:110], v102 offset0:89 offset1:90
	buffer_load_dword v126, off, s[0:3], 0 offset:380
	s_waitcnt vmcnt(18) lgkmcnt(1)
	v_fma_f64 v[103:104], v[135:136], v[103:104], v[111:112]
	buffer_load_dword v112, off, s[0:3], 0 offset:388
	buffer_load_dword v127, off, s[0:3], 0 offset:392
	;; [unrolled: 1-line block ×4, first 2 shown]
	s_waitcnt vmcnt(21)
	v_fma_f64 v[103:104], v[133:134], v[105:106], v[103:104]
	s_waitcnt vmcnt(20) lgkmcnt(0)
	v_fma_f64 v[103:104], v[113:114], v[107:108], v[103:104]
	buffer_load_dword v113, off, s[0:3], 0 offset:192
	buffer_load_dword v114, off, s[0:3], 0 offset:196
	s_waitcnt vmcnt(17)
	v_fma_f64 v[115:116], v[115:116], v[109:110], v[103:104]
	ds_read2_b64 v[103:106], v102 offset0:91 offset1:92
	ds_read2_b64 v[107:110], v102 offset0:93 offset1:94
	s_waitcnt vmcnt(16) lgkmcnt(1)
	v_fma_f64 v[103:104], v[121:122], v[103:104], v[115:116]
	s_waitcnt vmcnt(15)
	v_fma_f64 v[103:104], v[119:120], v[105:106], v[103:104]
	s_waitcnt vmcnt(14) lgkmcnt(0)
	v_fma_f64 v[103:104], v[117:118], v[107:108], v[103:104]
	s_waitcnt vmcnt(9)
	v_fma_f64 v[115:116], v[123:124], v[109:110], v[103:104]
	ds_read2_b64 v[103:106], v102 offset0:95 offset1:96
	ds_read2_b64 v[107:110], v102 offset0:97 offset1:98
	s_waitcnt vmcnt(8) lgkmcnt(1)
	v_fma_f64 v[103:104], v[131:132], v[103:104], v[115:116]
	s_waitcnt vmcnt(7)
	v_fma_f64 v[103:104], v[129:130], v[105:106], v[103:104]
	ds_read_b64 v[105:106], v102 offset:792
	s_waitcnt vmcnt(6) lgkmcnt(1)
	v_fma_f64 v[103:104], v[125:126], v[107:108], v[103:104]
	s_waitcnt vmcnt(3)
	v_fma_f64 v[103:104], v[111:112], v[109:110], v[103:104]
	s_waitcnt vmcnt(2) lgkmcnt(0)
	v_fma_f64 v[103:104], v[127:128], v[105:106], v[103:104]
	s_waitcnt vmcnt(0)
	v_add_f64 v[103:104], v[113:114], -v[103:104]
	buffer_store_dword v104, off, s[0:3], 0 offset:196
	buffer_store_dword v103, off, s[0:3], 0 offset:192
	s_and_saveexec_b64 s[4:5], vcc
	s_cbranch_execz .LBB49_261
; %bb.260:
	buffer_load_dword v103, off, s[0:3], 0 offset:184
	buffer_load_dword v104, off, s[0:3], 0 offset:188
	s_waitcnt vmcnt(0)
	ds_write_b64 v101, v[103:104]
	buffer_store_dword v102, off, s[0:3], 0 offset:184
	buffer_store_dword v102, off, s[0:3], 0 offset:188
.LBB49_261:
	s_or_b64 exec, exec, s[4:5]
	s_waitcnt lgkmcnt(0)
	; wave barrier
	buffer_load_dword v111, off, s[0:3], 0 offset:192
	buffer_load_dword v112, off, s[0:3], 0 offset:196
	;; [unrolled: 1-line block ×22, first 2 shown]
	ds_read_b128 v[103:106], v102 offset:592
	ds_read_b128 v[107:110], v102 offset:608
	v_cmp_lt_u32_e32 vcc, 22, v0
	s_waitcnt vmcnt(20) lgkmcnt(1)
	v_fma_f64 v[103:104], v[111:112], v[103:104], 0
	s_waitcnt vmcnt(18)
	v_fma_f64 v[103:104], v[113:114], v[105:106], v[103:104]
	buffer_load_dword v112, off, s[0:3], 0 offset:284
	buffer_load_dword v113, off, s[0:3], 0 offset:304
	;; [unrolled: 1-line block ×7, first 2 shown]
	s_waitcnt vmcnt(23) lgkmcnt(0)
	v_fma_f64 v[103:104], v[115:116], v[107:108], v[103:104]
	s_waitcnt vmcnt(21)
	v_fma_f64 v[114:115], v[117:118], v[109:110], v[103:104]
	ds_read_b128 v[103:106], v102 offset:624
	ds_read_b128 v[107:110], v102 offset:640
	s_waitcnt vmcnt(19) lgkmcnt(1)
	v_fma_f64 v[103:104], v[119:120], v[103:104], v[114:115]
	buffer_load_dword v114, off, s[0:3], 0 offset:308
	s_waitcnt vmcnt(18)
	v_fma_f64 v[103:104], v[121:122], v[105:106], v[103:104]
	buffer_load_dword v116, off, s[0:3], 0 offset:316
	buffer_load_dword v117, off, s[0:3], 0 offset:336
	;; [unrolled: 1-line block ×8, first 2 shown]
	s_waitcnt vmcnt(24) lgkmcnt(0)
	v_fma_f64 v[103:104], v[123:124], v[107:108], v[103:104]
	s_waitcnt vmcnt(19)
	v_fma_f64 v[123:124], v[125:126], v[109:110], v[103:104]
	ds_read_b128 v[103:106], v102 offset:656
	ds_read_b128 v[107:110], v102 offset:672
	s_waitcnt vmcnt(18) lgkmcnt(1)
	v_fma_f64 v[103:104], v[131:132], v[103:104], v[123:124]
	s_waitcnt vmcnt(17)
	v_fma_f64 v[103:104], v[129:130], v[105:106], v[103:104]
	buffer_load_dword v124, off, s[0:3], 0 offset:348
	buffer_load_dword v125, off, s[0:3], 0 offset:368
	;; [unrolled: 1-line block ×8, first 2 shown]
	s_waitcnt vmcnt(24) lgkmcnt(0)
	v_fma_f64 v[103:104], v[127:128], v[107:108], v[103:104]
	s_waitcnt vmcnt(19)
	v_fma_f64 v[111:112], v[111:112], v[109:110], v[103:104]
	ds_read_b128 v[103:106], v102 offset:688
	ds_read_b128 v[107:110], v102 offset:704
	s_waitcnt vmcnt(18) lgkmcnt(1)
	v_fma_f64 v[103:104], v[135:136], v[103:104], v[111:112]
	s_waitcnt vmcnt(17)
	v_fma_f64 v[103:104], v[133:134], v[105:106], v[103:104]
	buffer_load_dword v112, off, s[0:3], 0 offset:380
	buffer_load_dword v127, off, s[0:3], 0 offset:392
	;; [unrolled: 1-line block ×6, first 2 shown]
	s_waitcnt vmcnt(22) lgkmcnt(0)
	v_fma_f64 v[103:104], v[113:114], v[107:108], v[103:104]
	s_waitcnt vmcnt(17)
	v_fma_f64 v[113:114], v[115:116], v[109:110], v[103:104]
	ds_read_b128 v[103:106], v102 offset:720
	buffer_load_dword v115, off, s[0:3], 0 offset:184
	buffer_load_dword v116, off, s[0:3], 0 offset:188
	ds_read_b128 v[107:110], v102 offset:736
	s_waitcnt vmcnt(18) lgkmcnt(1)
	v_fma_f64 v[103:104], v[121:122], v[103:104], v[113:114]
	s_waitcnt vmcnt(17)
	v_fma_f64 v[103:104], v[119:120], v[105:106], v[103:104]
	s_waitcnt vmcnt(16) lgkmcnt(0)
	v_fma_f64 v[103:104], v[117:118], v[107:108], v[103:104]
	s_waitcnt vmcnt(11)
	v_fma_f64 v[113:114], v[123:124], v[109:110], v[103:104]
	ds_read_b128 v[103:106], v102 offset:752
	ds_read_b128 v[107:110], v102 offset:768
	s_waitcnt vmcnt(10) lgkmcnt(1)
	v_fma_f64 v[103:104], v[131:132], v[103:104], v[113:114]
	s_waitcnt vmcnt(9)
	v_fma_f64 v[103:104], v[129:130], v[105:106], v[103:104]
	s_waitcnt vmcnt(8) lgkmcnt(0)
	v_fma_f64 v[103:104], v[125:126], v[107:108], v[103:104]
	s_waitcnt vmcnt(4)
	v_fma_f64 v[106:107], v[111:112], v[109:110], v[103:104]
	ds_read_b128 v[102:105], v102 offset:784
	s_waitcnt vmcnt(3) lgkmcnt(0)
	v_fma_f64 v[102:103], v[133:134], v[102:103], v[106:107]
	s_waitcnt vmcnt(2)
	v_fma_f64 v[102:103], v[127:128], v[104:105], v[102:103]
	s_waitcnt vmcnt(0)
	v_add_f64 v[102:103], v[115:116], -v[102:103]
	buffer_store_dword v103, off, s[0:3], 0 offset:188
	buffer_store_dword v102, off, s[0:3], 0 offset:184
	s_and_saveexec_b64 s[4:5], vcc
	s_cbranch_execz .LBB49_263
; %bb.262:
	buffer_load_dword v102, off, s[0:3], 0 offset:176
	buffer_load_dword v103, off, s[0:3], 0 offset:180
	v_mov_b32_e32 v104, 0
	buffer_store_dword v104, off, s[0:3], 0 offset:176
	buffer_store_dword v104, off, s[0:3], 0 offset:180
	s_waitcnt vmcnt(2)
	ds_write_b64 v101, v[102:103]
.LBB49_263:
	s_or_b64 exec, exec, s[4:5]
	s_waitcnt lgkmcnt(0)
	; wave barrier
	buffer_load_dword v111, off, s[0:3], 0 offset:184
	buffer_load_dword v112, off, s[0:3], 0 offset:188
	;; [unrolled: 1-line block ×22, first 2 shown]
	v_mov_b32_e32 v102, 0
	ds_read2_b64 v[103:106], v102 offset0:73 offset1:74
	ds_read2_b64 v[107:110], v102 offset0:75 offset1:76
	v_cmp_lt_u32_e32 vcc, 21, v0
	s_waitcnt vmcnt(20) lgkmcnt(1)
	v_fma_f64 v[103:104], v[111:112], v[103:104], 0
	s_waitcnt vmcnt(18)
	v_fma_f64 v[103:104], v[113:114], v[105:106], v[103:104]
	buffer_load_dword v112, off, s[0:3], 0 offset:276
	buffer_load_dword v113, off, s[0:3], 0 offset:296
	;; [unrolled: 1-line block ×7, first 2 shown]
	s_waitcnt vmcnt(23) lgkmcnt(0)
	v_fma_f64 v[103:104], v[115:116], v[107:108], v[103:104]
	s_waitcnt vmcnt(21)
	v_fma_f64 v[114:115], v[117:118], v[109:110], v[103:104]
	ds_read2_b64 v[103:106], v102 offset0:77 offset1:78
	ds_read2_b64 v[107:110], v102 offset0:79 offset1:80
	s_waitcnt vmcnt(19) lgkmcnt(1)
	v_fma_f64 v[103:104], v[119:120], v[103:104], v[114:115]
	buffer_load_dword v114, off, s[0:3], 0 offset:300
	s_waitcnt vmcnt(18)
	v_fma_f64 v[103:104], v[121:122], v[105:106], v[103:104]
	buffer_load_dword v116, off, s[0:3], 0 offset:308
	buffer_load_dword v117, off, s[0:3], 0 offset:328
	buffer_load_dword v119, off, s[0:3], 0 offset:320
	buffer_load_dword v121, off, s[0:3], 0 offset:312
	buffer_load_dword v115, off, s[0:3], 0 offset:304
	buffer_load_dword v122, off, s[0:3], 0 offset:316
	buffer_load_dword v120, off, s[0:3], 0 offset:324
	buffer_load_dword v118, off, s[0:3], 0 offset:332
	s_waitcnt vmcnt(24) lgkmcnt(0)
	v_fma_f64 v[103:104], v[123:124], v[107:108], v[103:104]
	s_waitcnt vmcnt(19)
	v_fma_f64 v[123:124], v[125:126], v[109:110], v[103:104]
	ds_read2_b64 v[103:106], v102 offset0:81 offset1:82
	ds_read2_b64 v[107:110], v102 offset0:83 offset1:84
	s_waitcnt vmcnt(18) lgkmcnt(1)
	v_fma_f64 v[103:104], v[131:132], v[103:104], v[123:124]
	s_waitcnt vmcnt(17)
	v_fma_f64 v[103:104], v[129:130], v[105:106], v[103:104]
	buffer_load_dword v124, off, s[0:3], 0 offset:340
	buffer_load_dword v125, off, s[0:3], 0 offset:360
	buffer_load_dword v129, off, s[0:3], 0 offset:352
	buffer_load_dword v131, off, s[0:3], 0 offset:344
	buffer_load_dword v123, off, s[0:3], 0 offset:336
	buffer_load_dword v132, off, s[0:3], 0 offset:348
	buffer_load_dword v130, off, s[0:3], 0 offset:356
	buffer_load_dword v126, off, s[0:3], 0 offset:364
	s_waitcnt vmcnt(24) lgkmcnt(0)
	v_fma_f64 v[103:104], v[127:128], v[107:108], v[103:104]
	s_waitcnt vmcnt(19)
	v_fma_f64 v[111:112], v[111:112], v[109:110], v[103:104]
	ds_read2_b64 v[103:106], v102 offset0:85 offset1:86
	ds_read2_b64 v[107:110], v102 offset0:87 offset1:88
	s_waitcnt vmcnt(18) lgkmcnt(1)
	v_fma_f64 v[103:104], v[135:136], v[103:104], v[111:112]
	;; [unrolled: 18-line block ×3, first 2 shown]
	buffer_load_dword v113, off, s[0:3], 0 offset:176
	buffer_load_dword v114, off, s[0:3], 0 offset:180
	s_waitcnt vmcnt(19)
	v_fma_f64 v[103:104], v[119:120], v[105:106], v[103:104]
	s_waitcnt vmcnt(18) lgkmcnt(0)
	v_fma_f64 v[103:104], v[117:118], v[107:108], v[103:104]
	s_waitcnt vmcnt(13)
	v_fma_f64 v[115:116], v[123:124], v[109:110], v[103:104]
	ds_read2_b64 v[103:106], v102 offset0:93 offset1:94
	ds_read2_b64 v[107:110], v102 offset0:95 offset1:96
	s_waitcnt vmcnt(12) lgkmcnt(1)
	v_fma_f64 v[103:104], v[131:132], v[103:104], v[115:116]
	s_waitcnt vmcnt(11)
	v_fma_f64 v[103:104], v[129:130], v[105:106], v[103:104]
	s_waitcnt vmcnt(10) lgkmcnt(0)
	v_fma_f64 v[103:104], v[125:126], v[107:108], v[103:104]
	s_waitcnt vmcnt(5)
	v_fma_f64 v[107:108], v[111:112], v[109:110], v[103:104]
	ds_read2_b64 v[103:106], v102 offset0:97 offset1:98
	ds_read_b64 v[109:110], v102 offset:792
	s_waitcnt vmcnt(4) lgkmcnt(1)
	v_fma_f64 v[103:104], v[135:136], v[103:104], v[107:108]
	s_waitcnt vmcnt(3)
	v_fma_f64 v[103:104], v[133:134], v[105:106], v[103:104]
	s_waitcnt vmcnt(2) lgkmcnt(0)
	v_fma_f64 v[103:104], v[127:128], v[109:110], v[103:104]
	s_waitcnt vmcnt(0)
	v_add_f64 v[103:104], v[113:114], -v[103:104]
	buffer_store_dword v104, off, s[0:3], 0 offset:180
	buffer_store_dword v103, off, s[0:3], 0 offset:176
	s_and_saveexec_b64 s[4:5], vcc
	s_cbranch_execz .LBB49_265
; %bb.264:
	buffer_load_dword v103, off, s[0:3], 0 offset:168
	buffer_load_dword v104, off, s[0:3], 0 offset:172
	s_waitcnt vmcnt(0)
	ds_write_b64 v101, v[103:104]
	buffer_store_dword v102, off, s[0:3], 0 offset:168
	buffer_store_dword v102, off, s[0:3], 0 offset:172
.LBB49_265:
	s_or_b64 exec, exec, s[4:5]
	s_waitcnt lgkmcnt(0)
	; wave barrier
	buffer_load_dword v111, off, s[0:3], 0 offset:176
	buffer_load_dword v112, off, s[0:3], 0 offset:180
	;; [unrolled: 1-line block ×22, first 2 shown]
	ds_read_b128 v[103:106], v102 offset:576
	ds_read_b128 v[107:110], v102 offset:592
	v_cmp_lt_u32_e32 vcc, 20, v0
	s_waitcnt vmcnt(20) lgkmcnt(1)
	v_fma_f64 v[103:104], v[111:112], v[103:104], 0
	s_waitcnt vmcnt(18)
	v_fma_f64 v[103:104], v[113:114], v[105:106], v[103:104]
	buffer_load_dword v112, off, s[0:3], 0 offset:268
	buffer_load_dword v113, off, s[0:3], 0 offset:288
	;; [unrolled: 1-line block ×7, first 2 shown]
	s_waitcnt vmcnt(23) lgkmcnt(0)
	v_fma_f64 v[103:104], v[115:116], v[107:108], v[103:104]
	s_waitcnt vmcnt(21)
	v_fma_f64 v[114:115], v[117:118], v[109:110], v[103:104]
	ds_read_b128 v[103:106], v102 offset:608
	ds_read_b128 v[107:110], v102 offset:624
	s_waitcnt vmcnt(19) lgkmcnt(1)
	v_fma_f64 v[103:104], v[119:120], v[103:104], v[114:115]
	buffer_load_dword v114, off, s[0:3], 0 offset:292
	s_waitcnt vmcnt(18)
	v_fma_f64 v[103:104], v[121:122], v[105:106], v[103:104]
	buffer_load_dword v116, off, s[0:3], 0 offset:300
	buffer_load_dword v117, off, s[0:3], 0 offset:320
	buffer_load_dword v119, off, s[0:3], 0 offset:312
	buffer_load_dword v121, off, s[0:3], 0 offset:304
	buffer_load_dword v115, off, s[0:3], 0 offset:296
	buffer_load_dword v122, off, s[0:3], 0 offset:308
	buffer_load_dword v120, off, s[0:3], 0 offset:316
	buffer_load_dword v118, off, s[0:3], 0 offset:324
	s_waitcnt vmcnt(24) lgkmcnt(0)
	v_fma_f64 v[103:104], v[123:124], v[107:108], v[103:104]
	s_waitcnt vmcnt(19)
	v_fma_f64 v[123:124], v[125:126], v[109:110], v[103:104]
	ds_read_b128 v[103:106], v102 offset:640
	ds_read_b128 v[107:110], v102 offset:656
	s_waitcnt vmcnt(18) lgkmcnt(1)
	v_fma_f64 v[103:104], v[131:132], v[103:104], v[123:124]
	s_waitcnt vmcnt(17)
	v_fma_f64 v[103:104], v[129:130], v[105:106], v[103:104]
	buffer_load_dword v124, off, s[0:3], 0 offset:332
	buffer_load_dword v125, off, s[0:3], 0 offset:352
	buffer_load_dword v129, off, s[0:3], 0 offset:344
	buffer_load_dword v131, off, s[0:3], 0 offset:336
	buffer_load_dword v123, off, s[0:3], 0 offset:328
	buffer_load_dword v132, off, s[0:3], 0 offset:340
	buffer_load_dword v130, off, s[0:3], 0 offset:348
	buffer_load_dword v126, off, s[0:3], 0 offset:356
	s_waitcnt vmcnt(24) lgkmcnt(0)
	v_fma_f64 v[103:104], v[127:128], v[107:108], v[103:104]
	s_waitcnt vmcnt(19)
	v_fma_f64 v[111:112], v[111:112], v[109:110], v[103:104]
	ds_read_b128 v[103:106], v102 offset:672
	ds_read_b128 v[107:110], v102 offset:688
	s_waitcnt vmcnt(18) lgkmcnt(1)
	v_fma_f64 v[103:104], v[135:136], v[103:104], v[111:112]
	;; [unrolled: 18-line block ×3, first 2 shown]
	buffer_load_dword v114, off, s[0:3], 0 offset:396
	buffer_load_dword v113, off, s[0:3], 0 offset:392
	;; [unrolled: 1-line block ×4, first 2 shown]
	s_waitcnt vmcnt(21)
	v_fma_f64 v[103:104], v[119:120], v[105:106], v[103:104]
	s_waitcnt vmcnt(20) lgkmcnt(0)
	v_fma_f64 v[103:104], v[117:118], v[107:108], v[103:104]
	s_waitcnt vmcnt(15)
	v_fma_f64 v[117:118], v[123:124], v[109:110], v[103:104]
	ds_read_b128 v[103:106], v102 offset:736
	ds_read_b128 v[107:110], v102 offset:752
	s_waitcnt vmcnt(14) lgkmcnt(1)
	v_fma_f64 v[103:104], v[131:132], v[103:104], v[117:118]
	s_waitcnt vmcnt(13)
	v_fma_f64 v[103:104], v[129:130], v[105:106], v[103:104]
	s_waitcnt vmcnt(12) lgkmcnt(0)
	v_fma_f64 v[103:104], v[125:126], v[107:108], v[103:104]
	s_waitcnt vmcnt(7)
	v_fma_f64 v[111:112], v[111:112], v[109:110], v[103:104]
	ds_read_b128 v[103:106], v102 offset:768
	ds_read_b128 v[107:110], v102 offset:784
	s_waitcnt vmcnt(6) lgkmcnt(1)
	v_fma_f64 v[102:103], v[135:136], v[103:104], v[111:112]
	s_waitcnt vmcnt(5)
	v_fma_f64 v[102:103], v[133:134], v[105:106], v[102:103]
	s_waitcnt vmcnt(4) lgkmcnt(0)
	v_fma_f64 v[102:103], v[127:128], v[107:108], v[102:103]
	s_waitcnt vmcnt(2)
	v_fma_f64 v[102:103], v[113:114], v[109:110], v[102:103]
	s_waitcnt vmcnt(0)
	v_add_f64 v[102:103], v[115:116], -v[102:103]
	buffer_store_dword v103, off, s[0:3], 0 offset:172
	buffer_store_dword v102, off, s[0:3], 0 offset:168
	s_and_saveexec_b64 s[4:5], vcc
	s_cbranch_execz .LBB49_267
; %bb.266:
	buffer_load_dword v102, off, s[0:3], 0 offset:160
	buffer_load_dword v103, off, s[0:3], 0 offset:164
	v_mov_b32_e32 v104, 0
	buffer_store_dword v104, off, s[0:3], 0 offset:160
	buffer_store_dword v104, off, s[0:3], 0 offset:164
	s_waitcnt vmcnt(2)
	ds_write_b64 v101, v[102:103]
.LBB49_267:
	s_or_b64 exec, exec, s[4:5]
	s_waitcnt lgkmcnt(0)
	; wave barrier
	buffer_load_dword v111, off, s[0:3], 0 offset:168
	buffer_load_dword v112, off, s[0:3], 0 offset:172
	;; [unrolled: 1-line block ×22, first 2 shown]
	v_mov_b32_e32 v102, 0
	ds_read2_b64 v[103:106], v102 offset0:71 offset1:72
	ds_read2_b64 v[107:110], v102 offset0:73 offset1:74
	v_cmp_lt_u32_e32 vcc, 19, v0
	s_waitcnt vmcnt(20) lgkmcnt(1)
	v_fma_f64 v[103:104], v[111:112], v[103:104], 0
	s_waitcnt vmcnt(18)
	v_fma_f64 v[103:104], v[113:114], v[105:106], v[103:104]
	buffer_load_dword v112, off, s[0:3], 0 offset:260
	buffer_load_dword v113, off, s[0:3], 0 offset:280
	;; [unrolled: 1-line block ×7, first 2 shown]
	s_waitcnt vmcnt(23) lgkmcnt(0)
	v_fma_f64 v[103:104], v[115:116], v[107:108], v[103:104]
	s_waitcnt vmcnt(21)
	v_fma_f64 v[114:115], v[117:118], v[109:110], v[103:104]
	ds_read2_b64 v[103:106], v102 offset0:75 offset1:76
	ds_read2_b64 v[107:110], v102 offset0:77 offset1:78
	s_waitcnt vmcnt(19) lgkmcnt(1)
	v_fma_f64 v[103:104], v[119:120], v[103:104], v[114:115]
	buffer_load_dword v114, off, s[0:3], 0 offset:284
	s_waitcnt vmcnt(18)
	v_fma_f64 v[103:104], v[121:122], v[105:106], v[103:104]
	buffer_load_dword v116, off, s[0:3], 0 offset:292
	buffer_load_dword v117, off, s[0:3], 0 offset:312
	;; [unrolled: 1-line block ×7, first 2 shown]
	s_waitcnt vmcnt(23) lgkmcnt(0)
	v_fma_f64 v[103:104], v[123:124], v[107:108], v[103:104]
	s_waitcnt vmcnt(18)
	v_fma_f64 v[123:124], v[125:126], v[109:110], v[103:104]
	ds_read2_b64 v[103:106], v102 offset0:79 offset1:80
	ds_read2_b64 v[107:110], v102 offset0:81 offset1:82
	buffer_load_dword v118, off, s[0:3], 0 offset:316
	s_waitcnt vmcnt(18) lgkmcnt(1)
	v_fma_f64 v[103:104], v[131:132], v[103:104], v[123:124]
	s_waitcnt vmcnt(17)
	v_fma_f64 v[103:104], v[129:130], v[105:106], v[103:104]
	buffer_load_dword v124, off, s[0:3], 0 offset:324
	buffer_load_dword v125, off, s[0:3], 0 offset:344
	;; [unrolled: 1-line block ×8, first 2 shown]
	s_waitcnt vmcnt(24) lgkmcnt(0)
	v_fma_f64 v[103:104], v[127:128], v[107:108], v[103:104]
	s_waitcnt vmcnt(19)
	v_fma_f64 v[111:112], v[111:112], v[109:110], v[103:104]
	ds_read2_b64 v[103:106], v102 offset0:83 offset1:84
	ds_read2_b64 v[107:110], v102 offset0:85 offset1:86
	s_waitcnt vmcnt(18) lgkmcnt(1)
	v_fma_f64 v[103:104], v[135:136], v[103:104], v[111:112]
	s_waitcnt vmcnt(17)
	v_fma_f64 v[103:104], v[133:134], v[105:106], v[103:104]
	buffer_load_dword v112, off, s[0:3], 0 offset:356
	buffer_load_dword v127, off, s[0:3], 0 offset:376
	;; [unrolled: 1-line block ×7, first 2 shown]
	s_waitcnt vmcnt(23) lgkmcnt(0)
	v_fma_f64 v[103:104], v[113:114], v[107:108], v[103:104]
	s_waitcnt vmcnt(18)
	v_fma_f64 v[113:114], v[115:116], v[109:110], v[103:104]
	ds_read2_b64 v[103:106], v102 offset0:87 offset1:88
	ds_read2_b64 v[107:110], v102 offset0:89 offset1:90
	buffer_load_dword v128, off, s[0:3], 0 offset:380
	s_waitcnt vmcnt(18) lgkmcnt(1)
	v_fma_f64 v[103:104], v[121:122], v[103:104], v[113:114]
	buffer_load_dword v114, off, s[0:3], 0 offset:388
	buffer_load_dword v115, off, s[0:3], 0 offset:392
	;; [unrolled: 1-line block ×4, first 2 shown]
	s_waitcnt vmcnt(21)
	v_fma_f64 v[103:104], v[119:120], v[105:106], v[103:104]
	s_waitcnt vmcnt(20) lgkmcnt(0)
	v_fma_f64 v[103:104], v[117:118], v[107:108], v[103:104]
	buffer_load_dword v117, off, s[0:3], 0 offset:160
	buffer_load_dword v118, off, s[0:3], 0 offset:164
	s_waitcnt vmcnt(17)
	v_fma_f64 v[119:120], v[123:124], v[109:110], v[103:104]
	ds_read2_b64 v[103:106], v102 offset0:91 offset1:92
	ds_read2_b64 v[107:110], v102 offset0:93 offset1:94
	s_waitcnt vmcnt(16) lgkmcnt(1)
	v_fma_f64 v[103:104], v[131:132], v[103:104], v[119:120]
	s_waitcnt vmcnt(15)
	v_fma_f64 v[103:104], v[129:130], v[105:106], v[103:104]
	s_waitcnt vmcnt(14) lgkmcnt(0)
	v_fma_f64 v[103:104], v[125:126], v[107:108], v[103:104]
	s_waitcnt vmcnt(9)
	v_fma_f64 v[111:112], v[111:112], v[109:110], v[103:104]
	ds_read2_b64 v[103:106], v102 offset0:95 offset1:96
	ds_read2_b64 v[107:110], v102 offset0:97 offset1:98
	s_waitcnt vmcnt(8) lgkmcnt(1)
	v_fma_f64 v[103:104], v[135:136], v[103:104], v[111:112]
	s_waitcnt vmcnt(7)
	v_fma_f64 v[103:104], v[133:134], v[105:106], v[103:104]
	ds_read_b64 v[105:106], v102 offset:792
	s_waitcnt vmcnt(6) lgkmcnt(1)
	v_fma_f64 v[103:104], v[127:128], v[107:108], v[103:104]
	s_waitcnt vmcnt(3)
	v_fma_f64 v[103:104], v[113:114], v[109:110], v[103:104]
	s_waitcnt vmcnt(2) lgkmcnt(0)
	v_fma_f64 v[103:104], v[115:116], v[105:106], v[103:104]
	s_waitcnt vmcnt(0)
	v_add_f64 v[103:104], v[117:118], -v[103:104]
	buffer_store_dword v104, off, s[0:3], 0 offset:164
	buffer_store_dword v103, off, s[0:3], 0 offset:160
	s_and_saveexec_b64 s[4:5], vcc
	s_cbranch_execz .LBB49_269
; %bb.268:
	buffer_load_dword v103, off, s[0:3], 0 offset:152
	buffer_load_dword v104, off, s[0:3], 0 offset:156
	s_waitcnt vmcnt(0)
	ds_write_b64 v101, v[103:104]
	buffer_store_dword v102, off, s[0:3], 0 offset:152
	buffer_store_dword v102, off, s[0:3], 0 offset:156
.LBB49_269:
	s_or_b64 exec, exec, s[4:5]
	s_waitcnt lgkmcnt(0)
	; wave barrier
	buffer_load_dword v111, off, s[0:3], 0 offset:160
	buffer_load_dword v112, off, s[0:3], 0 offset:164
	buffer_load_dword v113, off, s[0:3], 0 offset:168
	buffer_load_dword v114, off, s[0:3], 0 offset:172
	buffer_load_dword v115, off, s[0:3], 0 offset:176
	buffer_load_dword v116, off, s[0:3], 0 offset:180
	buffer_load_dword v117, off, s[0:3], 0 offset:184
	buffer_load_dword v118, off, s[0:3], 0 offset:188
	buffer_load_dword v119, off, s[0:3], 0 offset:192
	buffer_load_dword v120, off, s[0:3], 0 offset:196
	buffer_load_dword v121, off, s[0:3], 0 offset:200
	buffer_load_dword v122, off, s[0:3], 0 offset:204
	buffer_load_dword v123, off, s[0:3], 0 offset:208
	buffer_load_dword v124, off, s[0:3], 0 offset:212
	buffer_load_dword v126, off, s[0:3], 0 offset:220
	buffer_load_dword v127, off, s[0:3], 0 offset:240
	buffer_load_dword v129, off, s[0:3], 0 offset:232
	buffer_load_dword v131, off, s[0:3], 0 offset:224
	buffer_load_dword v125, off, s[0:3], 0 offset:216
	buffer_load_dword v132, off, s[0:3], 0 offset:228
	buffer_load_dword v130, off, s[0:3], 0 offset:236
	buffer_load_dword v128, off, s[0:3], 0 offset:244
	ds_read_b128 v[103:106], v102 offset:560
	ds_read_b128 v[107:110], v102 offset:576
	v_cmp_lt_u32_e32 vcc, 18, v0
	s_waitcnt vmcnt(20) lgkmcnt(1)
	v_fma_f64 v[103:104], v[111:112], v[103:104], 0
	s_waitcnt vmcnt(18)
	v_fma_f64 v[103:104], v[113:114], v[105:106], v[103:104]
	buffer_load_dword v112, off, s[0:3], 0 offset:252
	buffer_load_dword v113, off, s[0:3], 0 offset:272
	;; [unrolled: 1-line block ×7, first 2 shown]
	s_waitcnt vmcnt(23) lgkmcnt(0)
	v_fma_f64 v[103:104], v[115:116], v[107:108], v[103:104]
	s_waitcnt vmcnt(21)
	v_fma_f64 v[114:115], v[117:118], v[109:110], v[103:104]
	ds_read_b128 v[103:106], v102 offset:592
	ds_read_b128 v[107:110], v102 offset:608
	s_waitcnt vmcnt(19) lgkmcnt(1)
	v_fma_f64 v[103:104], v[119:120], v[103:104], v[114:115]
	buffer_load_dword v114, off, s[0:3], 0 offset:276
	s_waitcnt vmcnt(18)
	v_fma_f64 v[103:104], v[121:122], v[105:106], v[103:104]
	buffer_load_dword v116, off, s[0:3], 0 offset:284
	buffer_load_dword v117, off, s[0:3], 0 offset:304
	buffer_load_dword v119, off, s[0:3], 0 offset:296
	buffer_load_dword v121, off, s[0:3], 0 offset:288
	buffer_load_dword v115, off, s[0:3], 0 offset:280
	buffer_load_dword v122, off, s[0:3], 0 offset:292
	buffer_load_dword v120, off, s[0:3], 0 offset:300
	s_waitcnt vmcnt(23) lgkmcnt(0)
	v_fma_f64 v[103:104], v[123:124], v[107:108], v[103:104]
	s_waitcnt vmcnt(18)
	v_fma_f64 v[123:124], v[125:126], v[109:110], v[103:104]
	ds_read_b128 v[103:106], v102 offset:624
	ds_read_b128 v[107:110], v102 offset:640
	buffer_load_dword v118, off, s[0:3], 0 offset:308
	s_waitcnt vmcnt(18) lgkmcnt(1)
	v_fma_f64 v[103:104], v[131:132], v[103:104], v[123:124]
	s_waitcnt vmcnt(17)
	v_fma_f64 v[103:104], v[129:130], v[105:106], v[103:104]
	buffer_load_dword v124, off, s[0:3], 0 offset:316
	buffer_load_dword v125, off, s[0:3], 0 offset:336
	;; [unrolled: 1-line block ×8, first 2 shown]
	s_waitcnt vmcnt(24) lgkmcnt(0)
	v_fma_f64 v[103:104], v[127:128], v[107:108], v[103:104]
	s_waitcnt vmcnt(19)
	v_fma_f64 v[111:112], v[111:112], v[109:110], v[103:104]
	ds_read_b128 v[103:106], v102 offset:656
	ds_read_b128 v[107:110], v102 offset:672
	s_waitcnt vmcnt(18) lgkmcnt(1)
	v_fma_f64 v[103:104], v[135:136], v[103:104], v[111:112]
	s_waitcnt vmcnt(17)
	v_fma_f64 v[103:104], v[133:134], v[105:106], v[103:104]
	buffer_load_dword v112, off, s[0:3], 0 offset:348
	buffer_load_dword v127, off, s[0:3], 0 offset:368
	;; [unrolled: 1-line block ×8, first 2 shown]
	s_waitcnt vmcnt(24) lgkmcnt(0)
	v_fma_f64 v[103:104], v[113:114], v[107:108], v[103:104]
	s_waitcnt vmcnt(19)
	v_fma_f64 v[113:114], v[115:116], v[109:110], v[103:104]
	ds_read_b128 v[103:106], v102 offset:688
	ds_read_b128 v[107:110], v102 offset:704
	s_waitcnt vmcnt(18) lgkmcnt(1)
	v_fma_f64 v[103:104], v[121:122], v[103:104], v[113:114]
	s_waitcnt vmcnt(17)
	v_fma_f64 v[103:104], v[119:120], v[105:106], v[103:104]
	buffer_load_dword v114, off, s[0:3], 0 offset:380
	buffer_load_dword v115, off, s[0:3], 0 offset:392
	;; [unrolled: 1-line block ×6, first 2 shown]
	s_waitcnt vmcnt(22) lgkmcnt(0)
	v_fma_f64 v[103:104], v[117:118], v[107:108], v[103:104]
	s_waitcnt vmcnt(17)
	v_fma_f64 v[117:118], v[123:124], v[109:110], v[103:104]
	ds_read_b128 v[103:106], v102 offset:720
	buffer_load_dword v121, off, s[0:3], 0 offset:152
	buffer_load_dword v122, off, s[0:3], 0 offset:156
	ds_read_b128 v[107:110], v102 offset:736
	s_waitcnt vmcnt(18) lgkmcnt(1)
	v_fma_f64 v[103:104], v[131:132], v[103:104], v[117:118]
	s_waitcnt vmcnt(17)
	v_fma_f64 v[103:104], v[129:130], v[105:106], v[103:104]
	s_waitcnt vmcnt(16) lgkmcnt(0)
	v_fma_f64 v[103:104], v[125:126], v[107:108], v[103:104]
	s_waitcnt vmcnt(11)
	v_fma_f64 v[111:112], v[111:112], v[109:110], v[103:104]
	ds_read_b128 v[103:106], v102 offset:752
	ds_read_b128 v[107:110], v102 offset:768
	s_waitcnt vmcnt(10) lgkmcnt(1)
	v_fma_f64 v[103:104], v[135:136], v[103:104], v[111:112]
	s_waitcnt vmcnt(9)
	v_fma_f64 v[103:104], v[133:134], v[105:106], v[103:104]
	s_waitcnt vmcnt(8) lgkmcnt(0)
	v_fma_f64 v[103:104], v[127:128], v[107:108], v[103:104]
	s_waitcnt vmcnt(4)
	v_fma_f64 v[106:107], v[113:114], v[109:110], v[103:104]
	ds_read_b128 v[102:105], v102 offset:784
	s_waitcnt vmcnt(3) lgkmcnt(0)
	v_fma_f64 v[102:103], v[119:120], v[102:103], v[106:107]
	s_waitcnt vmcnt(2)
	v_fma_f64 v[102:103], v[115:116], v[104:105], v[102:103]
	s_waitcnt vmcnt(0)
	v_add_f64 v[102:103], v[121:122], -v[102:103]
	buffer_store_dword v103, off, s[0:3], 0 offset:156
	buffer_store_dword v102, off, s[0:3], 0 offset:152
	s_and_saveexec_b64 s[4:5], vcc
	s_cbranch_execz .LBB49_271
; %bb.270:
	buffer_load_dword v102, off, s[0:3], 0 offset:144
	buffer_load_dword v103, off, s[0:3], 0 offset:148
	v_mov_b32_e32 v104, 0
	buffer_store_dword v104, off, s[0:3], 0 offset:144
	buffer_store_dword v104, off, s[0:3], 0 offset:148
	s_waitcnt vmcnt(2)
	ds_write_b64 v101, v[102:103]
.LBB49_271:
	s_or_b64 exec, exec, s[4:5]
	s_waitcnt lgkmcnt(0)
	; wave barrier
	buffer_load_dword v111, off, s[0:3], 0 offset:152
	buffer_load_dword v112, off, s[0:3], 0 offset:156
	;; [unrolled: 1-line block ×22, first 2 shown]
	v_mov_b32_e32 v102, 0
	ds_read2_b64 v[103:106], v102 offset0:69 offset1:70
	ds_read2_b64 v[107:110], v102 offset0:71 offset1:72
	v_cmp_lt_u32_e32 vcc, 17, v0
	s_waitcnt vmcnt(20) lgkmcnt(1)
	v_fma_f64 v[103:104], v[111:112], v[103:104], 0
	s_waitcnt vmcnt(18)
	v_fma_f64 v[103:104], v[113:114], v[105:106], v[103:104]
	buffer_load_dword v112, off, s[0:3], 0 offset:244
	buffer_load_dword v113, off, s[0:3], 0 offset:264
	;; [unrolled: 1-line block ×7, first 2 shown]
	s_waitcnt vmcnt(23) lgkmcnt(0)
	v_fma_f64 v[103:104], v[115:116], v[107:108], v[103:104]
	s_waitcnt vmcnt(21)
	v_fma_f64 v[114:115], v[117:118], v[109:110], v[103:104]
	ds_read2_b64 v[103:106], v102 offset0:73 offset1:74
	ds_read2_b64 v[107:110], v102 offset0:75 offset1:76
	s_waitcnt vmcnt(19) lgkmcnt(1)
	v_fma_f64 v[103:104], v[119:120], v[103:104], v[114:115]
	buffer_load_dword v114, off, s[0:3], 0 offset:268
	s_waitcnt vmcnt(18)
	v_fma_f64 v[103:104], v[121:122], v[105:106], v[103:104]
	buffer_load_dword v116, off, s[0:3], 0 offset:276
	buffer_load_dword v117, off, s[0:3], 0 offset:296
	;; [unrolled: 1-line block ×7, first 2 shown]
	s_waitcnt vmcnt(23) lgkmcnt(0)
	v_fma_f64 v[103:104], v[123:124], v[107:108], v[103:104]
	s_waitcnt vmcnt(18)
	v_fma_f64 v[123:124], v[125:126], v[109:110], v[103:104]
	ds_read2_b64 v[103:106], v102 offset0:77 offset1:78
	ds_read2_b64 v[107:110], v102 offset0:79 offset1:80
	buffer_load_dword v118, off, s[0:3], 0 offset:300
	s_waitcnt vmcnt(18) lgkmcnt(1)
	v_fma_f64 v[103:104], v[131:132], v[103:104], v[123:124]
	s_waitcnt vmcnt(17)
	v_fma_f64 v[103:104], v[129:130], v[105:106], v[103:104]
	buffer_load_dword v124, off, s[0:3], 0 offset:308
	buffer_load_dword v125, off, s[0:3], 0 offset:328
	buffer_load_dword v129, off, s[0:3], 0 offset:320
	buffer_load_dword v131, off, s[0:3], 0 offset:312
	buffer_load_dword v123, off, s[0:3], 0 offset:304
	buffer_load_dword v132, off, s[0:3], 0 offset:316
	buffer_load_dword v130, off, s[0:3], 0 offset:324
	buffer_load_dword v126, off, s[0:3], 0 offset:332
	s_waitcnt vmcnt(24) lgkmcnt(0)
	v_fma_f64 v[103:104], v[127:128], v[107:108], v[103:104]
	s_waitcnt vmcnt(19)
	v_fma_f64 v[111:112], v[111:112], v[109:110], v[103:104]
	ds_read2_b64 v[103:106], v102 offset0:81 offset1:82
	ds_read2_b64 v[107:110], v102 offset0:83 offset1:84
	s_waitcnt vmcnt(18) lgkmcnt(1)
	v_fma_f64 v[103:104], v[135:136], v[103:104], v[111:112]
	s_waitcnt vmcnt(17)
	v_fma_f64 v[103:104], v[133:134], v[105:106], v[103:104]
	buffer_load_dword v112, off, s[0:3], 0 offset:340
	buffer_load_dword v127, off, s[0:3], 0 offset:360
	buffer_load_dword v133, off, s[0:3], 0 offset:352
	buffer_load_dword v135, off, s[0:3], 0 offset:344
	buffer_load_dword v111, off, s[0:3], 0 offset:336
	buffer_load_dword v136, off, s[0:3], 0 offset:348
	buffer_load_dword v134, off, s[0:3], 0 offset:356
	buffer_load_dword v128, off, s[0:3], 0 offset:364
	s_waitcnt vmcnt(24) lgkmcnt(0)
	v_fma_f64 v[103:104], v[113:114], v[107:108], v[103:104]
	s_waitcnt vmcnt(19)
	v_fma_f64 v[113:114], v[115:116], v[109:110], v[103:104]
	ds_read2_b64 v[103:106], v102 offset0:85 offset1:86
	ds_read2_b64 v[107:110], v102 offset0:87 offset1:88
	;; [unrolled: 18-line block ×3, first 2 shown]
	s_waitcnt vmcnt(18) lgkmcnt(1)
	v_fma_f64 v[103:104], v[131:132], v[103:104], v[117:118]
	buffer_load_dword v117, off, s[0:3], 0 offset:144
	buffer_load_dword v118, off, s[0:3], 0 offset:148
	s_waitcnt vmcnt(19)
	v_fma_f64 v[103:104], v[129:130], v[105:106], v[103:104]
	s_waitcnt vmcnt(18) lgkmcnt(0)
	v_fma_f64 v[103:104], v[125:126], v[107:108], v[103:104]
	s_waitcnt vmcnt(13)
	v_fma_f64 v[111:112], v[111:112], v[109:110], v[103:104]
	ds_read2_b64 v[103:106], v102 offset0:93 offset1:94
	ds_read2_b64 v[107:110], v102 offset0:95 offset1:96
	s_waitcnt vmcnt(12) lgkmcnt(1)
	v_fma_f64 v[103:104], v[135:136], v[103:104], v[111:112]
	s_waitcnt vmcnt(11)
	v_fma_f64 v[103:104], v[133:134], v[105:106], v[103:104]
	s_waitcnt vmcnt(10) lgkmcnt(0)
	v_fma_f64 v[103:104], v[127:128], v[107:108], v[103:104]
	s_waitcnt vmcnt(5)
	v_fma_f64 v[107:108], v[113:114], v[109:110], v[103:104]
	ds_read2_b64 v[103:106], v102 offset0:97 offset1:98
	ds_read_b64 v[109:110], v102 offset:792
	s_waitcnt vmcnt(4) lgkmcnt(1)
	v_fma_f64 v[103:104], v[121:122], v[103:104], v[107:108]
	s_waitcnt vmcnt(3)
	v_fma_f64 v[103:104], v[119:120], v[105:106], v[103:104]
	s_waitcnt vmcnt(2) lgkmcnt(0)
	v_fma_f64 v[103:104], v[115:116], v[109:110], v[103:104]
	s_waitcnt vmcnt(0)
	v_add_f64 v[103:104], v[117:118], -v[103:104]
	buffer_store_dword v104, off, s[0:3], 0 offset:148
	buffer_store_dword v103, off, s[0:3], 0 offset:144
	s_and_saveexec_b64 s[4:5], vcc
	s_cbranch_execz .LBB49_273
; %bb.272:
	buffer_load_dword v103, off, s[0:3], 0 offset:136
	buffer_load_dword v104, off, s[0:3], 0 offset:140
	s_waitcnt vmcnt(0)
	ds_write_b64 v101, v[103:104]
	buffer_store_dword v102, off, s[0:3], 0 offset:136
	buffer_store_dword v102, off, s[0:3], 0 offset:140
.LBB49_273:
	s_or_b64 exec, exec, s[4:5]
	s_waitcnt lgkmcnt(0)
	; wave barrier
	buffer_load_dword v111, off, s[0:3], 0 offset:144
	buffer_load_dword v112, off, s[0:3], 0 offset:148
	;; [unrolled: 1-line block ×22, first 2 shown]
	ds_read_b128 v[103:106], v102 offset:544
	ds_read_b128 v[107:110], v102 offset:560
	v_cmp_lt_u32_e32 vcc, 16, v0
	s_waitcnt vmcnt(20) lgkmcnt(1)
	v_fma_f64 v[103:104], v[111:112], v[103:104], 0
	s_waitcnt vmcnt(18)
	v_fma_f64 v[103:104], v[113:114], v[105:106], v[103:104]
	buffer_load_dword v112, off, s[0:3], 0 offset:236
	buffer_load_dword v113, off, s[0:3], 0 offset:256
	;; [unrolled: 1-line block ×7, first 2 shown]
	s_waitcnt vmcnt(23) lgkmcnt(0)
	v_fma_f64 v[103:104], v[115:116], v[107:108], v[103:104]
	s_waitcnt vmcnt(21)
	v_fma_f64 v[114:115], v[117:118], v[109:110], v[103:104]
	ds_read_b128 v[103:106], v102 offset:576
	ds_read_b128 v[107:110], v102 offset:592
	s_waitcnt vmcnt(19) lgkmcnt(1)
	v_fma_f64 v[103:104], v[119:120], v[103:104], v[114:115]
	buffer_load_dword v114, off, s[0:3], 0 offset:260
	s_waitcnt vmcnt(18)
	v_fma_f64 v[103:104], v[121:122], v[105:106], v[103:104]
	buffer_load_dword v116, off, s[0:3], 0 offset:268
	buffer_load_dword v117, off, s[0:3], 0 offset:288
	;; [unrolled: 1-line block ×7, first 2 shown]
	s_waitcnt vmcnt(23) lgkmcnt(0)
	v_fma_f64 v[103:104], v[123:124], v[107:108], v[103:104]
	s_waitcnt vmcnt(18)
	v_fma_f64 v[123:124], v[125:126], v[109:110], v[103:104]
	ds_read_b128 v[103:106], v102 offset:608
	ds_read_b128 v[107:110], v102 offset:624
	buffer_load_dword v118, off, s[0:3], 0 offset:292
	s_waitcnt vmcnt(18) lgkmcnt(1)
	v_fma_f64 v[103:104], v[131:132], v[103:104], v[123:124]
	s_waitcnt vmcnt(17)
	v_fma_f64 v[103:104], v[129:130], v[105:106], v[103:104]
	buffer_load_dword v124, off, s[0:3], 0 offset:300
	buffer_load_dword v125, off, s[0:3], 0 offset:320
	buffer_load_dword v129, off, s[0:3], 0 offset:312
	buffer_load_dword v131, off, s[0:3], 0 offset:304
	buffer_load_dword v123, off, s[0:3], 0 offset:296
	buffer_load_dword v132, off, s[0:3], 0 offset:308
	buffer_load_dword v130, off, s[0:3], 0 offset:316
	buffer_load_dword v126, off, s[0:3], 0 offset:324
	s_waitcnt vmcnt(24) lgkmcnt(0)
	v_fma_f64 v[103:104], v[127:128], v[107:108], v[103:104]
	s_waitcnt vmcnt(19)
	v_fma_f64 v[111:112], v[111:112], v[109:110], v[103:104]
	ds_read_b128 v[103:106], v102 offset:640
	ds_read_b128 v[107:110], v102 offset:656
	s_waitcnt vmcnt(18) lgkmcnt(1)
	v_fma_f64 v[103:104], v[135:136], v[103:104], v[111:112]
	s_waitcnt vmcnt(17)
	v_fma_f64 v[103:104], v[133:134], v[105:106], v[103:104]
	buffer_load_dword v112, off, s[0:3], 0 offset:332
	buffer_load_dword v127, off, s[0:3], 0 offset:352
	buffer_load_dword v133, off, s[0:3], 0 offset:344
	buffer_load_dword v135, off, s[0:3], 0 offset:336
	buffer_load_dword v111, off, s[0:3], 0 offset:328
	buffer_load_dword v136, off, s[0:3], 0 offset:340
	buffer_load_dword v134, off, s[0:3], 0 offset:348
	buffer_load_dword v128, off, s[0:3], 0 offset:356
	s_waitcnt vmcnt(24) lgkmcnt(0)
	v_fma_f64 v[103:104], v[113:114], v[107:108], v[103:104]
	s_waitcnt vmcnt(19)
	v_fma_f64 v[113:114], v[115:116], v[109:110], v[103:104]
	ds_read_b128 v[103:106], v102 offset:672
	ds_read_b128 v[107:110], v102 offset:688
	;; [unrolled: 18-line block ×3, first 2 shown]
	s_waitcnt vmcnt(18) lgkmcnt(1)
	v_fma_f64 v[103:104], v[131:132], v[103:104], v[117:118]
	buffer_load_dword v118, off, s[0:3], 0 offset:396
	buffer_load_dword v117, off, s[0:3], 0 offset:392
	;; [unrolled: 1-line block ×4, first 2 shown]
	s_waitcnt vmcnt(21)
	v_fma_f64 v[103:104], v[129:130], v[105:106], v[103:104]
	s_waitcnt vmcnt(20) lgkmcnt(0)
	v_fma_f64 v[103:104], v[125:126], v[107:108], v[103:104]
	s_waitcnt vmcnt(15)
	v_fma_f64 v[111:112], v[111:112], v[109:110], v[103:104]
	ds_read_b128 v[103:106], v102 offset:736
	ds_read_b128 v[107:110], v102 offset:752
	s_waitcnt vmcnt(14) lgkmcnt(1)
	v_fma_f64 v[103:104], v[135:136], v[103:104], v[111:112]
	s_waitcnt vmcnt(13)
	v_fma_f64 v[103:104], v[133:134], v[105:106], v[103:104]
	s_waitcnt vmcnt(12) lgkmcnt(0)
	v_fma_f64 v[103:104], v[127:128], v[107:108], v[103:104]
	s_waitcnt vmcnt(7)
	v_fma_f64 v[111:112], v[113:114], v[109:110], v[103:104]
	ds_read_b128 v[103:106], v102 offset:768
	ds_read_b128 v[107:110], v102 offset:784
	s_waitcnt vmcnt(6) lgkmcnt(1)
	v_fma_f64 v[102:103], v[121:122], v[103:104], v[111:112]
	s_waitcnt vmcnt(5)
	v_fma_f64 v[102:103], v[119:120], v[105:106], v[102:103]
	s_waitcnt vmcnt(4) lgkmcnt(0)
	v_fma_f64 v[102:103], v[115:116], v[107:108], v[102:103]
	s_waitcnt vmcnt(2)
	v_fma_f64 v[102:103], v[117:118], v[109:110], v[102:103]
	s_waitcnt vmcnt(0)
	v_add_f64 v[102:103], v[123:124], -v[102:103]
	buffer_store_dword v103, off, s[0:3], 0 offset:140
	buffer_store_dword v102, off, s[0:3], 0 offset:136
	s_and_saveexec_b64 s[4:5], vcc
	s_cbranch_execz .LBB49_275
; %bb.274:
	buffer_load_dword v102, off, s[0:3], 0 offset:128
	buffer_load_dword v103, off, s[0:3], 0 offset:132
	v_mov_b32_e32 v104, 0
	buffer_store_dword v104, off, s[0:3], 0 offset:128
	buffer_store_dword v104, off, s[0:3], 0 offset:132
	s_waitcnt vmcnt(2)
	ds_write_b64 v101, v[102:103]
.LBB49_275:
	s_or_b64 exec, exec, s[4:5]
	s_waitcnt lgkmcnt(0)
	; wave barrier
	buffer_load_dword v111, off, s[0:3], 0 offset:136
	buffer_load_dword v112, off, s[0:3], 0 offset:140
	;; [unrolled: 1-line block ×21, first 2 shown]
	v_mov_b32_e32 v102, 0
	ds_read2_b64 v[103:106], v102 offset0:67 offset1:68
	ds_read2_b64 v[107:110], v102 offset0:69 offset1:70
	buffer_load_dword v128, off, s[0:3], 0 offset:220
	v_cmp_lt_u32_e32 vcc, 15, v0
	s_waitcnt vmcnt(20) lgkmcnt(1)
	v_fma_f64 v[103:104], v[111:112], v[103:104], 0
	s_waitcnt vmcnt(18)
	v_fma_f64 v[103:104], v[113:114], v[105:106], v[103:104]
	buffer_load_dword v112, off, s[0:3], 0 offset:228
	buffer_load_dword v113, off, s[0:3], 0 offset:248
	;; [unrolled: 1-line block ×7, first 2 shown]
	s_waitcnt vmcnt(23) lgkmcnt(0)
	v_fma_f64 v[103:104], v[115:116], v[107:108], v[103:104]
	s_waitcnt vmcnt(21)
	v_fma_f64 v[114:115], v[117:118], v[109:110], v[103:104]
	ds_read2_b64 v[103:106], v102 offset0:71 offset1:72
	ds_read2_b64 v[107:110], v102 offset0:73 offset1:74
	s_waitcnt vmcnt(19) lgkmcnt(1)
	v_fma_f64 v[103:104], v[119:120], v[103:104], v[114:115]
	buffer_load_dword v114, off, s[0:3], 0 offset:252
	s_waitcnt vmcnt(18)
	v_fma_f64 v[103:104], v[121:122], v[105:106], v[103:104]
	buffer_load_dword v116, off, s[0:3], 0 offset:260
	buffer_load_dword v117, off, s[0:3], 0 offset:280
	;; [unrolled: 1-line block ×7, first 2 shown]
	s_waitcnt vmcnt(23) lgkmcnt(0)
	v_fma_f64 v[103:104], v[123:124], v[107:108], v[103:104]
	s_waitcnt vmcnt(18)
	v_fma_f64 v[123:124], v[125:126], v[109:110], v[103:104]
	ds_read2_b64 v[103:106], v102 offset0:75 offset1:76
	ds_read2_b64 v[107:110], v102 offset0:77 offset1:78
	buffer_load_dword v118, off, s[0:3], 0 offset:284
	s_waitcnt vmcnt(18) lgkmcnt(1)
	v_fma_f64 v[103:104], v[131:132], v[103:104], v[123:124]
	s_waitcnt vmcnt(17)
	v_fma_f64 v[103:104], v[129:130], v[105:106], v[103:104]
	buffer_load_dword v124, off, s[0:3], 0 offset:292
	buffer_load_dword v125, off, s[0:3], 0 offset:312
	;; [unrolled: 1-line block ×7, first 2 shown]
	s_waitcnt vmcnt(23) lgkmcnt(0)
	v_fma_f64 v[103:104], v[127:128], v[107:108], v[103:104]
	s_waitcnt vmcnt(18)
	v_fma_f64 v[111:112], v[111:112], v[109:110], v[103:104]
	ds_read2_b64 v[103:106], v102 offset0:79 offset1:80
	ds_read2_b64 v[107:110], v102 offset0:81 offset1:82
	buffer_load_dword v126, off, s[0:3], 0 offset:316
	s_waitcnt vmcnt(18) lgkmcnt(1)
	v_fma_f64 v[103:104], v[135:136], v[103:104], v[111:112]
	s_waitcnt vmcnt(17)
	v_fma_f64 v[103:104], v[133:134], v[105:106], v[103:104]
	buffer_load_dword v112, off, s[0:3], 0 offset:324
	buffer_load_dword v127, off, s[0:3], 0 offset:344
	;; [unrolled: 1-line block ×8, first 2 shown]
	s_waitcnt vmcnt(24) lgkmcnt(0)
	v_fma_f64 v[103:104], v[113:114], v[107:108], v[103:104]
	s_waitcnt vmcnt(19)
	v_fma_f64 v[113:114], v[115:116], v[109:110], v[103:104]
	ds_read2_b64 v[103:106], v102 offset0:83 offset1:84
	ds_read2_b64 v[107:110], v102 offset0:85 offset1:86
	s_waitcnt vmcnt(18) lgkmcnt(1)
	v_fma_f64 v[103:104], v[121:122], v[103:104], v[113:114]
	s_waitcnt vmcnt(17)
	v_fma_f64 v[103:104], v[119:120], v[105:106], v[103:104]
	buffer_load_dword v114, off, s[0:3], 0 offset:356
	buffer_load_dword v115, off, s[0:3], 0 offset:376
	;; [unrolled: 1-line block ×7, first 2 shown]
	s_waitcnt vmcnt(23) lgkmcnt(0)
	v_fma_f64 v[103:104], v[117:118], v[107:108], v[103:104]
	s_waitcnt vmcnt(18)
	v_fma_f64 v[116:117], v[123:124], v[109:110], v[103:104]
	ds_read2_b64 v[103:106], v102 offset0:87 offset1:88
	ds_read2_b64 v[107:110], v102 offset0:89 offset1:90
	s_waitcnt vmcnt(17) lgkmcnt(1)
	v_fma_f64 v[103:104], v[131:132], v[103:104], v[116:117]
	buffer_load_dword v116, off, s[0:3], 0 offset:380
	buffer_load_dword v118, off, s[0:3], 0 offset:388
	;; [unrolled: 1-line block ×5, first 2 shown]
	s_waitcnt vmcnt(21)
	v_fma_f64 v[103:104], v[129:130], v[105:106], v[103:104]
	s_waitcnt vmcnt(20) lgkmcnt(0)
	v_fma_f64 v[103:104], v[125:126], v[107:108], v[103:104]
	buffer_load_dword v125, off, s[0:3], 0 offset:128
	buffer_load_dword v126, off, s[0:3], 0 offset:132
	s_waitcnt vmcnt(17)
	v_fma_f64 v[111:112], v[111:112], v[109:110], v[103:104]
	ds_read2_b64 v[103:106], v102 offset0:91 offset1:92
	ds_read2_b64 v[107:110], v102 offset0:93 offset1:94
	s_waitcnt vmcnt(16) lgkmcnt(1)
	v_fma_f64 v[103:104], v[135:136], v[103:104], v[111:112]
	s_waitcnt vmcnt(15)
	v_fma_f64 v[103:104], v[133:134], v[105:106], v[103:104]
	s_waitcnt vmcnt(14) lgkmcnt(0)
	v_fma_f64 v[103:104], v[127:128], v[107:108], v[103:104]
	s_waitcnt vmcnt(9)
	v_fma_f64 v[111:112], v[113:114], v[109:110], v[103:104]
	ds_read2_b64 v[103:106], v102 offset0:95 offset1:96
	ds_read2_b64 v[107:110], v102 offset0:97 offset1:98
	s_waitcnt vmcnt(8) lgkmcnt(1)
	v_fma_f64 v[103:104], v[121:122], v[103:104], v[111:112]
	s_waitcnt vmcnt(7)
	v_fma_f64 v[103:104], v[119:120], v[105:106], v[103:104]
	ds_read_b64 v[105:106], v102 offset:792
	s_waitcnt vmcnt(6) lgkmcnt(1)
	v_fma_f64 v[103:104], v[115:116], v[107:108], v[103:104]
	s_waitcnt vmcnt(3)
	v_fma_f64 v[103:104], v[117:118], v[109:110], v[103:104]
	s_waitcnt vmcnt(2) lgkmcnt(0)
	v_fma_f64 v[103:104], v[123:124], v[105:106], v[103:104]
	s_waitcnt vmcnt(0)
	v_add_f64 v[103:104], v[125:126], -v[103:104]
	buffer_store_dword v104, off, s[0:3], 0 offset:132
	buffer_store_dword v103, off, s[0:3], 0 offset:128
	s_and_saveexec_b64 s[4:5], vcc
	s_cbranch_execz .LBB49_277
; %bb.276:
	buffer_load_dword v103, off, s[0:3], 0 offset:120
	buffer_load_dword v104, off, s[0:3], 0 offset:124
	s_waitcnt vmcnt(0)
	ds_write_b64 v101, v[103:104]
	buffer_store_dword v102, off, s[0:3], 0 offset:120
	buffer_store_dword v102, off, s[0:3], 0 offset:124
.LBB49_277:
	s_or_b64 exec, exec, s[4:5]
	s_waitcnt lgkmcnt(0)
	; wave barrier
	buffer_load_dword v111, off, s[0:3], 0 offset:128
	buffer_load_dword v112, off, s[0:3], 0 offset:132
	;; [unrolled: 1-line block ×21, first 2 shown]
	ds_read_b128 v[103:106], v102 offset:528
	ds_read_b128 v[107:110], v102 offset:544
	buffer_load_dword v128, off, s[0:3], 0 offset:212
	v_cmp_lt_u32_e32 vcc, 14, v0
	s_waitcnt vmcnt(20) lgkmcnt(1)
	v_fma_f64 v[103:104], v[111:112], v[103:104], 0
	s_waitcnt vmcnt(18)
	v_fma_f64 v[103:104], v[113:114], v[105:106], v[103:104]
	buffer_load_dword v112, off, s[0:3], 0 offset:220
	buffer_load_dword v113, off, s[0:3], 0 offset:240
	;; [unrolled: 1-line block ×7, first 2 shown]
	s_waitcnt vmcnt(23) lgkmcnt(0)
	v_fma_f64 v[103:104], v[115:116], v[107:108], v[103:104]
	s_waitcnt vmcnt(21)
	v_fma_f64 v[114:115], v[117:118], v[109:110], v[103:104]
	ds_read_b128 v[103:106], v102 offset:560
	ds_read_b128 v[107:110], v102 offset:576
	s_waitcnt vmcnt(19) lgkmcnt(1)
	v_fma_f64 v[103:104], v[119:120], v[103:104], v[114:115]
	buffer_load_dword v114, off, s[0:3], 0 offset:244
	s_waitcnt vmcnt(18)
	v_fma_f64 v[103:104], v[121:122], v[105:106], v[103:104]
	buffer_load_dword v116, off, s[0:3], 0 offset:252
	buffer_load_dword v117, off, s[0:3], 0 offset:272
	;; [unrolled: 1-line block ×8, first 2 shown]
	s_waitcnt vmcnt(24) lgkmcnt(0)
	v_fma_f64 v[103:104], v[123:124], v[107:108], v[103:104]
	s_waitcnt vmcnt(19)
	v_fma_f64 v[123:124], v[125:126], v[109:110], v[103:104]
	ds_read_b128 v[103:106], v102 offset:592
	ds_read_b128 v[107:110], v102 offset:608
	s_waitcnt vmcnt(18) lgkmcnt(1)
	v_fma_f64 v[103:104], v[131:132], v[103:104], v[123:124]
	s_waitcnt vmcnt(17)
	v_fma_f64 v[103:104], v[129:130], v[105:106], v[103:104]
	buffer_load_dword v124, off, s[0:3], 0 offset:284
	buffer_load_dword v125, off, s[0:3], 0 offset:304
	;; [unrolled: 1-line block ×7, first 2 shown]
	s_waitcnt vmcnt(23) lgkmcnt(0)
	v_fma_f64 v[103:104], v[127:128], v[107:108], v[103:104]
	s_waitcnt vmcnt(18)
	v_fma_f64 v[111:112], v[111:112], v[109:110], v[103:104]
	ds_read_b128 v[103:106], v102 offset:624
	ds_read_b128 v[107:110], v102 offset:640
	buffer_load_dword v126, off, s[0:3], 0 offset:308
	s_waitcnt vmcnt(18) lgkmcnt(1)
	v_fma_f64 v[103:104], v[135:136], v[103:104], v[111:112]
	s_waitcnt vmcnt(17)
	v_fma_f64 v[103:104], v[133:134], v[105:106], v[103:104]
	buffer_load_dword v112, off, s[0:3], 0 offset:316
	buffer_load_dword v127, off, s[0:3], 0 offset:336
	;; [unrolled: 1-line block ×8, first 2 shown]
	s_waitcnt vmcnt(24) lgkmcnt(0)
	v_fma_f64 v[103:104], v[113:114], v[107:108], v[103:104]
	s_waitcnt vmcnt(19)
	v_fma_f64 v[113:114], v[115:116], v[109:110], v[103:104]
	ds_read_b128 v[103:106], v102 offset:656
	ds_read_b128 v[107:110], v102 offset:672
	s_waitcnt vmcnt(18) lgkmcnt(1)
	v_fma_f64 v[103:104], v[121:122], v[103:104], v[113:114]
	s_waitcnt vmcnt(17)
	v_fma_f64 v[103:104], v[119:120], v[105:106], v[103:104]
	buffer_load_dword v114, off, s[0:3], 0 offset:348
	buffer_load_dword v115, off, s[0:3], 0 offset:368
	;; [unrolled: 1-line block ×7, first 2 shown]
	s_waitcnt vmcnt(23) lgkmcnt(0)
	v_fma_f64 v[103:104], v[117:118], v[107:108], v[103:104]
	s_waitcnt vmcnt(18)
	v_fma_f64 v[116:117], v[123:124], v[109:110], v[103:104]
	ds_read_b128 v[103:106], v102 offset:688
	ds_read_b128 v[107:110], v102 offset:704
	s_waitcnt vmcnt(17) lgkmcnt(1)
	v_fma_f64 v[103:104], v[131:132], v[103:104], v[116:117]
	buffer_load_dword v116, off, s[0:3], 0 offset:372
	s_waitcnt vmcnt(17)
	v_fma_f64 v[103:104], v[129:130], v[105:106], v[103:104]
	buffer_load_dword v118, off, s[0:3], 0 offset:380
	buffer_load_dword v123, off, s[0:3], 0 offset:392
	;; [unrolled: 1-line block ×6, first 2 shown]
	s_waitcnt vmcnt(22) lgkmcnt(0)
	v_fma_f64 v[103:104], v[125:126], v[107:108], v[103:104]
	s_waitcnt vmcnt(17)
	v_fma_f64 v[111:112], v[111:112], v[109:110], v[103:104]
	ds_read_b128 v[103:106], v102 offset:720
	buffer_load_dword v125, off, s[0:3], 0 offset:120
	buffer_load_dword v126, off, s[0:3], 0 offset:124
	ds_read_b128 v[107:110], v102 offset:736
	s_waitcnt vmcnt(18) lgkmcnt(1)
	v_fma_f64 v[103:104], v[135:136], v[103:104], v[111:112]
	s_waitcnt vmcnt(17)
	v_fma_f64 v[103:104], v[133:134], v[105:106], v[103:104]
	s_waitcnt vmcnt(16) lgkmcnt(0)
	v_fma_f64 v[103:104], v[127:128], v[107:108], v[103:104]
	s_waitcnt vmcnt(11)
	v_fma_f64 v[111:112], v[113:114], v[109:110], v[103:104]
	ds_read_b128 v[103:106], v102 offset:752
	ds_read_b128 v[107:110], v102 offset:768
	s_waitcnt vmcnt(10) lgkmcnt(1)
	v_fma_f64 v[103:104], v[121:122], v[103:104], v[111:112]
	s_waitcnt vmcnt(9)
	v_fma_f64 v[103:104], v[119:120], v[105:106], v[103:104]
	s_waitcnt vmcnt(8) lgkmcnt(0)
	v_fma_f64 v[103:104], v[115:116], v[107:108], v[103:104]
	s_waitcnt vmcnt(4)
	v_fma_f64 v[106:107], v[117:118], v[109:110], v[103:104]
	ds_read_b128 v[102:105], v102 offset:784
	s_waitcnt vmcnt(3) lgkmcnt(0)
	v_fma_f64 v[102:103], v[129:130], v[102:103], v[106:107]
	s_waitcnt vmcnt(2)
	v_fma_f64 v[102:103], v[123:124], v[104:105], v[102:103]
	s_waitcnt vmcnt(0)
	v_add_f64 v[102:103], v[125:126], -v[102:103]
	buffer_store_dword v103, off, s[0:3], 0 offset:124
	buffer_store_dword v102, off, s[0:3], 0 offset:120
	s_and_saveexec_b64 s[4:5], vcc
	s_cbranch_execz .LBB49_279
; %bb.278:
	buffer_load_dword v102, off, s[0:3], 0 offset:112
	buffer_load_dword v103, off, s[0:3], 0 offset:116
	v_mov_b32_e32 v104, 0
	buffer_store_dword v104, off, s[0:3], 0 offset:112
	buffer_store_dword v104, off, s[0:3], 0 offset:116
	s_waitcnt vmcnt(2)
	ds_write_b64 v101, v[102:103]
.LBB49_279:
	s_or_b64 exec, exec, s[4:5]
	s_waitcnt lgkmcnt(0)
	; wave barrier
	buffer_load_dword v111, off, s[0:3], 0 offset:120
	buffer_load_dword v112, off, s[0:3], 0 offset:124
	;; [unrolled: 1-line block ×21, first 2 shown]
	v_mov_b32_e32 v102, 0
	ds_read2_b64 v[103:106], v102 offset0:65 offset1:66
	ds_read2_b64 v[107:110], v102 offset0:67 offset1:68
	buffer_load_dword v128, off, s[0:3], 0 offset:204
	v_cmp_lt_u32_e32 vcc, 13, v0
	s_waitcnt vmcnt(20) lgkmcnt(1)
	v_fma_f64 v[103:104], v[111:112], v[103:104], 0
	s_waitcnt vmcnt(18)
	v_fma_f64 v[103:104], v[113:114], v[105:106], v[103:104]
	buffer_load_dword v112, off, s[0:3], 0 offset:212
	buffer_load_dword v113, off, s[0:3], 0 offset:232
	;; [unrolled: 1-line block ×7, first 2 shown]
	s_waitcnt vmcnt(23) lgkmcnt(0)
	v_fma_f64 v[103:104], v[115:116], v[107:108], v[103:104]
	s_waitcnt vmcnt(21)
	v_fma_f64 v[114:115], v[117:118], v[109:110], v[103:104]
	ds_read2_b64 v[103:106], v102 offset0:69 offset1:70
	ds_read2_b64 v[107:110], v102 offset0:71 offset1:72
	s_waitcnt vmcnt(19) lgkmcnt(1)
	v_fma_f64 v[103:104], v[119:120], v[103:104], v[114:115]
	buffer_load_dword v114, off, s[0:3], 0 offset:236
	s_waitcnt vmcnt(18)
	v_fma_f64 v[103:104], v[121:122], v[105:106], v[103:104]
	buffer_load_dword v116, off, s[0:3], 0 offset:244
	buffer_load_dword v117, off, s[0:3], 0 offset:264
	;; [unrolled: 1-line block ×8, first 2 shown]
	s_waitcnt vmcnt(24) lgkmcnt(0)
	v_fma_f64 v[103:104], v[123:124], v[107:108], v[103:104]
	s_waitcnt vmcnt(19)
	v_fma_f64 v[123:124], v[125:126], v[109:110], v[103:104]
	ds_read2_b64 v[103:106], v102 offset0:73 offset1:74
	ds_read2_b64 v[107:110], v102 offset0:75 offset1:76
	s_waitcnt vmcnt(18) lgkmcnt(1)
	v_fma_f64 v[103:104], v[131:132], v[103:104], v[123:124]
	s_waitcnt vmcnt(17)
	v_fma_f64 v[103:104], v[129:130], v[105:106], v[103:104]
	buffer_load_dword v124, off, s[0:3], 0 offset:276
	buffer_load_dword v125, off, s[0:3], 0 offset:296
	;; [unrolled: 1-line block ×7, first 2 shown]
	s_waitcnt vmcnt(23) lgkmcnt(0)
	v_fma_f64 v[103:104], v[127:128], v[107:108], v[103:104]
	s_waitcnt vmcnt(18)
	v_fma_f64 v[111:112], v[111:112], v[109:110], v[103:104]
	ds_read2_b64 v[103:106], v102 offset0:77 offset1:78
	ds_read2_b64 v[107:110], v102 offset0:79 offset1:80
	buffer_load_dword v126, off, s[0:3], 0 offset:300
	s_waitcnt vmcnt(18) lgkmcnt(1)
	v_fma_f64 v[103:104], v[135:136], v[103:104], v[111:112]
	s_waitcnt vmcnt(17)
	v_fma_f64 v[103:104], v[133:134], v[105:106], v[103:104]
	buffer_load_dword v112, off, s[0:3], 0 offset:308
	buffer_load_dword v127, off, s[0:3], 0 offset:328
	;; [unrolled: 1-line block ×8, first 2 shown]
	s_waitcnt vmcnt(24) lgkmcnt(0)
	v_fma_f64 v[103:104], v[113:114], v[107:108], v[103:104]
	s_waitcnt vmcnt(19)
	v_fma_f64 v[113:114], v[115:116], v[109:110], v[103:104]
	ds_read2_b64 v[103:106], v102 offset0:81 offset1:82
	ds_read2_b64 v[107:110], v102 offset0:83 offset1:84
	s_waitcnt vmcnt(18) lgkmcnt(1)
	v_fma_f64 v[103:104], v[121:122], v[103:104], v[113:114]
	s_waitcnt vmcnt(17)
	v_fma_f64 v[103:104], v[119:120], v[105:106], v[103:104]
	buffer_load_dword v114, off, s[0:3], 0 offset:340
	buffer_load_dword v115, off, s[0:3], 0 offset:360
	;; [unrolled: 1-line block ×7, first 2 shown]
	s_waitcnt vmcnt(23) lgkmcnt(0)
	v_fma_f64 v[103:104], v[117:118], v[107:108], v[103:104]
	s_waitcnt vmcnt(18)
	v_fma_f64 v[116:117], v[123:124], v[109:110], v[103:104]
	ds_read2_b64 v[103:106], v102 offset0:85 offset1:86
	ds_read2_b64 v[107:110], v102 offset0:87 offset1:88
	s_waitcnt vmcnt(17) lgkmcnt(1)
	v_fma_f64 v[103:104], v[131:132], v[103:104], v[116:117]
	buffer_load_dword v116, off, s[0:3], 0 offset:364
	s_waitcnt vmcnt(17)
	v_fma_f64 v[103:104], v[129:130], v[105:106], v[103:104]
	buffer_load_dword v118, off, s[0:3], 0 offset:372
	buffer_load_dword v123, off, s[0:3], 0 offset:392
	;; [unrolled: 1-line block ×8, first 2 shown]
	s_waitcnt vmcnt(24) lgkmcnt(0)
	v_fma_f64 v[103:104], v[125:126], v[107:108], v[103:104]
	s_waitcnt vmcnt(19)
	v_fma_f64 v[111:112], v[111:112], v[109:110], v[103:104]
	ds_read2_b64 v[103:106], v102 offset0:89 offset1:90
	ds_read2_b64 v[107:110], v102 offset0:91 offset1:92
	s_waitcnt vmcnt(18) lgkmcnt(1)
	v_fma_f64 v[103:104], v[135:136], v[103:104], v[111:112]
	buffer_load_dword v111, off, s[0:3], 0 offset:112
	buffer_load_dword v112, off, s[0:3], 0 offset:116
	s_waitcnt vmcnt(19)
	v_fma_f64 v[103:104], v[133:134], v[105:106], v[103:104]
	s_waitcnt vmcnt(18) lgkmcnt(0)
	v_fma_f64 v[103:104], v[127:128], v[107:108], v[103:104]
	s_waitcnt vmcnt(13)
	v_fma_f64 v[113:114], v[113:114], v[109:110], v[103:104]
	ds_read2_b64 v[103:106], v102 offset0:93 offset1:94
	ds_read2_b64 v[107:110], v102 offset0:95 offset1:96
	s_waitcnt vmcnt(12) lgkmcnt(1)
	v_fma_f64 v[103:104], v[121:122], v[103:104], v[113:114]
	s_waitcnt vmcnt(11)
	v_fma_f64 v[103:104], v[119:120], v[105:106], v[103:104]
	s_waitcnt vmcnt(10) lgkmcnt(0)
	v_fma_f64 v[103:104], v[115:116], v[107:108], v[103:104]
	s_waitcnt vmcnt(5)
	v_fma_f64 v[107:108], v[117:118], v[109:110], v[103:104]
	ds_read2_b64 v[103:106], v102 offset0:97 offset1:98
	ds_read_b64 v[109:110], v102 offset:792
	s_waitcnt vmcnt(4) lgkmcnt(1)
	v_fma_f64 v[103:104], v[131:132], v[103:104], v[107:108]
	s_waitcnt vmcnt(3)
	v_fma_f64 v[103:104], v[129:130], v[105:106], v[103:104]
	s_waitcnt vmcnt(2) lgkmcnt(0)
	v_fma_f64 v[103:104], v[123:124], v[109:110], v[103:104]
	s_waitcnt vmcnt(0)
	v_add_f64 v[103:104], v[111:112], -v[103:104]
	buffer_store_dword v104, off, s[0:3], 0 offset:116
	buffer_store_dword v103, off, s[0:3], 0 offset:112
	s_and_saveexec_b64 s[4:5], vcc
	s_cbranch_execz .LBB49_281
; %bb.280:
	buffer_load_dword v103, off, s[0:3], 0 offset:104
	buffer_load_dword v104, off, s[0:3], 0 offset:108
	s_waitcnt vmcnt(0)
	ds_write_b64 v101, v[103:104]
	buffer_store_dword v102, off, s[0:3], 0 offset:104
	buffer_store_dword v102, off, s[0:3], 0 offset:108
.LBB49_281:
	s_or_b64 exec, exec, s[4:5]
	s_waitcnt lgkmcnt(0)
	; wave barrier
	buffer_load_dword v111, off, s[0:3], 0 offset:112
	buffer_load_dword v112, off, s[0:3], 0 offset:116
	;; [unrolled: 1-line block ×21, first 2 shown]
	ds_read_b128 v[103:106], v102 offset:512
	ds_read_b128 v[107:110], v102 offset:528
	buffer_load_dword v128, off, s[0:3], 0 offset:196
	v_cmp_lt_u32_e32 vcc, 12, v0
	s_waitcnt vmcnt(20) lgkmcnt(1)
	v_fma_f64 v[103:104], v[111:112], v[103:104], 0
	s_waitcnt vmcnt(18)
	v_fma_f64 v[103:104], v[113:114], v[105:106], v[103:104]
	buffer_load_dword v112, off, s[0:3], 0 offset:204
	buffer_load_dword v113, off, s[0:3], 0 offset:224
	buffer_load_dword v133, off, s[0:3], 0 offset:216
	buffer_load_dword v135, off, s[0:3], 0 offset:208
	buffer_load_dword v111, off, s[0:3], 0 offset:200
	buffer_load_dword v136, off, s[0:3], 0 offset:212
	buffer_load_dword v134, off, s[0:3], 0 offset:220
	s_waitcnt vmcnt(23) lgkmcnt(0)
	v_fma_f64 v[103:104], v[115:116], v[107:108], v[103:104]
	s_waitcnt vmcnt(21)
	v_fma_f64 v[114:115], v[117:118], v[109:110], v[103:104]
	ds_read_b128 v[103:106], v102 offset:544
	ds_read_b128 v[107:110], v102 offset:560
	s_waitcnt vmcnt(19) lgkmcnt(1)
	v_fma_f64 v[103:104], v[119:120], v[103:104], v[114:115]
	buffer_load_dword v114, off, s[0:3], 0 offset:228
	s_waitcnt vmcnt(18)
	v_fma_f64 v[103:104], v[121:122], v[105:106], v[103:104]
	buffer_load_dword v116, off, s[0:3], 0 offset:236
	buffer_load_dword v117, off, s[0:3], 0 offset:256
	;; [unrolled: 1-line block ×8, first 2 shown]
	s_waitcnt vmcnt(24) lgkmcnt(0)
	v_fma_f64 v[103:104], v[123:124], v[107:108], v[103:104]
	s_waitcnt vmcnt(19)
	v_fma_f64 v[123:124], v[125:126], v[109:110], v[103:104]
	ds_read_b128 v[103:106], v102 offset:576
	ds_read_b128 v[107:110], v102 offset:592
	s_waitcnt vmcnt(18) lgkmcnt(1)
	v_fma_f64 v[103:104], v[131:132], v[103:104], v[123:124]
	s_waitcnt vmcnt(17)
	v_fma_f64 v[103:104], v[129:130], v[105:106], v[103:104]
	buffer_load_dword v124, off, s[0:3], 0 offset:268
	buffer_load_dword v125, off, s[0:3], 0 offset:288
	;; [unrolled: 1-line block ×7, first 2 shown]
	s_waitcnt vmcnt(23) lgkmcnt(0)
	v_fma_f64 v[103:104], v[127:128], v[107:108], v[103:104]
	s_waitcnt vmcnt(18)
	v_fma_f64 v[111:112], v[111:112], v[109:110], v[103:104]
	ds_read_b128 v[103:106], v102 offset:608
	ds_read_b128 v[107:110], v102 offset:624
	buffer_load_dword v126, off, s[0:3], 0 offset:292
	s_waitcnt vmcnt(18) lgkmcnt(1)
	v_fma_f64 v[103:104], v[135:136], v[103:104], v[111:112]
	s_waitcnt vmcnt(17)
	v_fma_f64 v[103:104], v[133:134], v[105:106], v[103:104]
	buffer_load_dword v112, off, s[0:3], 0 offset:300
	buffer_load_dword v127, off, s[0:3], 0 offset:320
	;; [unrolled: 1-line block ×8, first 2 shown]
	s_waitcnt vmcnt(24) lgkmcnt(0)
	v_fma_f64 v[103:104], v[113:114], v[107:108], v[103:104]
	s_waitcnt vmcnt(19)
	v_fma_f64 v[113:114], v[115:116], v[109:110], v[103:104]
	ds_read_b128 v[103:106], v102 offset:640
	ds_read_b128 v[107:110], v102 offset:656
	s_waitcnt vmcnt(18) lgkmcnt(1)
	v_fma_f64 v[103:104], v[121:122], v[103:104], v[113:114]
	s_waitcnt vmcnt(17)
	v_fma_f64 v[103:104], v[119:120], v[105:106], v[103:104]
	buffer_load_dword v114, off, s[0:3], 0 offset:332
	buffer_load_dword v115, off, s[0:3], 0 offset:352
	;; [unrolled: 1-line block ×7, first 2 shown]
	s_waitcnt vmcnt(23) lgkmcnt(0)
	v_fma_f64 v[103:104], v[117:118], v[107:108], v[103:104]
	s_waitcnt vmcnt(18)
	v_fma_f64 v[116:117], v[123:124], v[109:110], v[103:104]
	ds_read_b128 v[103:106], v102 offset:672
	ds_read_b128 v[107:110], v102 offset:688
	s_waitcnt vmcnt(17) lgkmcnt(1)
	v_fma_f64 v[103:104], v[131:132], v[103:104], v[116:117]
	buffer_load_dword v116, off, s[0:3], 0 offset:356
	s_waitcnt vmcnt(17)
	v_fma_f64 v[103:104], v[129:130], v[105:106], v[103:104]
	buffer_load_dword v118, off, s[0:3], 0 offset:364
	buffer_load_dword v123, off, s[0:3], 0 offset:384
	;; [unrolled: 1-line block ×8, first 2 shown]
	s_waitcnt vmcnt(24) lgkmcnt(0)
	v_fma_f64 v[103:104], v[125:126], v[107:108], v[103:104]
	s_waitcnt vmcnt(19)
	v_fma_f64 v[111:112], v[111:112], v[109:110], v[103:104]
	ds_read_b128 v[103:106], v102 offset:704
	ds_read_b128 v[107:110], v102 offset:720
	s_waitcnt vmcnt(18) lgkmcnt(1)
	v_fma_f64 v[103:104], v[135:136], v[103:104], v[111:112]
	buffer_load_dword v112, off, s[0:3], 0 offset:396
	buffer_load_dword v111, off, s[0:3], 0 offset:392
	;; [unrolled: 1-line block ×4, first 2 shown]
	s_waitcnt vmcnt(21)
	v_fma_f64 v[103:104], v[133:134], v[105:106], v[103:104]
	s_waitcnt vmcnt(20) lgkmcnt(0)
	v_fma_f64 v[103:104], v[127:128], v[107:108], v[103:104]
	s_waitcnt vmcnt(15)
	v_fma_f64 v[113:114], v[113:114], v[109:110], v[103:104]
	ds_read_b128 v[103:106], v102 offset:736
	ds_read_b128 v[107:110], v102 offset:752
	s_waitcnt vmcnt(14) lgkmcnt(1)
	v_fma_f64 v[103:104], v[121:122], v[103:104], v[113:114]
	s_waitcnt vmcnt(13)
	v_fma_f64 v[103:104], v[119:120], v[105:106], v[103:104]
	s_waitcnt vmcnt(12) lgkmcnt(0)
	v_fma_f64 v[103:104], v[115:116], v[107:108], v[103:104]
	s_waitcnt vmcnt(7)
	v_fma_f64 v[113:114], v[117:118], v[109:110], v[103:104]
	ds_read_b128 v[103:106], v102 offset:768
	ds_read_b128 v[107:110], v102 offset:784
	s_waitcnt vmcnt(6) lgkmcnt(1)
	v_fma_f64 v[102:103], v[131:132], v[103:104], v[113:114]
	s_waitcnt vmcnt(5)
	v_fma_f64 v[102:103], v[129:130], v[105:106], v[102:103]
	s_waitcnt vmcnt(4) lgkmcnt(0)
	v_fma_f64 v[102:103], v[123:124], v[107:108], v[102:103]
	s_waitcnt vmcnt(2)
	v_fma_f64 v[102:103], v[111:112], v[109:110], v[102:103]
	s_waitcnt vmcnt(0)
	v_add_f64 v[102:103], v[125:126], -v[102:103]
	buffer_store_dword v103, off, s[0:3], 0 offset:108
	buffer_store_dword v102, off, s[0:3], 0 offset:104
	s_and_saveexec_b64 s[4:5], vcc
	s_cbranch_execz .LBB49_283
; %bb.282:
	buffer_load_dword v102, off, s[0:3], 0 offset:96
	buffer_load_dword v103, off, s[0:3], 0 offset:100
	v_mov_b32_e32 v104, 0
	buffer_store_dword v104, off, s[0:3], 0 offset:96
	buffer_store_dword v104, off, s[0:3], 0 offset:100
	s_waitcnt vmcnt(2)
	ds_write_b64 v101, v[102:103]
.LBB49_283:
	s_or_b64 exec, exec, s[4:5]
	s_waitcnt lgkmcnt(0)
	; wave barrier
	buffer_load_dword v111, off, s[0:3], 0 offset:104
	buffer_load_dword v112, off, s[0:3], 0 offset:108
	;; [unrolled: 1-line block ×21, first 2 shown]
	v_mov_b32_e32 v102, 0
	ds_read2_b64 v[103:106], v102 offset0:63 offset1:64
	ds_read2_b64 v[107:110], v102 offset0:65 offset1:66
	buffer_load_dword v128, off, s[0:3], 0 offset:188
	v_cmp_lt_u32_e32 vcc, 11, v0
	s_waitcnt vmcnt(20) lgkmcnt(1)
	v_fma_f64 v[103:104], v[111:112], v[103:104], 0
	s_waitcnt vmcnt(18)
	v_fma_f64 v[103:104], v[113:114], v[105:106], v[103:104]
	buffer_load_dword v112, off, s[0:3], 0 offset:196
	buffer_load_dword v113, off, s[0:3], 0 offset:216
	;; [unrolled: 1-line block ×7, first 2 shown]
	s_waitcnt vmcnt(23) lgkmcnt(0)
	v_fma_f64 v[103:104], v[115:116], v[107:108], v[103:104]
	s_waitcnt vmcnt(21)
	v_fma_f64 v[114:115], v[117:118], v[109:110], v[103:104]
	ds_read2_b64 v[103:106], v102 offset0:67 offset1:68
	ds_read2_b64 v[107:110], v102 offset0:69 offset1:70
	s_waitcnt vmcnt(19) lgkmcnt(1)
	v_fma_f64 v[103:104], v[119:120], v[103:104], v[114:115]
	buffer_load_dword v114, off, s[0:3], 0 offset:220
	s_waitcnt vmcnt(18)
	v_fma_f64 v[103:104], v[121:122], v[105:106], v[103:104]
	buffer_load_dword v116, off, s[0:3], 0 offset:228
	buffer_load_dword v117, off, s[0:3], 0 offset:248
	;; [unrolled: 1-line block ×8, first 2 shown]
	s_waitcnt vmcnt(24) lgkmcnt(0)
	v_fma_f64 v[103:104], v[123:124], v[107:108], v[103:104]
	s_waitcnt vmcnt(19)
	v_fma_f64 v[123:124], v[125:126], v[109:110], v[103:104]
	ds_read2_b64 v[103:106], v102 offset0:71 offset1:72
	ds_read2_b64 v[107:110], v102 offset0:73 offset1:74
	s_waitcnt vmcnt(18) lgkmcnt(1)
	v_fma_f64 v[103:104], v[131:132], v[103:104], v[123:124]
	s_waitcnt vmcnt(17)
	v_fma_f64 v[103:104], v[129:130], v[105:106], v[103:104]
	buffer_load_dword v124, off, s[0:3], 0 offset:260
	buffer_load_dword v125, off, s[0:3], 0 offset:280
	;; [unrolled: 1-line block ×7, first 2 shown]
	s_waitcnt vmcnt(23) lgkmcnt(0)
	v_fma_f64 v[103:104], v[127:128], v[107:108], v[103:104]
	s_waitcnt vmcnt(18)
	v_fma_f64 v[111:112], v[111:112], v[109:110], v[103:104]
	ds_read2_b64 v[103:106], v102 offset0:75 offset1:76
	ds_read2_b64 v[107:110], v102 offset0:77 offset1:78
	buffer_load_dword v126, off, s[0:3], 0 offset:284
	s_waitcnt vmcnt(18) lgkmcnt(1)
	v_fma_f64 v[103:104], v[135:136], v[103:104], v[111:112]
	s_waitcnt vmcnt(17)
	v_fma_f64 v[103:104], v[133:134], v[105:106], v[103:104]
	buffer_load_dword v112, off, s[0:3], 0 offset:292
	buffer_load_dword v127, off, s[0:3], 0 offset:312
	;; [unrolled: 1-line block ×7, first 2 shown]
	s_waitcnt vmcnt(23) lgkmcnt(0)
	v_fma_f64 v[103:104], v[113:114], v[107:108], v[103:104]
	s_waitcnt vmcnt(18)
	v_fma_f64 v[113:114], v[115:116], v[109:110], v[103:104]
	ds_read2_b64 v[103:106], v102 offset0:79 offset1:80
	ds_read2_b64 v[107:110], v102 offset0:81 offset1:82
	buffer_load_dword v128, off, s[0:3], 0 offset:316
	s_waitcnt vmcnt(18) lgkmcnt(1)
	v_fma_f64 v[103:104], v[121:122], v[103:104], v[113:114]
	s_waitcnt vmcnt(17)
	v_fma_f64 v[103:104], v[119:120], v[105:106], v[103:104]
	buffer_load_dword v114, off, s[0:3], 0 offset:324
	buffer_load_dword v115, off, s[0:3], 0 offset:344
	;; [unrolled: 1-line block ×7, first 2 shown]
	s_waitcnt vmcnt(23) lgkmcnt(0)
	v_fma_f64 v[103:104], v[117:118], v[107:108], v[103:104]
	s_waitcnt vmcnt(18)
	v_fma_f64 v[116:117], v[123:124], v[109:110], v[103:104]
	ds_read2_b64 v[103:106], v102 offset0:83 offset1:84
	ds_read2_b64 v[107:110], v102 offset0:85 offset1:86
	s_waitcnt vmcnt(17) lgkmcnt(1)
	v_fma_f64 v[103:104], v[131:132], v[103:104], v[116:117]
	buffer_load_dword v116, off, s[0:3], 0 offset:348
	s_waitcnt vmcnt(17)
	v_fma_f64 v[103:104], v[129:130], v[105:106], v[103:104]
	buffer_load_dword v118, off, s[0:3], 0 offset:356
	buffer_load_dword v123, off, s[0:3], 0 offset:376
	;; [unrolled: 1-line block ×7, first 2 shown]
	s_waitcnt vmcnt(23) lgkmcnt(0)
	v_fma_f64 v[103:104], v[125:126], v[107:108], v[103:104]
	s_waitcnt vmcnt(18)
	v_fma_f64 v[111:112], v[111:112], v[109:110], v[103:104]
	ds_read2_b64 v[103:106], v102 offset0:87 offset1:88
	ds_read2_b64 v[107:110], v102 offset0:89 offset1:90
	buffer_load_dword v124, off, s[0:3], 0 offset:380
	s_waitcnt vmcnt(18) lgkmcnt(1)
	v_fma_f64 v[103:104], v[135:136], v[103:104], v[111:112]
	buffer_load_dword v112, off, s[0:3], 0 offset:388
	buffer_load_dword v125, off, s[0:3], 0 offset:392
	buffer_load_dword v111, off, s[0:3], 0 offset:384
	buffer_load_dword v126, off, s[0:3], 0 offset:396
	s_waitcnt vmcnt(21)
	v_fma_f64 v[103:104], v[133:134], v[105:106], v[103:104]
	s_waitcnt vmcnt(20) lgkmcnt(0)
	v_fma_f64 v[103:104], v[127:128], v[107:108], v[103:104]
	buffer_load_dword v127, off, s[0:3], 0 offset:96
	buffer_load_dword v128, off, s[0:3], 0 offset:100
	s_waitcnt vmcnt(17)
	v_fma_f64 v[113:114], v[113:114], v[109:110], v[103:104]
	ds_read2_b64 v[103:106], v102 offset0:91 offset1:92
	ds_read2_b64 v[107:110], v102 offset0:93 offset1:94
	s_waitcnt vmcnt(16) lgkmcnt(1)
	v_fma_f64 v[103:104], v[121:122], v[103:104], v[113:114]
	s_waitcnt vmcnt(15)
	v_fma_f64 v[103:104], v[119:120], v[105:106], v[103:104]
	s_waitcnt vmcnt(14) lgkmcnt(0)
	v_fma_f64 v[103:104], v[115:116], v[107:108], v[103:104]
	s_waitcnt vmcnt(9)
	v_fma_f64 v[113:114], v[117:118], v[109:110], v[103:104]
	ds_read2_b64 v[103:106], v102 offset0:95 offset1:96
	ds_read2_b64 v[107:110], v102 offset0:97 offset1:98
	s_waitcnt vmcnt(8) lgkmcnt(1)
	v_fma_f64 v[103:104], v[131:132], v[103:104], v[113:114]
	s_waitcnt vmcnt(7)
	v_fma_f64 v[103:104], v[129:130], v[105:106], v[103:104]
	ds_read_b64 v[105:106], v102 offset:792
	s_waitcnt vmcnt(6) lgkmcnt(1)
	v_fma_f64 v[103:104], v[123:124], v[107:108], v[103:104]
	s_waitcnt vmcnt(3)
	v_fma_f64 v[103:104], v[111:112], v[109:110], v[103:104]
	s_waitcnt vmcnt(2) lgkmcnt(0)
	v_fma_f64 v[103:104], v[125:126], v[105:106], v[103:104]
	s_waitcnt vmcnt(0)
	v_add_f64 v[103:104], v[127:128], -v[103:104]
	buffer_store_dword v104, off, s[0:3], 0 offset:100
	buffer_store_dword v103, off, s[0:3], 0 offset:96
	s_and_saveexec_b64 s[4:5], vcc
	s_cbranch_execz .LBB49_285
; %bb.284:
	buffer_load_dword v103, off, s[0:3], 0 offset:88
	buffer_load_dword v104, off, s[0:3], 0 offset:92
	s_waitcnt vmcnt(0)
	ds_write_b64 v101, v[103:104]
	buffer_store_dword v102, off, s[0:3], 0 offset:88
	buffer_store_dword v102, off, s[0:3], 0 offset:92
.LBB49_285:
	s_or_b64 exec, exec, s[4:5]
	s_waitcnt lgkmcnt(0)
	; wave barrier
	buffer_load_dword v111, off, s[0:3], 0 offset:96
	buffer_load_dword v112, off, s[0:3], 0 offset:100
	buffer_load_dword v113, off, s[0:3], 0 offset:104
	buffer_load_dword v114, off, s[0:3], 0 offset:108
	buffer_load_dword v115, off, s[0:3], 0 offset:112
	buffer_load_dword v116, off, s[0:3], 0 offset:116
	buffer_load_dword v117, off, s[0:3], 0 offset:120
	buffer_load_dword v118, off, s[0:3], 0 offset:124
	buffer_load_dword v119, off, s[0:3], 0 offset:128
	buffer_load_dword v120, off, s[0:3], 0 offset:132
	buffer_load_dword v121, off, s[0:3], 0 offset:136
	buffer_load_dword v122, off, s[0:3], 0 offset:140
	buffer_load_dword v123, off, s[0:3], 0 offset:144
	buffer_load_dword v124, off, s[0:3], 0 offset:148
	buffer_load_dword v126, off, s[0:3], 0 offset:156
	buffer_load_dword v127, off, s[0:3], 0 offset:176
	buffer_load_dword v129, off, s[0:3], 0 offset:168
	buffer_load_dword v131, off, s[0:3], 0 offset:160
	buffer_load_dword v125, off, s[0:3], 0 offset:152
	buffer_load_dword v132, off, s[0:3], 0 offset:164
	buffer_load_dword v130, off, s[0:3], 0 offset:172
	buffer_load_dword v128, off, s[0:3], 0 offset:180
	ds_read_b128 v[103:106], v102 offset:496
	ds_read_b128 v[107:110], v102 offset:512
	v_cmp_lt_u32_e32 vcc, 10, v0
	s_waitcnt vmcnt(20) lgkmcnt(1)
	v_fma_f64 v[103:104], v[111:112], v[103:104], 0
	s_waitcnt vmcnt(18)
	v_fma_f64 v[103:104], v[113:114], v[105:106], v[103:104]
	buffer_load_dword v112, off, s[0:3], 0 offset:188
	buffer_load_dword v113, off, s[0:3], 0 offset:208
	buffer_load_dword v133, off, s[0:3], 0 offset:200
	buffer_load_dword v135, off, s[0:3], 0 offset:192
	buffer_load_dword v111, off, s[0:3], 0 offset:184
	buffer_load_dword v136, off, s[0:3], 0 offset:196
	buffer_load_dword v134, off, s[0:3], 0 offset:204
	s_waitcnt vmcnt(23) lgkmcnt(0)
	v_fma_f64 v[103:104], v[115:116], v[107:108], v[103:104]
	s_waitcnt vmcnt(21)
	v_fma_f64 v[114:115], v[117:118], v[109:110], v[103:104]
	ds_read_b128 v[103:106], v102 offset:528
	ds_read_b128 v[107:110], v102 offset:544
	s_waitcnt vmcnt(19) lgkmcnt(1)
	v_fma_f64 v[103:104], v[119:120], v[103:104], v[114:115]
	buffer_load_dword v114, off, s[0:3], 0 offset:212
	s_waitcnt vmcnt(18)
	v_fma_f64 v[103:104], v[121:122], v[105:106], v[103:104]
	buffer_load_dword v116, off, s[0:3], 0 offset:220
	buffer_load_dword v117, off, s[0:3], 0 offset:240
	;; [unrolled: 1-line block ×8, first 2 shown]
	s_waitcnt vmcnt(24) lgkmcnt(0)
	v_fma_f64 v[103:104], v[123:124], v[107:108], v[103:104]
	s_waitcnt vmcnt(19)
	v_fma_f64 v[123:124], v[125:126], v[109:110], v[103:104]
	ds_read_b128 v[103:106], v102 offset:560
	ds_read_b128 v[107:110], v102 offset:576
	s_waitcnt vmcnt(18) lgkmcnt(1)
	v_fma_f64 v[103:104], v[131:132], v[103:104], v[123:124]
	s_waitcnt vmcnt(17)
	v_fma_f64 v[103:104], v[129:130], v[105:106], v[103:104]
	buffer_load_dword v124, off, s[0:3], 0 offset:252
	buffer_load_dword v125, off, s[0:3], 0 offset:272
	;; [unrolled: 1-line block ×8, first 2 shown]
	s_waitcnt vmcnt(24) lgkmcnt(0)
	v_fma_f64 v[103:104], v[127:128], v[107:108], v[103:104]
	s_waitcnt vmcnt(19)
	v_fma_f64 v[111:112], v[111:112], v[109:110], v[103:104]
	ds_read_b128 v[103:106], v102 offset:592
	ds_read_b128 v[107:110], v102 offset:608
	s_waitcnt vmcnt(18) lgkmcnt(1)
	v_fma_f64 v[103:104], v[135:136], v[103:104], v[111:112]
	s_waitcnt vmcnt(17)
	v_fma_f64 v[103:104], v[133:134], v[105:106], v[103:104]
	buffer_load_dword v112, off, s[0:3], 0 offset:284
	buffer_load_dword v127, off, s[0:3], 0 offset:304
	;; [unrolled: 1-line block ×7, first 2 shown]
	s_waitcnt vmcnt(23) lgkmcnt(0)
	v_fma_f64 v[103:104], v[113:114], v[107:108], v[103:104]
	s_waitcnt vmcnt(18)
	v_fma_f64 v[113:114], v[115:116], v[109:110], v[103:104]
	ds_read_b128 v[103:106], v102 offset:624
	ds_read_b128 v[107:110], v102 offset:640
	buffer_load_dword v128, off, s[0:3], 0 offset:308
	s_waitcnt vmcnt(18) lgkmcnt(1)
	v_fma_f64 v[103:104], v[121:122], v[103:104], v[113:114]
	s_waitcnt vmcnt(17)
	v_fma_f64 v[103:104], v[119:120], v[105:106], v[103:104]
	buffer_load_dword v114, off, s[0:3], 0 offset:316
	buffer_load_dword v115, off, s[0:3], 0 offset:336
	;; [unrolled: 1-line block ×7, first 2 shown]
	s_waitcnt vmcnt(23) lgkmcnt(0)
	v_fma_f64 v[103:104], v[117:118], v[107:108], v[103:104]
	s_waitcnt vmcnt(18)
	v_fma_f64 v[116:117], v[123:124], v[109:110], v[103:104]
	ds_read_b128 v[103:106], v102 offset:656
	ds_read_b128 v[107:110], v102 offset:672
	s_waitcnt vmcnt(17) lgkmcnt(1)
	v_fma_f64 v[103:104], v[131:132], v[103:104], v[116:117]
	buffer_load_dword v116, off, s[0:3], 0 offset:340
	s_waitcnt vmcnt(17)
	v_fma_f64 v[103:104], v[129:130], v[105:106], v[103:104]
	buffer_load_dword v118, off, s[0:3], 0 offset:348
	buffer_load_dword v123, off, s[0:3], 0 offset:368
	;; [unrolled: 1-line block ×8, first 2 shown]
	s_waitcnt vmcnt(24) lgkmcnt(0)
	v_fma_f64 v[103:104], v[125:126], v[107:108], v[103:104]
	s_waitcnt vmcnt(19)
	v_fma_f64 v[111:112], v[111:112], v[109:110], v[103:104]
	ds_read_b128 v[103:106], v102 offset:688
	ds_read_b128 v[107:110], v102 offset:704
	s_waitcnt vmcnt(18) lgkmcnt(1)
	v_fma_f64 v[103:104], v[135:136], v[103:104], v[111:112]
	s_waitcnt vmcnt(17)
	v_fma_f64 v[103:104], v[133:134], v[105:106], v[103:104]
	buffer_load_dword v112, off, s[0:3], 0 offset:380
	buffer_load_dword v125, off, s[0:3], 0 offset:392
	;; [unrolled: 1-line block ×6, first 2 shown]
	s_waitcnt vmcnt(22) lgkmcnt(0)
	v_fma_f64 v[103:104], v[127:128], v[107:108], v[103:104]
	s_waitcnt vmcnt(17)
	v_fma_f64 v[113:114], v[113:114], v[109:110], v[103:104]
	ds_read_b128 v[103:106], v102 offset:720
	buffer_load_dword v127, off, s[0:3], 0 offset:88
	buffer_load_dword v128, off, s[0:3], 0 offset:92
	ds_read_b128 v[107:110], v102 offset:736
	s_waitcnt vmcnt(18) lgkmcnt(1)
	v_fma_f64 v[103:104], v[121:122], v[103:104], v[113:114]
	s_waitcnt vmcnt(17)
	v_fma_f64 v[103:104], v[119:120], v[105:106], v[103:104]
	s_waitcnt vmcnt(16) lgkmcnt(0)
	v_fma_f64 v[103:104], v[115:116], v[107:108], v[103:104]
	s_waitcnt vmcnt(11)
	v_fma_f64 v[113:114], v[117:118], v[109:110], v[103:104]
	ds_read_b128 v[103:106], v102 offset:752
	ds_read_b128 v[107:110], v102 offset:768
	s_waitcnt vmcnt(10) lgkmcnt(1)
	v_fma_f64 v[103:104], v[131:132], v[103:104], v[113:114]
	s_waitcnt vmcnt(9)
	v_fma_f64 v[103:104], v[129:130], v[105:106], v[103:104]
	s_waitcnt vmcnt(8) lgkmcnt(0)
	v_fma_f64 v[103:104], v[123:124], v[107:108], v[103:104]
	s_waitcnt vmcnt(4)
	v_fma_f64 v[106:107], v[111:112], v[109:110], v[103:104]
	ds_read_b128 v[102:105], v102 offset:784
	s_waitcnt vmcnt(3) lgkmcnt(0)
	v_fma_f64 v[102:103], v[133:134], v[102:103], v[106:107]
	s_waitcnt vmcnt(2)
	v_fma_f64 v[102:103], v[125:126], v[104:105], v[102:103]
	s_waitcnt vmcnt(0)
	v_add_f64 v[102:103], v[127:128], -v[102:103]
	buffer_store_dword v103, off, s[0:3], 0 offset:92
	buffer_store_dword v102, off, s[0:3], 0 offset:88
	s_and_saveexec_b64 s[4:5], vcc
	s_cbranch_execz .LBB49_287
; %bb.286:
	buffer_load_dword v102, off, s[0:3], 0 offset:80
	buffer_load_dword v103, off, s[0:3], 0 offset:84
	v_mov_b32_e32 v104, 0
	buffer_store_dword v104, off, s[0:3], 0 offset:80
	buffer_store_dword v104, off, s[0:3], 0 offset:84
	s_waitcnt vmcnt(2)
	ds_write_b64 v101, v[102:103]
.LBB49_287:
	s_or_b64 exec, exec, s[4:5]
	s_waitcnt lgkmcnt(0)
	; wave barrier
	buffer_load_dword v111, off, s[0:3], 0 offset:88
	buffer_load_dword v112, off, s[0:3], 0 offset:92
	;; [unrolled: 1-line block ×22, first 2 shown]
	v_mov_b32_e32 v102, 0
	ds_read2_b64 v[103:106], v102 offset0:61 offset1:62
	ds_read2_b64 v[107:110], v102 offset0:63 offset1:64
	v_cmp_lt_u32_e32 vcc, 9, v0
	s_waitcnt vmcnt(20) lgkmcnt(1)
	v_fma_f64 v[103:104], v[111:112], v[103:104], 0
	s_waitcnt vmcnt(18)
	v_fma_f64 v[103:104], v[113:114], v[105:106], v[103:104]
	buffer_load_dword v112, off, s[0:3], 0 offset:180
	buffer_load_dword v113, off, s[0:3], 0 offset:200
	;; [unrolled: 1-line block ×7, first 2 shown]
	s_waitcnt vmcnt(23) lgkmcnt(0)
	v_fma_f64 v[103:104], v[115:116], v[107:108], v[103:104]
	s_waitcnt vmcnt(21)
	v_fma_f64 v[114:115], v[117:118], v[109:110], v[103:104]
	ds_read2_b64 v[103:106], v102 offset0:65 offset1:66
	ds_read2_b64 v[107:110], v102 offset0:67 offset1:68
	s_waitcnt vmcnt(19) lgkmcnt(1)
	v_fma_f64 v[103:104], v[119:120], v[103:104], v[114:115]
	buffer_load_dword v114, off, s[0:3], 0 offset:204
	s_waitcnt vmcnt(18)
	v_fma_f64 v[103:104], v[121:122], v[105:106], v[103:104]
	buffer_load_dword v116, off, s[0:3], 0 offset:212
	buffer_load_dword v117, off, s[0:3], 0 offset:232
	;; [unrolled: 1-line block ×8, first 2 shown]
	s_waitcnt vmcnt(24) lgkmcnt(0)
	v_fma_f64 v[103:104], v[123:124], v[107:108], v[103:104]
	s_waitcnt vmcnt(19)
	v_fma_f64 v[123:124], v[125:126], v[109:110], v[103:104]
	ds_read2_b64 v[103:106], v102 offset0:69 offset1:70
	ds_read2_b64 v[107:110], v102 offset0:71 offset1:72
	s_waitcnt vmcnt(18) lgkmcnt(1)
	v_fma_f64 v[103:104], v[131:132], v[103:104], v[123:124]
	s_waitcnt vmcnt(17)
	v_fma_f64 v[103:104], v[129:130], v[105:106], v[103:104]
	buffer_load_dword v124, off, s[0:3], 0 offset:244
	buffer_load_dword v125, off, s[0:3], 0 offset:264
	buffer_load_dword v129, off, s[0:3], 0 offset:256
	buffer_load_dword v131, off, s[0:3], 0 offset:248
	buffer_load_dword v123, off, s[0:3], 0 offset:240
	buffer_load_dword v132, off, s[0:3], 0 offset:252
	buffer_load_dword v130, off, s[0:3], 0 offset:260
	buffer_load_dword v126, off, s[0:3], 0 offset:268
	s_waitcnt vmcnt(24) lgkmcnt(0)
	v_fma_f64 v[103:104], v[127:128], v[107:108], v[103:104]
	s_waitcnt vmcnt(19)
	v_fma_f64 v[111:112], v[111:112], v[109:110], v[103:104]
	ds_read2_b64 v[103:106], v102 offset0:73 offset1:74
	ds_read2_b64 v[107:110], v102 offset0:75 offset1:76
	s_waitcnt vmcnt(18) lgkmcnt(1)
	v_fma_f64 v[103:104], v[135:136], v[103:104], v[111:112]
	s_waitcnt vmcnt(17)
	v_fma_f64 v[103:104], v[133:134], v[105:106], v[103:104]
	buffer_load_dword v112, off, s[0:3], 0 offset:276
	buffer_load_dword v127, off, s[0:3], 0 offset:296
	;; [unrolled: 1-line block ×7, first 2 shown]
	s_waitcnt vmcnt(23) lgkmcnt(0)
	v_fma_f64 v[103:104], v[113:114], v[107:108], v[103:104]
	s_waitcnt vmcnt(18)
	v_fma_f64 v[113:114], v[115:116], v[109:110], v[103:104]
	ds_read2_b64 v[103:106], v102 offset0:77 offset1:78
	ds_read2_b64 v[107:110], v102 offset0:79 offset1:80
	buffer_load_dword v128, off, s[0:3], 0 offset:300
	s_waitcnt vmcnt(18) lgkmcnt(1)
	v_fma_f64 v[103:104], v[121:122], v[103:104], v[113:114]
	s_waitcnt vmcnt(17)
	v_fma_f64 v[103:104], v[119:120], v[105:106], v[103:104]
	buffer_load_dword v114, off, s[0:3], 0 offset:308
	buffer_load_dword v115, off, s[0:3], 0 offset:328
	buffer_load_dword v119, off, s[0:3], 0 offset:320
	buffer_load_dword v121, off, s[0:3], 0 offset:312
	buffer_load_dword v113, off, s[0:3], 0 offset:304
	buffer_load_dword v122, off, s[0:3], 0 offset:316
	buffer_load_dword v120, off, s[0:3], 0 offset:324
	s_waitcnt vmcnt(23) lgkmcnt(0)
	v_fma_f64 v[103:104], v[117:118], v[107:108], v[103:104]
	s_waitcnt vmcnt(18)
	v_fma_f64 v[116:117], v[123:124], v[109:110], v[103:104]
	ds_read2_b64 v[103:106], v102 offset0:81 offset1:82
	ds_read2_b64 v[107:110], v102 offset0:83 offset1:84
	s_waitcnt vmcnt(17) lgkmcnt(1)
	v_fma_f64 v[103:104], v[131:132], v[103:104], v[116:117]
	buffer_load_dword v116, off, s[0:3], 0 offset:332
	s_waitcnt vmcnt(17)
	v_fma_f64 v[103:104], v[129:130], v[105:106], v[103:104]
	buffer_load_dword v118, off, s[0:3], 0 offset:340
	buffer_load_dword v123, off, s[0:3], 0 offset:360
	;; [unrolled: 1-line block ×8, first 2 shown]
	s_waitcnt vmcnt(24) lgkmcnt(0)
	v_fma_f64 v[103:104], v[125:126], v[107:108], v[103:104]
	s_waitcnt vmcnt(19)
	v_fma_f64 v[111:112], v[111:112], v[109:110], v[103:104]
	ds_read2_b64 v[103:106], v102 offset0:85 offset1:86
	ds_read2_b64 v[107:110], v102 offset0:87 offset1:88
	s_waitcnt vmcnt(18) lgkmcnt(1)
	v_fma_f64 v[103:104], v[135:136], v[103:104], v[111:112]
	s_waitcnt vmcnt(17)
	v_fma_f64 v[103:104], v[133:134], v[105:106], v[103:104]
	buffer_load_dword v112, off, s[0:3], 0 offset:372
	buffer_load_dword v125, off, s[0:3], 0 offset:392
	;; [unrolled: 1-line block ×8, first 2 shown]
	s_waitcnt vmcnt(24) lgkmcnt(0)
	v_fma_f64 v[103:104], v[127:128], v[107:108], v[103:104]
	s_waitcnt vmcnt(19)
	v_fma_f64 v[113:114], v[113:114], v[109:110], v[103:104]
	ds_read2_b64 v[103:106], v102 offset0:89 offset1:90
	ds_read2_b64 v[107:110], v102 offset0:91 offset1:92
	s_waitcnt vmcnt(18) lgkmcnt(1)
	v_fma_f64 v[103:104], v[121:122], v[103:104], v[113:114]
	buffer_load_dword v113, off, s[0:3], 0 offset:80
	buffer_load_dword v114, off, s[0:3], 0 offset:84
	s_waitcnt vmcnt(19)
	v_fma_f64 v[103:104], v[119:120], v[105:106], v[103:104]
	s_waitcnt vmcnt(18) lgkmcnt(0)
	v_fma_f64 v[103:104], v[115:116], v[107:108], v[103:104]
	s_waitcnt vmcnt(13)
	v_fma_f64 v[115:116], v[117:118], v[109:110], v[103:104]
	ds_read2_b64 v[103:106], v102 offset0:93 offset1:94
	ds_read2_b64 v[107:110], v102 offset0:95 offset1:96
	s_waitcnt vmcnt(12) lgkmcnt(1)
	v_fma_f64 v[103:104], v[131:132], v[103:104], v[115:116]
	s_waitcnt vmcnt(11)
	v_fma_f64 v[103:104], v[129:130], v[105:106], v[103:104]
	s_waitcnt vmcnt(10) lgkmcnt(0)
	v_fma_f64 v[103:104], v[123:124], v[107:108], v[103:104]
	s_waitcnt vmcnt(5)
	v_fma_f64 v[107:108], v[111:112], v[109:110], v[103:104]
	ds_read2_b64 v[103:106], v102 offset0:97 offset1:98
	ds_read_b64 v[109:110], v102 offset:792
	s_waitcnt vmcnt(4) lgkmcnt(1)
	v_fma_f64 v[103:104], v[135:136], v[103:104], v[107:108]
	s_waitcnt vmcnt(3)
	v_fma_f64 v[103:104], v[133:134], v[105:106], v[103:104]
	s_waitcnt vmcnt(2) lgkmcnt(0)
	v_fma_f64 v[103:104], v[125:126], v[109:110], v[103:104]
	s_waitcnt vmcnt(0)
	v_add_f64 v[103:104], v[113:114], -v[103:104]
	buffer_store_dword v104, off, s[0:3], 0 offset:84
	buffer_store_dword v103, off, s[0:3], 0 offset:80
	s_and_saveexec_b64 s[4:5], vcc
	s_cbranch_execz .LBB49_289
; %bb.288:
	buffer_load_dword v103, off, s[0:3], 0 offset:72
	buffer_load_dword v104, off, s[0:3], 0 offset:76
	s_waitcnt vmcnt(0)
	ds_write_b64 v101, v[103:104]
	buffer_store_dword v102, off, s[0:3], 0 offset:72
	buffer_store_dword v102, off, s[0:3], 0 offset:76
.LBB49_289:
	s_or_b64 exec, exec, s[4:5]
	s_waitcnt lgkmcnt(0)
	; wave barrier
	buffer_load_dword v111, off, s[0:3], 0 offset:80
	buffer_load_dword v112, off, s[0:3], 0 offset:84
	;; [unrolled: 1-line block ×22, first 2 shown]
	ds_read_b128 v[103:106], v102 offset:480
	ds_read_b128 v[107:110], v102 offset:496
	v_cmp_lt_u32_e32 vcc, 8, v0
	s_waitcnt vmcnt(20) lgkmcnt(1)
	v_fma_f64 v[103:104], v[111:112], v[103:104], 0
	s_waitcnt vmcnt(18)
	v_fma_f64 v[103:104], v[113:114], v[105:106], v[103:104]
	buffer_load_dword v112, off, s[0:3], 0 offset:172
	buffer_load_dword v113, off, s[0:3], 0 offset:192
	;; [unrolled: 1-line block ×7, first 2 shown]
	s_waitcnt vmcnt(23) lgkmcnt(0)
	v_fma_f64 v[103:104], v[115:116], v[107:108], v[103:104]
	s_waitcnt vmcnt(21)
	v_fma_f64 v[114:115], v[117:118], v[109:110], v[103:104]
	ds_read_b128 v[103:106], v102 offset:512
	ds_read_b128 v[107:110], v102 offset:528
	s_waitcnt vmcnt(19) lgkmcnt(1)
	v_fma_f64 v[103:104], v[119:120], v[103:104], v[114:115]
	buffer_load_dword v114, off, s[0:3], 0 offset:196
	s_waitcnt vmcnt(18)
	v_fma_f64 v[103:104], v[121:122], v[105:106], v[103:104]
	buffer_load_dword v116, off, s[0:3], 0 offset:204
	buffer_load_dword v117, off, s[0:3], 0 offset:224
	;; [unrolled: 1-line block ×8, first 2 shown]
	s_waitcnt vmcnt(24) lgkmcnt(0)
	v_fma_f64 v[103:104], v[123:124], v[107:108], v[103:104]
	s_waitcnt vmcnt(19)
	v_fma_f64 v[123:124], v[125:126], v[109:110], v[103:104]
	ds_read_b128 v[103:106], v102 offset:544
	ds_read_b128 v[107:110], v102 offset:560
	s_waitcnt vmcnt(18) lgkmcnt(1)
	v_fma_f64 v[103:104], v[131:132], v[103:104], v[123:124]
	s_waitcnt vmcnt(17)
	v_fma_f64 v[103:104], v[129:130], v[105:106], v[103:104]
	buffer_load_dword v124, off, s[0:3], 0 offset:236
	buffer_load_dword v125, off, s[0:3], 0 offset:256
	buffer_load_dword v129, off, s[0:3], 0 offset:248
	buffer_load_dword v131, off, s[0:3], 0 offset:240
	buffer_load_dword v123, off, s[0:3], 0 offset:232
	buffer_load_dword v132, off, s[0:3], 0 offset:244
	buffer_load_dword v130, off, s[0:3], 0 offset:252
	buffer_load_dword v126, off, s[0:3], 0 offset:260
	s_waitcnt vmcnt(24) lgkmcnt(0)
	v_fma_f64 v[103:104], v[127:128], v[107:108], v[103:104]
	s_waitcnt vmcnt(19)
	v_fma_f64 v[111:112], v[111:112], v[109:110], v[103:104]
	ds_read_b128 v[103:106], v102 offset:576
	ds_read_b128 v[107:110], v102 offset:592
	s_waitcnt vmcnt(18) lgkmcnt(1)
	v_fma_f64 v[103:104], v[135:136], v[103:104], v[111:112]
	s_waitcnt vmcnt(17)
	v_fma_f64 v[103:104], v[133:134], v[105:106], v[103:104]
	buffer_load_dword v112, off, s[0:3], 0 offset:268
	buffer_load_dword v127, off, s[0:3], 0 offset:288
	;; [unrolled: 1-line block ×7, first 2 shown]
	s_waitcnt vmcnt(23) lgkmcnt(0)
	v_fma_f64 v[103:104], v[113:114], v[107:108], v[103:104]
	s_waitcnt vmcnt(18)
	v_fma_f64 v[113:114], v[115:116], v[109:110], v[103:104]
	ds_read_b128 v[103:106], v102 offset:608
	ds_read_b128 v[107:110], v102 offset:624
	buffer_load_dword v128, off, s[0:3], 0 offset:292
	s_waitcnt vmcnt(18) lgkmcnt(1)
	v_fma_f64 v[103:104], v[121:122], v[103:104], v[113:114]
	s_waitcnt vmcnt(17)
	v_fma_f64 v[103:104], v[119:120], v[105:106], v[103:104]
	buffer_load_dword v114, off, s[0:3], 0 offset:300
	buffer_load_dword v115, off, s[0:3], 0 offset:320
	;; [unrolled: 1-line block ×7, first 2 shown]
	s_waitcnt vmcnt(23) lgkmcnt(0)
	v_fma_f64 v[103:104], v[117:118], v[107:108], v[103:104]
	s_waitcnt vmcnt(18)
	v_fma_f64 v[116:117], v[123:124], v[109:110], v[103:104]
	ds_read_b128 v[103:106], v102 offset:640
	ds_read_b128 v[107:110], v102 offset:656
	s_waitcnt vmcnt(17) lgkmcnt(1)
	v_fma_f64 v[103:104], v[131:132], v[103:104], v[116:117]
	buffer_load_dword v116, off, s[0:3], 0 offset:324
	s_waitcnt vmcnt(17)
	v_fma_f64 v[103:104], v[129:130], v[105:106], v[103:104]
	buffer_load_dword v118, off, s[0:3], 0 offset:332
	buffer_load_dword v123, off, s[0:3], 0 offset:352
	;; [unrolled: 1-line block ×8, first 2 shown]
	s_waitcnt vmcnt(24) lgkmcnt(0)
	v_fma_f64 v[103:104], v[125:126], v[107:108], v[103:104]
	s_waitcnt vmcnt(19)
	v_fma_f64 v[111:112], v[111:112], v[109:110], v[103:104]
	ds_read_b128 v[103:106], v102 offset:672
	ds_read_b128 v[107:110], v102 offset:688
	s_waitcnt vmcnt(18) lgkmcnt(1)
	v_fma_f64 v[103:104], v[135:136], v[103:104], v[111:112]
	s_waitcnt vmcnt(17)
	v_fma_f64 v[103:104], v[133:134], v[105:106], v[103:104]
	buffer_load_dword v112, off, s[0:3], 0 offset:364
	buffer_load_dword v125, off, s[0:3], 0 offset:384
	;; [unrolled: 1-line block ×8, first 2 shown]
	s_waitcnt vmcnt(24) lgkmcnt(0)
	v_fma_f64 v[103:104], v[127:128], v[107:108], v[103:104]
	s_waitcnt vmcnt(19)
	v_fma_f64 v[113:114], v[113:114], v[109:110], v[103:104]
	ds_read_b128 v[103:106], v102 offset:704
	ds_read_b128 v[107:110], v102 offset:720
	s_waitcnt vmcnt(18) lgkmcnt(1)
	v_fma_f64 v[103:104], v[121:122], v[103:104], v[113:114]
	buffer_load_dword v114, off, s[0:3], 0 offset:396
	buffer_load_dword v113, off, s[0:3], 0 offset:392
	s_waitcnt vmcnt(19)
	v_fma_f64 v[103:104], v[119:120], v[105:106], v[103:104]
	buffer_load_dword v119, off, s[0:3], 0 offset:72
	buffer_load_dword v120, off, s[0:3], 0 offset:76
	s_waitcnt vmcnt(20) lgkmcnt(0)
	v_fma_f64 v[103:104], v[115:116], v[107:108], v[103:104]
	s_waitcnt vmcnt(15)
	v_fma_f64 v[115:116], v[117:118], v[109:110], v[103:104]
	ds_read_b128 v[103:106], v102 offset:736
	ds_read_b128 v[107:110], v102 offset:752
	s_waitcnt vmcnt(14) lgkmcnt(1)
	v_fma_f64 v[103:104], v[131:132], v[103:104], v[115:116]
	s_waitcnt vmcnt(13)
	v_fma_f64 v[103:104], v[129:130], v[105:106], v[103:104]
	s_waitcnt vmcnt(12) lgkmcnt(0)
	v_fma_f64 v[103:104], v[123:124], v[107:108], v[103:104]
	s_waitcnt vmcnt(7)
	v_fma_f64 v[111:112], v[111:112], v[109:110], v[103:104]
	ds_read_b128 v[103:106], v102 offset:768
	ds_read_b128 v[107:110], v102 offset:784
	s_waitcnt vmcnt(6) lgkmcnt(1)
	v_fma_f64 v[102:103], v[135:136], v[103:104], v[111:112]
	s_waitcnt vmcnt(5)
	v_fma_f64 v[102:103], v[133:134], v[105:106], v[102:103]
	s_waitcnt vmcnt(4) lgkmcnt(0)
	v_fma_f64 v[102:103], v[125:126], v[107:108], v[102:103]
	s_waitcnt vmcnt(2)
	v_fma_f64 v[102:103], v[113:114], v[109:110], v[102:103]
	s_waitcnt vmcnt(0)
	v_add_f64 v[102:103], v[119:120], -v[102:103]
	buffer_store_dword v103, off, s[0:3], 0 offset:76
	buffer_store_dword v102, off, s[0:3], 0 offset:72
	s_and_saveexec_b64 s[4:5], vcc
	s_cbranch_execz .LBB49_291
; %bb.290:
	buffer_load_dword v102, off, s[0:3], 0 offset:64
	buffer_load_dword v103, off, s[0:3], 0 offset:68
	v_mov_b32_e32 v104, 0
	buffer_store_dword v104, off, s[0:3], 0 offset:64
	buffer_store_dword v104, off, s[0:3], 0 offset:68
	s_waitcnt vmcnt(2)
	ds_write_b64 v101, v[102:103]
.LBB49_291:
	s_or_b64 exec, exec, s[4:5]
	s_waitcnt lgkmcnt(0)
	; wave barrier
	buffer_load_dword v111, off, s[0:3], 0 offset:72
	buffer_load_dword v112, off, s[0:3], 0 offset:76
	buffer_load_dword v113, off, s[0:3], 0 offset:80
	buffer_load_dword v114, off, s[0:3], 0 offset:84
	buffer_load_dword v115, off, s[0:3], 0 offset:88
	buffer_load_dword v116, off, s[0:3], 0 offset:92
	buffer_load_dword v117, off, s[0:3], 0 offset:96
	buffer_load_dword v118, off, s[0:3], 0 offset:100
	buffer_load_dword v119, off, s[0:3], 0 offset:104
	buffer_load_dword v120, off, s[0:3], 0 offset:108
	buffer_load_dword v121, off, s[0:3], 0 offset:112
	buffer_load_dword v122, off, s[0:3], 0 offset:116
	buffer_load_dword v123, off, s[0:3], 0 offset:120
	buffer_load_dword v124, off, s[0:3], 0 offset:124
	buffer_load_dword v126, off, s[0:3], 0 offset:132
	buffer_load_dword v127, off, s[0:3], 0 offset:152
	buffer_load_dword v129, off, s[0:3], 0 offset:144
	buffer_load_dword v131, off, s[0:3], 0 offset:136
	buffer_load_dword v125, off, s[0:3], 0 offset:128
	buffer_load_dword v132, off, s[0:3], 0 offset:140
	buffer_load_dword v130, off, s[0:3], 0 offset:148
	buffer_load_dword v128, off, s[0:3], 0 offset:156
	v_mov_b32_e32 v102, 0
	ds_read2_b64 v[103:106], v102 offset0:59 offset1:60
	ds_read2_b64 v[107:110], v102 offset0:61 offset1:62
	v_cmp_lt_u32_e32 vcc, 7, v0
	s_waitcnt vmcnt(20) lgkmcnt(1)
	v_fma_f64 v[103:104], v[111:112], v[103:104], 0
	s_waitcnt vmcnt(18)
	v_fma_f64 v[103:104], v[113:114], v[105:106], v[103:104]
	buffer_load_dword v112, off, s[0:3], 0 offset:164
	buffer_load_dword v113, off, s[0:3], 0 offset:184
	buffer_load_dword v133, off, s[0:3], 0 offset:176
	buffer_load_dword v135, off, s[0:3], 0 offset:168
	buffer_load_dword v111, off, s[0:3], 0 offset:160
	buffer_load_dword v136, off, s[0:3], 0 offset:172
	buffer_load_dword v134, off, s[0:3], 0 offset:180
	s_waitcnt vmcnt(23) lgkmcnt(0)
	v_fma_f64 v[103:104], v[115:116], v[107:108], v[103:104]
	s_waitcnt vmcnt(21)
	v_fma_f64 v[114:115], v[117:118], v[109:110], v[103:104]
	ds_read2_b64 v[103:106], v102 offset0:63 offset1:64
	ds_read2_b64 v[107:110], v102 offset0:65 offset1:66
	s_waitcnt vmcnt(19) lgkmcnt(1)
	v_fma_f64 v[103:104], v[119:120], v[103:104], v[114:115]
	buffer_load_dword v114, off, s[0:3], 0 offset:188
	s_waitcnt vmcnt(18)
	v_fma_f64 v[103:104], v[121:122], v[105:106], v[103:104]
	buffer_load_dword v116, off, s[0:3], 0 offset:196
	buffer_load_dword v117, off, s[0:3], 0 offset:216
	;; [unrolled: 1-line block ×7, first 2 shown]
	s_waitcnt vmcnt(23) lgkmcnt(0)
	v_fma_f64 v[103:104], v[123:124], v[107:108], v[103:104]
	s_waitcnt vmcnt(18)
	v_fma_f64 v[123:124], v[125:126], v[109:110], v[103:104]
	ds_read2_b64 v[103:106], v102 offset0:67 offset1:68
	ds_read2_b64 v[107:110], v102 offset0:69 offset1:70
	buffer_load_dword v118, off, s[0:3], 0 offset:220
	s_waitcnt vmcnt(18) lgkmcnt(1)
	v_fma_f64 v[103:104], v[131:132], v[103:104], v[123:124]
	s_waitcnt vmcnt(17)
	v_fma_f64 v[103:104], v[129:130], v[105:106], v[103:104]
	buffer_load_dword v124, off, s[0:3], 0 offset:228
	buffer_load_dword v125, off, s[0:3], 0 offset:248
	;; [unrolled: 1-line block ×8, first 2 shown]
	s_waitcnt vmcnt(24) lgkmcnt(0)
	v_fma_f64 v[103:104], v[127:128], v[107:108], v[103:104]
	s_waitcnt vmcnt(19)
	v_fma_f64 v[111:112], v[111:112], v[109:110], v[103:104]
	ds_read2_b64 v[103:106], v102 offset0:71 offset1:72
	ds_read2_b64 v[107:110], v102 offset0:73 offset1:74
	s_waitcnt vmcnt(18) lgkmcnt(1)
	v_fma_f64 v[103:104], v[135:136], v[103:104], v[111:112]
	s_waitcnt vmcnt(17)
	v_fma_f64 v[103:104], v[133:134], v[105:106], v[103:104]
	buffer_load_dword v112, off, s[0:3], 0 offset:260
	buffer_load_dword v127, off, s[0:3], 0 offset:280
	;; [unrolled: 1-line block ×7, first 2 shown]
	s_waitcnt vmcnt(23) lgkmcnt(0)
	v_fma_f64 v[103:104], v[113:114], v[107:108], v[103:104]
	s_waitcnt vmcnt(18)
	v_fma_f64 v[113:114], v[115:116], v[109:110], v[103:104]
	ds_read2_b64 v[103:106], v102 offset0:75 offset1:76
	ds_read2_b64 v[107:110], v102 offset0:77 offset1:78
	buffer_load_dword v128, off, s[0:3], 0 offset:284
	s_waitcnt vmcnt(18) lgkmcnt(1)
	v_fma_f64 v[103:104], v[121:122], v[103:104], v[113:114]
	s_waitcnt vmcnt(17)
	v_fma_f64 v[103:104], v[119:120], v[105:106], v[103:104]
	buffer_load_dword v114, off, s[0:3], 0 offset:292
	buffer_load_dword v115, off, s[0:3], 0 offset:312
	;; [unrolled: 1-line block ×7, first 2 shown]
	s_waitcnt vmcnt(23) lgkmcnt(0)
	v_fma_f64 v[103:104], v[117:118], v[107:108], v[103:104]
	s_waitcnt vmcnt(18)
	v_fma_f64 v[116:117], v[123:124], v[109:110], v[103:104]
	ds_read2_b64 v[103:106], v102 offset0:79 offset1:80
	ds_read2_b64 v[107:110], v102 offset0:81 offset1:82
	s_waitcnt vmcnt(17) lgkmcnt(1)
	v_fma_f64 v[103:104], v[131:132], v[103:104], v[116:117]
	buffer_load_dword v116, off, s[0:3], 0 offset:316
	s_waitcnt vmcnt(17)
	v_fma_f64 v[103:104], v[129:130], v[105:106], v[103:104]
	buffer_load_dword v118, off, s[0:3], 0 offset:324
	buffer_load_dword v123, off, s[0:3], 0 offset:344
	;; [unrolled: 1-line block ×8, first 2 shown]
	s_waitcnt vmcnt(24) lgkmcnt(0)
	v_fma_f64 v[103:104], v[125:126], v[107:108], v[103:104]
	s_waitcnt vmcnt(19)
	v_fma_f64 v[111:112], v[111:112], v[109:110], v[103:104]
	ds_read2_b64 v[103:106], v102 offset0:83 offset1:84
	ds_read2_b64 v[107:110], v102 offset0:85 offset1:86
	s_waitcnt vmcnt(18) lgkmcnt(1)
	v_fma_f64 v[103:104], v[135:136], v[103:104], v[111:112]
	s_waitcnt vmcnt(17)
	v_fma_f64 v[103:104], v[133:134], v[105:106], v[103:104]
	buffer_load_dword v112, off, s[0:3], 0 offset:356
	buffer_load_dword v125, off, s[0:3], 0 offset:376
	;; [unrolled: 1-line block ×7, first 2 shown]
	s_waitcnt vmcnt(23) lgkmcnt(0)
	v_fma_f64 v[103:104], v[127:128], v[107:108], v[103:104]
	s_waitcnt vmcnt(18)
	v_fma_f64 v[113:114], v[113:114], v[109:110], v[103:104]
	ds_read2_b64 v[103:106], v102 offset0:87 offset1:88
	ds_read2_b64 v[107:110], v102 offset0:89 offset1:90
	buffer_load_dword v126, off, s[0:3], 0 offset:380
	s_waitcnt vmcnt(18) lgkmcnt(1)
	v_fma_f64 v[103:104], v[121:122], v[103:104], v[113:114]
	s_waitcnt vmcnt(17)
	v_fma_f64 v[103:104], v[119:120], v[105:106], v[103:104]
	buffer_load_dword v114, off, s[0:3], 0 offset:388
	buffer_load_dword v119, off, s[0:3], 0 offset:392
	;; [unrolled: 1-line block ×4, first 2 shown]
	s_waitcnt vmcnt(20) lgkmcnt(0)
	v_fma_f64 v[103:104], v[115:116], v[107:108], v[103:104]
	buffer_load_dword v115, off, s[0:3], 0 offset:64
	buffer_load_dword v116, off, s[0:3], 0 offset:68
	s_waitcnt vmcnt(17)
	v_fma_f64 v[117:118], v[117:118], v[109:110], v[103:104]
	ds_read2_b64 v[103:106], v102 offset0:91 offset1:92
	ds_read2_b64 v[107:110], v102 offset0:93 offset1:94
	s_waitcnt vmcnt(16) lgkmcnt(1)
	v_fma_f64 v[103:104], v[131:132], v[103:104], v[117:118]
	s_waitcnt vmcnt(15)
	v_fma_f64 v[103:104], v[129:130], v[105:106], v[103:104]
	s_waitcnt vmcnt(14) lgkmcnt(0)
	v_fma_f64 v[103:104], v[123:124], v[107:108], v[103:104]
	s_waitcnt vmcnt(9)
	v_fma_f64 v[111:112], v[111:112], v[109:110], v[103:104]
	ds_read2_b64 v[103:106], v102 offset0:95 offset1:96
	ds_read2_b64 v[107:110], v102 offset0:97 offset1:98
	s_waitcnt vmcnt(8) lgkmcnt(1)
	v_fma_f64 v[103:104], v[135:136], v[103:104], v[111:112]
	s_waitcnt vmcnt(7)
	v_fma_f64 v[103:104], v[133:134], v[105:106], v[103:104]
	ds_read_b64 v[105:106], v102 offset:792
	s_waitcnt vmcnt(6) lgkmcnt(1)
	v_fma_f64 v[103:104], v[125:126], v[107:108], v[103:104]
	s_waitcnt vmcnt(3)
	v_fma_f64 v[103:104], v[113:114], v[109:110], v[103:104]
	s_waitcnt vmcnt(2) lgkmcnt(0)
	v_fma_f64 v[103:104], v[119:120], v[105:106], v[103:104]
	s_waitcnt vmcnt(0)
	v_add_f64 v[103:104], v[115:116], -v[103:104]
	buffer_store_dword v104, off, s[0:3], 0 offset:68
	buffer_store_dword v103, off, s[0:3], 0 offset:64
	s_and_saveexec_b64 s[4:5], vcc
	s_cbranch_execz .LBB49_293
; %bb.292:
	buffer_load_dword v103, off, s[0:3], 0 offset:56
	buffer_load_dword v104, off, s[0:3], 0 offset:60
	s_waitcnt vmcnt(0)
	ds_write_b64 v101, v[103:104]
	buffer_store_dword v102, off, s[0:3], 0 offset:56
	buffer_store_dword v102, off, s[0:3], 0 offset:60
.LBB49_293:
	s_or_b64 exec, exec, s[4:5]
	s_waitcnt lgkmcnt(0)
	; wave barrier
	buffer_load_dword v111, off, s[0:3], 0 offset:64
	buffer_load_dword v112, off, s[0:3], 0 offset:68
	;; [unrolled: 1-line block ×22, first 2 shown]
	ds_read_b128 v[103:106], v102 offset:464
	ds_read_b128 v[107:110], v102 offset:480
	v_cmp_lt_u32_e32 vcc, 6, v0
	s_waitcnt vmcnt(20) lgkmcnt(1)
	v_fma_f64 v[103:104], v[111:112], v[103:104], 0
	s_waitcnt vmcnt(18)
	v_fma_f64 v[103:104], v[113:114], v[105:106], v[103:104]
	buffer_load_dword v112, off, s[0:3], 0 offset:156
	buffer_load_dword v113, off, s[0:3], 0 offset:176
	;; [unrolled: 1-line block ×7, first 2 shown]
	s_waitcnt vmcnt(23) lgkmcnt(0)
	v_fma_f64 v[103:104], v[115:116], v[107:108], v[103:104]
	s_waitcnt vmcnt(21)
	v_fma_f64 v[114:115], v[117:118], v[109:110], v[103:104]
	ds_read_b128 v[103:106], v102 offset:496
	ds_read_b128 v[107:110], v102 offset:512
	s_waitcnt vmcnt(19) lgkmcnt(1)
	v_fma_f64 v[103:104], v[119:120], v[103:104], v[114:115]
	buffer_load_dword v114, off, s[0:3], 0 offset:180
	s_waitcnt vmcnt(18)
	v_fma_f64 v[103:104], v[121:122], v[105:106], v[103:104]
	buffer_load_dword v116, off, s[0:3], 0 offset:188
	buffer_load_dword v117, off, s[0:3], 0 offset:208
	;; [unrolled: 1-line block ×7, first 2 shown]
	s_waitcnt vmcnt(23) lgkmcnt(0)
	v_fma_f64 v[103:104], v[123:124], v[107:108], v[103:104]
	s_waitcnt vmcnt(18)
	v_fma_f64 v[123:124], v[125:126], v[109:110], v[103:104]
	ds_read_b128 v[103:106], v102 offset:528
	ds_read_b128 v[107:110], v102 offset:544
	buffer_load_dword v118, off, s[0:3], 0 offset:212
	s_waitcnt vmcnt(18) lgkmcnt(1)
	v_fma_f64 v[103:104], v[131:132], v[103:104], v[123:124]
	s_waitcnt vmcnt(17)
	v_fma_f64 v[103:104], v[129:130], v[105:106], v[103:104]
	buffer_load_dword v124, off, s[0:3], 0 offset:220
	buffer_load_dword v125, off, s[0:3], 0 offset:240
	;; [unrolled: 1-line block ×8, first 2 shown]
	s_waitcnt vmcnt(24) lgkmcnt(0)
	v_fma_f64 v[103:104], v[127:128], v[107:108], v[103:104]
	s_waitcnt vmcnt(19)
	v_fma_f64 v[111:112], v[111:112], v[109:110], v[103:104]
	ds_read_b128 v[103:106], v102 offset:560
	ds_read_b128 v[107:110], v102 offset:576
	s_waitcnt vmcnt(18) lgkmcnt(1)
	v_fma_f64 v[103:104], v[135:136], v[103:104], v[111:112]
	s_waitcnt vmcnt(17)
	v_fma_f64 v[103:104], v[133:134], v[105:106], v[103:104]
	buffer_load_dword v112, off, s[0:3], 0 offset:252
	buffer_load_dword v127, off, s[0:3], 0 offset:272
	;; [unrolled: 1-line block ×8, first 2 shown]
	s_waitcnt vmcnt(24) lgkmcnt(0)
	v_fma_f64 v[103:104], v[113:114], v[107:108], v[103:104]
	s_waitcnt vmcnt(19)
	v_fma_f64 v[113:114], v[115:116], v[109:110], v[103:104]
	ds_read_b128 v[103:106], v102 offset:592
	ds_read_b128 v[107:110], v102 offset:608
	s_waitcnt vmcnt(18) lgkmcnt(1)
	v_fma_f64 v[103:104], v[121:122], v[103:104], v[113:114]
	s_waitcnt vmcnt(17)
	v_fma_f64 v[103:104], v[119:120], v[105:106], v[103:104]
	buffer_load_dword v114, off, s[0:3], 0 offset:284
	buffer_load_dword v115, off, s[0:3], 0 offset:304
	;; [unrolled: 1-line block ×7, first 2 shown]
	s_waitcnt vmcnt(23) lgkmcnt(0)
	v_fma_f64 v[103:104], v[117:118], v[107:108], v[103:104]
	s_waitcnt vmcnt(18)
	v_fma_f64 v[116:117], v[123:124], v[109:110], v[103:104]
	ds_read_b128 v[103:106], v102 offset:624
	ds_read_b128 v[107:110], v102 offset:640
	s_waitcnt vmcnt(17) lgkmcnt(1)
	v_fma_f64 v[103:104], v[131:132], v[103:104], v[116:117]
	buffer_load_dword v116, off, s[0:3], 0 offset:308
	s_waitcnt vmcnt(17)
	v_fma_f64 v[103:104], v[129:130], v[105:106], v[103:104]
	buffer_load_dword v118, off, s[0:3], 0 offset:316
	buffer_load_dword v123, off, s[0:3], 0 offset:336
	;; [unrolled: 1-line block ×8, first 2 shown]
	s_waitcnt vmcnt(24) lgkmcnt(0)
	v_fma_f64 v[103:104], v[125:126], v[107:108], v[103:104]
	s_waitcnt vmcnt(19)
	v_fma_f64 v[111:112], v[111:112], v[109:110], v[103:104]
	ds_read_b128 v[103:106], v102 offset:656
	ds_read_b128 v[107:110], v102 offset:672
	s_waitcnt vmcnt(18) lgkmcnt(1)
	v_fma_f64 v[103:104], v[135:136], v[103:104], v[111:112]
	s_waitcnt vmcnt(17)
	v_fma_f64 v[103:104], v[133:134], v[105:106], v[103:104]
	buffer_load_dword v112, off, s[0:3], 0 offset:348
	buffer_load_dword v125, off, s[0:3], 0 offset:368
	;; [unrolled: 1-line block ×8, first 2 shown]
	s_waitcnt vmcnt(24) lgkmcnt(0)
	v_fma_f64 v[103:104], v[127:128], v[107:108], v[103:104]
	s_waitcnt vmcnt(19)
	v_fma_f64 v[113:114], v[113:114], v[109:110], v[103:104]
	ds_read_b128 v[103:106], v102 offset:688
	ds_read_b128 v[107:110], v102 offset:704
	s_waitcnt vmcnt(18) lgkmcnt(1)
	v_fma_f64 v[103:104], v[121:122], v[103:104], v[113:114]
	s_waitcnt vmcnt(17)
	v_fma_f64 v[103:104], v[119:120], v[105:106], v[103:104]
	buffer_load_dword v114, off, s[0:3], 0 offset:380
	buffer_load_dword v119, off, s[0:3], 0 offset:392
	;; [unrolled: 1-line block ×6, first 2 shown]
	s_waitcnt vmcnt(22) lgkmcnt(0)
	v_fma_f64 v[103:104], v[115:116], v[107:108], v[103:104]
	s_waitcnt vmcnt(17)
	v_fma_f64 v[115:116], v[117:118], v[109:110], v[103:104]
	ds_read_b128 v[103:106], v102 offset:720
	buffer_load_dword v117, off, s[0:3], 0 offset:56
	buffer_load_dword v118, off, s[0:3], 0 offset:60
	ds_read_b128 v[107:110], v102 offset:736
	s_waitcnt vmcnt(18) lgkmcnt(1)
	v_fma_f64 v[103:104], v[131:132], v[103:104], v[115:116]
	s_waitcnt vmcnt(17)
	v_fma_f64 v[103:104], v[129:130], v[105:106], v[103:104]
	s_waitcnt vmcnt(16) lgkmcnt(0)
	v_fma_f64 v[103:104], v[123:124], v[107:108], v[103:104]
	s_waitcnt vmcnt(11)
	v_fma_f64 v[111:112], v[111:112], v[109:110], v[103:104]
	ds_read_b128 v[103:106], v102 offset:752
	ds_read_b128 v[107:110], v102 offset:768
	s_waitcnt vmcnt(10) lgkmcnt(1)
	v_fma_f64 v[103:104], v[135:136], v[103:104], v[111:112]
	s_waitcnt vmcnt(9)
	v_fma_f64 v[103:104], v[133:134], v[105:106], v[103:104]
	s_waitcnt vmcnt(8) lgkmcnt(0)
	v_fma_f64 v[103:104], v[125:126], v[107:108], v[103:104]
	s_waitcnt vmcnt(4)
	v_fma_f64 v[106:107], v[113:114], v[109:110], v[103:104]
	ds_read_b128 v[102:105], v102 offset:784
	s_waitcnt vmcnt(3) lgkmcnt(0)
	v_fma_f64 v[102:103], v[121:122], v[102:103], v[106:107]
	s_waitcnt vmcnt(2)
	v_fma_f64 v[102:103], v[119:120], v[104:105], v[102:103]
	s_waitcnt vmcnt(0)
	v_add_f64 v[102:103], v[117:118], -v[102:103]
	buffer_store_dword v103, off, s[0:3], 0 offset:60
	buffer_store_dword v102, off, s[0:3], 0 offset:56
	s_and_saveexec_b64 s[4:5], vcc
	s_cbranch_execz .LBB49_295
; %bb.294:
	buffer_load_dword v102, off, s[0:3], 0 offset:48
	buffer_load_dword v103, off, s[0:3], 0 offset:52
	v_mov_b32_e32 v104, 0
	buffer_store_dword v104, off, s[0:3], 0 offset:48
	buffer_store_dword v104, off, s[0:3], 0 offset:52
	s_waitcnt vmcnt(2)
	ds_write_b64 v101, v[102:103]
.LBB49_295:
	s_or_b64 exec, exec, s[4:5]
	s_waitcnt lgkmcnt(0)
	; wave barrier
	buffer_load_dword v111, off, s[0:3], 0 offset:56
	buffer_load_dword v112, off, s[0:3], 0 offset:60
	;; [unrolled: 1-line block ×22, first 2 shown]
	v_mov_b32_e32 v102, 0
	ds_read2_b64 v[103:106], v102 offset0:57 offset1:58
	ds_read2_b64 v[107:110], v102 offset0:59 offset1:60
	v_cmp_lt_u32_e32 vcc, 5, v0
	s_waitcnt vmcnt(20) lgkmcnt(1)
	v_fma_f64 v[103:104], v[111:112], v[103:104], 0
	s_waitcnt vmcnt(18)
	v_fma_f64 v[103:104], v[113:114], v[105:106], v[103:104]
	buffer_load_dword v112, off, s[0:3], 0 offset:148
	buffer_load_dword v113, off, s[0:3], 0 offset:168
	;; [unrolled: 1-line block ×7, first 2 shown]
	s_waitcnt vmcnt(23) lgkmcnt(0)
	v_fma_f64 v[103:104], v[115:116], v[107:108], v[103:104]
	s_waitcnt vmcnt(21)
	v_fma_f64 v[114:115], v[117:118], v[109:110], v[103:104]
	ds_read2_b64 v[103:106], v102 offset0:61 offset1:62
	ds_read2_b64 v[107:110], v102 offset0:63 offset1:64
	s_waitcnt vmcnt(19) lgkmcnt(1)
	v_fma_f64 v[103:104], v[119:120], v[103:104], v[114:115]
	buffer_load_dword v114, off, s[0:3], 0 offset:172
	s_waitcnt vmcnt(18)
	v_fma_f64 v[103:104], v[121:122], v[105:106], v[103:104]
	buffer_load_dword v116, off, s[0:3], 0 offset:180
	buffer_load_dword v117, off, s[0:3], 0 offset:200
	;; [unrolled: 1-line block ×7, first 2 shown]
	s_waitcnt vmcnt(23) lgkmcnt(0)
	v_fma_f64 v[103:104], v[123:124], v[107:108], v[103:104]
	s_waitcnt vmcnt(18)
	v_fma_f64 v[123:124], v[125:126], v[109:110], v[103:104]
	ds_read2_b64 v[103:106], v102 offset0:65 offset1:66
	ds_read2_b64 v[107:110], v102 offset0:67 offset1:68
	buffer_load_dword v118, off, s[0:3], 0 offset:204
	s_waitcnt vmcnt(18) lgkmcnt(1)
	v_fma_f64 v[103:104], v[131:132], v[103:104], v[123:124]
	s_waitcnt vmcnt(17)
	v_fma_f64 v[103:104], v[129:130], v[105:106], v[103:104]
	buffer_load_dword v124, off, s[0:3], 0 offset:212
	buffer_load_dword v125, off, s[0:3], 0 offset:232
	;; [unrolled: 1-line block ×8, first 2 shown]
	s_waitcnt vmcnt(24) lgkmcnt(0)
	v_fma_f64 v[103:104], v[127:128], v[107:108], v[103:104]
	s_waitcnt vmcnt(19)
	v_fma_f64 v[111:112], v[111:112], v[109:110], v[103:104]
	ds_read2_b64 v[103:106], v102 offset0:69 offset1:70
	ds_read2_b64 v[107:110], v102 offset0:71 offset1:72
	s_waitcnt vmcnt(18) lgkmcnt(1)
	v_fma_f64 v[103:104], v[135:136], v[103:104], v[111:112]
	s_waitcnt vmcnt(17)
	v_fma_f64 v[103:104], v[133:134], v[105:106], v[103:104]
	buffer_load_dword v112, off, s[0:3], 0 offset:244
	buffer_load_dword v127, off, s[0:3], 0 offset:264
	;; [unrolled: 1-line block ×8, first 2 shown]
	s_waitcnt vmcnt(24) lgkmcnt(0)
	v_fma_f64 v[103:104], v[113:114], v[107:108], v[103:104]
	s_waitcnt vmcnt(19)
	v_fma_f64 v[113:114], v[115:116], v[109:110], v[103:104]
	ds_read2_b64 v[103:106], v102 offset0:73 offset1:74
	ds_read2_b64 v[107:110], v102 offset0:75 offset1:76
	s_waitcnt vmcnt(18) lgkmcnt(1)
	v_fma_f64 v[103:104], v[121:122], v[103:104], v[113:114]
	s_waitcnt vmcnt(17)
	v_fma_f64 v[103:104], v[119:120], v[105:106], v[103:104]
	buffer_load_dword v114, off, s[0:3], 0 offset:276
	buffer_load_dword v115, off, s[0:3], 0 offset:296
	;; [unrolled: 1-line block ×7, first 2 shown]
	s_waitcnt vmcnt(23) lgkmcnt(0)
	v_fma_f64 v[103:104], v[117:118], v[107:108], v[103:104]
	s_waitcnt vmcnt(18)
	v_fma_f64 v[116:117], v[123:124], v[109:110], v[103:104]
	ds_read2_b64 v[103:106], v102 offset0:77 offset1:78
	ds_read2_b64 v[107:110], v102 offset0:79 offset1:80
	s_waitcnt vmcnt(17) lgkmcnt(1)
	v_fma_f64 v[103:104], v[131:132], v[103:104], v[116:117]
	buffer_load_dword v116, off, s[0:3], 0 offset:300
	s_waitcnt vmcnt(17)
	v_fma_f64 v[103:104], v[129:130], v[105:106], v[103:104]
	buffer_load_dword v118, off, s[0:3], 0 offset:308
	buffer_load_dword v123, off, s[0:3], 0 offset:328
	buffer_load_dword v129, off, s[0:3], 0 offset:320
	buffer_load_dword v131, off, s[0:3], 0 offset:312
	buffer_load_dword v117, off, s[0:3], 0 offset:304
	buffer_load_dword v132, off, s[0:3], 0 offset:316
	buffer_load_dword v130, off, s[0:3], 0 offset:324
	buffer_load_dword v124, off, s[0:3], 0 offset:332
	s_waitcnt vmcnt(24) lgkmcnt(0)
	v_fma_f64 v[103:104], v[125:126], v[107:108], v[103:104]
	s_waitcnt vmcnt(19)
	v_fma_f64 v[111:112], v[111:112], v[109:110], v[103:104]
	ds_read2_b64 v[103:106], v102 offset0:81 offset1:82
	ds_read2_b64 v[107:110], v102 offset0:83 offset1:84
	s_waitcnt vmcnt(18) lgkmcnt(1)
	v_fma_f64 v[103:104], v[135:136], v[103:104], v[111:112]
	s_waitcnt vmcnt(17)
	v_fma_f64 v[103:104], v[133:134], v[105:106], v[103:104]
	buffer_load_dword v112, off, s[0:3], 0 offset:340
	buffer_load_dword v125, off, s[0:3], 0 offset:360
	buffer_load_dword v133, off, s[0:3], 0 offset:352
	buffer_load_dword v135, off, s[0:3], 0 offset:344
	buffer_load_dword v111, off, s[0:3], 0 offset:336
	buffer_load_dword v136, off, s[0:3], 0 offset:348
	buffer_load_dword v134, off, s[0:3], 0 offset:356
	buffer_load_dword v126, off, s[0:3], 0 offset:364
	s_waitcnt vmcnt(24) lgkmcnt(0)
	v_fma_f64 v[103:104], v[127:128], v[107:108], v[103:104]
	s_waitcnt vmcnt(19)
	v_fma_f64 v[113:114], v[113:114], v[109:110], v[103:104]
	ds_read2_b64 v[103:106], v102 offset0:85 offset1:86
	ds_read2_b64 v[107:110], v102 offset0:87 offset1:88
	s_waitcnt vmcnt(18) lgkmcnt(1)
	v_fma_f64 v[103:104], v[121:122], v[103:104], v[113:114]
	;; [unrolled: 18-line block ×3, first 2 shown]
	buffer_load_dword v115, off, s[0:3], 0 offset:48
	buffer_load_dword v116, off, s[0:3], 0 offset:52
	s_waitcnt vmcnt(19)
	v_fma_f64 v[103:104], v[129:130], v[105:106], v[103:104]
	s_waitcnt vmcnt(18) lgkmcnt(0)
	v_fma_f64 v[103:104], v[123:124], v[107:108], v[103:104]
	s_waitcnt vmcnt(13)
	v_fma_f64 v[111:112], v[111:112], v[109:110], v[103:104]
	ds_read2_b64 v[103:106], v102 offset0:93 offset1:94
	ds_read2_b64 v[107:110], v102 offset0:95 offset1:96
	s_waitcnt vmcnt(12) lgkmcnt(1)
	v_fma_f64 v[103:104], v[135:136], v[103:104], v[111:112]
	s_waitcnt vmcnt(11)
	v_fma_f64 v[103:104], v[133:134], v[105:106], v[103:104]
	s_waitcnt vmcnt(10) lgkmcnt(0)
	v_fma_f64 v[103:104], v[125:126], v[107:108], v[103:104]
	s_waitcnt vmcnt(5)
	v_fma_f64 v[107:108], v[113:114], v[109:110], v[103:104]
	ds_read2_b64 v[103:106], v102 offset0:97 offset1:98
	ds_read_b64 v[109:110], v102 offset:792
	s_waitcnt vmcnt(4) lgkmcnt(1)
	v_fma_f64 v[103:104], v[127:128], v[103:104], v[107:108]
	s_waitcnt vmcnt(3)
	v_fma_f64 v[103:104], v[121:122], v[105:106], v[103:104]
	s_waitcnt vmcnt(2) lgkmcnt(0)
	v_fma_f64 v[103:104], v[119:120], v[109:110], v[103:104]
	s_waitcnt vmcnt(0)
	v_add_f64 v[103:104], v[115:116], -v[103:104]
	buffer_store_dword v104, off, s[0:3], 0 offset:52
	buffer_store_dword v103, off, s[0:3], 0 offset:48
	s_and_saveexec_b64 s[4:5], vcc
	s_cbranch_execz .LBB49_297
; %bb.296:
	buffer_load_dword v103, off, s[0:3], 0 offset:40
	buffer_load_dword v104, off, s[0:3], 0 offset:44
	s_waitcnt vmcnt(0)
	ds_write_b64 v101, v[103:104]
	buffer_store_dword v102, off, s[0:3], 0 offset:40
	buffer_store_dword v102, off, s[0:3], 0 offset:44
.LBB49_297:
	s_or_b64 exec, exec, s[4:5]
	s_waitcnt lgkmcnt(0)
	; wave barrier
	buffer_load_dword v111, off, s[0:3], 0 offset:48
	buffer_load_dword v112, off, s[0:3], 0 offset:52
	;; [unrolled: 1-line block ×22, first 2 shown]
	ds_read_b128 v[103:106], v102 offset:448
	ds_read_b128 v[107:110], v102 offset:464
	v_cmp_lt_u32_e32 vcc, 4, v0
	s_waitcnt vmcnt(20) lgkmcnt(1)
	v_fma_f64 v[103:104], v[111:112], v[103:104], 0
	s_waitcnt vmcnt(18)
	v_fma_f64 v[103:104], v[113:114], v[105:106], v[103:104]
	buffer_load_dword v112, off, s[0:3], 0 offset:140
	buffer_load_dword v113, off, s[0:3], 0 offset:160
	;; [unrolled: 1-line block ×7, first 2 shown]
	s_waitcnt vmcnt(23) lgkmcnt(0)
	v_fma_f64 v[103:104], v[115:116], v[107:108], v[103:104]
	s_waitcnt vmcnt(21)
	v_fma_f64 v[114:115], v[117:118], v[109:110], v[103:104]
	ds_read_b128 v[103:106], v102 offset:480
	ds_read_b128 v[107:110], v102 offset:496
	s_waitcnt vmcnt(19) lgkmcnt(1)
	v_fma_f64 v[103:104], v[119:120], v[103:104], v[114:115]
	buffer_load_dword v114, off, s[0:3], 0 offset:164
	s_waitcnt vmcnt(18)
	v_fma_f64 v[103:104], v[121:122], v[105:106], v[103:104]
	buffer_load_dword v116, off, s[0:3], 0 offset:172
	buffer_load_dword v117, off, s[0:3], 0 offset:192
	;; [unrolled: 1-line block ×7, first 2 shown]
	s_waitcnt vmcnt(23) lgkmcnt(0)
	v_fma_f64 v[103:104], v[123:124], v[107:108], v[103:104]
	s_waitcnt vmcnt(18)
	v_fma_f64 v[123:124], v[125:126], v[109:110], v[103:104]
	ds_read_b128 v[103:106], v102 offset:512
	ds_read_b128 v[107:110], v102 offset:528
	buffer_load_dword v118, off, s[0:3], 0 offset:196
	s_waitcnt vmcnt(18) lgkmcnt(1)
	v_fma_f64 v[103:104], v[131:132], v[103:104], v[123:124]
	s_waitcnt vmcnt(17)
	v_fma_f64 v[103:104], v[129:130], v[105:106], v[103:104]
	buffer_load_dword v124, off, s[0:3], 0 offset:204
	buffer_load_dword v125, off, s[0:3], 0 offset:224
	;; [unrolled: 1-line block ×8, first 2 shown]
	s_waitcnt vmcnt(24) lgkmcnt(0)
	v_fma_f64 v[103:104], v[127:128], v[107:108], v[103:104]
	s_waitcnt vmcnt(19)
	v_fma_f64 v[111:112], v[111:112], v[109:110], v[103:104]
	ds_read_b128 v[103:106], v102 offset:544
	ds_read_b128 v[107:110], v102 offset:560
	s_waitcnt vmcnt(18) lgkmcnt(1)
	v_fma_f64 v[103:104], v[135:136], v[103:104], v[111:112]
	s_waitcnt vmcnt(17)
	v_fma_f64 v[103:104], v[133:134], v[105:106], v[103:104]
	buffer_load_dword v112, off, s[0:3], 0 offset:236
	buffer_load_dword v127, off, s[0:3], 0 offset:256
	;; [unrolled: 1-line block ×8, first 2 shown]
	s_waitcnt vmcnt(24) lgkmcnt(0)
	v_fma_f64 v[103:104], v[113:114], v[107:108], v[103:104]
	s_waitcnt vmcnt(19)
	v_fma_f64 v[113:114], v[115:116], v[109:110], v[103:104]
	ds_read_b128 v[103:106], v102 offset:576
	ds_read_b128 v[107:110], v102 offset:592
	s_waitcnt vmcnt(18) lgkmcnt(1)
	v_fma_f64 v[103:104], v[121:122], v[103:104], v[113:114]
	s_waitcnt vmcnt(17)
	v_fma_f64 v[103:104], v[119:120], v[105:106], v[103:104]
	buffer_load_dword v114, off, s[0:3], 0 offset:268
	buffer_load_dword v115, off, s[0:3], 0 offset:288
	;; [unrolled: 1-line block ×7, first 2 shown]
	s_waitcnt vmcnt(23) lgkmcnt(0)
	v_fma_f64 v[103:104], v[117:118], v[107:108], v[103:104]
	s_waitcnt vmcnt(18)
	v_fma_f64 v[116:117], v[123:124], v[109:110], v[103:104]
	ds_read_b128 v[103:106], v102 offset:608
	ds_read_b128 v[107:110], v102 offset:624
	s_waitcnt vmcnt(17) lgkmcnt(1)
	v_fma_f64 v[103:104], v[131:132], v[103:104], v[116:117]
	buffer_load_dword v116, off, s[0:3], 0 offset:292
	s_waitcnt vmcnt(17)
	v_fma_f64 v[103:104], v[129:130], v[105:106], v[103:104]
	buffer_load_dword v118, off, s[0:3], 0 offset:300
	buffer_load_dword v123, off, s[0:3], 0 offset:320
	buffer_load_dword v129, off, s[0:3], 0 offset:312
	buffer_load_dword v131, off, s[0:3], 0 offset:304
	buffer_load_dword v117, off, s[0:3], 0 offset:296
	buffer_load_dword v132, off, s[0:3], 0 offset:308
	buffer_load_dword v130, off, s[0:3], 0 offset:316
	buffer_load_dword v124, off, s[0:3], 0 offset:324
	s_waitcnt vmcnt(24) lgkmcnt(0)
	v_fma_f64 v[103:104], v[125:126], v[107:108], v[103:104]
	s_waitcnt vmcnt(19)
	v_fma_f64 v[111:112], v[111:112], v[109:110], v[103:104]
	ds_read_b128 v[103:106], v102 offset:640
	ds_read_b128 v[107:110], v102 offset:656
	s_waitcnt vmcnt(18) lgkmcnt(1)
	v_fma_f64 v[103:104], v[135:136], v[103:104], v[111:112]
	s_waitcnt vmcnt(17)
	v_fma_f64 v[103:104], v[133:134], v[105:106], v[103:104]
	buffer_load_dword v112, off, s[0:3], 0 offset:332
	buffer_load_dword v125, off, s[0:3], 0 offset:352
	buffer_load_dword v133, off, s[0:3], 0 offset:344
	buffer_load_dword v135, off, s[0:3], 0 offset:336
	buffer_load_dword v111, off, s[0:3], 0 offset:328
	buffer_load_dword v136, off, s[0:3], 0 offset:340
	buffer_load_dword v134, off, s[0:3], 0 offset:348
	buffer_load_dword v126, off, s[0:3], 0 offset:356
	s_waitcnt vmcnt(24) lgkmcnt(0)
	v_fma_f64 v[103:104], v[127:128], v[107:108], v[103:104]
	s_waitcnt vmcnt(19)
	v_fma_f64 v[113:114], v[113:114], v[109:110], v[103:104]
	ds_read_b128 v[103:106], v102 offset:672
	ds_read_b128 v[107:110], v102 offset:688
	s_waitcnt vmcnt(18) lgkmcnt(1)
	v_fma_f64 v[103:104], v[121:122], v[103:104], v[113:114]
	s_waitcnt vmcnt(17)
	v_fma_f64 v[103:104], v[119:120], v[105:106], v[103:104]
	buffer_load_dword v114, off, s[0:3], 0 offset:364
	buffer_load_dword v119, off, s[0:3], 0 offset:384
	buffer_load_dword v121, off, s[0:3], 0 offset:376
	buffer_load_dword v127, off, s[0:3], 0 offset:368
	buffer_load_dword v113, off, s[0:3], 0 offset:360
	buffer_load_dword v128, off, s[0:3], 0 offset:372
	buffer_load_dword v122, off, s[0:3], 0 offset:380
	buffer_load_dword v120, off, s[0:3], 0 offset:388
	s_waitcnt vmcnt(24) lgkmcnt(0)
	v_fma_f64 v[103:104], v[115:116], v[107:108], v[103:104]
	s_waitcnt vmcnt(19)
	v_fma_f64 v[115:116], v[117:118], v[109:110], v[103:104]
	ds_read_b128 v[103:106], v102 offset:704
	ds_read_b128 v[107:110], v102 offset:720
	s_waitcnt vmcnt(18) lgkmcnt(1)
	v_fma_f64 v[103:104], v[131:132], v[103:104], v[115:116]
	buffer_load_dword v116, off, s[0:3], 0 offset:396
	buffer_load_dword v115, off, s[0:3], 0 offset:392
	;; [unrolled: 1-line block ×4, first 2 shown]
	s_waitcnt vmcnt(21)
	v_fma_f64 v[103:104], v[129:130], v[105:106], v[103:104]
	s_waitcnt vmcnt(20) lgkmcnt(0)
	v_fma_f64 v[103:104], v[123:124], v[107:108], v[103:104]
	s_waitcnt vmcnt(15)
	v_fma_f64 v[111:112], v[111:112], v[109:110], v[103:104]
	ds_read_b128 v[103:106], v102 offset:736
	ds_read_b128 v[107:110], v102 offset:752
	s_waitcnt vmcnt(14) lgkmcnt(1)
	v_fma_f64 v[103:104], v[135:136], v[103:104], v[111:112]
	s_waitcnt vmcnt(13)
	v_fma_f64 v[103:104], v[133:134], v[105:106], v[103:104]
	s_waitcnt vmcnt(12) lgkmcnt(0)
	v_fma_f64 v[103:104], v[125:126], v[107:108], v[103:104]
	s_waitcnt vmcnt(7)
	v_fma_f64 v[111:112], v[113:114], v[109:110], v[103:104]
	ds_read_b128 v[103:106], v102 offset:768
	ds_read_b128 v[107:110], v102 offset:784
	s_waitcnt vmcnt(6) lgkmcnt(1)
	v_fma_f64 v[102:103], v[127:128], v[103:104], v[111:112]
	s_waitcnt vmcnt(5)
	v_fma_f64 v[102:103], v[121:122], v[105:106], v[102:103]
	s_waitcnt vmcnt(4) lgkmcnt(0)
	v_fma_f64 v[102:103], v[119:120], v[107:108], v[102:103]
	s_waitcnt vmcnt(2)
	v_fma_f64 v[102:103], v[115:116], v[109:110], v[102:103]
	s_waitcnt vmcnt(0)
	v_add_f64 v[102:103], v[117:118], -v[102:103]
	buffer_store_dword v103, off, s[0:3], 0 offset:44
	buffer_store_dword v102, off, s[0:3], 0 offset:40
	s_and_saveexec_b64 s[4:5], vcc
	s_cbranch_execz .LBB49_299
; %bb.298:
	buffer_load_dword v102, off, s[0:3], 0 offset:32
	buffer_load_dword v103, off, s[0:3], 0 offset:36
	v_mov_b32_e32 v104, 0
	buffer_store_dword v104, off, s[0:3], 0 offset:32
	buffer_store_dword v104, off, s[0:3], 0 offset:36
	s_waitcnt vmcnt(2)
	ds_write_b64 v101, v[102:103]
.LBB49_299:
	s_or_b64 exec, exec, s[4:5]
	s_waitcnt lgkmcnt(0)
	; wave barrier
	buffer_load_dword v111, off, s[0:3], 0 offset:40
	buffer_load_dword v112, off, s[0:3], 0 offset:44
	;; [unrolled: 1-line block ×21, first 2 shown]
	v_mov_b32_e32 v102, 0
	ds_read2_b64 v[103:106], v102 offset0:55 offset1:56
	ds_read2_b64 v[107:110], v102 offset0:57 offset1:58
	buffer_load_dword v128, off, s[0:3], 0 offset:124
	v_cmp_lt_u32_e32 vcc, 3, v0
	s_waitcnt vmcnt(20) lgkmcnt(1)
	v_fma_f64 v[103:104], v[111:112], v[103:104], 0
	s_waitcnt vmcnt(18)
	v_fma_f64 v[103:104], v[113:114], v[105:106], v[103:104]
	buffer_load_dword v112, off, s[0:3], 0 offset:132
	buffer_load_dword v113, off, s[0:3], 0 offset:152
	;; [unrolled: 1-line block ×7, first 2 shown]
	s_waitcnt vmcnt(23) lgkmcnt(0)
	v_fma_f64 v[103:104], v[115:116], v[107:108], v[103:104]
	s_waitcnt vmcnt(21)
	v_fma_f64 v[114:115], v[117:118], v[109:110], v[103:104]
	ds_read2_b64 v[103:106], v102 offset0:59 offset1:60
	ds_read2_b64 v[107:110], v102 offset0:61 offset1:62
	s_waitcnt vmcnt(19) lgkmcnt(1)
	v_fma_f64 v[103:104], v[119:120], v[103:104], v[114:115]
	buffer_load_dword v114, off, s[0:3], 0 offset:156
	s_waitcnt vmcnt(18)
	v_fma_f64 v[103:104], v[121:122], v[105:106], v[103:104]
	buffer_load_dword v116, off, s[0:3], 0 offset:164
	buffer_load_dword v117, off, s[0:3], 0 offset:184
	;; [unrolled: 1-line block ×7, first 2 shown]
	s_waitcnt vmcnt(23) lgkmcnt(0)
	v_fma_f64 v[103:104], v[123:124], v[107:108], v[103:104]
	s_waitcnt vmcnt(18)
	v_fma_f64 v[123:124], v[125:126], v[109:110], v[103:104]
	ds_read2_b64 v[103:106], v102 offset0:63 offset1:64
	ds_read2_b64 v[107:110], v102 offset0:65 offset1:66
	buffer_load_dword v118, off, s[0:3], 0 offset:188
	s_waitcnt vmcnt(18) lgkmcnt(1)
	v_fma_f64 v[103:104], v[131:132], v[103:104], v[123:124]
	s_waitcnt vmcnt(17)
	v_fma_f64 v[103:104], v[129:130], v[105:106], v[103:104]
	buffer_load_dword v124, off, s[0:3], 0 offset:196
	buffer_load_dword v125, off, s[0:3], 0 offset:216
	;; [unrolled: 1-line block ×7, first 2 shown]
	s_waitcnt vmcnt(23) lgkmcnt(0)
	v_fma_f64 v[103:104], v[127:128], v[107:108], v[103:104]
	s_waitcnt vmcnt(18)
	v_fma_f64 v[111:112], v[111:112], v[109:110], v[103:104]
	ds_read2_b64 v[103:106], v102 offset0:67 offset1:68
	ds_read2_b64 v[107:110], v102 offset0:69 offset1:70
	buffer_load_dword v126, off, s[0:3], 0 offset:220
	s_waitcnt vmcnt(18) lgkmcnt(1)
	v_fma_f64 v[103:104], v[135:136], v[103:104], v[111:112]
	s_waitcnt vmcnt(17)
	v_fma_f64 v[103:104], v[133:134], v[105:106], v[103:104]
	buffer_load_dword v112, off, s[0:3], 0 offset:228
	buffer_load_dword v127, off, s[0:3], 0 offset:248
	;; [unrolled: 1-line block ×8, first 2 shown]
	s_waitcnt vmcnt(24) lgkmcnt(0)
	v_fma_f64 v[103:104], v[113:114], v[107:108], v[103:104]
	s_waitcnt vmcnt(19)
	v_fma_f64 v[113:114], v[115:116], v[109:110], v[103:104]
	ds_read2_b64 v[103:106], v102 offset0:71 offset1:72
	ds_read2_b64 v[107:110], v102 offset0:73 offset1:74
	s_waitcnt vmcnt(18) lgkmcnt(1)
	v_fma_f64 v[103:104], v[121:122], v[103:104], v[113:114]
	s_waitcnt vmcnt(17)
	v_fma_f64 v[103:104], v[119:120], v[105:106], v[103:104]
	buffer_load_dword v114, off, s[0:3], 0 offset:260
	buffer_load_dword v115, off, s[0:3], 0 offset:280
	;; [unrolled: 1-line block ×7, first 2 shown]
	s_waitcnt vmcnt(23) lgkmcnt(0)
	v_fma_f64 v[103:104], v[117:118], v[107:108], v[103:104]
	s_waitcnt vmcnt(18)
	v_fma_f64 v[116:117], v[123:124], v[109:110], v[103:104]
	ds_read2_b64 v[103:106], v102 offset0:75 offset1:76
	ds_read2_b64 v[107:110], v102 offset0:77 offset1:78
	s_waitcnt vmcnt(17) lgkmcnt(1)
	v_fma_f64 v[103:104], v[131:132], v[103:104], v[116:117]
	buffer_load_dword v116, off, s[0:3], 0 offset:284
	s_waitcnt vmcnt(17)
	v_fma_f64 v[103:104], v[129:130], v[105:106], v[103:104]
	buffer_load_dword v118, off, s[0:3], 0 offset:292
	buffer_load_dword v123, off, s[0:3], 0 offset:312
	;; [unrolled: 1-line block ×7, first 2 shown]
	s_waitcnt vmcnt(23) lgkmcnt(0)
	v_fma_f64 v[103:104], v[125:126], v[107:108], v[103:104]
	s_waitcnt vmcnt(18)
	v_fma_f64 v[111:112], v[111:112], v[109:110], v[103:104]
	ds_read2_b64 v[103:106], v102 offset0:79 offset1:80
	ds_read2_b64 v[107:110], v102 offset0:81 offset1:82
	buffer_load_dword v124, off, s[0:3], 0 offset:316
	s_waitcnt vmcnt(18) lgkmcnt(1)
	v_fma_f64 v[103:104], v[135:136], v[103:104], v[111:112]
	s_waitcnt vmcnt(17)
	v_fma_f64 v[103:104], v[133:134], v[105:106], v[103:104]
	buffer_load_dword v112, off, s[0:3], 0 offset:324
	buffer_load_dword v125, off, s[0:3], 0 offset:344
	buffer_load_dword v133, off, s[0:3], 0 offset:336
	buffer_load_dword v135, off, s[0:3], 0 offset:328
	buffer_load_dword v111, off, s[0:3], 0 offset:320
	buffer_load_dword v136, off, s[0:3], 0 offset:332
	buffer_load_dword v134, off, s[0:3], 0 offset:340
	buffer_load_dword v126, off, s[0:3], 0 offset:348
	s_waitcnt vmcnt(24) lgkmcnt(0)
	v_fma_f64 v[103:104], v[127:128], v[107:108], v[103:104]
	s_waitcnt vmcnt(19)
	v_fma_f64 v[113:114], v[113:114], v[109:110], v[103:104]
	ds_read2_b64 v[103:106], v102 offset0:83 offset1:84
	ds_read2_b64 v[107:110], v102 offset0:85 offset1:86
	s_waitcnt vmcnt(18) lgkmcnt(1)
	v_fma_f64 v[103:104], v[121:122], v[103:104], v[113:114]
	s_waitcnt vmcnt(17)
	v_fma_f64 v[103:104], v[119:120], v[105:106], v[103:104]
	buffer_load_dword v114, off, s[0:3], 0 offset:356
	buffer_load_dword v119, off, s[0:3], 0 offset:376
	;; [unrolled: 1-line block ×7, first 2 shown]
	s_waitcnt vmcnt(23) lgkmcnt(0)
	v_fma_f64 v[103:104], v[115:116], v[107:108], v[103:104]
	s_waitcnt vmcnt(18)
	v_fma_f64 v[115:116], v[117:118], v[109:110], v[103:104]
	ds_read2_b64 v[103:106], v102 offset0:87 offset1:88
	ds_read2_b64 v[107:110], v102 offset0:89 offset1:90
	buffer_load_dword v120, off, s[0:3], 0 offset:380
	s_waitcnt vmcnt(18) lgkmcnt(1)
	v_fma_f64 v[103:104], v[131:132], v[103:104], v[115:116]
	buffer_load_dword v116, off, s[0:3], 0 offset:388
	buffer_load_dword v117, off, s[0:3], 0 offset:392
	;; [unrolled: 1-line block ×4, first 2 shown]
	s_waitcnt vmcnt(21)
	v_fma_f64 v[103:104], v[129:130], v[105:106], v[103:104]
	s_waitcnt vmcnt(20) lgkmcnt(0)
	v_fma_f64 v[103:104], v[123:124], v[107:108], v[103:104]
	buffer_load_dword v123, off, s[0:3], 0 offset:32
	buffer_load_dword v124, off, s[0:3], 0 offset:36
	s_waitcnt vmcnt(17)
	v_fma_f64 v[111:112], v[111:112], v[109:110], v[103:104]
	ds_read2_b64 v[103:106], v102 offset0:91 offset1:92
	ds_read2_b64 v[107:110], v102 offset0:93 offset1:94
	s_waitcnt vmcnt(16) lgkmcnt(1)
	v_fma_f64 v[103:104], v[135:136], v[103:104], v[111:112]
	s_waitcnt vmcnt(15)
	v_fma_f64 v[103:104], v[133:134], v[105:106], v[103:104]
	s_waitcnt vmcnt(14) lgkmcnt(0)
	v_fma_f64 v[103:104], v[125:126], v[107:108], v[103:104]
	s_waitcnt vmcnt(9)
	v_fma_f64 v[111:112], v[113:114], v[109:110], v[103:104]
	ds_read2_b64 v[103:106], v102 offset0:95 offset1:96
	ds_read2_b64 v[107:110], v102 offset0:97 offset1:98
	s_waitcnt vmcnt(8) lgkmcnt(1)
	v_fma_f64 v[103:104], v[127:128], v[103:104], v[111:112]
	s_waitcnt vmcnt(7)
	v_fma_f64 v[103:104], v[121:122], v[105:106], v[103:104]
	ds_read_b64 v[105:106], v102 offset:792
	s_waitcnt vmcnt(6) lgkmcnt(1)
	v_fma_f64 v[103:104], v[119:120], v[107:108], v[103:104]
	s_waitcnt vmcnt(3)
	v_fma_f64 v[103:104], v[115:116], v[109:110], v[103:104]
	s_waitcnt vmcnt(2) lgkmcnt(0)
	v_fma_f64 v[103:104], v[117:118], v[105:106], v[103:104]
	s_waitcnt vmcnt(0)
	v_add_f64 v[103:104], v[123:124], -v[103:104]
	buffer_store_dword v104, off, s[0:3], 0 offset:36
	buffer_store_dword v103, off, s[0:3], 0 offset:32
	s_and_saveexec_b64 s[4:5], vcc
	s_cbranch_execz .LBB49_301
; %bb.300:
	buffer_load_dword v103, off, s[0:3], 0 offset:24
	buffer_load_dword v104, off, s[0:3], 0 offset:28
	s_waitcnt vmcnt(0)
	ds_write_b64 v101, v[103:104]
	buffer_store_dword v102, off, s[0:3], 0 offset:24
	buffer_store_dword v102, off, s[0:3], 0 offset:28
.LBB49_301:
	s_or_b64 exec, exec, s[4:5]
	s_waitcnt lgkmcnt(0)
	; wave barrier
	buffer_load_dword v111, off, s[0:3], 0 offset:32
	buffer_load_dword v112, off, s[0:3], 0 offset:36
	buffer_load_dword v113, off, s[0:3], 0 offset:40
	buffer_load_dword v114, off, s[0:3], 0 offset:44
	buffer_load_dword v115, off, s[0:3], 0 offset:48
	buffer_load_dword v116, off, s[0:3], 0 offset:52
	buffer_load_dword v117, off, s[0:3], 0 offset:56
	buffer_load_dword v118, off, s[0:3], 0 offset:60
	buffer_load_dword v119, off, s[0:3], 0 offset:64
	buffer_load_dword v120, off, s[0:3], 0 offset:68
	buffer_load_dword v121, off, s[0:3], 0 offset:72
	buffer_load_dword v122, off, s[0:3], 0 offset:76
	buffer_load_dword v123, off, s[0:3], 0 offset:80
	buffer_load_dword v124, off, s[0:3], 0 offset:84
	buffer_load_dword v126, off, s[0:3], 0 offset:92
	buffer_load_dword v127, off, s[0:3], 0 offset:112
	buffer_load_dword v129, off, s[0:3], 0 offset:104
	buffer_load_dword v131, off, s[0:3], 0 offset:96
	buffer_load_dword v125, off, s[0:3], 0 offset:88
	buffer_load_dword v132, off, s[0:3], 0 offset:100
	buffer_load_dword v130, off, s[0:3], 0 offset:108
	ds_read_b128 v[103:106], v102 offset:432
	ds_read_b128 v[107:110], v102 offset:448
	buffer_load_dword v128, off, s[0:3], 0 offset:116
	v_cmp_lt_u32_e32 vcc, 2, v0
	s_waitcnt vmcnt(20) lgkmcnt(1)
	v_fma_f64 v[103:104], v[111:112], v[103:104], 0
	s_waitcnt vmcnt(18)
	v_fma_f64 v[103:104], v[113:114], v[105:106], v[103:104]
	buffer_load_dword v112, off, s[0:3], 0 offset:124
	buffer_load_dword v113, off, s[0:3], 0 offset:144
	;; [unrolled: 1-line block ×7, first 2 shown]
	s_waitcnt vmcnt(23) lgkmcnt(0)
	v_fma_f64 v[103:104], v[115:116], v[107:108], v[103:104]
	s_waitcnt vmcnt(21)
	v_fma_f64 v[114:115], v[117:118], v[109:110], v[103:104]
	ds_read_b128 v[103:106], v102 offset:464
	ds_read_b128 v[107:110], v102 offset:480
	s_waitcnt vmcnt(19) lgkmcnt(1)
	v_fma_f64 v[103:104], v[119:120], v[103:104], v[114:115]
	buffer_load_dword v114, off, s[0:3], 0 offset:148
	s_waitcnt vmcnt(18)
	v_fma_f64 v[103:104], v[121:122], v[105:106], v[103:104]
	buffer_load_dword v116, off, s[0:3], 0 offset:156
	buffer_load_dword v117, off, s[0:3], 0 offset:176
	;; [unrolled: 1-line block ×8, first 2 shown]
	s_waitcnt vmcnt(24) lgkmcnt(0)
	v_fma_f64 v[103:104], v[123:124], v[107:108], v[103:104]
	s_waitcnt vmcnt(19)
	v_fma_f64 v[123:124], v[125:126], v[109:110], v[103:104]
	ds_read_b128 v[103:106], v102 offset:496
	ds_read_b128 v[107:110], v102 offset:512
	s_waitcnt vmcnt(18) lgkmcnt(1)
	v_fma_f64 v[103:104], v[131:132], v[103:104], v[123:124]
	s_waitcnt vmcnt(17)
	v_fma_f64 v[103:104], v[129:130], v[105:106], v[103:104]
	buffer_load_dword v124, off, s[0:3], 0 offset:188
	buffer_load_dword v125, off, s[0:3], 0 offset:208
	;; [unrolled: 1-line block ×7, first 2 shown]
	s_waitcnt vmcnt(23) lgkmcnt(0)
	v_fma_f64 v[103:104], v[127:128], v[107:108], v[103:104]
	s_waitcnt vmcnt(18)
	v_fma_f64 v[111:112], v[111:112], v[109:110], v[103:104]
	ds_read_b128 v[103:106], v102 offset:528
	ds_read_b128 v[107:110], v102 offset:544
	buffer_load_dword v126, off, s[0:3], 0 offset:212
	s_waitcnt vmcnt(18) lgkmcnt(1)
	v_fma_f64 v[103:104], v[135:136], v[103:104], v[111:112]
	s_waitcnt vmcnt(17)
	v_fma_f64 v[103:104], v[133:134], v[105:106], v[103:104]
	buffer_load_dword v112, off, s[0:3], 0 offset:220
	buffer_load_dword v127, off, s[0:3], 0 offset:240
	;; [unrolled: 1-line block ×8, first 2 shown]
	s_waitcnt vmcnt(24) lgkmcnt(0)
	v_fma_f64 v[103:104], v[113:114], v[107:108], v[103:104]
	s_waitcnt vmcnt(19)
	v_fma_f64 v[113:114], v[115:116], v[109:110], v[103:104]
	ds_read_b128 v[103:106], v102 offset:560
	ds_read_b128 v[107:110], v102 offset:576
	s_waitcnt vmcnt(18) lgkmcnt(1)
	v_fma_f64 v[103:104], v[121:122], v[103:104], v[113:114]
	s_waitcnt vmcnt(17)
	v_fma_f64 v[103:104], v[119:120], v[105:106], v[103:104]
	buffer_load_dword v114, off, s[0:3], 0 offset:252
	buffer_load_dword v115, off, s[0:3], 0 offset:272
	;; [unrolled: 1-line block ×7, first 2 shown]
	s_waitcnt vmcnt(23) lgkmcnt(0)
	v_fma_f64 v[103:104], v[117:118], v[107:108], v[103:104]
	s_waitcnt vmcnt(18)
	v_fma_f64 v[116:117], v[123:124], v[109:110], v[103:104]
	ds_read_b128 v[103:106], v102 offset:592
	ds_read_b128 v[107:110], v102 offset:608
	s_waitcnt vmcnt(17) lgkmcnt(1)
	v_fma_f64 v[103:104], v[131:132], v[103:104], v[116:117]
	buffer_load_dword v116, off, s[0:3], 0 offset:276
	s_waitcnt vmcnt(17)
	v_fma_f64 v[103:104], v[129:130], v[105:106], v[103:104]
	buffer_load_dword v118, off, s[0:3], 0 offset:284
	buffer_load_dword v123, off, s[0:3], 0 offset:304
	;; [unrolled: 1-line block ×7, first 2 shown]
	s_waitcnt vmcnt(23) lgkmcnt(0)
	v_fma_f64 v[103:104], v[125:126], v[107:108], v[103:104]
	s_waitcnt vmcnt(18)
	v_fma_f64 v[111:112], v[111:112], v[109:110], v[103:104]
	ds_read_b128 v[103:106], v102 offset:624
	ds_read_b128 v[107:110], v102 offset:640
	buffer_load_dword v124, off, s[0:3], 0 offset:308
	s_waitcnt vmcnt(18) lgkmcnt(1)
	v_fma_f64 v[103:104], v[135:136], v[103:104], v[111:112]
	s_waitcnt vmcnt(17)
	v_fma_f64 v[103:104], v[133:134], v[105:106], v[103:104]
	buffer_load_dword v112, off, s[0:3], 0 offset:316
	buffer_load_dword v125, off, s[0:3], 0 offset:336
	;; [unrolled: 1-line block ×8, first 2 shown]
	s_waitcnt vmcnt(24) lgkmcnt(0)
	v_fma_f64 v[103:104], v[127:128], v[107:108], v[103:104]
	s_waitcnt vmcnt(19)
	v_fma_f64 v[113:114], v[113:114], v[109:110], v[103:104]
	ds_read_b128 v[103:106], v102 offset:656
	ds_read_b128 v[107:110], v102 offset:672
	s_waitcnt vmcnt(18) lgkmcnt(1)
	v_fma_f64 v[103:104], v[121:122], v[103:104], v[113:114]
	s_waitcnt vmcnt(17)
	v_fma_f64 v[103:104], v[119:120], v[105:106], v[103:104]
	buffer_load_dword v114, off, s[0:3], 0 offset:348
	buffer_load_dword v119, off, s[0:3], 0 offset:368
	;; [unrolled: 1-line block ×8, first 2 shown]
	s_waitcnt vmcnt(24) lgkmcnt(0)
	v_fma_f64 v[103:104], v[115:116], v[107:108], v[103:104]
	s_waitcnt vmcnt(19)
	v_fma_f64 v[115:116], v[117:118], v[109:110], v[103:104]
	ds_read_b128 v[103:106], v102 offset:688
	ds_read_b128 v[107:110], v102 offset:704
	s_waitcnt vmcnt(18) lgkmcnt(1)
	v_fma_f64 v[103:104], v[131:132], v[103:104], v[115:116]
	s_waitcnt vmcnt(17)
	v_fma_f64 v[103:104], v[129:130], v[105:106], v[103:104]
	buffer_load_dword v116, off, s[0:3], 0 offset:380
	buffer_load_dword v117, off, s[0:3], 0 offset:392
	buffer_load_dword v129, off, s[0:3], 0 offset:384
	buffer_load_dword v115, off, s[0:3], 0 offset:376
	buffer_load_dword v130, off, s[0:3], 0 offset:388
	buffer_load_dword v118, off, s[0:3], 0 offset:396
	s_waitcnt vmcnt(22) lgkmcnt(0)
	v_fma_f64 v[103:104], v[123:124], v[107:108], v[103:104]
	s_waitcnt vmcnt(17)
	v_fma_f64 v[111:112], v[111:112], v[109:110], v[103:104]
	ds_read_b128 v[103:106], v102 offset:720
	buffer_load_dword v123, off, s[0:3], 0 offset:24
	buffer_load_dword v124, off, s[0:3], 0 offset:28
	ds_read_b128 v[107:110], v102 offset:736
	s_waitcnt vmcnt(18) lgkmcnt(1)
	v_fma_f64 v[103:104], v[135:136], v[103:104], v[111:112]
	s_waitcnt vmcnt(17)
	v_fma_f64 v[103:104], v[133:134], v[105:106], v[103:104]
	s_waitcnt vmcnt(16) lgkmcnt(0)
	v_fma_f64 v[103:104], v[125:126], v[107:108], v[103:104]
	s_waitcnt vmcnt(11)
	v_fma_f64 v[111:112], v[113:114], v[109:110], v[103:104]
	ds_read_b128 v[103:106], v102 offset:752
	ds_read_b128 v[107:110], v102 offset:768
	s_waitcnt vmcnt(10) lgkmcnt(1)
	v_fma_f64 v[103:104], v[127:128], v[103:104], v[111:112]
	s_waitcnt vmcnt(9)
	v_fma_f64 v[103:104], v[121:122], v[105:106], v[103:104]
	s_waitcnt vmcnt(8) lgkmcnt(0)
	v_fma_f64 v[103:104], v[119:120], v[107:108], v[103:104]
	s_waitcnt vmcnt(4)
	v_fma_f64 v[106:107], v[115:116], v[109:110], v[103:104]
	ds_read_b128 v[102:105], v102 offset:784
	s_waitcnt vmcnt(3) lgkmcnt(0)
	v_fma_f64 v[102:103], v[129:130], v[102:103], v[106:107]
	s_waitcnt vmcnt(2)
	v_fma_f64 v[102:103], v[117:118], v[104:105], v[102:103]
	s_waitcnt vmcnt(0)
	v_add_f64 v[102:103], v[123:124], -v[102:103]
	buffer_store_dword v103, off, s[0:3], 0 offset:28
	buffer_store_dword v102, off, s[0:3], 0 offset:24
	s_and_saveexec_b64 s[4:5], vcc
	s_cbranch_execz .LBB49_303
; %bb.302:
	buffer_load_dword v102, off, s[0:3], 0 offset:16
	buffer_load_dword v103, off, s[0:3], 0 offset:20
	v_mov_b32_e32 v104, 0
	buffer_store_dword v104, off, s[0:3], 0 offset:16
	buffer_store_dword v104, off, s[0:3], 0 offset:20
	s_waitcnt vmcnt(2)
	ds_write_b64 v101, v[102:103]
.LBB49_303:
	s_or_b64 exec, exec, s[4:5]
	s_waitcnt lgkmcnt(0)
	; wave barrier
	buffer_load_dword v111, off, s[0:3], 0 offset:24
	buffer_load_dword v112, off, s[0:3], 0 offset:28
	;; [unrolled: 1-line block ×21, first 2 shown]
	v_mov_b32_e32 v102, 0
	ds_read2_b64 v[103:106], v102 offset0:53 offset1:54
	ds_read2_b64 v[107:110], v102 offset0:55 offset1:56
	buffer_load_dword v128, off, s[0:3], 0 offset:108
	v_cmp_lt_u32_e32 vcc, 1, v0
	s_waitcnt vmcnt(20) lgkmcnt(1)
	v_fma_f64 v[103:104], v[111:112], v[103:104], 0
	s_waitcnt vmcnt(18)
	v_fma_f64 v[103:104], v[113:114], v[105:106], v[103:104]
	buffer_load_dword v112, off, s[0:3], 0 offset:116
	buffer_load_dword v113, off, s[0:3], 0 offset:136
	buffer_load_dword v133, off, s[0:3], 0 offset:128
	buffer_load_dword v135, off, s[0:3], 0 offset:120
	buffer_load_dword v111, off, s[0:3], 0 offset:112
	buffer_load_dword v136, off, s[0:3], 0 offset:124
	buffer_load_dword v134, off, s[0:3], 0 offset:132
	s_waitcnt vmcnt(23) lgkmcnt(0)
	v_fma_f64 v[103:104], v[115:116], v[107:108], v[103:104]
	s_waitcnt vmcnt(21)
	v_fma_f64 v[114:115], v[117:118], v[109:110], v[103:104]
	ds_read2_b64 v[103:106], v102 offset0:57 offset1:58
	ds_read2_b64 v[107:110], v102 offset0:59 offset1:60
	s_waitcnt vmcnt(19) lgkmcnt(1)
	v_fma_f64 v[103:104], v[119:120], v[103:104], v[114:115]
	buffer_load_dword v114, off, s[0:3], 0 offset:140
	s_waitcnt vmcnt(18)
	v_fma_f64 v[103:104], v[121:122], v[105:106], v[103:104]
	buffer_load_dword v116, off, s[0:3], 0 offset:148
	buffer_load_dword v117, off, s[0:3], 0 offset:168
	;; [unrolled: 1-line block ×8, first 2 shown]
	s_waitcnt vmcnt(24) lgkmcnt(0)
	v_fma_f64 v[103:104], v[123:124], v[107:108], v[103:104]
	s_waitcnt vmcnt(19)
	v_fma_f64 v[123:124], v[125:126], v[109:110], v[103:104]
	ds_read2_b64 v[103:106], v102 offset0:61 offset1:62
	ds_read2_b64 v[107:110], v102 offset0:63 offset1:64
	s_waitcnt vmcnt(18) lgkmcnt(1)
	v_fma_f64 v[103:104], v[131:132], v[103:104], v[123:124]
	s_waitcnt vmcnt(17)
	v_fma_f64 v[103:104], v[129:130], v[105:106], v[103:104]
	buffer_load_dword v124, off, s[0:3], 0 offset:180
	buffer_load_dword v125, off, s[0:3], 0 offset:200
	;; [unrolled: 1-line block ×7, first 2 shown]
	s_waitcnt vmcnt(23) lgkmcnt(0)
	v_fma_f64 v[103:104], v[127:128], v[107:108], v[103:104]
	s_waitcnt vmcnt(18)
	v_fma_f64 v[111:112], v[111:112], v[109:110], v[103:104]
	ds_read2_b64 v[103:106], v102 offset0:65 offset1:66
	ds_read2_b64 v[107:110], v102 offset0:67 offset1:68
	buffer_load_dword v126, off, s[0:3], 0 offset:204
	s_waitcnt vmcnt(18) lgkmcnt(1)
	v_fma_f64 v[103:104], v[135:136], v[103:104], v[111:112]
	s_waitcnt vmcnt(17)
	v_fma_f64 v[103:104], v[133:134], v[105:106], v[103:104]
	buffer_load_dword v112, off, s[0:3], 0 offset:212
	buffer_load_dword v127, off, s[0:3], 0 offset:232
	;; [unrolled: 1-line block ×8, first 2 shown]
	s_waitcnt vmcnt(24) lgkmcnt(0)
	v_fma_f64 v[103:104], v[113:114], v[107:108], v[103:104]
	s_waitcnt vmcnt(19)
	v_fma_f64 v[113:114], v[115:116], v[109:110], v[103:104]
	ds_read2_b64 v[103:106], v102 offset0:69 offset1:70
	ds_read2_b64 v[107:110], v102 offset0:71 offset1:72
	s_waitcnt vmcnt(18) lgkmcnt(1)
	v_fma_f64 v[103:104], v[121:122], v[103:104], v[113:114]
	s_waitcnt vmcnt(17)
	v_fma_f64 v[103:104], v[119:120], v[105:106], v[103:104]
	buffer_load_dword v114, off, s[0:3], 0 offset:244
	buffer_load_dword v115, off, s[0:3], 0 offset:264
	;; [unrolled: 1-line block ×7, first 2 shown]
	s_waitcnt vmcnt(23) lgkmcnt(0)
	v_fma_f64 v[103:104], v[117:118], v[107:108], v[103:104]
	s_waitcnt vmcnt(18)
	v_fma_f64 v[116:117], v[123:124], v[109:110], v[103:104]
	ds_read2_b64 v[103:106], v102 offset0:73 offset1:74
	ds_read2_b64 v[107:110], v102 offset0:75 offset1:76
	s_waitcnt vmcnt(17) lgkmcnt(1)
	v_fma_f64 v[103:104], v[131:132], v[103:104], v[116:117]
	buffer_load_dword v116, off, s[0:3], 0 offset:268
	s_waitcnt vmcnt(17)
	v_fma_f64 v[103:104], v[129:130], v[105:106], v[103:104]
	buffer_load_dword v118, off, s[0:3], 0 offset:276
	buffer_load_dword v123, off, s[0:3], 0 offset:296
	;; [unrolled: 1-line block ×7, first 2 shown]
	s_waitcnt vmcnt(23) lgkmcnt(0)
	v_fma_f64 v[103:104], v[125:126], v[107:108], v[103:104]
	s_waitcnt vmcnt(18)
	v_fma_f64 v[111:112], v[111:112], v[109:110], v[103:104]
	ds_read2_b64 v[103:106], v102 offset0:77 offset1:78
	ds_read2_b64 v[107:110], v102 offset0:79 offset1:80
	buffer_load_dword v124, off, s[0:3], 0 offset:300
	s_waitcnt vmcnt(18) lgkmcnt(1)
	v_fma_f64 v[103:104], v[135:136], v[103:104], v[111:112]
	s_waitcnt vmcnt(17)
	v_fma_f64 v[103:104], v[133:134], v[105:106], v[103:104]
	buffer_load_dword v112, off, s[0:3], 0 offset:308
	buffer_load_dword v125, off, s[0:3], 0 offset:328
	buffer_load_dword v133, off, s[0:3], 0 offset:320
	buffer_load_dword v135, off, s[0:3], 0 offset:312
	buffer_load_dword v111, off, s[0:3], 0 offset:304
	buffer_load_dword v136, off, s[0:3], 0 offset:316
	buffer_load_dword v134, off, s[0:3], 0 offset:324
	buffer_load_dword v126, off, s[0:3], 0 offset:332
	s_waitcnt vmcnt(24) lgkmcnt(0)
	v_fma_f64 v[103:104], v[127:128], v[107:108], v[103:104]
	s_waitcnt vmcnt(19)
	v_fma_f64 v[113:114], v[113:114], v[109:110], v[103:104]
	ds_read2_b64 v[103:106], v102 offset0:81 offset1:82
	ds_read2_b64 v[107:110], v102 offset0:83 offset1:84
	s_waitcnt vmcnt(18) lgkmcnt(1)
	v_fma_f64 v[103:104], v[121:122], v[103:104], v[113:114]
	s_waitcnt vmcnt(17)
	v_fma_f64 v[103:104], v[119:120], v[105:106], v[103:104]
	buffer_load_dword v114, off, s[0:3], 0 offset:340
	buffer_load_dword v119, off, s[0:3], 0 offset:360
	buffer_load_dword v121, off, s[0:3], 0 offset:352
	buffer_load_dword v127, off, s[0:3], 0 offset:344
	buffer_load_dword v113, off, s[0:3], 0 offset:336
	buffer_load_dword v128, off, s[0:3], 0 offset:348
	buffer_load_dword v122, off, s[0:3], 0 offset:356
	buffer_load_dword v120, off, s[0:3], 0 offset:364
	s_waitcnt vmcnt(24) lgkmcnt(0)
	v_fma_f64 v[103:104], v[115:116], v[107:108], v[103:104]
	s_waitcnt vmcnt(19)
	v_fma_f64 v[115:116], v[117:118], v[109:110], v[103:104]
	ds_read2_b64 v[103:106], v102 offset0:85 offset1:86
	ds_read2_b64 v[107:110], v102 offset0:87 offset1:88
	;; [unrolled: 18-line block ×3, first 2 shown]
	s_waitcnt vmcnt(18) lgkmcnt(1)
	v_fma_f64 v[103:104], v[135:136], v[103:104], v[111:112]
	buffer_load_dword v111, off, s[0:3], 0 offset:16
	buffer_load_dword v112, off, s[0:3], 0 offset:20
	s_waitcnt vmcnt(19)
	v_fma_f64 v[103:104], v[133:134], v[105:106], v[103:104]
	s_waitcnt vmcnt(18) lgkmcnt(0)
	v_fma_f64 v[103:104], v[125:126], v[107:108], v[103:104]
	s_waitcnt vmcnt(13)
	v_fma_f64 v[113:114], v[113:114], v[109:110], v[103:104]
	ds_read2_b64 v[103:106], v102 offset0:93 offset1:94
	ds_read2_b64 v[107:110], v102 offset0:95 offset1:96
	s_waitcnt vmcnt(12) lgkmcnt(1)
	v_fma_f64 v[103:104], v[127:128], v[103:104], v[113:114]
	s_waitcnt vmcnt(11)
	v_fma_f64 v[103:104], v[121:122], v[105:106], v[103:104]
	s_waitcnt vmcnt(10) lgkmcnt(0)
	v_fma_f64 v[103:104], v[119:120], v[107:108], v[103:104]
	s_waitcnt vmcnt(5)
	v_fma_f64 v[107:108], v[115:116], v[109:110], v[103:104]
	ds_read2_b64 v[103:106], v102 offset0:97 offset1:98
	ds_read_b64 v[109:110], v102 offset:792
	s_waitcnt vmcnt(4) lgkmcnt(1)
	v_fma_f64 v[103:104], v[131:132], v[103:104], v[107:108]
	s_waitcnt vmcnt(3)
	v_fma_f64 v[103:104], v[129:130], v[105:106], v[103:104]
	s_waitcnt vmcnt(2) lgkmcnt(0)
	v_fma_f64 v[103:104], v[117:118], v[109:110], v[103:104]
	s_waitcnt vmcnt(0)
	v_add_f64 v[103:104], v[111:112], -v[103:104]
	buffer_store_dword v104, off, s[0:3], 0 offset:20
	buffer_store_dword v103, off, s[0:3], 0 offset:16
	s_and_saveexec_b64 s[4:5], vcc
	s_cbranch_execz .LBB49_305
; %bb.304:
	buffer_load_dword v103, off, s[0:3], 0 offset:8
	buffer_load_dword v104, off, s[0:3], 0 offset:12
	s_waitcnt vmcnt(0)
	ds_write_b64 v101, v[103:104]
	buffer_store_dword v102, off, s[0:3], 0 offset:8
	buffer_store_dword v102, off, s[0:3], 0 offset:12
.LBB49_305:
	s_or_b64 exec, exec, s[4:5]
	s_waitcnt lgkmcnt(0)
	; wave barrier
	buffer_load_dword v111, off, s[0:3], 0 offset:16
	buffer_load_dword v112, off, s[0:3], 0 offset:20
	;; [unrolled: 1-line block ×21, first 2 shown]
	ds_read_b128 v[103:106], v102 offset:416
	ds_read_b128 v[107:110], v102 offset:432
	buffer_load_dword v128, off, s[0:3], 0 offset:100
	v_cmp_ne_u32_e32 vcc, 0, v0
	s_waitcnt vmcnt(20) lgkmcnt(1)
	v_fma_f64 v[103:104], v[111:112], v[103:104], 0
	s_waitcnt vmcnt(18)
	v_fma_f64 v[103:104], v[113:114], v[105:106], v[103:104]
	buffer_load_dword v112, off, s[0:3], 0 offset:108
	buffer_load_dword v113, off, s[0:3], 0 offset:128
	;; [unrolled: 1-line block ×7, first 2 shown]
	s_waitcnt vmcnt(23) lgkmcnt(0)
	v_fma_f64 v[103:104], v[115:116], v[107:108], v[103:104]
	s_waitcnt vmcnt(21)
	v_fma_f64 v[114:115], v[117:118], v[109:110], v[103:104]
	ds_read_b128 v[103:106], v102 offset:448
	ds_read_b128 v[107:110], v102 offset:464
	s_waitcnt vmcnt(19) lgkmcnt(1)
	v_fma_f64 v[103:104], v[119:120], v[103:104], v[114:115]
	buffer_load_dword v114, off, s[0:3], 0 offset:132
	s_waitcnt vmcnt(18)
	v_fma_f64 v[103:104], v[121:122], v[105:106], v[103:104]
	buffer_load_dword v116, off, s[0:3], 0 offset:140
	buffer_load_dword v117, off, s[0:3], 0 offset:160
	;; [unrolled: 1-line block ×8, first 2 shown]
	s_waitcnt vmcnt(24) lgkmcnt(0)
	v_fma_f64 v[103:104], v[123:124], v[107:108], v[103:104]
	s_waitcnt vmcnt(19)
	v_fma_f64 v[123:124], v[125:126], v[109:110], v[103:104]
	ds_read_b128 v[103:106], v102 offset:480
	ds_read_b128 v[107:110], v102 offset:496
	s_waitcnt vmcnt(18) lgkmcnt(1)
	v_fma_f64 v[103:104], v[131:132], v[103:104], v[123:124]
	s_waitcnt vmcnt(17)
	v_fma_f64 v[103:104], v[129:130], v[105:106], v[103:104]
	buffer_load_dword v124, off, s[0:3], 0 offset:172
	buffer_load_dword v125, off, s[0:3], 0 offset:192
	;; [unrolled: 1-line block ×7, first 2 shown]
	s_waitcnt vmcnt(23) lgkmcnt(0)
	v_fma_f64 v[103:104], v[127:128], v[107:108], v[103:104]
	s_waitcnt vmcnt(18)
	v_fma_f64 v[111:112], v[111:112], v[109:110], v[103:104]
	ds_read_b128 v[103:106], v102 offset:512
	ds_read_b128 v[107:110], v102 offset:528
	buffer_load_dword v126, off, s[0:3], 0 offset:196
	s_waitcnt vmcnt(18) lgkmcnt(1)
	v_fma_f64 v[103:104], v[135:136], v[103:104], v[111:112]
	s_waitcnt vmcnt(17)
	v_fma_f64 v[103:104], v[133:134], v[105:106], v[103:104]
	buffer_load_dword v112, off, s[0:3], 0 offset:204
	buffer_load_dword v127, off, s[0:3], 0 offset:224
	;; [unrolled: 1-line block ×8, first 2 shown]
	s_waitcnt vmcnt(24) lgkmcnt(0)
	v_fma_f64 v[103:104], v[113:114], v[107:108], v[103:104]
	s_waitcnt vmcnt(19)
	v_fma_f64 v[113:114], v[115:116], v[109:110], v[103:104]
	ds_read_b128 v[103:106], v102 offset:544
	ds_read_b128 v[107:110], v102 offset:560
	s_waitcnt vmcnt(18) lgkmcnt(1)
	v_fma_f64 v[103:104], v[121:122], v[103:104], v[113:114]
	s_waitcnt vmcnt(17)
	v_fma_f64 v[103:104], v[119:120], v[105:106], v[103:104]
	buffer_load_dword v114, off, s[0:3], 0 offset:236
	buffer_load_dword v115, off, s[0:3], 0 offset:256
	;; [unrolled: 1-line block ×7, first 2 shown]
	s_waitcnt vmcnt(23) lgkmcnt(0)
	v_fma_f64 v[103:104], v[117:118], v[107:108], v[103:104]
	s_waitcnt vmcnt(18)
	v_fma_f64 v[116:117], v[123:124], v[109:110], v[103:104]
	ds_read_b128 v[103:106], v102 offset:576
	ds_read_b128 v[107:110], v102 offset:592
	s_waitcnt vmcnt(17) lgkmcnt(1)
	v_fma_f64 v[103:104], v[131:132], v[103:104], v[116:117]
	buffer_load_dword v116, off, s[0:3], 0 offset:260
	s_waitcnt vmcnt(17)
	v_fma_f64 v[103:104], v[129:130], v[105:106], v[103:104]
	buffer_load_dword v118, off, s[0:3], 0 offset:268
	buffer_load_dword v123, off, s[0:3], 0 offset:288
	;; [unrolled: 1-line block ×7, first 2 shown]
	s_waitcnt vmcnt(23) lgkmcnt(0)
	v_fma_f64 v[103:104], v[125:126], v[107:108], v[103:104]
	s_waitcnt vmcnt(18)
	v_fma_f64 v[111:112], v[111:112], v[109:110], v[103:104]
	ds_read_b128 v[103:106], v102 offset:608
	ds_read_b128 v[107:110], v102 offset:624
	buffer_load_dword v124, off, s[0:3], 0 offset:292
	s_waitcnt vmcnt(18) lgkmcnt(1)
	v_fma_f64 v[103:104], v[135:136], v[103:104], v[111:112]
	s_waitcnt vmcnt(17)
	v_fma_f64 v[103:104], v[133:134], v[105:106], v[103:104]
	buffer_load_dword v112, off, s[0:3], 0 offset:300
	buffer_load_dword v125, off, s[0:3], 0 offset:320
	buffer_load_dword v133, off, s[0:3], 0 offset:312
	buffer_load_dword v135, off, s[0:3], 0 offset:304
	buffer_load_dword v111, off, s[0:3], 0 offset:296
	buffer_load_dword v136, off, s[0:3], 0 offset:308
	buffer_load_dword v134, off, s[0:3], 0 offset:316
	buffer_load_dword v126, off, s[0:3], 0 offset:324
	s_waitcnt vmcnt(24) lgkmcnt(0)
	v_fma_f64 v[103:104], v[127:128], v[107:108], v[103:104]
	s_waitcnt vmcnt(19)
	v_fma_f64 v[113:114], v[113:114], v[109:110], v[103:104]
	ds_read_b128 v[103:106], v102 offset:640
	ds_read_b128 v[107:110], v102 offset:656
	s_waitcnt vmcnt(18) lgkmcnt(1)
	v_fma_f64 v[103:104], v[121:122], v[103:104], v[113:114]
	s_waitcnt vmcnt(17)
	v_fma_f64 v[103:104], v[119:120], v[105:106], v[103:104]
	buffer_load_dword v114, off, s[0:3], 0 offset:332
	buffer_load_dword v119, off, s[0:3], 0 offset:352
	buffer_load_dword v121, off, s[0:3], 0 offset:344
	buffer_load_dword v127, off, s[0:3], 0 offset:336
	buffer_load_dword v113, off, s[0:3], 0 offset:328
	buffer_load_dword v128, off, s[0:3], 0 offset:340
	buffer_load_dword v122, off, s[0:3], 0 offset:348
	buffer_load_dword v120, off, s[0:3], 0 offset:356
	s_waitcnt vmcnt(24) lgkmcnt(0)
	v_fma_f64 v[103:104], v[115:116], v[107:108], v[103:104]
	s_waitcnt vmcnt(19)
	v_fma_f64 v[115:116], v[117:118], v[109:110], v[103:104]
	ds_read_b128 v[103:106], v102 offset:672
	ds_read_b128 v[107:110], v102 offset:688
	;; [unrolled: 18-line block ×3, first 2 shown]
	s_waitcnt vmcnt(18) lgkmcnt(1)
	v_fma_f64 v[103:104], v[135:136], v[103:104], v[111:112]
	buffer_load_dword v112, off, s[0:3], 0 offset:396
	buffer_load_dword v111, off, s[0:3], 0 offset:392
	;; [unrolled: 1-line block ×4, first 2 shown]
	s_waitcnt vmcnt(21)
	v_fma_f64 v[103:104], v[133:134], v[105:106], v[103:104]
	s_waitcnt vmcnt(20) lgkmcnt(0)
	v_fma_f64 v[103:104], v[125:126], v[107:108], v[103:104]
	s_waitcnt vmcnt(15)
	v_fma_f64 v[113:114], v[113:114], v[109:110], v[103:104]
	ds_read_b128 v[103:106], v102 offset:736
	ds_read_b128 v[107:110], v102 offset:752
	s_waitcnt vmcnt(14) lgkmcnt(1)
	v_fma_f64 v[103:104], v[127:128], v[103:104], v[113:114]
	s_waitcnt vmcnt(13)
	v_fma_f64 v[103:104], v[121:122], v[105:106], v[103:104]
	s_waitcnt vmcnt(12) lgkmcnt(0)
	v_fma_f64 v[103:104], v[119:120], v[107:108], v[103:104]
	s_waitcnt vmcnt(7)
	v_fma_f64 v[113:114], v[115:116], v[109:110], v[103:104]
	ds_read_b128 v[103:106], v102 offset:768
	ds_read_b128 v[107:110], v102 offset:784
	s_waitcnt vmcnt(6) lgkmcnt(1)
	v_fma_f64 v[102:103], v[131:132], v[103:104], v[113:114]
	s_waitcnt vmcnt(5)
	v_fma_f64 v[102:103], v[129:130], v[105:106], v[102:103]
	s_waitcnt vmcnt(4) lgkmcnt(0)
	v_fma_f64 v[102:103], v[117:118], v[107:108], v[102:103]
	s_waitcnt vmcnt(2)
	v_fma_f64 v[102:103], v[111:112], v[109:110], v[102:103]
	s_waitcnt vmcnt(0)
	v_add_f64 v[102:103], v[123:124], -v[102:103]
	buffer_store_dword v103, off, s[0:3], 0 offset:12
	buffer_store_dword v102, off, s[0:3], 0 offset:8
	s_and_saveexec_b64 s[4:5], vcc
	s_cbranch_execz .LBB49_307
; %bb.306:
	buffer_load_dword v102, off, s[0:3], 0
	buffer_load_dword v103, off, s[0:3], 0 offset:4
	v_mov_b32_e32 v0, 0
	buffer_store_dword v0, off, s[0:3], 0
	buffer_store_dword v0, off, s[0:3], 0 offset:4
	s_waitcnt vmcnt(2)
	ds_write_b64 v101, v[102:103]
.LBB49_307:
	s_or_b64 exec, exec, s[4:5]
	s_waitcnt lgkmcnt(0)
	; wave barrier
	buffer_load_dword v109, off, s[0:3], 0 offset:8
	buffer_load_dword v110, off, s[0:3], 0 offset:12
	;; [unrolled: 1-line block ×21, first 2 shown]
	v_mov_b32_e32 v0, 0
	ds_read2_b64 v[101:104], v0 offset0:51 offset1:52
	ds_read2_b64 v[105:108], v0 offset0:53 offset1:54
	buffer_load_dword v126, off, s[0:3], 0 offset:92
	s_and_b64 vcc, exec, s[22:23]
	s_waitcnt vmcnt(20) lgkmcnt(1)
	v_fma_f64 v[101:102], v[109:110], v[101:102], 0
	s_waitcnt vmcnt(18)
	v_fma_f64 v[101:102], v[111:112], v[103:104], v[101:102]
	buffer_load_dword v110, off, s[0:3], 0 offset:100
	buffer_load_dword v111, off, s[0:3], 0 offset:120
	;; [unrolled: 1-line block ×7, first 2 shown]
	s_waitcnt vmcnt(23) lgkmcnt(0)
	v_fma_f64 v[101:102], v[113:114], v[105:106], v[101:102]
	s_waitcnt vmcnt(21)
	v_fma_f64 v[112:113], v[115:116], v[107:108], v[101:102]
	ds_read2_b64 v[101:104], v0 offset0:55 offset1:56
	ds_read2_b64 v[105:108], v0 offset0:57 offset1:58
	s_waitcnt vmcnt(19) lgkmcnt(1)
	v_fma_f64 v[101:102], v[117:118], v[101:102], v[112:113]
	buffer_load_dword v112, off, s[0:3], 0 offset:124
	s_waitcnt vmcnt(18)
	v_fma_f64 v[101:102], v[119:120], v[103:104], v[101:102]
	buffer_load_dword v114, off, s[0:3], 0 offset:132
	buffer_load_dword v115, off, s[0:3], 0 offset:152
	;; [unrolled: 1-line block ×8, first 2 shown]
	s_waitcnt vmcnt(24) lgkmcnt(0)
	v_fma_f64 v[101:102], v[121:122], v[105:106], v[101:102]
	s_waitcnt vmcnt(19)
	v_fma_f64 v[121:122], v[123:124], v[107:108], v[101:102]
	ds_read2_b64 v[101:104], v0 offset0:59 offset1:60
	ds_read2_b64 v[105:108], v0 offset0:61 offset1:62
	s_waitcnt vmcnt(18) lgkmcnt(1)
	v_fma_f64 v[101:102], v[129:130], v[101:102], v[121:122]
	s_waitcnt vmcnt(17)
	v_fma_f64 v[101:102], v[127:128], v[103:104], v[101:102]
	buffer_load_dword v122, off, s[0:3], 0 offset:164
	buffer_load_dword v123, off, s[0:3], 0 offset:184
	;; [unrolled: 1-line block ×7, first 2 shown]
	s_waitcnt vmcnt(23) lgkmcnt(0)
	v_fma_f64 v[101:102], v[125:126], v[105:106], v[101:102]
	s_waitcnt vmcnt(18)
	v_fma_f64 v[109:110], v[109:110], v[107:108], v[101:102]
	ds_read2_b64 v[101:104], v0 offset0:63 offset1:64
	ds_read2_b64 v[105:108], v0 offset0:65 offset1:66
	buffer_load_dword v124, off, s[0:3], 0 offset:188
	s_waitcnt vmcnt(18) lgkmcnt(1)
	v_fma_f64 v[101:102], v[133:134], v[101:102], v[109:110]
	s_waitcnt vmcnt(17)
	v_fma_f64 v[101:102], v[131:132], v[103:104], v[101:102]
	buffer_load_dword v110, off, s[0:3], 0 offset:196
	buffer_load_dword v125, off, s[0:3], 0 offset:216
	;; [unrolled: 1-line block ×7, first 2 shown]
	s_waitcnt vmcnt(23) lgkmcnt(0)
	v_fma_f64 v[101:102], v[111:112], v[105:106], v[101:102]
	s_waitcnt vmcnt(18)
	v_fma_f64 v[111:112], v[113:114], v[107:108], v[101:102]
	ds_read2_b64 v[101:104], v0 offset0:67 offset1:68
	ds_read2_b64 v[105:108], v0 offset0:69 offset1:70
	buffer_load_dword v126, off, s[0:3], 0 offset:220
	s_waitcnt vmcnt(18) lgkmcnt(1)
	v_fma_f64 v[101:102], v[119:120], v[101:102], v[111:112]
	s_waitcnt vmcnt(17)
	v_fma_f64 v[101:102], v[117:118], v[103:104], v[101:102]
	buffer_load_dword v112, off, s[0:3], 0 offset:228
	buffer_load_dword v113, off, s[0:3], 0 offset:248
	;; [unrolled: 1-line block ×7, first 2 shown]
	s_waitcnt vmcnt(23) lgkmcnt(0)
	v_fma_f64 v[101:102], v[115:116], v[105:106], v[101:102]
	s_waitcnt vmcnt(18)
	v_fma_f64 v[114:115], v[121:122], v[107:108], v[101:102]
	ds_read2_b64 v[101:104], v0 offset0:71 offset1:72
	ds_read2_b64 v[105:108], v0 offset0:73 offset1:74
	s_waitcnt vmcnt(17) lgkmcnt(1)
	v_fma_f64 v[101:102], v[129:130], v[101:102], v[114:115]
	buffer_load_dword v114, off, s[0:3], 0 offset:252
	s_waitcnt vmcnt(17)
	v_fma_f64 v[101:102], v[127:128], v[103:104], v[101:102]
	buffer_load_dword v116, off, s[0:3], 0 offset:260
	buffer_load_dword v121, off, s[0:3], 0 offset:280
	;; [unrolled: 1-line block ×7, first 2 shown]
	s_waitcnt vmcnt(23) lgkmcnt(0)
	v_fma_f64 v[101:102], v[123:124], v[105:106], v[101:102]
	s_waitcnt vmcnt(18)
	v_fma_f64 v[109:110], v[109:110], v[107:108], v[101:102]
	ds_read2_b64 v[101:104], v0 offset0:75 offset1:76
	ds_read2_b64 v[105:108], v0 offset0:77 offset1:78
	buffer_load_dword v122, off, s[0:3], 0 offset:284
	s_waitcnt vmcnt(18) lgkmcnt(1)
	v_fma_f64 v[101:102], v[133:134], v[101:102], v[109:110]
	s_waitcnt vmcnt(17)
	v_fma_f64 v[101:102], v[131:132], v[103:104], v[101:102]
	buffer_load_dword v110, off, s[0:3], 0 offset:292
	buffer_load_dword v123, off, s[0:3], 0 offset:312
	;; [unrolled: 1-line block ×7, first 2 shown]
	s_waitcnt vmcnt(23) lgkmcnt(0)
	v_fma_f64 v[101:102], v[125:126], v[105:106], v[101:102]
	s_waitcnt vmcnt(18)
	v_fma_f64 v[111:112], v[111:112], v[107:108], v[101:102]
	ds_read2_b64 v[101:104], v0 offset0:79 offset1:80
	ds_read2_b64 v[105:108], v0 offset0:81 offset1:82
	buffer_load_dword v124, off, s[0:3], 0 offset:316
	s_waitcnt vmcnt(18) lgkmcnt(1)
	v_fma_f64 v[101:102], v[119:120], v[101:102], v[111:112]
	s_waitcnt vmcnt(17)
	v_fma_f64 v[101:102], v[117:118], v[103:104], v[101:102]
	buffer_load_dword v112, off, s[0:3], 0 offset:324
	buffer_load_dword v117, off, s[0:3], 0 offset:344
	;; [unrolled: 1-line block ×8, first 2 shown]
	s_waitcnt vmcnt(24) lgkmcnt(0)
	v_fma_f64 v[101:102], v[113:114], v[105:106], v[101:102]
	s_waitcnt vmcnt(19)
	v_fma_f64 v[113:114], v[115:116], v[107:108], v[101:102]
	ds_read2_b64 v[101:104], v0 offset0:83 offset1:84
	ds_read2_b64 v[105:108], v0 offset0:85 offset1:86
	s_waitcnt vmcnt(18) lgkmcnt(1)
	v_fma_f64 v[101:102], v[129:130], v[101:102], v[113:114]
	s_waitcnt vmcnt(17)
	v_fma_f64 v[101:102], v[127:128], v[103:104], v[101:102]
	buffer_load_dword v114, off, s[0:3], 0 offset:356
	buffer_load_dword v115, off, s[0:3], 0 offset:376
	;; [unrolled: 1-line block ×7, first 2 shown]
	s_waitcnt vmcnt(23) lgkmcnt(0)
	v_fma_f64 v[101:102], v[121:122], v[105:106], v[101:102]
	s_waitcnt vmcnt(18)
	v_fma_f64 v[109:110], v[109:110], v[107:108], v[101:102]
	ds_read2_b64 v[101:104], v0 offset0:87 offset1:88
	ds_read2_b64 v[105:108], v0 offset0:89 offset1:90
	buffer_load_dword v116, off, s[0:3], 0 offset:380
	s_waitcnt vmcnt(18) lgkmcnt(1)
	v_fma_f64 v[101:102], v[133:134], v[101:102], v[109:110]
	s_waitcnt vmcnt(17)
	v_fma_f64 v[101:102], v[131:132], v[103:104], v[101:102]
	buffer_load_dword v104, off, s[0:3], 0 offset:388
	buffer_load_dword v121, off, s[0:3], 0 offset:392
	;; [unrolled: 1-line block ×4, first 2 shown]
	s_waitcnt vmcnt(20) lgkmcnt(0)
	v_fma_f64 v[101:102], v[123:124], v[105:106], v[101:102]
	buffer_load_dword v123, off, s[0:3], 0
	buffer_load_dword v124, off, s[0:3], 0 offset:4
	s_waitcnt vmcnt(17)
	v_fma_f64 v[101:102], v[111:112], v[107:108], v[101:102]
	ds_read2_b64 v[105:108], v0 offset0:91 offset1:92
	ds_read2_b64 v[109:112], v0 offset0:93 offset1:94
	s_waitcnt vmcnt(16) lgkmcnt(1)
	v_fma_f64 v[101:102], v[125:126], v[105:106], v[101:102]
	s_waitcnt vmcnt(15)
	v_fma_f64 v[101:102], v[119:120], v[107:108], v[101:102]
	s_waitcnt vmcnt(14) lgkmcnt(0)
	v_fma_f64 v[101:102], v[117:118], v[109:110], v[101:102]
	s_waitcnt vmcnt(9)
	v_fma_f64 v[101:102], v[113:114], v[111:112], v[101:102]
	ds_read2_b64 v[105:108], v0 offset0:95 offset1:96
	ds_read2_b64 v[109:112], v0 offset0:97 offset1:98
	s_waitcnt vmcnt(8) lgkmcnt(1)
	v_fma_f64 v[101:102], v[129:130], v[105:106], v[101:102]
	ds_read_b64 v[105:106], v0 offset:792
	s_waitcnt vmcnt(7)
	v_fma_f64 v[101:102], v[127:128], v[107:108], v[101:102]
	s_waitcnt vmcnt(6) lgkmcnt(1)
	v_fma_f64 v[101:102], v[115:116], v[109:110], v[101:102]
	s_waitcnt vmcnt(3)
	v_fma_f64 v[101:102], v[103:104], v[111:112], v[101:102]
	s_waitcnt vmcnt(2) lgkmcnt(0)
	v_fma_f64 v[101:102], v[121:122], v[105:106], v[101:102]
	s_waitcnt vmcnt(0)
	v_add_f64 v[101:102], v[123:124], -v[101:102]
	buffer_store_dword v102, off, s[0:3], 0 offset:4
	buffer_store_dword v101, off, s[0:3], 0
	s_cbranch_vccz .LBB49_406
; %bb.308:
	global_load_dword v0, v0, s[20:21] offset:192
	s_waitcnt vmcnt(0)
	v_add_u32_e32 v0, -1, v0
	v_cmp_ne_u32_e32 vcc, 48, v0
	s_cbranch_vccz .LBB49_310
; %bb.309:
	v_lshlrev_b32_e32 v0, 3, v0
	buffer_load_dword v101, v0, s[0:3], 0 offen offset:4
	buffer_load_dword v102, v0, s[0:3], 0 offen
	s_waitcnt vmcnt(1)
	buffer_store_dword v101, off, s[0:3], 0 offset:388
	s_waitcnt vmcnt(1)
	buffer_store_dword v102, off, s[0:3], 0 offset:384
	buffer_store_dword v104, v0, s[0:3], 0 offen offset:4
	buffer_store_dword v103, v0, s[0:3], 0 offen
.LBB49_310:
	v_mov_b32_e32 v0, 0
	global_load_dword v101, v0, s[20:21] offset:188
	s_waitcnt vmcnt(0)
	v_add_u32_e32 v101, -1, v101
	v_cmp_eq_u32_e32 vcc, 47, v101
	s_cbranch_vccnz .LBB49_312
; %bb.311:
	v_lshlrev_b32_e32 v101, 3, v101
	buffer_load_dword v102, v101, s[0:3], 0 offen
	buffer_load_dword v103, v101, s[0:3], 0 offen offset:4
	buffer_load_dword v104, off, s[0:3], 0 offset:376
	buffer_load_dword v105, off, s[0:3], 0 offset:380
	s_waitcnt vmcnt(3)
	buffer_store_dword v102, off, s[0:3], 0 offset:376
	s_waitcnt vmcnt(3)
	buffer_store_dword v103, off, s[0:3], 0 offset:380
	s_waitcnt vmcnt(3)
	buffer_store_dword v104, v101, s[0:3], 0 offen
	s_waitcnt vmcnt(3)
	buffer_store_dword v105, v101, s[0:3], 0 offen offset:4
.LBB49_312:
	global_load_dword v0, v0, s[20:21] offset:184
	s_waitcnt vmcnt(0)
	v_add_u32_e32 v0, -1, v0
	v_cmp_eq_u32_e32 vcc, 46, v0
	s_cbranch_vccnz .LBB49_314
; %bb.313:
	v_lshlrev_b32_e32 v0, 3, v0
	buffer_load_dword v101, v0, s[0:3], 0 offen
	buffer_load_dword v102, v0, s[0:3], 0 offen offset:4
	buffer_load_dword v103, off, s[0:3], 0 offset:372
	buffer_load_dword v104, off, s[0:3], 0 offset:368
	s_waitcnt vmcnt(3)
	buffer_store_dword v101, off, s[0:3], 0 offset:368
	s_waitcnt vmcnt(3)
	buffer_store_dword v102, off, s[0:3], 0 offset:372
	s_waitcnt vmcnt(3)
	buffer_store_dword v103, v0, s[0:3], 0 offen offset:4
	s_waitcnt vmcnt(3)
	buffer_store_dword v104, v0, s[0:3], 0 offen
.LBB49_314:
	v_mov_b32_e32 v0, 0
	global_load_dword v101, v0, s[20:21] offset:180
	s_waitcnt vmcnt(0)
	v_add_u32_e32 v101, -1, v101
	v_cmp_eq_u32_e32 vcc, 45, v101
	s_cbranch_vccnz .LBB49_316
; %bb.315:
	v_lshlrev_b32_e32 v101, 3, v101
	buffer_load_dword v102, v101, s[0:3], 0 offen
	buffer_load_dword v103, v101, s[0:3], 0 offen offset:4
	buffer_load_dword v104, off, s[0:3], 0 offset:360
	buffer_load_dword v105, off, s[0:3], 0 offset:364
	s_waitcnt vmcnt(3)
	buffer_store_dword v102, off, s[0:3], 0 offset:360
	s_waitcnt vmcnt(3)
	buffer_store_dword v103, off, s[0:3], 0 offset:364
	s_waitcnt vmcnt(3)
	buffer_store_dword v104, v101, s[0:3], 0 offen
	s_waitcnt vmcnt(3)
	buffer_store_dword v105, v101, s[0:3], 0 offen offset:4
.LBB49_316:
	global_load_dword v0, v0, s[20:21] offset:176
	s_waitcnt vmcnt(0)
	v_add_u32_e32 v0, -1, v0
	v_cmp_eq_u32_e32 vcc, 44, v0
	s_cbranch_vccnz .LBB49_318
; %bb.317:
	v_lshlrev_b32_e32 v0, 3, v0
	buffer_load_dword v101, v0, s[0:3], 0 offen
	buffer_load_dword v102, v0, s[0:3], 0 offen offset:4
	buffer_load_dword v103, off, s[0:3], 0 offset:356
	buffer_load_dword v104, off, s[0:3], 0 offset:352
	s_waitcnt vmcnt(3)
	buffer_store_dword v101, off, s[0:3], 0 offset:352
	s_waitcnt vmcnt(3)
	buffer_store_dword v102, off, s[0:3], 0 offset:356
	s_waitcnt vmcnt(3)
	buffer_store_dword v103, v0, s[0:3], 0 offen offset:4
	s_waitcnt vmcnt(3)
	buffer_store_dword v104, v0, s[0:3], 0 offen
.LBB49_318:
	;; [unrolled: 41-line block ×23, first 2 shown]
	v_mov_b32_e32 v0, 0
	global_load_dword v101, v0, s[20:21] offset:4
	s_waitcnt vmcnt(0)
	v_add_u32_e32 v101, -1, v101
	v_cmp_eq_u32_e32 vcc, 1, v101
	s_cbranch_vccnz .LBB49_404
; %bb.403:
	v_lshlrev_b32_e32 v101, 3, v101
	buffer_load_dword v102, v101, s[0:3], 0 offen
	buffer_load_dword v103, v101, s[0:3], 0 offen offset:4
	buffer_load_dword v104, off, s[0:3], 0 offset:8
	buffer_load_dword v105, off, s[0:3], 0 offset:12
	s_waitcnt vmcnt(3)
	buffer_store_dword v102, off, s[0:3], 0 offset:8
	s_waitcnt vmcnt(3)
	buffer_store_dword v103, off, s[0:3], 0 offset:12
	s_waitcnt vmcnt(3)
	buffer_store_dword v104, v101, s[0:3], 0 offen
	s_waitcnt vmcnt(3)
	buffer_store_dword v105, v101, s[0:3], 0 offen offset:4
.LBB49_404:
	global_load_dword v0, v0, s[20:21]
	s_nop 0
	buffer_load_dword v101, off, s[0:3], 0
	buffer_load_dword v102, off, s[0:3], 0 offset:4
	s_waitcnt vmcnt(2)
	v_add_u32_e32 v0, -1, v0
	v_cmp_eq_u32_e32 vcc, 0, v0
	s_cbranch_vccnz .LBB49_406
; %bb.405:
	v_lshlrev_b32_e32 v0, 3, v0
	buffer_load_dword v103, v0, s[0:3], 0 offen offset:4
	buffer_load_dword v104, v0, s[0:3], 0 offen
	s_waitcnt vmcnt(1)
	buffer_store_dword v103, off, s[0:3], 0 offset:4
	s_waitcnt vmcnt(1)
	buffer_store_dword v104, off, s[0:3], 0
	buffer_store_dword v102, v0, s[0:3], 0 offen offset:4
	buffer_store_dword v101, v0, s[0:3], 0 offen
	buffer_load_dword v101, off, s[0:3], 0
	s_nop 0
	buffer_load_dword v102, off, s[0:3], 0 offset:4
.LBB49_406:
	buffer_load_dword v103, off, s[0:3], 0 offset:8
	buffer_load_dword v104, off, s[0:3], 0 offset:12
	;; [unrolled: 1-line block ×98, first 2 shown]
	s_waitcnt vmcnt(62)
	global_store_dwordx2 v[91:92], v[101:102], off
	global_store_dwordx2 v[93:94], v[103:104], off
	;; [unrolled: 1-line block ×19, first 2 shown]
	s_waitcnt vmcnt(62)
	global_store_dwordx2 v[35:36], v[139:140], off
	global_store_dwordx2 v[37:38], v[141:142], off
	global_store_dwordx2 v[39:40], v[143:144], off
	global_store_dwordx2 v[41:42], v[145:146], off
	global_store_dwordx2 v[43:44], v[147:148], off
	global_store_dwordx2 v[45:46], v[149:150], off
	global_store_dwordx2 v[47:48], v[151:152], off
	global_store_dwordx2 v[49:50], v[153:154], off
	global_store_dwordx2 v[51:52], v[155:156], off
	s_waitcnt vmcnt(62)
	global_store_dwordx2 v[53:54], v[157:158], off
	global_store_dwordx2 v[55:56], v[159:160], off
	;; [unrolled: 1-line block ×5, first 2 shown]
	s_waitcnt vmcnt(62)
	global_store_dwordx2 v[63:64], v[167:168], off
	global_store_dwordx2 v[65:66], v[169:170], off
	s_waitcnt vmcnt(62)
	global_store_dwordx2 v[67:68], v[171:172], off
	s_waitcnt vmcnt(62)
	;; [unrolled: 2-line block ×15, first 2 shown]
	global_store_dwordx2 v[99:100], v[199:200], off
	s_endpgm
	.section	.rodata,"a",@progbits
	.p2align	6, 0x0
	.amdhsa_kernel _ZN9rocsolver6v33100L18getri_kernel_smallILi50EdPdEEvT1_iilPiilS4_bb
		.amdhsa_group_segment_fixed_size 808
		.amdhsa_private_segment_fixed_size 416
		.amdhsa_kernarg_size 60
		.amdhsa_user_sgpr_count 6
		.amdhsa_user_sgpr_private_segment_buffer 1
		.amdhsa_user_sgpr_dispatch_ptr 0
		.amdhsa_user_sgpr_queue_ptr 0
		.amdhsa_user_sgpr_kernarg_segment_ptr 1
		.amdhsa_user_sgpr_dispatch_id 0
		.amdhsa_user_sgpr_flat_scratch_init 0
		.amdhsa_user_sgpr_private_segment_size 0
		.amdhsa_uses_dynamic_stack 0
		.amdhsa_system_sgpr_private_segment_wavefront_offset 1
		.amdhsa_system_sgpr_workgroup_id_x 1
		.amdhsa_system_sgpr_workgroup_id_y 0
		.amdhsa_system_sgpr_workgroup_id_z 0
		.amdhsa_system_sgpr_workgroup_info 0
		.amdhsa_system_vgpr_workitem_id 0
		.amdhsa_next_free_vgpr 201
		.amdhsa_next_free_sgpr 24
		.amdhsa_reserve_vcc 1
		.amdhsa_reserve_flat_scratch 0
		.amdhsa_float_round_mode_32 0
		.amdhsa_float_round_mode_16_64 0
		.amdhsa_float_denorm_mode_32 3
		.amdhsa_float_denorm_mode_16_64 3
		.amdhsa_dx10_clamp 1
		.amdhsa_ieee_mode 1
		.amdhsa_fp16_overflow 0
		.amdhsa_exception_fp_ieee_invalid_op 0
		.amdhsa_exception_fp_denorm_src 0
		.amdhsa_exception_fp_ieee_div_zero 0
		.amdhsa_exception_fp_ieee_overflow 0
		.amdhsa_exception_fp_ieee_underflow 0
		.amdhsa_exception_fp_ieee_inexact 0
		.amdhsa_exception_int_div_zero 0
	.end_amdhsa_kernel
	.section	.text._ZN9rocsolver6v33100L18getri_kernel_smallILi50EdPdEEvT1_iilPiilS4_bb,"axG",@progbits,_ZN9rocsolver6v33100L18getri_kernel_smallILi50EdPdEEvT1_iilPiilS4_bb,comdat
.Lfunc_end49:
	.size	_ZN9rocsolver6v33100L18getri_kernel_smallILi50EdPdEEvT1_iilPiilS4_bb, .Lfunc_end49-_ZN9rocsolver6v33100L18getri_kernel_smallILi50EdPdEEvT1_iilPiilS4_bb
                                        ; -- End function
	.set _ZN9rocsolver6v33100L18getri_kernel_smallILi50EdPdEEvT1_iilPiilS4_bb.num_vgpr, 201
	.set _ZN9rocsolver6v33100L18getri_kernel_smallILi50EdPdEEvT1_iilPiilS4_bb.num_agpr, 0
	.set _ZN9rocsolver6v33100L18getri_kernel_smallILi50EdPdEEvT1_iilPiilS4_bb.numbered_sgpr, 24
	.set _ZN9rocsolver6v33100L18getri_kernel_smallILi50EdPdEEvT1_iilPiilS4_bb.num_named_barrier, 0
	.set _ZN9rocsolver6v33100L18getri_kernel_smallILi50EdPdEEvT1_iilPiilS4_bb.private_seg_size, 416
	.set _ZN9rocsolver6v33100L18getri_kernel_smallILi50EdPdEEvT1_iilPiilS4_bb.uses_vcc, 1
	.set _ZN9rocsolver6v33100L18getri_kernel_smallILi50EdPdEEvT1_iilPiilS4_bb.uses_flat_scratch, 0
	.set _ZN9rocsolver6v33100L18getri_kernel_smallILi50EdPdEEvT1_iilPiilS4_bb.has_dyn_sized_stack, 0
	.set _ZN9rocsolver6v33100L18getri_kernel_smallILi50EdPdEEvT1_iilPiilS4_bb.has_recursion, 0
	.set _ZN9rocsolver6v33100L18getri_kernel_smallILi50EdPdEEvT1_iilPiilS4_bb.has_indirect_call, 0
	.section	.AMDGPU.csdata,"",@progbits
; Kernel info:
; codeLenInByte = 63720
; TotalNumSgprs: 28
; NumVgprs: 201
; ScratchSize: 416
; MemoryBound: 1
; FloatMode: 240
; IeeeMode: 1
; LDSByteSize: 808 bytes/workgroup (compile time only)
; SGPRBlocks: 3
; VGPRBlocks: 50
; NumSGPRsForWavesPerEU: 28
; NumVGPRsForWavesPerEU: 201
; Occupancy: 1
; WaveLimiterHint : 1
; COMPUTE_PGM_RSRC2:SCRATCH_EN: 1
; COMPUTE_PGM_RSRC2:USER_SGPR: 6
; COMPUTE_PGM_RSRC2:TRAP_HANDLER: 0
; COMPUTE_PGM_RSRC2:TGID_X_EN: 1
; COMPUTE_PGM_RSRC2:TGID_Y_EN: 0
; COMPUTE_PGM_RSRC2:TGID_Z_EN: 0
; COMPUTE_PGM_RSRC2:TIDIG_COMP_CNT: 0
	.section	.text._ZN9rocsolver6v33100L18getri_kernel_smallILi51EdPdEEvT1_iilPiilS4_bb,"axG",@progbits,_ZN9rocsolver6v33100L18getri_kernel_smallILi51EdPdEEvT1_iilPiilS4_bb,comdat
	.globl	_ZN9rocsolver6v33100L18getri_kernel_smallILi51EdPdEEvT1_iilPiilS4_bb ; -- Begin function _ZN9rocsolver6v33100L18getri_kernel_smallILi51EdPdEEvT1_iilPiilS4_bb
	.p2align	8
	.type	_ZN9rocsolver6v33100L18getri_kernel_smallILi51EdPdEEvT1_iilPiilS4_bb,@function
_ZN9rocsolver6v33100L18getri_kernel_smallILi51EdPdEEvT1_iilPiilS4_bb: ; @_ZN9rocsolver6v33100L18getri_kernel_smallILi51EdPdEEvT1_iilPiilS4_bb
; %bb.0:
	s_add_u32 s0, s0, s7
	s_addc_u32 s1, s1, 0
	v_cmp_gt_u32_e32 vcc, 51, v0
	s_and_saveexec_b64 s[8:9], vcc
	s_cbranch_execz .LBB50_212
; %bb.1:
	s_load_dword s12, s[4:5], 0x38
	s_load_dwordx4 s[16:19], s[4:5], 0x10
	s_load_dwordx4 s[8:11], s[4:5], 0x28
                                        ; implicit-def: $sgpr20_sgpr21
	s_waitcnt lgkmcnt(0)
	s_bitcmp1_b32 s12, 8
	s_cselect_b64 s[22:23], -1, 0
	s_ashr_i32 s7, s6, 31
	s_bfe_u32 s12, s12, 0x10008
	s_cmp_eq_u32 s12, 0
	s_cbranch_scc1 .LBB50_3
; %bb.2:
	s_load_dword s12, s[4:5], 0x20
	s_mul_i32 s13, s8, s7
	s_mul_hi_u32 s14, s8, s6
	s_mul_i32 s9, s9, s6
	s_add_i32 s14, s14, s13
	s_add_i32 s9, s14, s9
	s_mul_i32 s8, s8, s6
	s_waitcnt lgkmcnt(0)
	s_ashr_i32 s13, s12, 31
	s_lshl_b64 s[8:9], s[8:9], 2
	s_add_u32 s14, s18, s8
	s_addc_u32 s15, s19, s9
	s_lshl_b64 s[8:9], s[12:13], 2
	s_add_u32 s20, s14, s8
	s_addc_u32 s21, s15, s9
.LBB50_3:
	s_load_dwordx4 s[12:15], s[4:5], 0x0
	s_load_dword s8, s[4:5], 0x38
	s_mul_i32 s9, s16, s7
	s_mul_hi_u32 s18, s16, s6
	s_add_i32 s9, s18, s9
	s_waitcnt lgkmcnt(0)
	s_ashr_i32 s5, s14, 31
	s_mov_b32 s4, s14
	s_mul_i32 s14, s17, s6
	s_add_i32 s17, s9, s14
	s_mul_i32 s16, s16, s6
	s_lshl_b64 s[16:17], s[16:17], 3
	s_add_u32 s9, s12, s16
	s_addc_u32 s12, s13, s17
	s_lshl_b64 s[4:5], s[4:5], 3
	s_add_u32 s4, s9, s4
	s_addc_u32 s5, s12, s5
	s_add_i32 s9, s15, s15
	v_add_u32_e32 v3, s9, v0
	v_ashrrev_i32_e32 v4, 31, v3
	v_lshlrev_b64 v[1:2], 3, v[3:4]
	v_add_u32_e32 v5, s15, v3
	v_mov_b32_e32 v4, s5
	v_add_co_u32_e32 v1, vcc, s4, v1
	v_ashrrev_i32_e32 v6, 31, v5
	v_addc_co_u32_e32 v2, vcc, v4, v2, vcc
	v_lshlrev_b64 v[3:4], 3, v[5:6]
	v_add_u32_e32 v7, s15, v5
	v_mov_b32_e32 v6, s5
	v_add_co_u32_e32 v3, vcc, s4, v3
	v_ashrrev_i32_e32 v8, 31, v7
	v_addc_co_u32_e32 v4, vcc, v6, v4, vcc
	;; [unrolled: 6-line block ×8, first 2 shown]
	v_lshlrev_b64 v[17:18], 3, v[19:20]
	v_mov_b32_e32 v21, s5
	v_add_co_u32_e32 v17, vcc, s4, v17
	v_addc_co_u32_e32 v18, vcc, v21, v18, vcc
	v_add_u32_e32 v21, s15, v19
	v_ashrrev_i32_e32 v22, 31, v21
	v_lshlrev_b64 v[19:20], 3, v[21:22]
	v_mov_b32_e32 v23, s5
	v_add_co_u32_e32 v19, vcc, s4, v19
	v_addc_co_u32_e32 v20, vcc, v23, v20, vcc
	v_add_u32_e32 v23, s15, v21
	v_ashrrev_i32_e32 v24, 31, v23
	;; [unrolled: 6-line block ×34, first 2 shown]
	v_lshlrev_b64 v[85:86], 3, v[87:88]
	v_mov_b32_e32 v89, s5
	v_add_co_u32_e32 v85, vcc, s4, v85
	v_addc_co_u32_e32 v86, vcc, v89, v86, vcc
	v_lshlrev_b32_e32 v105, 3, v0
	v_add_u32_e32 v89, s15, v87
	global_load_dwordx2 v[103:104], v105, s[4:5]
	v_mov_b32_e32 v87, s5
	v_add_co_u32_e32 v93, vcc, s4, v105
	s_ashr_i32 s13, s15, 31
	s_mov_b32 s12, s15
	v_addc_co_u32_e32 v94, vcc, 0, v87, vcc
	s_lshl_b64 s[12:13], s[12:13], 3
	v_mov_b32_e32 v87, s13
	v_add_co_u32_e32 v95, vcc, s12, v93
	v_addc_co_u32_e32 v96, vcc, v94, v87, vcc
	global_load_dwordx2 v[106:107], v[95:96], off
	global_load_dwordx2 v[108:109], v[1:2], off
	;; [unrolled: 1-line block ×3, first 2 shown]
	v_ashrrev_i32_e32 v90, 31, v89
	v_lshlrev_b64 v[87:88], 3, v[89:90]
	global_load_dwordx2 v[112:113], v[5:6], off
	global_load_dwordx2 v[114:115], v[7:8], off
	;; [unrolled: 1-line block ×4, first 2 shown]
	v_mov_b32_e32 v91, s5
	v_add_co_u32_e32 v87, vcc, s4, v87
	v_addc_co_u32_e32 v88, vcc, v91, v88, vcc
	v_add_u32_e32 v91, s15, v89
	v_ashrrev_i32_e32 v92, 31, v91
	v_lshlrev_b64 v[89:90], 3, v[91:92]
	v_mov_b32_e32 v97, s5
	v_add_co_u32_e32 v89, vcc, s4, v89
	v_addc_co_u32_e32 v90, vcc, v97, v90, vcc
	v_add_u32_e32 v97, s15, v91
	v_ashrrev_i32_e32 v98, 31, v97
	v_lshlrev_b64 v[91:92], 3, v[97:98]
	;; [unrolled: 6-line block ×3, first 2 shown]
	global_load_dwordx2 v[120:121], v[13:14], off
	global_load_dwordx2 v[122:123], v[15:16], off
	v_mov_b32_e32 v101, s5
	v_add_co_u32_e32 v97, vcc, s4, v97
	v_addc_co_u32_e32 v98, vcc, v101, v98, vcc
	v_add_u32_e32 v101, s15, v99
	v_ashrrev_i32_e32 v102, 31, v101
	v_lshlrev_b64 v[99:100], 3, v[101:102]
	v_mov_b32_e32 v146, s5
	v_add_co_u32_e32 v99, vcc, s4, v99
	global_load_dwordx2 v[124:125], v[17:18], off
	global_load_dwordx2 v[126:127], v[19:20], off
	;; [unrolled: 1-line block ×11, first 2 shown]
	v_addc_co_u32_e32 v100, vcc, v146, v100, vcc
	global_load_dwordx2 v[146:147], v[39:40], off
	global_load_dwordx2 v[148:149], v[41:42], off
	;; [unrolled: 1-line block ×8, first 2 shown]
	v_add_u32_e32 v101, s15, v101
	v_ashrrev_i32_e32 v102, 31, v101
	v_lshlrev_b64 v[101:102], 3, v[101:102]
	v_mov_b32_e32 v162, s5
	v_add_co_u32_e32 v101, vcc, s4, v101
	v_addc_co_u32_e32 v102, vcc, v162, v102, vcc
	global_load_dwordx2 v[162:163], v[55:56], off
	global_load_dwordx2 v[164:165], v[57:58], off
	;; [unrolled: 1-line block ×12, first 2 shown]
	s_bitcmp0_b32 s8, 0
	s_waitcnt vmcnt(40)
	buffer_store_dword v104, off, s[0:3], 0 offset:4
	buffer_store_dword v103, off, s[0:3], 0
	global_load_dwordx2 v[103:104], v[59:60], off
	s_mov_b64 s[8:9], -1
	s_waitcnt vmcnt(42)
	buffer_store_dword v107, off, s[0:3], 0 offset:12
	buffer_store_dword v106, off, s[0:3], 0 offset:8
	global_load_dwordx2 v[106:107], v[63:64], off
	s_waitcnt vmcnt(44)
	buffer_store_dword v109, off, s[0:3], 0 offset:20
	buffer_store_dword v108, off, s[0:3], 0 offset:16
	global_load_dwordx2 v[108:109], v[67:68], off
	;; [unrolled: 4-line block ×9, first 2 shown]
	s_waitcnt vmcnt(60)
	buffer_store_dword v124, off, s[0:3], 0 offset:80
	buffer_store_dword v125, off, s[0:3], 0 offset:84
	s_waitcnt vmcnt(61)
	buffer_store_dword v126, off, s[0:3], 0 offset:88
	buffer_store_dword v127, off, s[0:3], 0 offset:92
	s_waitcnt vmcnt(62)
	buffer_store_dword v128, off, s[0:3], 0 offset:96
	buffer_store_dword v129, off, s[0:3], 0 offset:100
	s_waitcnt vmcnt(62)
	buffer_store_dword v130, off, s[0:3], 0 offset:104
	buffer_store_dword v131, off, s[0:3], 0 offset:108
	buffer_store_dword v133, off, s[0:3], 0 offset:116
	buffer_store_dword v132, off, s[0:3], 0 offset:112
	s_waitcnt vmcnt(62)
	buffer_store_dword v134, off, s[0:3], 0 offset:120
	buffer_store_dword v135, off, s[0:3], 0 offset:124
	buffer_store_dword v136, off, s[0:3], 0 offset:128
	buffer_store_dword v137, off, s[0:3], 0 offset:132
	buffer_store_dword v138, off, s[0:3], 0 offset:136
	buffer_store_dword v139, off, s[0:3], 0 offset:140
	buffer_store_dword v140, off, s[0:3], 0 offset:144
	buffer_store_dword v141, off, s[0:3], 0 offset:148
	s_waitcnt vmcnt(62)
	buffer_store_dword v143, off, s[0:3], 0 offset:156
	buffer_store_dword v142, off, s[0:3], 0 offset:152
	;; [unrolled: 1-line block ×16, first 2 shown]
	s_waitcnt vmcnt(62)
	buffer_store_dword v158, off, s[0:3], 0 offset:216
	buffer_store_dword v159, off, s[0:3], 0 offset:220
	buffer_store_dword v160, off, s[0:3], 0 offset:224
	buffer_store_dword v161, off, s[0:3], 0 offset:228
	buffer_store_dword v162, off, s[0:3], 0 offset:232
	buffer_store_dword v163, off, s[0:3], 0 offset:236
	buffer_store_dword v164, off, s[0:3], 0 offset:240
	buffer_store_dword v165, off, s[0:3], 0 offset:244
	s_waitcnt vmcnt(62)
	buffer_store_dword v104, off, s[0:3], 0 offset:252
	buffer_store_dword v103, off, s[0:3], 0 offset:248
	;; [unrolled: 1-line block ×12, first 2 shown]
	s_waitcnt vmcnt(62)
	buffer_store_dword v111, off, s[0:3], 0 offset:300
	buffer_store_dword v110, off, s[0:3], 0 offset:296
	;; [unrolled: 1-line block ×16, first 2 shown]
	s_waitcnt vmcnt(62)
	buffer_store_dword v118, off, s[0:3], 0 offset:360
	buffer_store_dword v119, off, s[0:3], 0 offset:364
	buffer_store_dword v180, off, s[0:3], 0 offset:368
	buffer_store_dword v181, off, s[0:3], 0 offset:372
	buffer_store_dword v120, off, s[0:3], 0 offset:376
	buffer_store_dword v121, off, s[0:3], 0 offset:380
	buffer_store_dword v182, off, s[0:3], 0 offset:384
	buffer_store_dword v183, off, s[0:3], 0 offset:388
	buffer_store_dword v123, off, s[0:3], 0 offset:396
	buffer_store_dword v122, off, s[0:3], 0 offset:392
	buffer_store_dword v185, off, s[0:3], 0 offset:404
	buffer_store_dword v184, off, s[0:3], 0 offset:400
	s_cbranch_scc1 .LBB50_210
; %bb.4:
	v_cmp_eq_u32_e64 s[4:5], 0, v0
	s_and_saveexec_b64 s[8:9], s[4:5]
; %bb.5:
	v_mov_b32_e32 v103, 0
	ds_write_b32 v103, v103 offset:408
; %bb.6:
	s_or_b64 exec, exec, s[8:9]
	v_mov_b32_e32 v103, 0
	v_lshl_add_u32 v103, v0, 3, v103
	s_waitcnt lgkmcnt(0)
	; wave barrier
	buffer_load_dword v106, v103, s[0:3], 0 offen
	buffer_load_dword v107, v103, s[0:3], 0 offen offset:4
	s_waitcnt vmcnt(0)
	v_cmp_eq_f64_e32 vcc, 0, v[106:107]
	s_and_saveexec_b64 s[12:13], vcc
	s_cbranch_execz .LBB50_10
; %bb.7:
	v_mov_b32_e32 v104, 0
	ds_read_b32 v107, v104 offset:408
	v_add_u32_e32 v106, 1, v0
	s_waitcnt lgkmcnt(0)
	v_readfirstlane_b32 s8, v107
	s_cmp_eq_u32 s8, 0
	s_cselect_b64 s[14:15], -1, 0
	v_cmp_gt_i32_e32 vcc, s8, v106
	s_or_b64 s[14:15], s[14:15], vcc
	s_and_b64 exec, exec, s[14:15]
	s_cbranch_execz .LBB50_10
; %bb.8:
	s_mov_b64 s[14:15], 0
	v_mov_b32_e32 v107, s8
.LBB50_9:                               ; =>This Inner Loop Header: Depth=1
	ds_cmpst_rtn_b32 v107, v104, v107, v106 offset:408
	s_waitcnt lgkmcnt(0)
	v_cmp_ne_u32_e32 vcc, 0, v107
	v_cmp_le_i32_e64 s[8:9], v107, v106
	s_and_b64 s[8:9], vcc, s[8:9]
	s_and_b64 s[8:9], exec, s[8:9]
	s_or_b64 s[14:15], s[8:9], s[14:15]
	s_andn2_b64 exec, exec, s[14:15]
	s_cbranch_execnz .LBB50_9
.LBB50_10:
	s_or_b64 exec, exec, s[12:13]
	v_mov_b32_e32 v106, 0
	; wave barrier
	ds_read_b32 v104, v106 offset:408
	s_and_saveexec_b64 s[8:9], s[4:5]
	s_cbranch_execz .LBB50_12
; %bb.11:
	s_lshl_b64 s[12:13], s[6:7], 2
	s_add_u32 s12, s10, s12
	s_addc_u32 s13, s11, s13
	s_waitcnt lgkmcnt(0)
	global_store_dword v106, v104, s[12:13]
.LBB50_12:
	s_or_b64 exec, exec, s[8:9]
	s_waitcnt lgkmcnt(0)
	v_cmp_ne_u32_e32 vcc, 0, v104
	s_mov_b64 s[8:9], 0
	s_cbranch_vccnz .LBB50_210
; %bb.13:
	buffer_load_dword v106, v103, s[0:3], 0 offen
	buffer_load_dword v107, v103, s[0:3], 0 offen offset:4
	s_waitcnt vmcnt(0)
	v_div_scale_f64 v[108:109], s[8:9], v[106:107], v[106:107], 1.0
	v_rcp_f64_e32 v[110:111], v[108:109]
	v_fma_f64 v[112:113], -v[108:109], v[110:111], 1.0
	v_fma_f64 v[110:111], v[110:111], v[112:113], v[110:111]
	v_div_scale_f64 v[112:113], vcc, 1.0, v[106:107], 1.0
	v_fma_f64 v[114:115], -v[108:109], v[110:111], 1.0
	v_fma_f64 v[110:111], v[110:111], v[114:115], v[110:111]
	v_mul_f64 v[114:115], v[112:113], v[110:111]
	v_fma_f64 v[108:109], -v[108:109], v[114:115], v[112:113]
	v_div_fmas_f64 v[108:109], v[108:109], v[110:111], v[114:115]
	v_div_fixup_f64 v[107:108], v[108:109], v[106:107], 1.0
	v_add_u32_e32 v106, 0x1a0, v105
	buffer_store_dword v108, v103, s[0:3], 0 offen offset:4
	buffer_store_dword v107, v103, s[0:3], 0 offen
	buffer_load_dword v110, off, s[0:3], 0 offset:12
	buffer_load_dword v109, off, s[0:3], 0 offset:8
	v_xor_b32_e32 v108, 0x80000000, v108
	s_waitcnt vmcnt(0)
	ds_write2_b64 v105, v[107:108], v[109:110] offset1:52
	s_waitcnt lgkmcnt(0)
	; wave barrier
	s_and_saveexec_b64 s[8:9], s[4:5]
	s_cbranch_execz .LBB50_15
; %bb.14:
	buffer_load_dword v107, v103, s[0:3], 0 offen
	buffer_load_dword v108, v103, s[0:3], 0 offen offset:4
	ds_read_b64 v[109:110], v106
	v_mov_b32_e32 v104, 0
	ds_read_b64 v[111:112], v104 offset:8
	s_waitcnt vmcnt(0) lgkmcnt(1)
	v_fma_f64 v[107:108], v[107:108], v[109:110], 0
	s_waitcnt lgkmcnt(0)
	v_mul_f64 v[107:108], v[107:108], v[111:112]
	buffer_store_dword v107, off, s[0:3], 0 offset:8
	buffer_store_dword v108, off, s[0:3], 0 offset:12
.LBB50_15:
	s_or_b64 exec, exec, s[8:9]
	; wave barrier
	buffer_load_dword v107, off, s[0:3], 0 offset:16
	buffer_load_dword v108, off, s[0:3], 0 offset:20
	v_cmp_gt_u32_e32 vcc, 2, v0
	s_waitcnt vmcnt(0)
	ds_write_b64 v106, v[107:108]
	s_waitcnt lgkmcnt(0)
	; wave barrier
	s_and_saveexec_b64 s[8:9], vcc
	s_cbranch_execz .LBB50_17
; %bb.16:
	buffer_load_dword v107, v103, s[0:3], 0 offen
	buffer_load_dword v108, v103, s[0:3], 0 offen offset:4
                                        ; kill: killed $vgpr103
	s_nop 0
	buffer_load_dword v103, off, s[0:3], 0 offset:8
	buffer_load_dword v104, off, s[0:3], 0 offset:12
	ds_read_b64 v[109:110], v106
	s_waitcnt vmcnt(2) lgkmcnt(0)
	v_fma_f64 v[111:112], v[107:108], v[109:110], 0
	v_mov_b32_e32 v107, 0
	ds_read2_b64 v[107:110], v107 offset0:2 offset1:53
	s_waitcnt vmcnt(0) lgkmcnt(0)
	v_fma_f64 v[103:104], v[103:104], v[109:110], v[111:112]
	v_cndmask_b32_e64 v104, v112, v104, s[4:5]
	v_cndmask_b32_e64 v103, v111, v103, s[4:5]
	v_mul_f64 v[103:104], v[103:104], v[107:108]
	buffer_store_dword v104, off, s[0:3], 0 offset:20
	buffer_store_dword v103, off, s[0:3], 0 offset:16
.LBB50_17:
	s_or_b64 exec, exec, s[8:9]
	; wave barrier
	buffer_load_dword v103, off, s[0:3], 0 offset:24
	buffer_load_dword v104, off, s[0:3], 0 offset:28
	v_cmp_gt_u32_e32 vcc, 3, v0
	v_add_u32_e32 v107, -1, v0
	s_waitcnt vmcnt(0)
	ds_write_b64 v106, v[103:104]
	s_waitcnt lgkmcnt(0)
	; wave barrier
	s_and_saveexec_b64 s[4:5], vcc
	s_cbranch_execz .LBB50_21
; %bb.18:
	v_mov_b32_e32 v103, 0
	v_add_u32_e32 v108, -1, v0
	v_add_u32_e32 v109, 0x1a0, v105
	v_mov_b32_e32 v110, v105
	v_mov_b32_e32 v104, 0
	s_mov_b64 s[8:9], 0
.LBB50_19:                              ; =>This Inner Loop Header: Depth=1
	buffer_load_dword v111, v110, s[0:3], 0 offen
	buffer_load_dword v112, v110, s[0:3], 0 offen offset:4
	ds_read_b64 v[113:114], v109
	v_add_u32_e32 v108, 1, v108
	v_cmp_lt_u32_e32 vcc, 1, v108
	v_add_u32_e32 v109, 8, v109
	s_or_b64 s[8:9], vcc, s[8:9]
	v_add_u32_e32 v110, 8, v110
	s_waitcnt vmcnt(0) lgkmcnt(0)
	v_fma_f64 v[103:104], v[111:112], v[113:114], v[103:104]
	s_andn2_b64 exec, exec, s[8:9]
	s_cbranch_execnz .LBB50_19
; %bb.20:
	s_or_b64 exec, exec, s[8:9]
	v_mov_b32_e32 v108, 0
	ds_read_b64 v[108:109], v108 offset:24
	s_waitcnt lgkmcnt(0)
	v_mul_f64 v[103:104], v[103:104], v[108:109]
	buffer_store_dword v104, off, s[0:3], 0 offset:28
	buffer_store_dword v103, off, s[0:3], 0 offset:24
.LBB50_21:
	s_or_b64 exec, exec, s[4:5]
	; wave barrier
	buffer_load_dword v103, off, s[0:3], 0 offset:32
	buffer_load_dword v104, off, s[0:3], 0 offset:36
	v_cmp_gt_u32_e32 vcc, 4, v0
	s_waitcnt vmcnt(0)
	ds_write_b64 v106, v[103:104]
	s_waitcnt lgkmcnt(0)
	; wave barrier
	s_and_saveexec_b64 s[4:5], vcc
	s_cbranch_execz .LBB50_25
; %bb.22:
	v_mov_b32_e32 v103, 0
	v_add_u32_e32 v108, -1, v0
	v_add_u32_e32 v109, 0x1a0, v105
	v_mov_b32_e32 v110, v105
	v_mov_b32_e32 v104, 0
	s_mov_b64 s[8:9], 0
.LBB50_23:                              ; =>This Inner Loop Header: Depth=1
	buffer_load_dword v111, v110, s[0:3], 0 offen
	buffer_load_dword v112, v110, s[0:3], 0 offen offset:4
	ds_read_b64 v[113:114], v109
	v_add_u32_e32 v108, 1, v108
	v_cmp_lt_u32_e32 vcc, 2, v108
	v_add_u32_e32 v109, 8, v109
	s_or_b64 s[8:9], vcc, s[8:9]
	v_add_u32_e32 v110, 8, v110
	s_waitcnt vmcnt(0) lgkmcnt(0)
	v_fma_f64 v[103:104], v[111:112], v[113:114], v[103:104]
	s_andn2_b64 exec, exec, s[8:9]
	s_cbranch_execnz .LBB50_23
; %bb.24:
	s_or_b64 exec, exec, s[8:9]
	v_mov_b32_e32 v108, 0
	ds_read_b64 v[108:109], v108 offset:32
	s_waitcnt lgkmcnt(0)
	v_mul_f64 v[103:104], v[103:104], v[108:109]
	buffer_store_dword v104, off, s[0:3], 0 offset:36
	buffer_store_dword v103, off, s[0:3], 0 offset:32
.LBB50_25:
	s_or_b64 exec, exec, s[4:5]
	; wave barrier
	buffer_load_dword v103, off, s[0:3], 0 offset:40
	buffer_load_dword v104, off, s[0:3], 0 offset:44
	v_cmp_gt_u32_e32 vcc, 5, v0
	;; [unrolled: 40-line block ×21, first 2 shown]
	s_waitcnt vmcnt(0)
	ds_write_b64 v106, v[103:104]
	s_waitcnt lgkmcnt(0)
	; wave barrier
	s_and_saveexec_b64 s[4:5], vcc
	s_cbranch_execz .LBB50_105
; %bb.102:
	v_mov_b32_e32 v103, 0
	v_add_u32_e32 v108, -1, v0
	v_add_u32_e32 v109, 0x1a0, v105
	v_mov_b32_e32 v110, v105
	v_mov_b32_e32 v104, 0
	s_mov_b64 s[8:9], 0
.LBB50_103:                             ; =>This Inner Loop Header: Depth=1
	buffer_load_dword v111, v110, s[0:3], 0 offen
	buffer_load_dword v112, v110, s[0:3], 0 offen offset:4
	ds_read_b64 v[113:114], v109
	v_add_u32_e32 v108, 1, v108
	v_cmp_lt_u32_e32 vcc, 22, v108
	v_add_u32_e32 v109, 8, v109
	s_or_b64 s[8:9], vcc, s[8:9]
	v_add_u32_e32 v110, 8, v110
	s_waitcnt vmcnt(0) lgkmcnt(0)
	v_fma_f64 v[103:104], v[111:112], v[113:114], v[103:104]
	s_andn2_b64 exec, exec, s[8:9]
	s_cbranch_execnz .LBB50_103
; %bb.104:
	s_or_b64 exec, exec, s[8:9]
	v_mov_b32_e32 v108, 0
	ds_read_b64 v[108:109], v108 offset:192
	s_waitcnt lgkmcnt(0)
	v_mul_f64 v[103:104], v[103:104], v[108:109]
	buffer_store_dword v104, off, s[0:3], 0 offset:196
	buffer_store_dword v103, off, s[0:3], 0 offset:192
.LBB50_105:
	s_or_b64 exec, exec, s[4:5]
	; wave barrier
	buffer_load_dword v103, off, s[0:3], 0 offset:200
	buffer_load_dword v104, off, s[0:3], 0 offset:204
	v_cmp_gt_u32_e32 vcc, 25, v0
	s_waitcnt vmcnt(0)
	ds_write_b64 v106, v[103:104]
	s_waitcnt lgkmcnt(0)
	; wave barrier
	s_and_saveexec_b64 s[4:5], vcc
	s_cbranch_execz .LBB50_109
; %bb.106:
	v_mov_b32_e32 v103, 0
	v_add_u32_e32 v108, -1, v0
	v_add_u32_e32 v109, 0x1a0, v105
	v_mov_b32_e32 v110, v105
	v_mov_b32_e32 v104, 0
	s_mov_b64 s[8:9], 0
.LBB50_107:                             ; =>This Inner Loop Header: Depth=1
	buffer_load_dword v111, v110, s[0:3], 0 offen
	buffer_load_dword v112, v110, s[0:3], 0 offen offset:4
	ds_read_b64 v[113:114], v109
	v_add_u32_e32 v108, 1, v108
	v_cmp_lt_u32_e32 vcc, 23, v108
	v_add_u32_e32 v109, 8, v109
	s_or_b64 s[8:9], vcc, s[8:9]
	v_add_u32_e32 v110, 8, v110
	s_waitcnt vmcnt(0) lgkmcnt(0)
	v_fma_f64 v[103:104], v[111:112], v[113:114], v[103:104]
	s_andn2_b64 exec, exec, s[8:9]
	s_cbranch_execnz .LBB50_107
; %bb.108:
	s_or_b64 exec, exec, s[8:9]
	v_mov_b32_e32 v108, 0
	ds_read_b64 v[108:109], v108 offset:200
	s_waitcnt lgkmcnt(0)
	v_mul_f64 v[103:104], v[103:104], v[108:109]
	buffer_store_dword v104, off, s[0:3], 0 offset:204
	buffer_store_dword v103, off, s[0:3], 0 offset:200
.LBB50_109:
	s_or_b64 exec, exec, s[4:5]
	; wave barrier
	buffer_load_dword v103, off, s[0:3], 0 offset:208
	buffer_load_dword v104, off, s[0:3], 0 offset:212
	v_cmp_gt_u32_e32 vcc, 26, v0
	;; [unrolled: 40-line block ×25, first 2 shown]
	s_waitcnt vmcnt(0)
	ds_write_b64 v106, v[103:104]
	s_waitcnt lgkmcnt(0)
	; wave barrier
	s_and_saveexec_b64 s[4:5], vcc
	s_cbranch_execz .LBB50_205
; %bb.202:
	v_mov_b32_e32 v103, 0
	v_add_u32_e32 v108, -1, v0
	v_add_u32_e32 v109, 0x1a0, v105
	v_mov_b32_e32 v110, v105
	v_mov_b32_e32 v104, 0
	s_mov_b64 s[8:9], 0
.LBB50_203:                             ; =>This Inner Loop Header: Depth=1
	buffer_load_dword v111, v110, s[0:3], 0 offen
	buffer_load_dword v112, v110, s[0:3], 0 offen offset:4
	ds_read_b64 v[113:114], v109
	v_add_u32_e32 v108, 1, v108
	v_cmp_lt_u32_e32 vcc, 47, v108
	v_add_u32_e32 v109, 8, v109
	s_or_b64 s[8:9], vcc, s[8:9]
	v_add_u32_e32 v110, 8, v110
	s_waitcnt vmcnt(0) lgkmcnt(0)
	v_fma_f64 v[103:104], v[111:112], v[113:114], v[103:104]
	s_andn2_b64 exec, exec, s[8:9]
	s_cbranch_execnz .LBB50_203
; %bb.204:
	s_or_b64 exec, exec, s[8:9]
	v_mov_b32_e32 v108, 0
	ds_read_b64 v[108:109], v108 offset:392
	s_waitcnt lgkmcnt(0)
	v_mul_f64 v[103:104], v[103:104], v[108:109]
	buffer_store_dword v104, off, s[0:3], 0 offset:396
	buffer_store_dword v103, off, s[0:3], 0 offset:392
.LBB50_205:
	s_or_b64 exec, exec, s[4:5]
	; wave barrier
	buffer_load_dword v103, off, s[0:3], 0 offset:400
	buffer_load_dword v104, off, s[0:3], 0 offset:404
	v_cmp_ne_u32_e32 vcc, 50, v0
	s_waitcnt vmcnt(0)
	ds_write_b64 v106, v[103:104]
	s_waitcnt lgkmcnt(0)
	; wave barrier
	s_and_saveexec_b64 s[4:5], vcc
	s_cbranch_execz .LBB50_209
; %bb.206:
	v_mov_b32_e32 v103, 0
	v_add_u32_e32 v106, 0x1a0, v105
	v_mov_b32_e32 v104, 0
	s_mov_b64 s[8:9], 0
.LBB50_207:                             ; =>This Inner Loop Header: Depth=1
	buffer_load_dword v108, v105, s[0:3], 0 offen
	buffer_load_dword v109, v105, s[0:3], 0 offen offset:4
	ds_read_b64 v[110:111], v106
	v_add_u32_e32 v107, 1, v107
	v_cmp_lt_u32_e32 vcc, 48, v107
	v_add_u32_e32 v106, 8, v106
	s_or_b64 s[8:9], vcc, s[8:9]
	v_add_u32_e32 v105, 8, v105
	s_waitcnt vmcnt(0) lgkmcnt(0)
	v_fma_f64 v[103:104], v[108:109], v[110:111], v[103:104]
	s_andn2_b64 exec, exec, s[8:9]
	s_cbranch_execnz .LBB50_207
; %bb.208:
	s_or_b64 exec, exec, s[8:9]
	v_mov_b32_e32 v105, 0
	ds_read_b64 v[105:106], v105 offset:400
	s_waitcnt lgkmcnt(0)
	v_mul_f64 v[103:104], v[103:104], v[105:106]
	buffer_store_dword v104, off, s[0:3], 0 offset:404
	buffer_store_dword v103, off, s[0:3], 0 offset:400
.LBB50_209:
	s_or_b64 exec, exec, s[4:5]
	s_mov_b64 s[8:9], -1
	; wave barrier
.LBB50_210:
	s_and_b64 vcc, exec, s[8:9]
	s_cbranch_vccz .LBB50_212
; %bb.211:
	s_lshl_b64 s[4:5], s[6:7], 2
	s_add_u32 s4, s10, s4
	s_addc_u32 s5, s11, s5
	v_mov_b32_e32 v103, 0
	global_load_dword v103, v103, s[4:5]
	s_waitcnt vmcnt(0)
	v_cmp_ne_u32_e32 vcc, 0, v103
	s_cbranch_vccz .LBB50_213
.LBB50_212:
	s_endpgm
.LBB50_213:
	v_mov_b32_e32 v103, 0x1a0
	v_lshl_add_u32 v103, v0, 3, v103
	v_cmp_eq_u32_e32 vcc, 50, v0
	s_and_saveexec_b64 s[4:5], vcc
	s_cbranch_execz .LBB50_215
; %bb.214:
	buffer_load_dword v104, off, s[0:3], 0 offset:392
	buffer_load_dword v105, off, s[0:3], 0 offset:396
	v_mov_b32_e32 v106, 0
	buffer_store_dword v106, off, s[0:3], 0 offset:392
	buffer_store_dword v106, off, s[0:3], 0 offset:396
	s_waitcnt vmcnt(2)
	ds_write_b64 v103, v[104:105]
.LBB50_215:
	s_or_b64 exec, exec, s[4:5]
	s_waitcnt lgkmcnt(0)
	; wave barrier
	buffer_load_dword v105, off, s[0:3], 0 offset:400
	buffer_load_dword v106, off, s[0:3], 0 offset:404
	;; [unrolled: 1-line block ×4, first 2 shown]
	v_mov_b32_e32 v104, 0
	ds_read_b64 v[109:110], v104 offset:816
	v_cmp_lt_u32_e32 vcc, 48, v0
	s_waitcnt vmcnt(2) lgkmcnt(0)
	v_fma_f64 v[105:106], v[105:106], v[109:110], 0
	s_waitcnt vmcnt(0)
	v_add_f64 v[105:106], v[107:108], -v[105:106]
	buffer_store_dword v105, off, s[0:3], 0 offset:392
	buffer_store_dword v106, off, s[0:3], 0 offset:396
	s_and_saveexec_b64 s[4:5], vcc
	s_cbranch_execz .LBB50_217
; %bb.216:
	buffer_load_dword v105, off, s[0:3], 0 offset:384
	buffer_load_dword v106, off, s[0:3], 0 offset:388
	s_waitcnt vmcnt(0)
	ds_write_b64 v103, v[105:106]
	buffer_store_dword v104, off, s[0:3], 0 offset:384
	buffer_store_dword v104, off, s[0:3], 0 offset:388
.LBB50_217:
	s_or_b64 exec, exec, s[4:5]
	s_waitcnt lgkmcnt(0)
	; wave barrier
	buffer_load_dword v108, off, s[0:3], 0 offset:392
	buffer_load_dword v109, off, s[0:3], 0 offset:396
	;; [unrolled: 1-line block ×6, first 2 shown]
	ds_read2_b64 v[104:107], v104 offset0:101 offset1:102
	v_cmp_lt_u32_e32 vcc, 47, v0
	s_waitcnt vmcnt(4) lgkmcnt(0)
	v_fma_f64 v[104:105], v[108:109], v[104:105], 0
	s_waitcnt vmcnt(2)
	v_fma_f64 v[104:105], v[110:111], v[106:107], v[104:105]
	s_waitcnt vmcnt(0)
	v_add_f64 v[104:105], v[112:113], -v[104:105]
	buffer_store_dword v104, off, s[0:3], 0 offset:384
	buffer_store_dword v105, off, s[0:3], 0 offset:388
	s_and_saveexec_b64 s[4:5], vcc
	s_cbranch_execz .LBB50_219
; %bb.218:
	buffer_load_dword v104, off, s[0:3], 0 offset:376
	buffer_load_dword v105, off, s[0:3], 0 offset:380
	v_mov_b32_e32 v106, 0
	buffer_store_dword v106, off, s[0:3], 0 offset:376
	buffer_store_dword v106, off, s[0:3], 0 offset:380
	s_waitcnt vmcnt(2)
	ds_write_b64 v103, v[104:105]
.LBB50_219:
	s_or_b64 exec, exec, s[4:5]
	s_waitcnt lgkmcnt(0)
	; wave barrier
	buffer_load_dword v109, off, s[0:3], 0 offset:384
	buffer_load_dword v110, off, s[0:3], 0 offset:388
	;; [unrolled: 1-line block ×8, first 2 shown]
	v_mov_b32_e32 v104, 0
	ds_read_b128 v[105:108], v104 offset:800
	ds_read_b64 v[117:118], v104 offset:816
	v_cmp_lt_u32_e32 vcc, 46, v0
	s_waitcnt vmcnt(6) lgkmcnt(1)
	v_fma_f64 v[105:106], v[109:110], v[105:106], 0
	s_waitcnt vmcnt(4)
	v_fma_f64 v[105:106], v[111:112], v[107:108], v[105:106]
	s_waitcnt vmcnt(2) lgkmcnt(0)
	v_fma_f64 v[105:106], v[113:114], v[117:118], v[105:106]
	s_waitcnt vmcnt(0)
	v_add_f64 v[105:106], v[115:116], -v[105:106]
	buffer_store_dword v105, off, s[0:3], 0 offset:376
	buffer_store_dword v106, off, s[0:3], 0 offset:380
	s_and_saveexec_b64 s[4:5], vcc
	s_cbranch_execz .LBB50_221
; %bb.220:
	buffer_load_dword v105, off, s[0:3], 0 offset:368
	buffer_load_dword v106, off, s[0:3], 0 offset:372
	s_waitcnt vmcnt(0)
	ds_write_b64 v103, v[105:106]
	buffer_store_dword v104, off, s[0:3], 0 offset:368
	buffer_store_dword v104, off, s[0:3], 0 offset:372
.LBB50_221:
	s_or_b64 exec, exec, s[4:5]
	s_waitcnt lgkmcnt(0)
	; wave barrier
	buffer_load_dword v113, off, s[0:3], 0 offset:376
	buffer_load_dword v114, off, s[0:3], 0 offset:380
	;; [unrolled: 1-line block ×10, first 2 shown]
	ds_read2_b64 v[105:108], v104 offset0:99 offset1:100
	ds_read2_b64 v[109:112], v104 offset0:101 offset1:102
	v_cmp_lt_u32_e32 vcc, 45, v0
	s_waitcnt vmcnt(8) lgkmcnt(1)
	v_fma_f64 v[104:105], v[113:114], v[105:106], 0
	s_waitcnt vmcnt(6)
	v_fma_f64 v[104:105], v[115:116], v[107:108], v[104:105]
	s_waitcnt vmcnt(4) lgkmcnt(0)
	v_fma_f64 v[104:105], v[117:118], v[109:110], v[104:105]
	s_waitcnt vmcnt(2)
	v_fma_f64 v[104:105], v[119:120], v[111:112], v[104:105]
	s_waitcnt vmcnt(0)
	v_add_f64 v[104:105], v[121:122], -v[104:105]
	buffer_store_dword v104, off, s[0:3], 0 offset:368
	buffer_store_dword v105, off, s[0:3], 0 offset:372
	s_and_saveexec_b64 s[4:5], vcc
	s_cbranch_execz .LBB50_223
; %bb.222:
	buffer_load_dword v104, off, s[0:3], 0 offset:360
	buffer_load_dword v105, off, s[0:3], 0 offset:364
	v_mov_b32_e32 v106, 0
	buffer_store_dword v106, off, s[0:3], 0 offset:360
	buffer_store_dword v106, off, s[0:3], 0 offset:364
	s_waitcnt vmcnt(2)
	ds_write_b64 v103, v[104:105]
.LBB50_223:
	s_or_b64 exec, exec, s[4:5]
	s_waitcnt lgkmcnt(0)
	; wave barrier
	buffer_load_dword v113, off, s[0:3], 0 offset:368
	buffer_load_dword v114, off, s[0:3], 0 offset:372
	;; [unrolled: 1-line block ×12, first 2 shown]
	v_mov_b32_e32 v104, 0
	ds_read_b128 v[105:108], v104 offset:784
	ds_read_b128 v[109:112], v104 offset:800
	v_cmp_lt_u32_e32 vcc, 44, v0
	s_waitcnt vmcnt(10) lgkmcnt(1)
	v_fma_f64 v[105:106], v[113:114], v[105:106], 0
	s_waitcnt vmcnt(8)
	v_fma_f64 v[105:106], v[115:116], v[107:108], v[105:106]
	ds_read_b64 v[107:108], v104 offset:816
	s_waitcnt vmcnt(6) lgkmcnt(1)
	v_fma_f64 v[105:106], v[117:118], v[109:110], v[105:106]
	s_waitcnt vmcnt(4)
	v_fma_f64 v[105:106], v[119:120], v[111:112], v[105:106]
	s_waitcnt vmcnt(2) lgkmcnt(0)
	v_fma_f64 v[105:106], v[121:122], v[107:108], v[105:106]
	s_waitcnt vmcnt(0)
	v_add_f64 v[105:106], v[123:124], -v[105:106]
	buffer_store_dword v105, off, s[0:3], 0 offset:360
	buffer_store_dword v106, off, s[0:3], 0 offset:364
	s_and_saveexec_b64 s[4:5], vcc
	s_cbranch_execz .LBB50_225
; %bb.224:
	buffer_load_dword v105, off, s[0:3], 0 offset:352
	buffer_load_dword v106, off, s[0:3], 0 offset:356
	s_waitcnt vmcnt(0)
	ds_write_b64 v103, v[105:106]
	buffer_store_dword v104, off, s[0:3], 0 offset:352
	buffer_store_dword v104, off, s[0:3], 0 offset:356
.LBB50_225:
	s_or_b64 exec, exec, s[4:5]
	s_waitcnt lgkmcnt(0)
	; wave barrier
	buffer_load_dword v109, off, s[0:3], 0 offset:352
	buffer_load_dword v110, off, s[0:3], 0 offset:356
	;; [unrolled: 1-line block ×14, first 2 shown]
	ds_read2_b64 v[105:108], v104 offset0:97 offset1:98
	v_cmp_lt_u32_e32 vcc, 43, v0
	s_waitcnt vmcnt(10) lgkmcnt(0)
	v_fma_f64 v[105:106], v[111:112], v[105:106], 0
	s_waitcnt vmcnt(8)
	v_fma_f64 v[111:112], v[113:114], v[107:108], v[105:106]
	ds_read2_b64 v[105:108], v104 offset0:99 offset1:100
	s_waitcnt vmcnt(6) lgkmcnt(0)
	v_fma_f64 v[105:106], v[115:116], v[105:106], v[111:112]
	s_waitcnt vmcnt(4)
	v_fma_f64 v[111:112], v[117:118], v[107:108], v[105:106]
	ds_read2_b64 v[104:107], v104 offset0:101 offset1:102
	s_waitcnt vmcnt(2) lgkmcnt(0)
	v_fma_f64 v[104:105], v[119:120], v[104:105], v[111:112]
	s_waitcnt vmcnt(0)
	v_fma_f64 v[104:105], v[121:122], v[106:107], v[104:105]
	v_add_f64 v[104:105], v[109:110], -v[104:105]
	buffer_store_dword v104, off, s[0:3], 0 offset:352
	buffer_store_dword v105, off, s[0:3], 0 offset:356
	s_and_saveexec_b64 s[4:5], vcc
	s_cbranch_execz .LBB50_227
; %bb.226:
	buffer_load_dword v104, off, s[0:3], 0 offset:344
	buffer_load_dword v105, off, s[0:3], 0 offset:348
	v_mov_b32_e32 v106, 0
	buffer_store_dword v106, off, s[0:3], 0 offset:344
	buffer_store_dword v106, off, s[0:3], 0 offset:348
	s_waitcnt vmcnt(2)
	ds_write_b64 v103, v[104:105]
.LBB50_227:
	s_or_b64 exec, exec, s[4:5]
	s_waitcnt lgkmcnt(0)
	; wave barrier
	buffer_load_dword v109, off, s[0:3], 0 offset:352
	buffer_load_dword v110, off, s[0:3], 0 offset:356
	;; [unrolled: 1-line block ×16, first 2 shown]
	v_mov_b32_e32 v104, 0
	ds_read_b128 v[105:108], v104 offset:768
	v_cmp_lt_u32_e32 vcc, 42, v0
	s_waitcnt vmcnt(14) lgkmcnt(0)
	v_fma_f64 v[105:106], v[109:110], v[105:106], 0
	s_waitcnt vmcnt(12)
	v_fma_f64 v[109:110], v[111:112], v[107:108], v[105:106]
	ds_read_b128 v[105:108], v104 offset:784
	s_waitcnt vmcnt(10) lgkmcnt(0)
	v_fma_f64 v[105:106], v[113:114], v[105:106], v[109:110]
	s_waitcnt vmcnt(8)
	v_fma_f64 v[109:110], v[115:116], v[107:108], v[105:106]
	ds_read_b128 v[105:108], v104 offset:800
	s_waitcnt vmcnt(6) lgkmcnt(0)
	v_fma_f64 v[105:106], v[117:118], v[105:106], v[109:110]
	s_waitcnt vmcnt(4)
	v_fma_f64 v[105:106], v[119:120], v[107:108], v[105:106]
	ds_read_b64 v[107:108], v104 offset:816
	s_waitcnt vmcnt(2) lgkmcnt(0)
	v_fma_f64 v[105:106], v[121:122], v[107:108], v[105:106]
	s_waitcnt vmcnt(0)
	v_add_f64 v[105:106], v[123:124], -v[105:106]
	buffer_store_dword v105, off, s[0:3], 0 offset:344
	buffer_store_dword v106, off, s[0:3], 0 offset:348
	s_and_saveexec_b64 s[4:5], vcc
	s_cbranch_execz .LBB50_229
; %bb.228:
	buffer_load_dword v105, off, s[0:3], 0 offset:336
	buffer_load_dword v106, off, s[0:3], 0 offset:340
	s_waitcnt vmcnt(0)
	ds_write_b64 v103, v[105:106]
	buffer_store_dword v104, off, s[0:3], 0 offset:336
	buffer_store_dword v104, off, s[0:3], 0 offset:340
.LBB50_229:
	s_or_b64 exec, exec, s[4:5]
	s_waitcnt lgkmcnt(0)
	; wave barrier
	buffer_load_dword v109, off, s[0:3], 0 offset:344
	buffer_load_dword v110, off, s[0:3], 0 offset:348
	;; [unrolled: 1-line block ×18, first 2 shown]
	ds_read2_b64 v[105:108], v104 offset0:95 offset1:96
	v_cmp_lt_u32_e32 vcc, 41, v0
	s_waitcnt vmcnt(16) lgkmcnt(0)
	v_fma_f64 v[105:106], v[109:110], v[105:106], 0
	s_waitcnt vmcnt(14)
	v_fma_f64 v[109:110], v[111:112], v[107:108], v[105:106]
	ds_read2_b64 v[105:108], v104 offset0:97 offset1:98
	s_waitcnt vmcnt(12) lgkmcnt(0)
	v_fma_f64 v[105:106], v[113:114], v[105:106], v[109:110]
	s_waitcnt vmcnt(10)
	v_fma_f64 v[109:110], v[115:116], v[107:108], v[105:106]
	ds_read2_b64 v[105:108], v104 offset0:99 offset1:100
	;; [unrolled: 5-line block ×3, first 2 shown]
	s_waitcnt vmcnt(4) lgkmcnt(0)
	v_fma_f64 v[104:105], v[121:122], v[104:105], v[108:109]
	s_waitcnt vmcnt(2)
	v_fma_f64 v[104:105], v[123:124], v[106:107], v[104:105]
	s_waitcnt vmcnt(0)
	v_add_f64 v[104:105], v[125:126], -v[104:105]
	buffer_store_dword v104, off, s[0:3], 0 offset:336
	buffer_store_dword v105, off, s[0:3], 0 offset:340
	s_and_saveexec_b64 s[4:5], vcc
	s_cbranch_execz .LBB50_231
; %bb.230:
	buffer_load_dword v104, off, s[0:3], 0 offset:328
	buffer_load_dword v105, off, s[0:3], 0 offset:332
	v_mov_b32_e32 v106, 0
	buffer_store_dword v106, off, s[0:3], 0 offset:328
	buffer_store_dword v106, off, s[0:3], 0 offset:332
	s_waitcnt vmcnt(2)
	ds_write_b64 v103, v[104:105]
.LBB50_231:
	s_or_b64 exec, exec, s[4:5]
	s_waitcnt lgkmcnt(0)
	; wave barrier
	buffer_load_dword v113, off, s[0:3], 0 offset:336
	buffer_load_dword v114, off, s[0:3], 0 offset:340
	;; [unrolled: 1-line block ×20, first 2 shown]
	v_mov_b32_e32 v104, 0
	ds_read_b128 v[105:108], v104 offset:752
	ds_read_b128 v[109:112], v104 offset:768
	v_cmp_lt_u32_e32 vcc, 40, v0
	s_waitcnt vmcnt(18) lgkmcnt(1)
	v_fma_f64 v[105:106], v[113:114], v[105:106], 0
	s_waitcnt vmcnt(16)
	v_fma_f64 v[105:106], v[115:116], v[107:108], v[105:106]
	s_waitcnt vmcnt(14) lgkmcnt(0)
	v_fma_f64 v[105:106], v[117:118], v[109:110], v[105:106]
	s_waitcnt vmcnt(12)
	v_fma_f64 v[113:114], v[119:120], v[111:112], v[105:106]
	ds_read_b128 v[105:108], v104 offset:784
	ds_read_b128 v[109:112], v104 offset:800
	s_waitcnt vmcnt(10) lgkmcnt(1)
	v_fma_f64 v[105:106], v[121:122], v[105:106], v[113:114]
	s_waitcnt vmcnt(8)
	v_fma_f64 v[105:106], v[123:124], v[107:108], v[105:106]
	ds_read_b64 v[107:108], v104 offset:816
	s_waitcnt vmcnt(6) lgkmcnt(1)
	v_fma_f64 v[105:106], v[125:126], v[109:110], v[105:106]
	s_waitcnt vmcnt(3)
	v_fma_f64 v[105:106], v[127:128], v[111:112], v[105:106]
	s_waitcnt vmcnt(2) lgkmcnt(0)
	v_fma_f64 v[105:106], v[129:130], v[107:108], v[105:106]
	s_waitcnt vmcnt(0)
	v_add_f64 v[105:106], v[131:132], -v[105:106]
	buffer_store_dword v105, off, s[0:3], 0 offset:328
	buffer_store_dword v106, off, s[0:3], 0 offset:332
	s_and_saveexec_b64 s[4:5], vcc
	s_cbranch_execz .LBB50_233
; %bb.232:
	buffer_load_dword v105, off, s[0:3], 0 offset:320
	buffer_load_dword v106, off, s[0:3], 0 offset:324
	s_waitcnt vmcnt(0)
	ds_write_b64 v103, v[105:106]
	buffer_store_dword v104, off, s[0:3], 0 offset:320
	buffer_store_dword v104, off, s[0:3], 0 offset:324
.LBB50_233:
	s_or_b64 exec, exec, s[4:5]
	s_waitcnt lgkmcnt(0)
	; wave barrier
	buffer_load_dword v113, off, s[0:3], 0 offset:328
	buffer_load_dword v114, off, s[0:3], 0 offset:332
	;; [unrolled: 1-line block ×20, first 2 shown]
	ds_read2_b64 v[105:108], v104 offset0:93 offset1:94
	buffer_load_dword v133, off, s[0:3], 0 offset:320
	buffer_load_dword v134, off, s[0:3], 0 offset:324
	ds_read2_b64 v[109:112], v104 offset0:95 offset1:96
	v_cmp_lt_u32_e32 vcc, 39, v0
	s_waitcnt vmcnt(20) lgkmcnt(1)
	v_fma_f64 v[105:106], v[113:114], v[105:106], 0
	s_waitcnt vmcnt(18)
	v_fma_f64 v[105:106], v[115:116], v[107:108], v[105:106]
	s_waitcnt vmcnt(16) lgkmcnt(0)
	v_fma_f64 v[105:106], v[117:118], v[109:110], v[105:106]
	s_waitcnt vmcnt(14)
	v_fma_f64 v[113:114], v[119:120], v[111:112], v[105:106]
	ds_read2_b64 v[105:108], v104 offset0:97 offset1:98
	ds_read2_b64 v[109:112], v104 offset0:99 offset1:100
	s_waitcnt vmcnt(12) lgkmcnt(1)
	v_fma_f64 v[105:106], v[121:122], v[105:106], v[113:114]
	s_waitcnt vmcnt(10)
	v_fma_f64 v[105:106], v[123:124], v[107:108], v[105:106]
	s_waitcnt vmcnt(8) lgkmcnt(0)
	v_fma_f64 v[105:106], v[125:126], v[109:110], v[105:106]
	s_waitcnt vmcnt(4)
	v_fma_f64 v[108:109], v[127:128], v[111:112], v[105:106]
	ds_read2_b64 v[104:107], v104 offset0:101 offset1:102
	s_waitcnt vmcnt(3) lgkmcnt(0)
	v_fma_f64 v[104:105], v[131:132], v[104:105], v[108:109]
	s_waitcnt vmcnt(2)
	v_fma_f64 v[104:105], v[129:130], v[106:107], v[104:105]
	s_waitcnt vmcnt(0)
	v_add_f64 v[104:105], v[133:134], -v[104:105]
	buffer_store_dword v104, off, s[0:3], 0 offset:320
	buffer_store_dword v105, off, s[0:3], 0 offset:324
	s_and_saveexec_b64 s[4:5], vcc
	s_cbranch_execz .LBB50_235
; %bb.234:
	buffer_load_dword v104, off, s[0:3], 0 offset:312
	buffer_load_dword v105, off, s[0:3], 0 offset:316
	v_mov_b32_e32 v106, 0
	buffer_store_dword v106, off, s[0:3], 0 offset:312
	buffer_store_dword v106, off, s[0:3], 0 offset:316
	s_waitcnt vmcnt(2)
	ds_write_b64 v103, v[104:105]
.LBB50_235:
	s_or_b64 exec, exec, s[4:5]
	s_waitcnt lgkmcnt(0)
	; wave barrier
	buffer_load_dword v113, off, s[0:3], 0 offset:320
	buffer_load_dword v114, off, s[0:3], 0 offset:324
	;; [unrolled: 1-line block ×21, first 2 shown]
	v_mov_b32_e32 v104, 0
	ds_read_b128 v[105:108], v104 offset:736
	ds_read_b128 v[109:112], v104 offset:752
	buffer_load_dword v130, off, s[0:3], 0 offset:404
	v_cmp_lt_u32_e32 vcc, 38, v0
	s_waitcnt vmcnt(20) lgkmcnt(1)
	v_fma_f64 v[105:106], v[113:114], v[105:106], 0
	buffer_load_dword v113, off, s[0:3], 0 offset:312
	buffer_load_dword v114, off, s[0:3], 0 offset:316
	s_waitcnt vmcnt(20)
	v_fma_f64 v[105:106], v[115:116], v[107:108], v[105:106]
	s_waitcnt vmcnt(18) lgkmcnt(0)
	v_fma_f64 v[105:106], v[117:118], v[109:110], v[105:106]
	s_waitcnt vmcnt(16)
	v_fma_f64 v[115:116], v[119:120], v[111:112], v[105:106]
	ds_read_b128 v[105:108], v104 offset:768
	ds_read_b128 v[109:112], v104 offset:784
	s_waitcnt vmcnt(14) lgkmcnt(1)
	v_fma_f64 v[105:106], v[121:122], v[105:106], v[115:116]
	s_waitcnt vmcnt(12)
	v_fma_f64 v[105:106], v[123:124], v[107:108], v[105:106]
	s_waitcnt vmcnt(10) lgkmcnt(0)
	v_fma_f64 v[105:106], v[125:126], v[109:110], v[105:106]
	s_waitcnt vmcnt(5)
	v_fma_f64 v[109:110], v[127:128], v[111:112], v[105:106]
	ds_read_b128 v[105:108], v104 offset:800
	ds_read_b64 v[111:112], v104 offset:816
	s_waitcnt vmcnt(4) lgkmcnt(1)
	v_fma_f64 v[105:106], v[133:134], v[105:106], v[109:110]
	s_waitcnt vmcnt(3)
	v_fma_f64 v[105:106], v[131:132], v[107:108], v[105:106]
	s_waitcnt vmcnt(2) lgkmcnt(0)
	v_fma_f64 v[105:106], v[129:130], v[111:112], v[105:106]
	s_waitcnt vmcnt(0)
	v_add_f64 v[105:106], v[113:114], -v[105:106]
	buffer_store_dword v106, off, s[0:3], 0 offset:316
	buffer_store_dword v105, off, s[0:3], 0 offset:312
	s_and_saveexec_b64 s[4:5], vcc
	s_cbranch_execz .LBB50_237
; %bb.236:
	buffer_load_dword v105, off, s[0:3], 0 offset:304
	buffer_load_dword v106, off, s[0:3], 0 offset:308
	s_waitcnt vmcnt(0)
	ds_write_b64 v103, v[105:106]
	buffer_store_dword v104, off, s[0:3], 0 offset:304
	buffer_store_dword v104, off, s[0:3], 0 offset:308
.LBB50_237:
	s_or_b64 exec, exec, s[4:5]
	s_waitcnt lgkmcnt(0)
	; wave barrier
	buffer_load_dword v113, off, s[0:3], 0 offset:312
	buffer_load_dword v114, off, s[0:3], 0 offset:316
	;; [unrolled: 1-line block ×21, first 2 shown]
	ds_read2_b64 v[105:108], v104 offset0:91 offset1:92
	ds_read2_b64 v[109:112], v104 offset0:93 offset1:94
	buffer_load_dword v130, off, s[0:3], 0 offset:396
	v_cmp_lt_u32_e32 vcc, 37, v0
	s_waitcnt vmcnt(20) lgkmcnt(1)
	v_fma_f64 v[105:106], v[113:114], v[105:106], 0
	buffer_load_dword v114, off, s[0:3], 0 offset:404
	buffer_load_dword v113, off, s[0:3], 0 offset:400
	s_waitcnt vmcnt(20)
	v_fma_f64 v[105:106], v[115:116], v[107:108], v[105:106]
	buffer_load_dword v115, off, s[0:3], 0 offset:304
	buffer_load_dword v116, off, s[0:3], 0 offset:308
	s_waitcnt vmcnt(20) lgkmcnt(0)
	v_fma_f64 v[105:106], v[117:118], v[109:110], v[105:106]
	s_waitcnt vmcnt(18)
	v_fma_f64 v[117:118], v[119:120], v[111:112], v[105:106]
	ds_read2_b64 v[105:108], v104 offset0:95 offset1:96
	ds_read2_b64 v[109:112], v104 offset0:97 offset1:98
	s_waitcnt vmcnt(16) lgkmcnt(1)
	v_fma_f64 v[105:106], v[121:122], v[105:106], v[117:118]
	s_waitcnt vmcnt(14)
	v_fma_f64 v[105:106], v[123:124], v[107:108], v[105:106]
	s_waitcnt vmcnt(12) lgkmcnt(0)
	v_fma_f64 v[105:106], v[125:126], v[109:110], v[105:106]
	s_waitcnt vmcnt(7)
	v_fma_f64 v[117:118], v[127:128], v[111:112], v[105:106]
	ds_read2_b64 v[105:108], v104 offset0:99 offset1:100
	ds_read2_b64 v[109:112], v104 offset0:101 offset1:102
	s_waitcnt vmcnt(6) lgkmcnt(1)
	v_fma_f64 v[104:105], v[133:134], v[105:106], v[117:118]
	s_waitcnt vmcnt(5)
	v_fma_f64 v[104:105], v[131:132], v[107:108], v[104:105]
	s_waitcnt vmcnt(4) lgkmcnt(0)
	v_fma_f64 v[104:105], v[129:130], v[109:110], v[104:105]
	s_waitcnt vmcnt(2)
	v_fma_f64 v[104:105], v[113:114], v[111:112], v[104:105]
	s_waitcnt vmcnt(0)
	v_add_f64 v[104:105], v[115:116], -v[104:105]
	buffer_store_dword v105, off, s[0:3], 0 offset:308
	buffer_store_dword v104, off, s[0:3], 0 offset:304
	s_and_saveexec_b64 s[4:5], vcc
	s_cbranch_execz .LBB50_239
; %bb.238:
	buffer_load_dword v104, off, s[0:3], 0 offset:296
	buffer_load_dword v105, off, s[0:3], 0 offset:300
	v_mov_b32_e32 v106, 0
	buffer_store_dword v106, off, s[0:3], 0 offset:296
	buffer_store_dword v106, off, s[0:3], 0 offset:300
	s_waitcnt vmcnt(2)
	ds_write_b64 v103, v[104:105]
.LBB50_239:
	s_or_b64 exec, exec, s[4:5]
	s_waitcnt lgkmcnt(0)
	; wave barrier
	buffer_load_dword v113, off, s[0:3], 0 offset:304
	buffer_load_dword v114, off, s[0:3], 0 offset:308
	;; [unrolled: 1-line block ×21, first 2 shown]
	v_mov_b32_e32 v104, 0
	ds_read_b128 v[105:108], v104 offset:720
	ds_read_b128 v[109:112], v104 offset:736
	buffer_load_dword v130, off, s[0:3], 0 offset:388
	v_cmp_lt_u32_e32 vcc, 36, v0
	s_waitcnt vmcnt(20) lgkmcnt(1)
	v_fma_f64 v[105:106], v[113:114], v[105:106], 0
	s_waitcnt vmcnt(18)
	v_fma_f64 v[105:106], v[115:116], v[107:108], v[105:106]
	buffer_load_dword v114, off, s[0:3], 0 offset:396
	buffer_load_dword v115, off, s[0:3], 0 offset:400
	;; [unrolled: 1-line block ×4, first 2 shown]
	s_waitcnt vmcnt(20) lgkmcnt(0)
	v_fma_f64 v[105:106], v[117:118], v[109:110], v[105:106]
	buffer_load_dword v117, off, s[0:3], 0 offset:296
	buffer_load_dword v118, off, s[0:3], 0 offset:300
	s_waitcnt vmcnt(20)
	v_fma_f64 v[119:120], v[119:120], v[111:112], v[105:106]
	ds_read_b128 v[105:108], v104 offset:752
	ds_read_b128 v[109:112], v104 offset:768
	s_waitcnt vmcnt(18) lgkmcnt(1)
	v_fma_f64 v[105:106], v[121:122], v[105:106], v[119:120]
	s_waitcnt vmcnt(16)
	v_fma_f64 v[105:106], v[123:124], v[107:108], v[105:106]
	s_waitcnt vmcnt(14) lgkmcnt(0)
	v_fma_f64 v[105:106], v[125:126], v[109:110], v[105:106]
	s_waitcnt vmcnt(9)
	v_fma_f64 v[119:120], v[127:128], v[111:112], v[105:106]
	ds_read_b128 v[105:108], v104 offset:784
	ds_read_b128 v[109:112], v104 offset:800
	s_waitcnt vmcnt(8) lgkmcnt(1)
	v_fma_f64 v[105:106], v[133:134], v[105:106], v[119:120]
	s_waitcnt vmcnt(7)
	v_fma_f64 v[105:106], v[131:132], v[107:108], v[105:106]
	ds_read_b64 v[107:108], v104 offset:816
	s_waitcnt vmcnt(6) lgkmcnt(1)
	v_fma_f64 v[105:106], v[129:130], v[109:110], v[105:106]
	s_waitcnt vmcnt(3)
	v_fma_f64 v[105:106], v[113:114], v[111:112], v[105:106]
	s_waitcnt vmcnt(2) lgkmcnt(0)
	v_fma_f64 v[105:106], v[115:116], v[107:108], v[105:106]
	s_waitcnt vmcnt(0)
	v_add_f64 v[105:106], v[117:118], -v[105:106]
	buffer_store_dword v106, off, s[0:3], 0 offset:300
	buffer_store_dword v105, off, s[0:3], 0 offset:296
	s_and_saveexec_b64 s[4:5], vcc
	s_cbranch_execz .LBB50_241
; %bb.240:
	buffer_load_dword v105, off, s[0:3], 0 offset:288
	buffer_load_dword v106, off, s[0:3], 0 offset:292
	s_waitcnt vmcnt(0)
	ds_write_b64 v103, v[105:106]
	buffer_store_dword v104, off, s[0:3], 0 offset:288
	buffer_store_dword v104, off, s[0:3], 0 offset:292
.LBB50_241:
	s_or_b64 exec, exec, s[4:5]
	s_waitcnt lgkmcnt(0)
	; wave barrier
	buffer_load_dword v113, off, s[0:3], 0 offset:296
	buffer_load_dword v114, off, s[0:3], 0 offset:300
	;; [unrolled: 1-line block ×22, first 2 shown]
	ds_read2_b64 v[105:108], v104 offset0:89 offset1:90
	ds_read2_b64 v[109:112], v104 offset0:91 offset1:92
	v_cmp_lt_u32_e32 vcc, 35, v0
	s_waitcnt vmcnt(20) lgkmcnt(1)
	v_fma_f64 v[105:106], v[113:114], v[105:106], 0
	s_waitcnt vmcnt(18)
	v_fma_f64 v[105:106], v[115:116], v[107:108], v[105:106]
	buffer_load_dword v114, off, s[0:3], 0 offset:388
	buffer_load_dword v115, off, s[0:3], 0 offset:400
	;; [unrolled: 1-line block ×6, first 2 shown]
	s_waitcnt vmcnt(22) lgkmcnt(0)
	v_fma_f64 v[105:106], v[117:118], v[109:110], v[105:106]
	s_waitcnt vmcnt(20)
	v_fma_f64 v[117:118], v[119:120], v[111:112], v[105:106]
	ds_read2_b64 v[105:108], v104 offset0:93 offset1:94
	buffer_load_dword v119, off, s[0:3], 0 offset:288
	buffer_load_dword v120, off, s[0:3], 0 offset:292
	ds_read2_b64 v[109:112], v104 offset0:95 offset1:96
	s_waitcnt vmcnt(20) lgkmcnt(1)
	v_fma_f64 v[105:106], v[121:122], v[105:106], v[117:118]
	s_waitcnt vmcnt(18)
	v_fma_f64 v[105:106], v[123:124], v[107:108], v[105:106]
	s_waitcnt vmcnt(16) lgkmcnt(0)
	v_fma_f64 v[105:106], v[125:126], v[109:110], v[105:106]
	s_waitcnt vmcnt(11)
	v_fma_f64 v[117:118], v[127:128], v[111:112], v[105:106]
	ds_read2_b64 v[105:108], v104 offset0:97 offset1:98
	ds_read2_b64 v[109:112], v104 offset0:99 offset1:100
	s_waitcnt vmcnt(10) lgkmcnt(1)
	v_fma_f64 v[105:106], v[133:134], v[105:106], v[117:118]
	s_waitcnt vmcnt(9)
	v_fma_f64 v[105:106], v[131:132], v[107:108], v[105:106]
	s_waitcnt vmcnt(8) lgkmcnt(0)
	v_fma_f64 v[105:106], v[129:130], v[109:110], v[105:106]
	s_waitcnt vmcnt(4)
	v_fma_f64 v[108:109], v[113:114], v[111:112], v[105:106]
	ds_read2_b64 v[104:107], v104 offset0:101 offset1:102
	s_waitcnt vmcnt(3) lgkmcnt(0)
	v_fma_f64 v[104:105], v[135:136], v[104:105], v[108:109]
	s_waitcnt vmcnt(2)
	v_fma_f64 v[104:105], v[115:116], v[106:107], v[104:105]
	s_waitcnt vmcnt(0)
	v_add_f64 v[104:105], v[119:120], -v[104:105]
	buffer_store_dword v105, off, s[0:3], 0 offset:292
	buffer_store_dword v104, off, s[0:3], 0 offset:288
	s_and_saveexec_b64 s[4:5], vcc
	s_cbranch_execz .LBB50_243
; %bb.242:
	buffer_load_dword v104, off, s[0:3], 0 offset:280
	buffer_load_dword v105, off, s[0:3], 0 offset:284
	v_mov_b32_e32 v106, 0
	buffer_store_dword v106, off, s[0:3], 0 offset:280
	buffer_store_dword v106, off, s[0:3], 0 offset:284
	s_waitcnt vmcnt(2)
	ds_write_b64 v103, v[104:105]
.LBB50_243:
	s_or_b64 exec, exec, s[4:5]
	s_waitcnt lgkmcnt(0)
	; wave barrier
	buffer_load_dword v113, off, s[0:3], 0 offset:288
	buffer_load_dword v114, off, s[0:3], 0 offset:292
	;; [unrolled: 1-line block ×22, first 2 shown]
	v_mov_b32_e32 v104, 0
	ds_read_b128 v[105:108], v104 offset:704
	ds_read_b128 v[109:112], v104 offset:720
	v_cmp_lt_u32_e32 vcc, 34, v0
	s_waitcnt vmcnt(20) lgkmcnt(1)
	v_fma_f64 v[105:106], v[113:114], v[105:106], 0
	s_waitcnt vmcnt(18)
	v_fma_f64 v[105:106], v[115:116], v[107:108], v[105:106]
	buffer_load_dword v114, off, s[0:3], 0 offset:380
	buffer_load_dword v115, off, s[0:3], 0 offset:400
	;; [unrolled: 1-line block ×8, first 2 shown]
	s_waitcnt vmcnt(24) lgkmcnt(0)
	v_fma_f64 v[105:106], v[117:118], v[109:110], v[105:106]
	s_waitcnt vmcnt(22)
	v_fma_f64 v[117:118], v[119:120], v[111:112], v[105:106]
	ds_read_b128 v[105:108], v104 offset:736
	ds_read_b128 v[109:112], v104 offset:752
	s_waitcnt vmcnt(20) lgkmcnt(1)
	v_fma_f64 v[105:106], v[121:122], v[105:106], v[117:118]
	buffer_load_dword v117, off, s[0:3], 0 offset:280
	buffer_load_dword v118, off, s[0:3], 0 offset:284
	s_waitcnt vmcnt(20)
	v_fma_f64 v[105:106], v[123:124], v[107:108], v[105:106]
	s_waitcnt vmcnt(18) lgkmcnt(0)
	v_fma_f64 v[105:106], v[125:126], v[109:110], v[105:106]
	s_waitcnt vmcnt(13)
	v_fma_f64 v[119:120], v[127:128], v[111:112], v[105:106]
	ds_read_b128 v[105:108], v104 offset:768
	ds_read_b128 v[109:112], v104 offset:784
	s_waitcnt vmcnt(12) lgkmcnt(1)
	v_fma_f64 v[105:106], v[133:134], v[105:106], v[119:120]
	s_waitcnt vmcnt(11)
	v_fma_f64 v[105:106], v[131:132], v[107:108], v[105:106]
	s_waitcnt vmcnt(10) lgkmcnt(0)
	v_fma_f64 v[105:106], v[129:130], v[109:110], v[105:106]
	s_waitcnt vmcnt(5)
	v_fma_f64 v[109:110], v[113:114], v[111:112], v[105:106]
	ds_read_b128 v[105:108], v104 offset:800
	ds_read_b64 v[111:112], v104 offset:816
	s_waitcnt vmcnt(4) lgkmcnt(1)
	v_fma_f64 v[105:106], v[137:138], v[105:106], v[109:110]
	s_waitcnt vmcnt(3)
	v_fma_f64 v[105:106], v[135:136], v[107:108], v[105:106]
	s_waitcnt vmcnt(2) lgkmcnt(0)
	v_fma_f64 v[105:106], v[115:116], v[111:112], v[105:106]
	s_waitcnt vmcnt(0)
	v_add_f64 v[105:106], v[117:118], -v[105:106]
	buffer_store_dword v106, off, s[0:3], 0 offset:284
	buffer_store_dword v105, off, s[0:3], 0 offset:280
	s_and_saveexec_b64 s[4:5], vcc
	s_cbranch_execz .LBB50_245
; %bb.244:
	buffer_load_dword v105, off, s[0:3], 0 offset:272
	buffer_load_dword v106, off, s[0:3], 0 offset:276
	s_waitcnt vmcnt(0)
	ds_write_b64 v103, v[105:106]
	buffer_store_dword v104, off, s[0:3], 0 offset:272
	buffer_store_dword v104, off, s[0:3], 0 offset:276
.LBB50_245:
	s_or_b64 exec, exec, s[4:5]
	s_waitcnt lgkmcnt(0)
	; wave barrier
	buffer_load_dword v113, off, s[0:3], 0 offset:280
	buffer_load_dword v114, off, s[0:3], 0 offset:284
	;; [unrolled: 1-line block ×22, first 2 shown]
	ds_read2_b64 v[105:108], v104 offset0:87 offset1:88
	ds_read2_b64 v[109:112], v104 offset0:89 offset1:90
	v_cmp_lt_u32_e32 vcc, 33, v0
	s_waitcnt vmcnt(20) lgkmcnt(1)
	v_fma_f64 v[105:106], v[113:114], v[105:106], 0
	s_waitcnt vmcnt(18)
	v_fma_f64 v[105:106], v[115:116], v[107:108], v[105:106]
	buffer_load_dword v114, off, s[0:3], 0 offset:372
	buffer_load_dword v115, off, s[0:3], 0 offset:392
	;; [unrolled: 1-line block ×8, first 2 shown]
	s_waitcnt vmcnt(24) lgkmcnt(0)
	v_fma_f64 v[105:106], v[117:118], v[109:110], v[105:106]
	s_waitcnt vmcnt(22)
	v_fma_f64 v[117:118], v[119:120], v[111:112], v[105:106]
	ds_read2_b64 v[105:108], v104 offset0:91 offset1:92
	ds_read2_b64 v[109:112], v104 offset0:93 offset1:94
	s_waitcnt vmcnt(20) lgkmcnt(1)
	v_fma_f64 v[105:106], v[121:122], v[105:106], v[117:118]
	buffer_load_dword v118, off, s[0:3], 0 offset:404
	buffer_load_dword v117, off, s[0:3], 0 offset:400
	;; [unrolled: 1-line block ×4, first 2 shown]
	s_waitcnt vmcnt(22)
	v_fma_f64 v[105:106], v[123:124], v[107:108], v[105:106]
	s_waitcnt vmcnt(20) lgkmcnt(0)
	v_fma_f64 v[105:106], v[125:126], v[109:110], v[105:106]
	s_waitcnt vmcnt(15)
	v_fma_f64 v[121:122], v[127:128], v[111:112], v[105:106]
	ds_read2_b64 v[105:108], v104 offset0:95 offset1:96
	ds_read2_b64 v[109:112], v104 offset0:97 offset1:98
	s_waitcnt vmcnt(14) lgkmcnt(1)
	v_fma_f64 v[105:106], v[133:134], v[105:106], v[121:122]
	s_waitcnt vmcnt(13)
	v_fma_f64 v[105:106], v[131:132], v[107:108], v[105:106]
	s_waitcnt vmcnt(12) lgkmcnt(0)
	v_fma_f64 v[105:106], v[129:130], v[109:110], v[105:106]
	s_waitcnt vmcnt(7)
	v_fma_f64 v[113:114], v[113:114], v[111:112], v[105:106]
	ds_read2_b64 v[105:108], v104 offset0:99 offset1:100
	ds_read2_b64 v[109:112], v104 offset0:101 offset1:102
	s_waitcnt vmcnt(6) lgkmcnt(1)
	v_fma_f64 v[104:105], v[137:138], v[105:106], v[113:114]
	s_waitcnt vmcnt(5)
	v_fma_f64 v[104:105], v[135:136], v[107:108], v[104:105]
	s_waitcnt vmcnt(4) lgkmcnt(0)
	v_fma_f64 v[104:105], v[115:116], v[109:110], v[104:105]
	s_waitcnt vmcnt(2)
	v_fma_f64 v[104:105], v[117:118], v[111:112], v[104:105]
	s_waitcnt vmcnt(0)
	v_add_f64 v[104:105], v[119:120], -v[104:105]
	buffer_store_dword v105, off, s[0:3], 0 offset:276
	buffer_store_dword v104, off, s[0:3], 0 offset:272
	s_and_saveexec_b64 s[4:5], vcc
	s_cbranch_execz .LBB50_247
; %bb.246:
	buffer_load_dword v104, off, s[0:3], 0 offset:264
	buffer_load_dword v105, off, s[0:3], 0 offset:268
	v_mov_b32_e32 v106, 0
	buffer_store_dword v106, off, s[0:3], 0 offset:264
	buffer_store_dword v106, off, s[0:3], 0 offset:268
	s_waitcnt vmcnt(2)
	ds_write_b64 v103, v[104:105]
.LBB50_247:
	s_or_b64 exec, exec, s[4:5]
	s_waitcnt lgkmcnt(0)
	; wave barrier
	buffer_load_dword v113, off, s[0:3], 0 offset:272
	buffer_load_dword v114, off, s[0:3], 0 offset:276
	;; [unrolled: 1-line block ×22, first 2 shown]
	v_mov_b32_e32 v104, 0
	ds_read_b128 v[105:108], v104 offset:688
	ds_read_b128 v[109:112], v104 offset:704
	v_cmp_lt_u32_e32 vcc, 32, v0
	s_waitcnt vmcnt(20) lgkmcnt(1)
	v_fma_f64 v[105:106], v[113:114], v[105:106], 0
	s_waitcnt vmcnt(18)
	v_fma_f64 v[105:106], v[115:116], v[107:108], v[105:106]
	buffer_load_dword v114, off, s[0:3], 0 offset:364
	buffer_load_dword v115, off, s[0:3], 0 offset:384
	;; [unrolled: 1-line block ×7, first 2 shown]
	s_waitcnt vmcnt(23) lgkmcnt(0)
	v_fma_f64 v[105:106], v[117:118], v[109:110], v[105:106]
	s_waitcnt vmcnt(21)
	v_fma_f64 v[116:117], v[119:120], v[111:112], v[105:106]
	ds_read_b128 v[105:108], v104 offset:720
	ds_read_b128 v[109:112], v104 offset:736
	s_waitcnt vmcnt(19) lgkmcnt(1)
	v_fma_f64 v[105:106], v[121:122], v[105:106], v[116:117]
	buffer_load_dword v116, off, s[0:3], 0 offset:388
	buffer_load_dword v118, off, s[0:3], 0 offset:396
	;; [unrolled: 1-line block ×7, first 2 shown]
	s_waitcnt vmcnt(24)
	v_fma_f64 v[105:106], v[123:124], v[107:108], v[105:106]
	s_waitcnt vmcnt(22) lgkmcnt(0)
	v_fma_f64 v[105:106], v[125:126], v[109:110], v[105:106]
	s_waitcnt vmcnt(17)
	v_fma_f64 v[123:124], v[127:128], v[111:112], v[105:106]
	ds_read_b128 v[105:108], v104 offset:752
	ds_read_b128 v[109:112], v104 offset:768
	s_waitcnt vmcnt(16) lgkmcnt(1)
	v_fma_f64 v[105:106], v[133:134], v[105:106], v[123:124]
	s_waitcnt vmcnt(15)
	v_fma_f64 v[105:106], v[131:132], v[107:108], v[105:106]
	s_waitcnt vmcnt(14) lgkmcnt(0)
	v_fma_f64 v[105:106], v[129:130], v[109:110], v[105:106]
	s_waitcnt vmcnt(9)
	v_fma_f64 v[113:114], v[113:114], v[111:112], v[105:106]
	ds_read_b128 v[105:108], v104 offset:784
	ds_read_b128 v[109:112], v104 offset:800
	s_waitcnt vmcnt(8) lgkmcnt(1)
	v_fma_f64 v[105:106], v[137:138], v[105:106], v[113:114]
	s_waitcnt vmcnt(7)
	v_fma_f64 v[105:106], v[135:136], v[107:108], v[105:106]
	ds_read_b64 v[107:108], v104 offset:816
	s_waitcnt vmcnt(6) lgkmcnt(1)
	v_fma_f64 v[105:106], v[115:116], v[109:110], v[105:106]
	s_waitcnt vmcnt(3)
	v_fma_f64 v[105:106], v[117:118], v[111:112], v[105:106]
	s_waitcnt vmcnt(2) lgkmcnt(0)
	v_fma_f64 v[105:106], v[119:120], v[107:108], v[105:106]
	s_waitcnt vmcnt(0)
	v_add_f64 v[105:106], v[121:122], -v[105:106]
	buffer_store_dword v106, off, s[0:3], 0 offset:268
	buffer_store_dword v105, off, s[0:3], 0 offset:264
	s_and_saveexec_b64 s[4:5], vcc
	s_cbranch_execz .LBB50_249
; %bb.248:
	buffer_load_dword v105, off, s[0:3], 0 offset:256
	buffer_load_dword v106, off, s[0:3], 0 offset:260
	s_waitcnt vmcnt(0)
	ds_write_b64 v103, v[105:106]
	buffer_store_dword v104, off, s[0:3], 0 offset:256
	buffer_store_dword v104, off, s[0:3], 0 offset:260
.LBB50_249:
	s_or_b64 exec, exec, s[4:5]
	s_waitcnt lgkmcnt(0)
	; wave barrier
	buffer_load_dword v113, off, s[0:3], 0 offset:264
	buffer_load_dword v114, off, s[0:3], 0 offset:268
	buffer_load_dword v115, off, s[0:3], 0 offset:272
	buffer_load_dword v116, off, s[0:3], 0 offset:276
	buffer_load_dword v117, off, s[0:3], 0 offset:280
	buffer_load_dword v118, off, s[0:3], 0 offset:284
	buffer_load_dword v119, off, s[0:3], 0 offset:288
	buffer_load_dword v120, off, s[0:3], 0 offset:292
	buffer_load_dword v121, off, s[0:3], 0 offset:296
	buffer_load_dword v122, off, s[0:3], 0 offset:300
	buffer_load_dword v123, off, s[0:3], 0 offset:304
	buffer_load_dword v124, off, s[0:3], 0 offset:308
	buffer_load_dword v125, off, s[0:3], 0 offset:312
	buffer_load_dword v126, off, s[0:3], 0 offset:316
	buffer_load_dword v128, off, s[0:3], 0 offset:324
	buffer_load_dword v129, off, s[0:3], 0 offset:344
	buffer_load_dword v131, off, s[0:3], 0 offset:336
	buffer_load_dword v133, off, s[0:3], 0 offset:328
	buffer_load_dword v127, off, s[0:3], 0 offset:320
	buffer_load_dword v134, off, s[0:3], 0 offset:332
	buffer_load_dword v132, off, s[0:3], 0 offset:340
	buffer_load_dword v130, off, s[0:3], 0 offset:348
	ds_read2_b64 v[105:108], v104 offset0:85 offset1:86
	ds_read2_b64 v[109:112], v104 offset0:87 offset1:88
	v_cmp_lt_u32_e32 vcc, 31, v0
	s_waitcnt vmcnt(20) lgkmcnt(1)
	v_fma_f64 v[105:106], v[113:114], v[105:106], 0
	s_waitcnt vmcnt(18)
	v_fma_f64 v[105:106], v[115:116], v[107:108], v[105:106]
	buffer_load_dword v114, off, s[0:3], 0 offset:356
	buffer_load_dword v115, off, s[0:3], 0 offset:376
	;; [unrolled: 1-line block ×7, first 2 shown]
	s_waitcnt vmcnt(23) lgkmcnt(0)
	v_fma_f64 v[105:106], v[117:118], v[109:110], v[105:106]
	s_waitcnt vmcnt(21)
	v_fma_f64 v[116:117], v[119:120], v[111:112], v[105:106]
	ds_read2_b64 v[105:108], v104 offset0:89 offset1:90
	ds_read2_b64 v[109:112], v104 offset0:91 offset1:92
	s_waitcnt vmcnt(19) lgkmcnt(1)
	v_fma_f64 v[105:106], v[121:122], v[105:106], v[116:117]
	buffer_load_dword v116, off, s[0:3], 0 offset:380
	buffer_load_dword v118, off, s[0:3], 0 offset:388
	;; [unrolled: 1-line block ×7, first 2 shown]
	s_waitcnt vmcnt(24)
	v_fma_f64 v[105:106], v[123:124], v[107:108], v[105:106]
	s_waitcnt vmcnt(22) lgkmcnt(0)
	v_fma_f64 v[105:106], v[125:126], v[109:110], v[105:106]
	s_waitcnt vmcnt(17)
	v_fma_f64 v[123:124], v[127:128], v[111:112], v[105:106]
	ds_read2_b64 v[105:108], v104 offset0:93 offset1:94
	buffer_load_dword v125, off, s[0:3], 0 offset:256
	buffer_load_dword v126, off, s[0:3], 0 offset:260
	ds_read2_b64 v[109:112], v104 offset0:95 offset1:96
	s_waitcnt vmcnt(18) lgkmcnt(1)
	v_fma_f64 v[105:106], v[133:134], v[105:106], v[123:124]
	s_waitcnt vmcnt(17)
	v_fma_f64 v[105:106], v[131:132], v[107:108], v[105:106]
	s_waitcnt vmcnt(16) lgkmcnt(0)
	v_fma_f64 v[105:106], v[129:130], v[109:110], v[105:106]
	s_waitcnt vmcnt(11)
	v_fma_f64 v[113:114], v[113:114], v[111:112], v[105:106]
	ds_read2_b64 v[105:108], v104 offset0:97 offset1:98
	ds_read2_b64 v[109:112], v104 offset0:99 offset1:100
	s_waitcnt vmcnt(10) lgkmcnt(1)
	v_fma_f64 v[105:106], v[137:138], v[105:106], v[113:114]
	s_waitcnt vmcnt(9)
	v_fma_f64 v[105:106], v[135:136], v[107:108], v[105:106]
	s_waitcnt vmcnt(8) lgkmcnt(0)
	v_fma_f64 v[105:106], v[115:116], v[109:110], v[105:106]
	s_waitcnt vmcnt(4)
	v_fma_f64 v[108:109], v[117:118], v[111:112], v[105:106]
	ds_read2_b64 v[104:107], v104 offset0:101 offset1:102
	s_waitcnt vmcnt(3) lgkmcnt(0)
	v_fma_f64 v[104:105], v[121:122], v[104:105], v[108:109]
	s_waitcnt vmcnt(2)
	v_fma_f64 v[104:105], v[119:120], v[106:107], v[104:105]
	s_waitcnt vmcnt(0)
	v_add_f64 v[104:105], v[125:126], -v[104:105]
	buffer_store_dword v105, off, s[0:3], 0 offset:260
	buffer_store_dword v104, off, s[0:3], 0 offset:256
	s_and_saveexec_b64 s[4:5], vcc
	s_cbranch_execz .LBB50_251
; %bb.250:
	buffer_load_dword v104, off, s[0:3], 0 offset:248
	buffer_load_dword v105, off, s[0:3], 0 offset:252
	v_mov_b32_e32 v106, 0
	buffer_store_dword v106, off, s[0:3], 0 offset:248
	buffer_store_dword v106, off, s[0:3], 0 offset:252
	s_waitcnt vmcnt(2)
	ds_write_b64 v103, v[104:105]
.LBB50_251:
	s_or_b64 exec, exec, s[4:5]
	s_waitcnt lgkmcnt(0)
	; wave barrier
	buffer_load_dword v113, off, s[0:3], 0 offset:256
	buffer_load_dword v114, off, s[0:3], 0 offset:260
	;; [unrolled: 1-line block ×22, first 2 shown]
	v_mov_b32_e32 v104, 0
	ds_read_b128 v[105:108], v104 offset:672
	ds_read_b128 v[109:112], v104 offset:688
	v_cmp_lt_u32_e32 vcc, 30, v0
	s_waitcnt vmcnt(20) lgkmcnt(1)
	v_fma_f64 v[105:106], v[113:114], v[105:106], 0
	s_waitcnt vmcnt(18)
	v_fma_f64 v[105:106], v[115:116], v[107:108], v[105:106]
	buffer_load_dword v114, off, s[0:3], 0 offset:348
	buffer_load_dword v115, off, s[0:3], 0 offset:368
	;; [unrolled: 1-line block ×7, first 2 shown]
	s_waitcnt vmcnt(23) lgkmcnt(0)
	v_fma_f64 v[105:106], v[117:118], v[109:110], v[105:106]
	s_waitcnt vmcnt(21)
	v_fma_f64 v[116:117], v[119:120], v[111:112], v[105:106]
	ds_read_b128 v[105:108], v104 offset:704
	ds_read_b128 v[109:112], v104 offset:720
	s_waitcnt vmcnt(19) lgkmcnt(1)
	v_fma_f64 v[105:106], v[121:122], v[105:106], v[116:117]
	buffer_load_dword v116, off, s[0:3], 0 offset:372
	s_waitcnt vmcnt(18)
	v_fma_f64 v[105:106], v[123:124], v[107:108], v[105:106]
	buffer_load_dword v118, off, s[0:3], 0 offset:380
	buffer_load_dword v119, off, s[0:3], 0 offset:400
	;; [unrolled: 1-line block ×8, first 2 shown]
	s_waitcnt vmcnt(24) lgkmcnt(0)
	v_fma_f64 v[105:106], v[125:126], v[109:110], v[105:106]
	s_waitcnt vmcnt(19)
	v_fma_f64 v[125:126], v[127:128], v[111:112], v[105:106]
	ds_read_b128 v[105:108], v104 offset:736
	ds_read_b128 v[109:112], v104 offset:752
	s_waitcnt vmcnt(18) lgkmcnt(1)
	v_fma_f64 v[105:106], v[133:134], v[105:106], v[125:126]
	buffer_load_dword v125, off, s[0:3], 0 offset:248
	buffer_load_dword v126, off, s[0:3], 0 offset:252
	s_waitcnt vmcnt(19)
	v_fma_f64 v[105:106], v[131:132], v[107:108], v[105:106]
	s_waitcnt vmcnt(18) lgkmcnt(0)
	v_fma_f64 v[105:106], v[129:130], v[109:110], v[105:106]
	s_waitcnt vmcnt(13)
	v_fma_f64 v[113:114], v[113:114], v[111:112], v[105:106]
	ds_read_b128 v[105:108], v104 offset:768
	ds_read_b128 v[109:112], v104 offset:784
	s_waitcnt vmcnt(12) lgkmcnt(1)
	v_fma_f64 v[105:106], v[137:138], v[105:106], v[113:114]
	s_waitcnt vmcnt(11)
	v_fma_f64 v[105:106], v[135:136], v[107:108], v[105:106]
	s_waitcnt vmcnt(10) lgkmcnt(0)
	v_fma_f64 v[105:106], v[115:116], v[109:110], v[105:106]
	s_waitcnt vmcnt(5)
	v_fma_f64 v[109:110], v[117:118], v[111:112], v[105:106]
	ds_read_b128 v[105:108], v104 offset:800
	ds_read_b64 v[111:112], v104 offset:816
	s_waitcnt vmcnt(4) lgkmcnt(1)
	v_fma_f64 v[105:106], v[123:124], v[105:106], v[109:110]
	s_waitcnt vmcnt(3)
	v_fma_f64 v[105:106], v[121:122], v[107:108], v[105:106]
	s_waitcnt vmcnt(2) lgkmcnt(0)
	v_fma_f64 v[105:106], v[119:120], v[111:112], v[105:106]
	s_waitcnt vmcnt(0)
	v_add_f64 v[105:106], v[125:126], -v[105:106]
	buffer_store_dword v106, off, s[0:3], 0 offset:252
	buffer_store_dword v105, off, s[0:3], 0 offset:248
	s_and_saveexec_b64 s[4:5], vcc
	s_cbranch_execz .LBB50_253
; %bb.252:
	buffer_load_dword v105, off, s[0:3], 0 offset:240
	buffer_load_dword v106, off, s[0:3], 0 offset:244
	s_waitcnt vmcnt(0)
	ds_write_b64 v103, v[105:106]
	buffer_store_dword v104, off, s[0:3], 0 offset:240
	buffer_store_dword v104, off, s[0:3], 0 offset:244
.LBB50_253:
	s_or_b64 exec, exec, s[4:5]
	s_waitcnt lgkmcnt(0)
	; wave barrier
	buffer_load_dword v113, off, s[0:3], 0 offset:248
	buffer_load_dword v114, off, s[0:3], 0 offset:252
	;; [unrolled: 1-line block ×22, first 2 shown]
	ds_read2_b64 v[105:108], v104 offset0:83 offset1:84
	ds_read2_b64 v[109:112], v104 offset0:85 offset1:86
	v_cmp_lt_u32_e32 vcc, 29, v0
	s_waitcnt vmcnt(20) lgkmcnt(1)
	v_fma_f64 v[105:106], v[113:114], v[105:106], 0
	s_waitcnt vmcnt(18)
	v_fma_f64 v[105:106], v[115:116], v[107:108], v[105:106]
	buffer_load_dword v114, off, s[0:3], 0 offset:340
	buffer_load_dword v115, off, s[0:3], 0 offset:360
	;; [unrolled: 1-line block ×7, first 2 shown]
	s_waitcnt vmcnt(23) lgkmcnt(0)
	v_fma_f64 v[105:106], v[117:118], v[109:110], v[105:106]
	s_waitcnt vmcnt(21)
	v_fma_f64 v[116:117], v[119:120], v[111:112], v[105:106]
	ds_read2_b64 v[105:108], v104 offset0:87 offset1:88
	ds_read2_b64 v[109:112], v104 offset0:89 offset1:90
	s_waitcnt vmcnt(19) lgkmcnt(1)
	v_fma_f64 v[105:106], v[121:122], v[105:106], v[116:117]
	buffer_load_dword v116, off, s[0:3], 0 offset:364
	s_waitcnt vmcnt(18)
	v_fma_f64 v[105:106], v[123:124], v[107:108], v[105:106]
	buffer_load_dword v118, off, s[0:3], 0 offset:372
	buffer_load_dword v119, off, s[0:3], 0 offset:392
	;; [unrolled: 1-line block ×8, first 2 shown]
	s_waitcnt vmcnt(24) lgkmcnt(0)
	v_fma_f64 v[105:106], v[125:126], v[109:110], v[105:106]
	s_waitcnt vmcnt(19)
	v_fma_f64 v[125:126], v[127:128], v[111:112], v[105:106]
	ds_read2_b64 v[105:108], v104 offset0:91 offset1:92
	ds_read2_b64 v[109:112], v104 offset0:93 offset1:94
	s_waitcnt vmcnt(18) lgkmcnt(1)
	v_fma_f64 v[105:106], v[133:134], v[105:106], v[125:126]
	buffer_load_dword v126, off, s[0:3], 0 offset:404
	buffer_load_dword v125, off, s[0:3], 0 offset:400
	;; [unrolled: 1-line block ×4, first 2 shown]
	s_waitcnt vmcnt(21)
	v_fma_f64 v[105:106], v[131:132], v[107:108], v[105:106]
	s_waitcnt vmcnt(20) lgkmcnt(0)
	v_fma_f64 v[105:106], v[129:130], v[109:110], v[105:106]
	s_waitcnt vmcnt(15)
	v_fma_f64 v[113:114], v[113:114], v[111:112], v[105:106]
	ds_read2_b64 v[105:108], v104 offset0:95 offset1:96
	ds_read2_b64 v[109:112], v104 offset0:97 offset1:98
	s_waitcnt vmcnt(14) lgkmcnt(1)
	v_fma_f64 v[105:106], v[137:138], v[105:106], v[113:114]
	s_waitcnt vmcnt(13)
	v_fma_f64 v[105:106], v[135:136], v[107:108], v[105:106]
	s_waitcnt vmcnt(12) lgkmcnt(0)
	v_fma_f64 v[105:106], v[115:116], v[109:110], v[105:106]
	s_waitcnt vmcnt(7)
	v_fma_f64 v[113:114], v[117:118], v[111:112], v[105:106]
	ds_read2_b64 v[105:108], v104 offset0:99 offset1:100
	ds_read2_b64 v[109:112], v104 offset0:101 offset1:102
	s_waitcnt vmcnt(6) lgkmcnt(1)
	v_fma_f64 v[104:105], v[123:124], v[105:106], v[113:114]
	s_waitcnt vmcnt(5)
	v_fma_f64 v[104:105], v[121:122], v[107:108], v[104:105]
	s_waitcnt vmcnt(4) lgkmcnt(0)
	v_fma_f64 v[104:105], v[119:120], v[109:110], v[104:105]
	s_waitcnt vmcnt(2)
	v_fma_f64 v[104:105], v[125:126], v[111:112], v[104:105]
	s_waitcnt vmcnt(0)
	v_add_f64 v[104:105], v[127:128], -v[104:105]
	buffer_store_dword v105, off, s[0:3], 0 offset:244
	buffer_store_dword v104, off, s[0:3], 0 offset:240
	s_and_saveexec_b64 s[4:5], vcc
	s_cbranch_execz .LBB50_255
; %bb.254:
	buffer_load_dword v104, off, s[0:3], 0 offset:232
	buffer_load_dword v105, off, s[0:3], 0 offset:236
	v_mov_b32_e32 v106, 0
	buffer_store_dword v106, off, s[0:3], 0 offset:232
	buffer_store_dword v106, off, s[0:3], 0 offset:236
	s_waitcnt vmcnt(2)
	ds_write_b64 v103, v[104:105]
.LBB50_255:
	s_or_b64 exec, exec, s[4:5]
	s_waitcnt lgkmcnt(0)
	; wave barrier
	buffer_load_dword v113, off, s[0:3], 0 offset:240
	buffer_load_dword v114, off, s[0:3], 0 offset:244
	;; [unrolled: 1-line block ×21, first 2 shown]
	v_mov_b32_e32 v104, 0
	ds_read_b128 v[105:108], v104 offset:656
	ds_read_b128 v[109:112], v104 offset:672
	buffer_load_dword v130, off, s[0:3], 0 offset:324
	v_cmp_lt_u32_e32 vcc, 28, v0
	s_waitcnt vmcnt(20) lgkmcnt(1)
	v_fma_f64 v[105:106], v[113:114], v[105:106], 0
	s_waitcnt vmcnt(18)
	v_fma_f64 v[105:106], v[115:116], v[107:108], v[105:106]
	buffer_load_dword v114, off, s[0:3], 0 offset:332
	buffer_load_dword v115, off, s[0:3], 0 offset:352
	;; [unrolled: 1-line block ×7, first 2 shown]
	s_waitcnt vmcnt(23) lgkmcnt(0)
	v_fma_f64 v[105:106], v[117:118], v[109:110], v[105:106]
	s_waitcnt vmcnt(21)
	v_fma_f64 v[116:117], v[119:120], v[111:112], v[105:106]
	ds_read_b128 v[105:108], v104 offset:688
	ds_read_b128 v[109:112], v104 offset:704
	s_waitcnt vmcnt(19) lgkmcnt(1)
	v_fma_f64 v[105:106], v[121:122], v[105:106], v[116:117]
	buffer_load_dword v116, off, s[0:3], 0 offset:356
	s_waitcnt vmcnt(18)
	v_fma_f64 v[105:106], v[123:124], v[107:108], v[105:106]
	buffer_load_dword v118, off, s[0:3], 0 offset:364
	buffer_load_dword v119, off, s[0:3], 0 offset:384
	;; [unrolled: 1-line block ×7, first 2 shown]
	s_waitcnt vmcnt(23) lgkmcnt(0)
	v_fma_f64 v[105:106], v[125:126], v[109:110], v[105:106]
	s_waitcnt vmcnt(18)
	v_fma_f64 v[125:126], v[127:128], v[111:112], v[105:106]
	ds_read_b128 v[105:108], v104 offset:720
	ds_read_b128 v[109:112], v104 offset:736
	buffer_load_dword v120, off, s[0:3], 0 offset:388
	s_waitcnt vmcnt(18) lgkmcnt(1)
	v_fma_f64 v[105:106], v[133:134], v[105:106], v[125:126]
	buffer_load_dword v126, off, s[0:3], 0 offset:396
	buffer_load_dword v127, off, s[0:3], 0 offset:400
	;; [unrolled: 1-line block ×4, first 2 shown]
	s_waitcnt vmcnt(21)
	v_fma_f64 v[105:106], v[131:132], v[107:108], v[105:106]
	s_waitcnt vmcnt(20) lgkmcnt(0)
	v_fma_f64 v[105:106], v[129:130], v[109:110], v[105:106]
	buffer_load_dword v129, off, s[0:3], 0 offset:232
	buffer_load_dword v130, off, s[0:3], 0 offset:236
	s_waitcnt vmcnt(17)
	v_fma_f64 v[113:114], v[113:114], v[111:112], v[105:106]
	ds_read_b128 v[105:108], v104 offset:752
	ds_read_b128 v[109:112], v104 offset:768
	s_waitcnt vmcnt(16) lgkmcnt(1)
	v_fma_f64 v[105:106], v[137:138], v[105:106], v[113:114]
	s_waitcnt vmcnt(15)
	v_fma_f64 v[105:106], v[135:136], v[107:108], v[105:106]
	s_waitcnt vmcnt(14) lgkmcnt(0)
	v_fma_f64 v[105:106], v[115:116], v[109:110], v[105:106]
	s_waitcnt vmcnt(9)
	v_fma_f64 v[113:114], v[117:118], v[111:112], v[105:106]
	ds_read_b128 v[105:108], v104 offset:784
	ds_read_b128 v[109:112], v104 offset:800
	s_waitcnt vmcnt(8) lgkmcnt(1)
	v_fma_f64 v[105:106], v[123:124], v[105:106], v[113:114]
	s_waitcnt vmcnt(7)
	v_fma_f64 v[105:106], v[121:122], v[107:108], v[105:106]
	ds_read_b64 v[107:108], v104 offset:816
	s_waitcnt vmcnt(6) lgkmcnt(1)
	v_fma_f64 v[105:106], v[119:120], v[109:110], v[105:106]
	s_waitcnt vmcnt(3)
	v_fma_f64 v[105:106], v[125:126], v[111:112], v[105:106]
	s_waitcnt vmcnt(2) lgkmcnt(0)
	v_fma_f64 v[105:106], v[127:128], v[107:108], v[105:106]
	s_waitcnt vmcnt(0)
	v_add_f64 v[105:106], v[129:130], -v[105:106]
	buffer_store_dword v106, off, s[0:3], 0 offset:236
	buffer_store_dword v105, off, s[0:3], 0 offset:232
	s_and_saveexec_b64 s[4:5], vcc
	s_cbranch_execz .LBB50_257
; %bb.256:
	buffer_load_dword v105, off, s[0:3], 0 offset:224
	buffer_load_dword v106, off, s[0:3], 0 offset:228
	s_waitcnt vmcnt(0)
	ds_write_b64 v103, v[105:106]
	buffer_store_dword v104, off, s[0:3], 0 offset:224
	buffer_store_dword v104, off, s[0:3], 0 offset:228
.LBB50_257:
	s_or_b64 exec, exec, s[4:5]
	s_waitcnt lgkmcnt(0)
	; wave barrier
	buffer_load_dword v113, off, s[0:3], 0 offset:232
	buffer_load_dword v114, off, s[0:3], 0 offset:236
	;; [unrolled: 1-line block ×21, first 2 shown]
	ds_read2_b64 v[105:108], v104 offset0:81 offset1:82
	ds_read2_b64 v[109:112], v104 offset0:83 offset1:84
	buffer_load_dword v130, off, s[0:3], 0 offset:316
	v_cmp_lt_u32_e32 vcc, 27, v0
	s_waitcnt vmcnt(20) lgkmcnt(1)
	v_fma_f64 v[105:106], v[113:114], v[105:106], 0
	s_waitcnt vmcnt(18)
	v_fma_f64 v[105:106], v[115:116], v[107:108], v[105:106]
	buffer_load_dword v114, off, s[0:3], 0 offset:324
	buffer_load_dword v115, off, s[0:3], 0 offset:344
	buffer_load_dword v135, off, s[0:3], 0 offset:336
	buffer_load_dword v137, off, s[0:3], 0 offset:328
	buffer_load_dword v113, off, s[0:3], 0 offset:320
	buffer_load_dword v138, off, s[0:3], 0 offset:332
	buffer_load_dword v136, off, s[0:3], 0 offset:340
	s_waitcnt vmcnt(23) lgkmcnt(0)
	v_fma_f64 v[105:106], v[117:118], v[109:110], v[105:106]
	s_waitcnt vmcnt(21)
	v_fma_f64 v[116:117], v[119:120], v[111:112], v[105:106]
	ds_read2_b64 v[105:108], v104 offset0:85 offset1:86
	ds_read2_b64 v[109:112], v104 offset0:87 offset1:88
	s_waitcnt vmcnt(19) lgkmcnt(1)
	v_fma_f64 v[105:106], v[121:122], v[105:106], v[116:117]
	buffer_load_dword v116, off, s[0:3], 0 offset:348
	s_waitcnt vmcnt(18)
	v_fma_f64 v[105:106], v[123:124], v[107:108], v[105:106]
	buffer_load_dword v118, off, s[0:3], 0 offset:356
	buffer_load_dword v119, off, s[0:3], 0 offset:376
	;; [unrolled: 1-line block ×8, first 2 shown]
	s_waitcnt vmcnt(24) lgkmcnt(0)
	v_fma_f64 v[105:106], v[125:126], v[109:110], v[105:106]
	s_waitcnt vmcnt(19)
	v_fma_f64 v[125:126], v[127:128], v[111:112], v[105:106]
	ds_read2_b64 v[105:108], v104 offset0:89 offset1:90
	ds_read2_b64 v[109:112], v104 offset0:91 offset1:92
	s_waitcnt vmcnt(18) lgkmcnt(1)
	v_fma_f64 v[105:106], v[133:134], v[105:106], v[125:126]
	s_waitcnt vmcnt(17)
	v_fma_f64 v[105:106], v[131:132], v[107:108], v[105:106]
	buffer_load_dword v126, off, s[0:3], 0 offset:388
	buffer_load_dword v127, off, s[0:3], 0 offset:400
	;; [unrolled: 1-line block ×6, first 2 shown]
	s_waitcnt vmcnt(22) lgkmcnt(0)
	v_fma_f64 v[105:106], v[129:130], v[109:110], v[105:106]
	s_waitcnt vmcnt(17)
	v_fma_f64 v[113:114], v[113:114], v[111:112], v[105:106]
	ds_read2_b64 v[105:108], v104 offset0:93 offset1:94
	buffer_load_dword v129, off, s[0:3], 0 offset:224
	buffer_load_dword v130, off, s[0:3], 0 offset:228
	ds_read2_b64 v[109:112], v104 offset0:95 offset1:96
	s_waitcnt vmcnt(18) lgkmcnt(1)
	v_fma_f64 v[105:106], v[137:138], v[105:106], v[113:114]
	s_waitcnt vmcnt(17)
	v_fma_f64 v[105:106], v[135:136], v[107:108], v[105:106]
	s_waitcnt vmcnt(16) lgkmcnt(0)
	v_fma_f64 v[105:106], v[115:116], v[109:110], v[105:106]
	s_waitcnt vmcnt(11)
	v_fma_f64 v[113:114], v[117:118], v[111:112], v[105:106]
	ds_read2_b64 v[105:108], v104 offset0:97 offset1:98
	ds_read2_b64 v[109:112], v104 offset0:99 offset1:100
	s_waitcnt vmcnt(10) lgkmcnt(1)
	v_fma_f64 v[105:106], v[123:124], v[105:106], v[113:114]
	s_waitcnt vmcnt(9)
	v_fma_f64 v[105:106], v[121:122], v[107:108], v[105:106]
	s_waitcnt vmcnt(8) lgkmcnt(0)
	v_fma_f64 v[105:106], v[119:120], v[109:110], v[105:106]
	s_waitcnt vmcnt(4)
	v_fma_f64 v[108:109], v[125:126], v[111:112], v[105:106]
	ds_read2_b64 v[104:107], v104 offset0:101 offset1:102
	s_waitcnt vmcnt(3) lgkmcnt(0)
	v_fma_f64 v[104:105], v[131:132], v[104:105], v[108:109]
	s_waitcnt vmcnt(2)
	v_fma_f64 v[104:105], v[127:128], v[106:107], v[104:105]
	s_waitcnt vmcnt(0)
	v_add_f64 v[104:105], v[129:130], -v[104:105]
	buffer_store_dword v105, off, s[0:3], 0 offset:228
	buffer_store_dword v104, off, s[0:3], 0 offset:224
	s_and_saveexec_b64 s[4:5], vcc
	s_cbranch_execz .LBB50_259
; %bb.258:
	buffer_load_dword v104, off, s[0:3], 0 offset:216
	buffer_load_dword v105, off, s[0:3], 0 offset:220
	v_mov_b32_e32 v106, 0
	buffer_store_dword v106, off, s[0:3], 0 offset:216
	buffer_store_dword v106, off, s[0:3], 0 offset:220
	s_waitcnt vmcnt(2)
	ds_write_b64 v103, v[104:105]
.LBB50_259:
	s_or_b64 exec, exec, s[4:5]
	s_waitcnt lgkmcnt(0)
	; wave barrier
	buffer_load_dword v113, off, s[0:3], 0 offset:224
	buffer_load_dword v114, off, s[0:3], 0 offset:228
	;; [unrolled: 1-line block ×21, first 2 shown]
	v_mov_b32_e32 v104, 0
	ds_read_b128 v[105:108], v104 offset:640
	ds_read_b128 v[109:112], v104 offset:656
	buffer_load_dword v130, off, s[0:3], 0 offset:308
	v_cmp_lt_u32_e32 vcc, 26, v0
	s_waitcnt vmcnt(20) lgkmcnt(1)
	v_fma_f64 v[105:106], v[113:114], v[105:106], 0
	s_waitcnt vmcnt(18)
	v_fma_f64 v[105:106], v[115:116], v[107:108], v[105:106]
	buffer_load_dword v114, off, s[0:3], 0 offset:316
	buffer_load_dword v115, off, s[0:3], 0 offset:336
	;; [unrolled: 1-line block ×7, first 2 shown]
	s_waitcnt vmcnt(23) lgkmcnt(0)
	v_fma_f64 v[105:106], v[117:118], v[109:110], v[105:106]
	s_waitcnt vmcnt(21)
	v_fma_f64 v[116:117], v[119:120], v[111:112], v[105:106]
	ds_read_b128 v[105:108], v104 offset:672
	ds_read_b128 v[109:112], v104 offset:688
	s_waitcnt vmcnt(19) lgkmcnt(1)
	v_fma_f64 v[105:106], v[121:122], v[105:106], v[116:117]
	buffer_load_dword v116, off, s[0:3], 0 offset:340
	s_waitcnt vmcnt(18)
	v_fma_f64 v[105:106], v[123:124], v[107:108], v[105:106]
	buffer_load_dword v118, off, s[0:3], 0 offset:348
	buffer_load_dword v119, off, s[0:3], 0 offset:368
	;; [unrolled: 1-line block ×8, first 2 shown]
	s_waitcnt vmcnt(24) lgkmcnt(0)
	v_fma_f64 v[105:106], v[125:126], v[109:110], v[105:106]
	s_waitcnt vmcnt(19)
	v_fma_f64 v[125:126], v[127:128], v[111:112], v[105:106]
	ds_read_b128 v[105:108], v104 offset:704
	ds_read_b128 v[109:112], v104 offset:720
	s_waitcnt vmcnt(18) lgkmcnt(1)
	v_fma_f64 v[105:106], v[133:134], v[105:106], v[125:126]
	s_waitcnt vmcnt(17)
	v_fma_f64 v[105:106], v[131:132], v[107:108], v[105:106]
	buffer_load_dword v126, off, s[0:3], 0 offset:380
	buffer_load_dword v127, off, s[0:3], 0 offset:400
	;; [unrolled: 1-line block ×8, first 2 shown]
	s_waitcnt vmcnt(24) lgkmcnt(0)
	v_fma_f64 v[105:106], v[129:130], v[109:110], v[105:106]
	s_waitcnt vmcnt(19)
	v_fma_f64 v[113:114], v[113:114], v[111:112], v[105:106]
	ds_read_b128 v[105:108], v104 offset:736
	ds_read_b128 v[109:112], v104 offset:752
	s_waitcnt vmcnt(18) lgkmcnt(1)
	v_fma_f64 v[105:106], v[137:138], v[105:106], v[113:114]
	buffer_load_dword v113, off, s[0:3], 0 offset:216
	buffer_load_dword v114, off, s[0:3], 0 offset:220
	s_waitcnt vmcnt(19)
	v_fma_f64 v[105:106], v[135:136], v[107:108], v[105:106]
	s_waitcnt vmcnt(18) lgkmcnt(0)
	v_fma_f64 v[105:106], v[115:116], v[109:110], v[105:106]
	s_waitcnt vmcnt(13)
	v_fma_f64 v[115:116], v[117:118], v[111:112], v[105:106]
	ds_read_b128 v[105:108], v104 offset:768
	ds_read_b128 v[109:112], v104 offset:784
	s_waitcnt vmcnt(12) lgkmcnt(1)
	v_fma_f64 v[105:106], v[123:124], v[105:106], v[115:116]
	s_waitcnt vmcnt(11)
	v_fma_f64 v[105:106], v[121:122], v[107:108], v[105:106]
	s_waitcnt vmcnt(10) lgkmcnt(0)
	v_fma_f64 v[105:106], v[119:120], v[109:110], v[105:106]
	s_waitcnt vmcnt(5)
	v_fma_f64 v[109:110], v[125:126], v[111:112], v[105:106]
	ds_read_b128 v[105:108], v104 offset:800
	ds_read_b64 v[111:112], v104 offset:816
	s_waitcnt vmcnt(4) lgkmcnt(1)
	v_fma_f64 v[105:106], v[133:134], v[105:106], v[109:110]
	s_waitcnt vmcnt(3)
	v_fma_f64 v[105:106], v[131:132], v[107:108], v[105:106]
	s_waitcnt vmcnt(2) lgkmcnt(0)
	v_fma_f64 v[105:106], v[127:128], v[111:112], v[105:106]
	s_waitcnt vmcnt(0)
	v_add_f64 v[105:106], v[113:114], -v[105:106]
	buffer_store_dword v106, off, s[0:3], 0 offset:220
	buffer_store_dword v105, off, s[0:3], 0 offset:216
	s_and_saveexec_b64 s[4:5], vcc
	s_cbranch_execz .LBB50_261
; %bb.260:
	buffer_load_dword v105, off, s[0:3], 0 offset:208
	buffer_load_dword v106, off, s[0:3], 0 offset:212
	s_waitcnt vmcnt(0)
	ds_write_b64 v103, v[105:106]
	buffer_store_dword v104, off, s[0:3], 0 offset:208
	buffer_store_dword v104, off, s[0:3], 0 offset:212
.LBB50_261:
	s_or_b64 exec, exec, s[4:5]
	s_waitcnt lgkmcnt(0)
	; wave barrier
	buffer_load_dword v113, off, s[0:3], 0 offset:216
	buffer_load_dword v114, off, s[0:3], 0 offset:220
	;; [unrolled: 1-line block ×21, first 2 shown]
	ds_read2_b64 v[105:108], v104 offset0:79 offset1:80
	ds_read2_b64 v[109:112], v104 offset0:81 offset1:82
	buffer_load_dword v130, off, s[0:3], 0 offset:300
	v_cmp_lt_u32_e32 vcc, 25, v0
	s_waitcnt vmcnt(20) lgkmcnt(1)
	v_fma_f64 v[105:106], v[113:114], v[105:106], 0
	s_waitcnt vmcnt(18)
	v_fma_f64 v[105:106], v[115:116], v[107:108], v[105:106]
	buffer_load_dword v114, off, s[0:3], 0 offset:308
	buffer_load_dword v115, off, s[0:3], 0 offset:328
	;; [unrolled: 1-line block ×7, first 2 shown]
	s_waitcnt vmcnt(23) lgkmcnt(0)
	v_fma_f64 v[105:106], v[117:118], v[109:110], v[105:106]
	s_waitcnt vmcnt(21)
	v_fma_f64 v[116:117], v[119:120], v[111:112], v[105:106]
	ds_read2_b64 v[105:108], v104 offset0:83 offset1:84
	ds_read2_b64 v[109:112], v104 offset0:85 offset1:86
	s_waitcnt vmcnt(19) lgkmcnt(1)
	v_fma_f64 v[105:106], v[121:122], v[105:106], v[116:117]
	buffer_load_dword v116, off, s[0:3], 0 offset:332
	s_waitcnt vmcnt(18)
	v_fma_f64 v[105:106], v[123:124], v[107:108], v[105:106]
	buffer_load_dword v118, off, s[0:3], 0 offset:340
	buffer_load_dword v119, off, s[0:3], 0 offset:360
	;; [unrolled: 1-line block ×8, first 2 shown]
	s_waitcnt vmcnt(24) lgkmcnt(0)
	v_fma_f64 v[105:106], v[125:126], v[109:110], v[105:106]
	s_waitcnt vmcnt(19)
	v_fma_f64 v[125:126], v[127:128], v[111:112], v[105:106]
	ds_read2_b64 v[105:108], v104 offset0:87 offset1:88
	ds_read2_b64 v[109:112], v104 offset0:89 offset1:90
	s_waitcnt vmcnt(18) lgkmcnt(1)
	v_fma_f64 v[105:106], v[133:134], v[105:106], v[125:126]
	s_waitcnt vmcnt(17)
	v_fma_f64 v[105:106], v[131:132], v[107:108], v[105:106]
	buffer_load_dword v126, off, s[0:3], 0 offset:372
	buffer_load_dword v127, off, s[0:3], 0 offset:392
	;; [unrolled: 1-line block ×8, first 2 shown]
	s_waitcnt vmcnt(24) lgkmcnt(0)
	v_fma_f64 v[105:106], v[129:130], v[109:110], v[105:106]
	s_waitcnt vmcnt(19)
	v_fma_f64 v[113:114], v[113:114], v[111:112], v[105:106]
	ds_read2_b64 v[105:108], v104 offset0:91 offset1:92
	ds_read2_b64 v[109:112], v104 offset0:93 offset1:94
	s_waitcnt vmcnt(18) lgkmcnt(1)
	v_fma_f64 v[105:106], v[137:138], v[105:106], v[113:114]
	buffer_load_dword v114, off, s[0:3], 0 offset:404
	buffer_load_dword v113, off, s[0:3], 0 offset:400
	;; [unrolled: 1-line block ×4, first 2 shown]
	s_waitcnt vmcnt(21)
	v_fma_f64 v[105:106], v[135:136], v[107:108], v[105:106]
	s_waitcnt vmcnt(20) lgkmcnt(0)
	v_fma_f64 v[105:106], v[115:116], v[109:110], v[105:106]
	s_waitcnt vmcnt(15)
	v_fma_f64 v[115:116], v[117:118], v[111:112], v[105:106]
	ds_read2_b64 v[105:108], v104 offset0:95 offset1:96
	ds_read2_b64 v[109:112], v104 offset0:97 offset1:98
	s_waitcnt vmcnt(14) lgkmcnt(1)
	v_fma_f64 v[105:106], v[123:124], v[105:106], v[115:116]
	s_waitcnt vmcnt(13)
	v_fma_f64 v[105:106], v[121:122], v[107:108], v[105:106]
	s_waitcnt vmcnt(12) lgkmcnt(0)
	v_fma_f64 v[105:106], v[119:120], v[109:110], v[105:106]
	s_waitcnt vmcnt(7)
	v_fma_f64 v[115:116], v[125:126], v[111:112], v[105:106]
	ds_read2_b64 v[105:108], v104 offset0:99 offset1:100
	ds_read2_b64 v[109:112], v104 offset0:101 offset1:102
	s_waitcnt vmcnt(6) lgkmcnt(1)
	v_fma_f64 v[104:105], v[133:134], v[105:106], v[115:116]
	s_waitcnt vmcnt(5)
	v_fma_f64 v[104:105], v[131:132], v[107:108], v[104:105]
	s_waitcnt vmcnt(4) lgkmcnt(0)
	v_fma_f64 v[104:105], v[127:128], v[109:110], v[104:105]
	s_waitcnt vmcnt(2)
	v_fma_f64 v[104:105], v[113:114], v[111:112], v[104:105]
	s_waitcnt vmcnt(0)
	v_add_f64 v[104:105], v[129:130], -v[104:105]
	buffer_store_dword v105, off, s[0:3], 0 offset:212
	buffer_store_dword v104, off, s[0:3], 0 offset:208
	s_and_saveexec_b64 s[4:5], vcc
	s_cbranch_execz .LBB50_263
; %bb.262:
	buffer_load_dword v104, off, s[0:3], 0 offset:200
	buffer_load_dword v105, off, s[0:3], 0 offset:204
	v_mov_b32_e32 v106, 0
	buffer_store_dword v106, off, s[0:3], 0 offset:200
	buffer_store_dword v106, off, s[0:3], 0 offset:204
	s_waitcnt vmcnt(2)
	ds_write_b64 v103, v[104:105]
.LBB50_263:
	s_or_b64 exec, exec, s[4:5]
	s_waitcnt lgkmcnt(0)
	; wave barrier
	buffer_load_dword v113, off, s[0:3], 0 offset:208
	buffer_load_dword v114, off, s[0:3], 0 offset:212
	;; [unrolled: 1-line block ×21, first 2 shown]
	v_mov_b32_e32 v104, 0
	ds_read_b128 v[105:108], v104 offset:624
	ds_read_b128 v[109:112], v104 offset:640
	buffer_load_dword v130, off, s[0:3], 0 offset:292
	v_cmp_lt_u32_e32 vcc, 24, v0
	s_waitcnt vmcnt(20) lgkmcnt(1)
	v_fma_f64 v[105:106], v[113:114], v[105:106], 0
	s_waitcnt vmcnt(18)
	v_fma_f64 v[105:106], v[115:116], v[107:108], v[105:106]
	buffer_load_dword v114, off, s[0:3], 0 offset:300
	buffer_load_dword v115, off, s[0:3], 0 offset:320
	;; [unrolled: 1-line block ×7, first 2 shown]
	s_waitcnt vmcnt(23) lgkmcnt(0)
	v_fma_f64 v[105:106], v[117:118], v[109:110], v[105:106]
	s_waitcnt vmcnt(21)
	v_fma_f64 v[116:117], v[119:120], v[111:112], v[105:106]
	ds_read_b128 v[105:108], v104 offset:656
	ds_read_b128 v[109:112], v104 offset:672
	s_waitcnt vmcnt(19) lgkmcnt(1)
	v_fma_f64 v[105:106], v[121:122], v[105:106], v[116:117]
	buffer_load_dword v116, off, s[0:3], 0 offset:324
	s_waitcnt vmcnt(18)
	v_fma_f64 v[105:106], v[123:124], v[107:108], v[105:106]
	buffer_load_dword v118, off, s[0:3], 0 offset:332
	buffer_load_dword v119, off, s[0:3], 0 offset:352
	buffer_load_dword v121, off, s[0:3], 0 offset:344
	buffer_load_dword v123, off, s[0:3], 0 offset:336
	buffer_load_dword v117, off, s[0:3], 0 offset:328
	buffer_load_dword v124, off, s[0:3], 0 offset:340
	buffer_load_dword v122, off, s[0:3], 0 offset:348
	buffer_load_dword v120, off, s[0:3], 0 offset:356
	s_waitcnt vmcnt(24) lgkmcnt(0)
	v_fma_f64 v[105:106], v[125:126], v[109:110], v[105:106]
	s_waitcnt vmcnt(19)
	v_fma_f64 v[125:126], v[127:128], v[111:112], v[105:106]
	ds_read_b128 v[105:108], v104 offset:688
	ds_read_b128 v[109:112], v104 offset:704
	s_waitcnt vmcnt(18) lgkmcnt(1)
	v_fma_f64 v[105:106], v[133:134], v[105:106], v[125:126]
	s_waitcnt vmcnt(17)
	v_fma_f64 v[105:106], v[131:132], v[107:108], v[105:106]
	buffer_load_dword v126, off, s[0:3], 0 offset:364
	buffer_load_dword v127, off, s[0:3], 0 offset:384
	;; [unrolled: 1-line block ×7, first 2 shown]
	s_waitcnt vmcnt(23) lgkmcnt(0)
	v_fma_f64 v[105:106], v[129:130], v[109:110], v[105:106]
	s_waitcnt vmcnt(18)
	v_fma_f64 v[113:114], v[113:114], v[111:112], v[105:106]
	ds_read_b128 v[105:108], v104 offset:720
	ds_read_b128 v[109:112], v104 offset:736
	buffer_load_dword v128, off, s[0:3], 0 offset:388
	s_waitcnt vmcnt(18) lgkmcnt(1)
	v_fma_f64 v[105:106], v[137:138], v[105:106], v[113:114]
	buffer_load_dword v114, off, s[0:3], 0 offset:396
	buffer_load_dword v129, off, s[0:3], 0 offset:400
	;; [unrolled: 1-line block ×4, first 2 shown]
	s_waitcnt vmcnt(21)
	v_fma_f64 v[105:106], v[135:136], v[107:108], v[105:106]
	s_waitcnt vmcnt(20) lgkmcnt(0)
	v_fma_f64 v[105:106], v[115:116], v[109:110], v[105:106]
	buffer_load_dword v115, off, s[0:3], 0 offset:200
	buffer_load_dword v116, off, s[0:3], 0 offset:204
	s_waitcnt vmcnt(17)
	v_fma_f64 v[117:118], v[117:118], v[111:112], v[105:106]
	ds_read_b128 v[105:108], v104 offset:752
	ds_read_b128 v[109:112], v104 offset:768
	s_waitcnt vmcnt(16) lgkmcnt(1)
	v_fma_f64 v[105:106], v[123:124], v[105:106], v[117:118]
	s_waitcnt vmcnt(15)
	v_fma_f64 v[105:106], v[121:122], v[107:108], v[105:106]
	s_waitcnt vmcnt(14) lgkmcnt(0)
	v_fma_f64 v[105:106], v[119:120], v[109:110], v[105:106]
	s_waitcnt vmcnt(9)
	v_fma_f64 v[117:118], v[125:126], v[111:112], v[105:106]
	ds_read_b128 v[105:108], v104 offset:784
	ds_read_b128 v[109:112], v104 offset:800
	s_waitcnt vmcnt(8) lgkmcnt(1)
	v_fma_f64 v[105:106], v[133:134], v[105:106], v[117:118]
	s_waitcnt vmcnt(7)
	v_fma_f64 v[105:106], v[131:132], v[107:108], v[105:106]
	ds_read_b64 v[107:108], v104 offset:816
	s_waitcnt vmcnt(6) lgkmcnt(1)
	v_fma_f64 v[105:106], v[127:128], v[109:110], v[105:106]
	s_waitcnt vmcnt(3)
	v_fma_f64 v[105:106], v[113:114], v[111:112], v[105:106]
	s_waitcnt vmcnt(2) lgkmcnt(0)
	v_fma_f64 v[105:106], v[129:130], v[107:108], v[105:106]
	s_waitcnt vmcnt(0)
	v_add_f64 v[105:106], v[115:116], -v[105:106]
	buffer_store_dword v106, off, s[0:3], 0 offset:204
	buffer_store_dword v105, off, s[0:3], 0 offset:200
	s_and_saveexec_b64 s[4:5], vcc
	s_cbranch_execz .LBB50_265
; %bb.264:
	buffer_load_dword v105, off, s[0:3], 0 offset:192
	buffer_load_dword v106, off, s[0:3], 0 offset:196
	s_waitcnt vmcnt(0)
	ds_write_b64 v103, v[105:106]
	buffer_store_dword v104, off, s[0:3], 0 offset:192
	buffer_store_dword v104, off, s[0:3], 0 offset:196
.LBB50_265:
	s_or_b64 exec, exec, s[4:5]
	s_waitcnt lgkmcnt(0)
	; wave barrier
	buffer_load_dword v113, off, s[0:3], 0 offset:200
	buffer_load_dword v114, off, s[0:3], 0 offset:204
	;; [unrolled: 1-line block ×22, first 2 shown]
	ds_read2_b64 v[105:108], v104 offset0:77 offset1:78
	ds_read2_b64 v[109:112], v104 offset0:79 offset1:80
	v_cmp_lt_u32_e32 vcc, 23, v0
	s_waitcnt vmcnt(20) lgkmcnt(1)
	v_fma_f64 v[105:106], v[113:114], v[105:106], 0
	s_waitcnt vmcnt(18)
	v_fma_f64 v[105:106], v[115:116], v[107:108], v[105:106]
	buffer_load_dword v114, off, s[0:3], 0 offset:292
	buffer_load_dword v115, off, s[0:3], 0 offset:312
	;; [unrolled: 1-line block ×7, first 2 shown]
	s_waitcnt vmcnt(23) lgkmcnt(0)
	v_fma_f64 v[105:106], v[117:118], v[109:110], v[105:106]
	s_waitcnt vmcnt(21)
	v_fma_f64 v[116:117], v[119:120], v[111:112], v[105:106]
	ds_read2_b64 v[105:108], v104 offset0:81 offset1:82
	ds_read2_b64 v[109:112], v104 offset0:83 offset1:84
	s_waitcnt vmcnt(19) lgkmcnt(1)
	v_fma_f64 v[105:106], v[121:122], v[105:106], v[116:117]
	buffer_load_dword v116, off, s[0:3], 0 offset:316
	s_waitcnt vmcnt(18)
	v_fma_f64 v[105:106], v[123:124], v[107:108], v[105:106]
	buffer_load_dword v118, off, s[0:3], 0 offset:324
	buffer_load_dword v119, off, s[0:3], 0 offset:344
	;; [unrolled: 1-line block ×8, first 2 shown]
	s_waitcnt vmcnt(24) lgkmcnt(0)
	v_fma_f64 v[105:106], v[125:126], v[109:110], v[105:106]
	s_waitcnt vmcnt(19)
	v_fma_f64 v[125:126], v[127:128], v[111:112], v[105:106]
	ds_read2_b64 v[105:108], v104 offset0:85 offset1:86
	ds_read2_b64 v[109:112], v104 offset0:87 offset1:88
	s_waitcnt vmcnt(18) lgkmcnt(1)
	v_fma_f64 v[105:106], v[133:134], v[105:106], v[125:126]
	s_waitcnt vmcnt(17)
	v_fma_f64 v[105:106], v[131:132], v[107:108], v[105:106]
	buffer_load_dword v126, off, s[0:3], 0 offset:356
	buffer_load_dword v127, off, s[0:3], 0 offset:376
	;; [unrolled: 1-line block ×8, first 2 shown]
	s_waitcnt vmcnt(24) lgkmcnt(0)
	v_fma_f64 v[105:106], v[129:130], v[109:110], v[105:106]
	s_waitcnt vmcnt(19)
	v_fma_f64 v[113:114], v[113:114], v[111:112], v[105:106]
	ds_read2_b64 v[105:108], v104 offset0:89 offset1:90
	ds_read2_b64 v[109:112], v104 offset0:91 offset1:92
	s_waitcnt vmcnt(18) lgkmcnt(1)
	v_fma_f64 v[105:106], v[137:138], v[105:106], v[113:114]
	s_waitcnt vmcnt(17)
	v_fma_f64 v[105:106], v[135:136], v[107:108], v[105:106]
	buffer_load_dword v114, off, s[0:3], 0 offset:388
	buffer_load_dword v129, off, s[0:3], 0 offset:400
	;; [unrolled: 1-line block ×6, first 2 shown]
	s_waitcnt vmcnt(22) lgkmcnt(0)
	v_fma_f64 v[105:106], v[115:116], v[109:110], v[105:106]
	s_waitcnt vmcnt(17)
	v_fma_f64 v[115:116], v[117:118], v[111:112], v[105:106]
	ds_read2_b64 v[105:108], v104 offset0:93 offset1:94
	buffer_load_dword v117, off, s[0:3], 0 offset:192
	buffer_load_dword v118, off, s[0:3], 0 offset:196
	ds_read2_b64 v[109:112], v104 offset0:95 offset1:96
	s_waitcnt vmcnt(18) lgkmcnt(1)
	v_fma_f64 v[105:106], v[123:124], v[105:106], v[115:116]
	s_waitcnt vmcnt(17)
	v_fma_f64 v[105:106], v[121:122], v[107:108], v[105:106]
	s_waitcnt vmcnt(16) lgkmcnt(0)
	v_fma_f64 v[105:106], v[119:120], v[109:110], v[105:106]
	s_waitcnt vmcnt(11)
	v_fma_f64 v[115:116], v[125:126], v[111:112], v[105:106]
	ds_read2_b64 v[105:108], v104 offset0:97 offset1:98
	ds_read2_b64 v[109:112], v104 offset0:99 offset1:100
	s_waitcnt vmcnt(10) lgkmcnt(1)
	v_fma_f64 v[105:106], v[133:134], v[105:106], v[115:116]
	s_waitcnt vmcnt(9)
	v_fma_f64 v[105:106], v[131:132], v[107:108], v[105:106]
	s_waitcnt vmcnt(8) lgkmcnt(0)
	v_fma_f64 v[105:106], v[127:128], v[109:110], v[105:106]
	s_waitcnt vmcnt(4)
	v_fma_f64 v[108:109], v[113:114], v[111:112], v[105:106]
	ds_read2_b64 v[104:107], v104 offset0:101 offset1:102
	s_waitcnt vmcnt(3) lgkmcnt(0)
	v_fma_f64 v[104:105], v[135:136], v[104:105], v[108:109]
	s_waitcnt vmcnt(2)
	v_fma_f64 v[104:105], v[129:130], v[106:107], v[104:105]
	s_waitcnt vmcnt(0)
	v_add_f64 v[104:105], v[117:118], -v[104:105]
	buffer_store_dword v105, off, s[0:3], 0 offset:196
	buffer_store_dword v104, off, s[0:3], 0 offset:192
	s_and_saveexec_b64 s[4:5], vcc
	s_cbranch_execz .LBB50_267
; %bb.266:
	buffer_load_dword v104, off, s[0:3], 0 offset:184
	buffer_load_dword v105, off, s[0:3], 0 offset:188
	v_mov_b32_e32 v106, 0
	buffer_store_dword v106, off, s[0:3], 0 offset:184
	buffer_store_dword v106, off, s[0:3], 0 offset:188
	s_waitcnt vmcnt(2)
	ds_write_b64 v103, v[104:105]
.LBB50_267:
	s_or_b64 exec, exec, s[4:5]
	s_waitcnt lgkmcnt(0)
	; wave barrier
	buffer_load_dword v113, off, s[0:3], 0 offset:192
	buffer_load_dword v114, off, s[0:3], 0 offset:196
	;; [unrolled: 1-line block ×22, first 2 shown]
	v_mov_b32_e32 v104, 0
	ds_read_b128 v[105:108], v104 offset:608
	ds_read_b128 v[109:112], v104 offset:624
	v_cmp_lt_u32_e32 vcc, 22, v0
	s_waitcnt vmcnt(20) lgkmcnt(1)
	v_fma_f64 v[105:106], v[113:114], v[105:106], 0
	s_waitcnt vmcnt(18)
	v_fma_f64 v[105:106], v[115:116], v[107:108], v[105:106]
	buffer_load_dword v114, off, s[0:3], 0 offset:284
	buffer_load_dword v115, off, s[0:3], 0 offset:304
	;; [unrolled: 1-line block ×7, first 2 shown]
	s_waitcnt vmcnt(23) lgkmcnt(0)
	v_fma_f64 v[105:106], v[117:118], v[109:110], v[105:106]
	s_waitcnt vmcnt(21)
	v_fma_f64 v[116:117], v[119:120], v[111:112], v[105:106]
	ds_read_b128 v[105:108], v104 offset:640
	ds_read_b128 v[109:112], v104 offset:656
	s_waitcnt vmcnt(19) lgkmcnt(1)
	v_fma_f64 v[105:106], v[121:122], v[105:106], v[116:117]
	buffer_load_dword v116, off, s[0:3], 0 offset:308
	s_waitcnt vmcnt(18)
	v_fma_f64 v[105:106], v[123:124], v[107:108], v[105:106]
	buffer_load_dword v118, off, s[0:3], 0 offset:316
	buffer_load_dword v119, off, s[0:3], 0 offset:336
	buffer_load_dword v121, off, s[0:3], 0 offset:328
	buffer_load_dword v123, off, s[0:3], 0 offset:320
	buffer_load_dword v117, off, s[0:3], 0 offset:312
	buffer_load_dword v124, off, s[0:3], 0 offset:324
	buffer_load_dword v122, off, s[0:3], 0 offset:332
	buffer_load_dword v120, off, s[0:3], 0 offset:340
	s_waitcnt vmcnt(24) lgkmcnt(0)
	v_fma_f64 v[105:106], v[125:126], v[109:110], v[105:106]
	s_waitcnt vmcnt(19)
	v_fma_f64 v[125:126], v[127:128], v[111:112], v[105:106]
	ds_read_b128 v[105:108], v104 offset:672
	ds_read_b128 v[109:112], v104 offset:688
	s_waitcnt vmcnt(18) lgkmcnt(1)
	v_fma_f64 v[105:106], v[133:134], v[105:106], v[125:126]
	s_waitcnt vmcnt(17)
	v_fma_f64 v[105:106], v[131:132], v[107:108], v[105:106]
	buffer_load_dword v126, off, s[0:3], 0 offset:348
	buffer_load_dword v127, off, s[0:3], 0 offset:368
	buffer_load_dword v131, off, s[0:3], 0 offset:360
	buffer_load_dword v133, off, s[0:3], 0 offset:352
	buffer_load_dword v125, off, s[0:3], 0 offset:344
	buffer_load_dword v134, off, s[0:3], 0 offset:356
	buffer_load_dword v132, off, s[0:3], 0 offset:364
	buffer_load_dword v128, off, s[0:3], 0 offset:372
	s_waitcnt vmcnt(24) lgkmcnt(0)
	v_fma_f64 v[105:106], v[129:130], v[109:110], v[105:106]
	s_waitcnt vmcnt(19)
	v_fma_f64 v[113:114], v[113:114], v[111:112], v[105:106]
	ds_read_b128 v[105:108], v104 offset:704
	ds_read_b128 v[109:112], v104 offset:720
	s_waitcnt vmcnt(18) lgkmcnt(1)
	v_fma_f64 v[105:106], v[137:138], v[105:106], v[113:114]
	;; [unrolled: 18-line block ×3, first 2 shown]
	buffer_load_dword v115, off, s[0:3], 0 offset:184
	buffer_load_dword v116, off, s[0:3], 0 offset:188
	s_waitcnt vmcnt(19)
	v_fma_f64 v[105:106], v[121:122], v[107:108], v[105:106]
	s_waitcnt vmcnt(18) lgkmcnt(0)
	v_fma_f64 v[105:106], v[119:120], v[109:110], v[105:106]
	s_waitcnt vmcnt(13)
	v_fma_f64 v[117:118], v[125:126], v[111:112], v[105:106]
	ds_read_b128 v[105:108], v104 offset:768
	ds_read_b128 v[109:112], v104 offset:784
	s_waitcnt vmcnt(12) lgkmcnt(1)
	v_fma_f64 v[105:106], v[133:134], v[105:106], v[117:118]
	s_waitcnt vmcnt(11)
	v_fma_f64 v[105:106], v[131:132], v[107:108], v[105:106]
	s_waitcnt vmcnt(10) lgkmcnt(0)
	v_fma_f64 v[105:106], v[127:128], v[109:110], v[105:106]
	s_waitcnt vmcnt(5)
	v_fma_f64 v[109:110], v[113:114], v[111:112], v[105:106]
	ds_read_b128 v[105:108], v104 offset:800
	ds_read_b64 v[111:112], v104 offset:816
	s_waitcnt vmcnt(4) lgkmcnt(1)
	v_fma_f64 v[105:106], v[137:138], v[105:106], v[109:110]
	s_waitcnt vmcnt(3)
	v_fma_f64 v[105:106], v[135:136], v[107:108], v[105:106]
	s_waitcnt vmcnt(2) lgkmcnt(0)
	v_fma_f64 v[105:106], v[129:130], v[111:112], v[105:106]
	s_waitcnt vmcnt(0)
	v_add_f64 v[105:106], v[115:116], -v[105:106]
	buffer_store_dword v106, off, s[0:3], 0 offset:188
	buffer_store_dword v105, off, s[0:3], 0 offset:184
	s_and_saveexec_b64 s[4:5], vcc
	s_cbranch_execz .LBB50_269
; %bb.268:
	buffer_load_dword v105, off, s[0:3], 0 offset:176
	buffer_load_dword v106, off, s[0:3], 0 offset:180
	s_waitcnt vmcnt(0)
	ds_write_b64 v103, v[105:106]
	buffer_store_dword v104, off, s[0:3], 0 offset:176
	buffer_store_dword v104, off, s[0:3], 0 offset:180
.LBB50_269:
	s_or_b64 exec, exec, s[4:5]
	s_waitcnt lgkmcnt(0)
	; wave barrier
	buffer_load_dword v113, off, s[0:3], 0 offset:184
	buffer_load_dword v114, off, s[0:3], 0 offset:188
	buffer_load_dword v115, off, s[0:3], 0 offset:192
	buffer_load_dword v116, off, s[0:3], 0 offset:196
	buffer_load_dword v117, off, s[0:3], 0 offset:200
	buffer_load_dword v118, off, s[0:3], 0 offset:204
	buffer_load_dword v119, off, s[0:3], 0 offset:208
	buffer_load_dword v120, off, s[0:3], 0 offset:212
	buffer_load_dword v121, off, s[0:3], 0 offset:216
	buffer_load_dword v122, off, s[0:3], 0 offset:220
	buffer_load_dword v123, off, s[0:3], 0 offset:224
	buffer_load_dword v124, off, s[0:3], 0 offset:228
	buffer_load_dword v125, off, s[0:3], 0 offset:232
	buffer_load_dword v126, off, s[0:3], 0 offset:236
	buffer_load_dword v128, off, s[0:3], 0 offset:244
	buffer_load_dword v129, off, s[0:3], 0 offset:264
	buffer_load_dword v131, off, s[0:3], 0 offset:256
	buffer_load_dword v133, off, s[0:3], 0 offset:248
	buffer_load_dword v127, off, s[0:3], 0 offset:240
	buffer_load_dword v134, off, s[0:3], 0 offset:252
	buffer_load_dword v132, off, s[0:3], 0 offset:260
	buffer_load_dword v130, off, s[0:3], 0 offset:268
	ds_read2_b64 v[105:108], v104 offset0:75 offset1:76
	ds_read2_b64 v[109:112], v104 offset0:77 offset1:78
	v_cmp_lt_u32_e32 vcc, 21, v0
	s_waitcnt vmcnt(20) lgkmcnt(1)
	v_fma_f64 v[105:106], v[113:114], v[105:106], 0
	s_waitcnt vmcnt(18)
	v_fma_f64 v[105:106], v[115:116], v[107:108], v[105:106]
	buffer_load_dword v114, off, s[0:3], 0 offset:276
	buffer_load_dword v115, off, s[0:3], 0 offset:296
	;; [unrolled: 1-line block ×7, first 2 shown]
	s_waitcnt vmcnt(23) lgkmcnt(0)
	v_fma_f64 v[105:106], v[117:118], v[109:110], v[105:106]
	s_waitcnt vmcnt(21)
	v_fma_f64 v[116:117], v[119:120], v[111:112], v[105:106]
	ds_read2_b64 v[105:108], v104 offset0:79 offset1:80
	ds_read2_b64 v[109:112], v104 offset0:81 offset1:82
	s_waitcnt vmcnt(19) lgkmcnt(1)
	v_fma_f64 v[105:106], v[121:122], v[105:106], v[116:117]
	buffer_load_dword v116, off, s[0:3], 0 offset:300
	s_waitcnt vmcnt(18)
	v_fma_f64 v[105:106], v[123:124], v[107:108], v[105:106]
	buffer_load_dword v118, off, s[0:3], 0 offset:308
	buffer_load_dword v119, off, s[0:3], 0 offset:328
	buffer_load_dword v121, off, s[0:3], 0 offset:320
	buffer_load_dword v123, off, s[0:3], 0 offset:312
	buffer_load_dword v117, off, s[0:3], 0 offset:304
	buffer_load_dword v124, off, s[0:3], 0 offset:316
	buffer_load_dword v122, off, s[0:3], 0 offset:324
	buffer_load_dword v120, off, s[0:3], 0 offset:332
	s_waitcnt vmcnt(24) lgkmcnt(0)
	v_fma_f64 v[105:106], v[125:126], v[109:110], v[105:106]
	s_waitcnt vmcnt(19)
	v_fma_f64 v[125:126], v[127:128], v[111:112], v[105:106]
	ds_read2_b64 v[105:108], v104 offset0:83 offset1:84
	ds_read2_b64 v[109:112], v104 offset0:85 offset1:86
	s_waitcnt vmcnt(18) lgkmcnt(1)
	v_fma_f64 v[105:106], v[133:134], v[105:106], v[125:126]
	s_waitcnt vmcnt(17)
	v_fma_f64 v[105:106], v[131:132], v[107:108], v[105:106]
	buffer_load_dword v126, off, s[0:3], 0 offset:340
	buffer_load_dword v127, off, s[0:3], 0 offset:360
	buffer_load_dword v131, off, s[0:3], 0 offset:352
	buffer_load_dword v133, off, s[0:3], 0 offset:344
	buffer_load_dword v125, off, s[0:3], 0 offset:336
	buffer_load_dword v134, off, s[0:3], 0 offset:348
	buffer_load_dword v132, off, s[0:3], 0 offset:356
	buffer_load_dword v128, off, s[0:3], 0 offset:364
	s_waitcnt vmcnt(24) lgkmcnt(0)
	v_fma_f64 v[105:106], v[129:130], v[109:110], v[105:106]
	s_waitcnt vmcnt(19)
	v_fma_f64 v[113:114], v[113:114], v[111:112], v[105:106]
	ds_read2_b64 v[105:108], v104 offset0:87 offset1:88
	ds_read2_b64 v[109:112], v104 offset0:89 offset1:90
	s_waitcnt vmcnt(18) lgkmcnt(1)
	v_fma_f64 v[105:106], v[137:138], v[105:106], v[113:114]
	;; [unrolled: 18-line block ×3, first 2 shown]
	buffer_load_dword v116, off, s[0:3], 0 offset:404
	buffer_load_dword v115, off, s[0:3], 0 offset:400
	buffer_load_dword v117, off, s[0:3], 0 offset:176
	buffer_load_dword v118, off, s[0:3], 0 offset:180
	s_waitcnt vmcnt(21)
	v_fma_f64 v[105:106], v[121:122], v[107:108], v[105:106]
	s_waitcnt vmcnt(20) lgkmcnt(0)
	v_fma_f64 v[105:106], v[119:120], v[109:110], v[105:106]
	s_waitcnt vmcnt(15)
	v_fma_f64 v[119:120], v[125:126], v[111:112], v[105:106]
	ds_read2_b64 v[105:108], v104 offset0:95 offset1:96
	ds_read2_b64 v[109:112], v104 offset0:97 offset1:98
	s_waitcnt vmcnt(14) lgkmcnt(1)
	v_fma_f64 v[105:106], v[133:134], v[105:106], v[119:120]
	s_waitcnt vmcnt(13)
	v_fma_f64 v[105:106], v[131:132], v[107:108], v[105:106]
	s_waitcnt vmcnt(12) lgkmcnt(0)
	v_fma_f64 v[105:106], v[127:128], v[109:110], v[105:106]
	s_waitcnt vmcnt(7)
	v_fma_f64 v[113:114], v[113:114], v[111:112], v[105:106]
	ds_read2_b64 v[105:108], v104 offset0:99 offset1:100
	ds_read2_b64 v[109:112], v104 offset0:101 offset1:102
	s_waitcnt vmcnt(6) lgkmcnt(1)
	v_fma_f64 v[104:105], v[137:138], v[105:106], v[113:114]
	s_waitcnt vmcnt(5)
	v_fma_f64 v[104:105], v[135:136], v[107:108], v[104:105]
	s_waitcnt vmcnt(4) lgkmcnt(0)
	v_fma_f64 v[104:105], v[129:130], v[109:110], v[104:105]
	s_waitcnt vmcnt(2)
	v_fma_f64 v[104:105], v[115:116], v[111:112], v[104:105]
	s_waitcnt vmcnt(0)
	v_add_f64 v[104:105], v[117:118], -v[104:105]
	buffer_store_dword v105, off, s[0:3], 0 offset:180
	buffer_store_dword v104, off, s[0:3], 0 offset:176
	s_and_saveexec_b64 s[4:5], vcc
	s_cbranch_execz .LBB50_271
; %bb.270:
	buffer_load_dword v104, off, s[0:3], 0 offset:168
	buffer_load_dword v105, off, s[0:3], 0 offset:172
	v_mov_b32_e32 v106, 0
	buffer_store_dword v106, off, s[0:3], 0 offset:168
	buffer_store_dword v106, off, s[0:3], 0 offset:172
	s_waitcnt vmcnt(2)
	ds_write_b64 v103, v[104:105]
.LBB50_271:
	s_or_b64 exec, exec, s[4:5]
	s_waitcnt lgkmcnt(0)
	; wave barrier
	buffer_load_dword v113, off, s[0:3], 0 offset:176
	buffer_load_dword v114, off, s[0:3], 0 offset:180
	;; [unrolled: 1-line block ×22, first 2 shown]
	v_mov_b32_e32 v104, 0
	ds_read_b128 v[105:108], v104 offset:592
	ds_read_b128 v[109:112], v104 offset:608
	v_cmp_lt_u32_e32 vcc, 20, v0
	s_waitcnt vmcnt(20) lgkmcnt(1)
	v_fma_f64 v[105:106], v[113:114], v[105:106], 0
	s_waitcnt vmcnt(18)
	v_fma_f64 v[105:106], v[115:116], v[107:108], v[105:106]
	buffer_load_dword v114, off, s[0:3], 0 offset:268
	buffer_load_dword v115, off, s[0:3], 0 offset:288
	;; [unrolled: 1-line block ×7, first 2 shown]
	s_waitcnt vmcnt(23) lgkmcnt(0)
	v_fma_f64 v[105:106], v[117:118], v[109:110], v[105:106]
	s_waitcnt vmcnt(21)
	v_fma_f64 v[116:117], v[119:120], v[111:112], v[105:106]
	ds_read_b128 v[105:108], v104 offset:624
	ds_read_b128 v[109:112], v104 offset:640
	s_waitcnt vmcnt(19) lgkmcnt(1)
	v_fma_f64 v[105:106], v[121:122], v[105:106], v[116:117]
	buffer_load_dword v116, off, s[0:3], 0 offset:292
	s_waitcnt vmcnt(18)
	v_fma_f64 v[105:106], v[123:124], v[107:108], v[105:106]
	buffer_load_dword v118, off, s[0:3], 0 offset:300
	buffer_load_dword v119, off, s[0:3], 0 offset:320
	;; [unrolled: 1-line block ×7, first 2 shown]
	s_waitcnt vmcnt(23) lgkmcnt(0)
	v_fma_f64 v[105:106], v[125:126], v[109:110], v[105:106]
	s_waitcnt vmcnt(18)
	v_fma_f64 v[125:126], v[127:128], v[111:112], v[105:106]
	ds_read_b128 v[105:108], v104 offset:656
	ds_read_b128 v[109:112], v104 offset:672
	buffer_load_dword v120, off, s[0:3], 0 offset:324
	s_waitcnt vmcnt(18) lgkmcnt(1)
	v_fma_f64 v[105:106], v[133:134], v[105:106], v[125:126]
	s_waitcnt vmcnt(17)
	v_fma_f64 v[105:106], v[131:132], v[107:108], v[105:106]
	buffer_load_dword v126, off, s[0:3], 0 offset:332
	buffer_load_dword v127, off, s[0:3], 0 offset:352
	;; [unrolled: 1-line block ×8, first 2 shown]
	s_waitcnt vmcnt(24) lgkmcnt(0)
	v_fma_f64 v[105:106], v[129:130], v[109:110], v[105:106]
	s_waitcnt vmcnt(19)
	v_fma_f64 v[113:114], v[113:114], v[111:112], v[105:106]
	ds_read_b128 v[105:108], v104 offset:688
	ds_read_b128 v[109:112], v104 offset:704
	s_waitcnt vmcnt(18) lgkmcnt(1)
	v_fma_f64 v[105:106], v[137:138], v[105:106], v[113:114]
	s_waitcnt vmcnt(17)
	v_fma_f64 v[105:106], v[135:136], v[107:108], v[105:106]
	buffer_load_dword v114, off, s[0:3], 0 offset:364
	buffer_load_dword v129, off, s[0:3], 0 offset:384
	;; [unrolled: 1-line block ×7, first 2 shown]
	s_waitcnt vmcnt(23) lgkmcnt(0)
	v_fma_f64 v[105:106], v[115:116], v[109:110], v[105:106]
	s_waitcnt vmcnt(18)
	v_fma_f64 v[115:116], v[117:118], v[111:112], v[105:106]
	ds_read_b128 v[105:108], v104 offset:720
	ds_read_b128 v[109:112], v104 offset:736
	buffer_load_dword v130, off, s[0:3], 0 offset:388
	s_waitcnt vmcnt(18) lgkmcnt(1)
	v_fma_f64 v[105:106], v[123:124], v[105:106], v[115:116]
	buffer_load_dword v116, off, s[0:3], 0 offset:396
	buffer_load_dword v117, off, s[0:3], 0 offset:400
	;; [unrolled: 1-line block ×4, first 2 shown]
	s_waitcnt vmcnt(21)
	v_fma_f64 v[105:106], v[121:122], v[107:108], v[105:106]
	s_waitcnt vmcnt(20) lgkmcnt(0)
	v_fma_f64 v[105:106], v[119:120], v[109:110], v[105:106]
	buffer_load_dword v119, off, s[0:3], 0 offset:168
	buffer_load_dword v120, off, s[0:3], 0 offset:172
	s_waitcnt vmcnt(17)
	v_fma_f64 v[121:122], v[125:126], v[111:112], v[105:106]
	ds_read_b128 v[105:108], v104 offset:752
	ds_read_b128 v[109:112], v104 offset:768
	s_waitcnt vmcnt(16) lgkmcnt(1)
	v_fma_f64 v[105:106], v[133:134], v[105:106], v[121:122]
	s_waitcnt vmcnt(15)
	v_fma_f64 v[105:106], v[131:132], v[107:108], v[105:106]
	s_waitcnt vmcnt(14) lgkmcnt(0)
	v_fma_f64 v[105:106], v[127:128], v[109:110], v[105:106]
	s_waitcnt vmcnt(9)
	v_fma_f64 v[113:114], v[113:114], v[111:112], v[105:106]
	ds_read_b128 v[105:108], v104 offset:784
	ds_read_b128 v[109:112], v104 offset:800
	s_waitcnt vmcnt(8) lgkmcnt(1)
	v_fma_f64 v[105:106], v[137:138], v[105:106], v[113:114]
	s_waitcnt vmcnt(7)
	v_fma_f64 v[105:106], v[135:136], v[107:108], v[105:106]
	ds_read_b64 v[107:108], v104 offset:816
	s_waitcnt vmcnt(6) lgkmcnt(1)
	v_fma_f64 v[105:106], v[129:130], v[109:110], v[105:106]
	s_waitcnt vmcnt(3)
	v_fma_f64 v[105:106], v[115:116], v[111:112], v[105:106]
	s_waitcnt vmcnt(2) lgkmcnt(0)
	v_fma_f64 v[105:106], v[117:118], v[107:108], v[105:106]
	s_waitcnt vmcnt(0)
	v_add_f64 v[105:106], v[119:120], -v[105:106]
	buffer_store_dword v106, off, s[0:3], 0 offset:172
	buffer_store_dword v105, off, s[0:3], 0 offset:168
	s_and_saveexec_b64 s[4:5], vcc
	s_cbranch_execz .LBB50_273
; %bb.272:
	buffer_load_dword v105, off, s[0:3], 0 offset:160
	buffer_load_dword v106, off, s[0:3], 0 offset:164
	s_waitcnt vmcnt(0)
	ds_write_b64 v103, v[105:106]
	buffer_store_dword v104, off, s[0:3], 0 offset:160
	buffer_store_dword v104, off, s[0:3], 0 offset:164
.LBB50_273:
	s_or_b64 exec, exec, s[4:5]
	s_waitcnt lgkmcnt(0)
	; wave barrier
	buffer_load_dword v113, off, s[0:3], 0 offset:168
	buffer_load_dword v114, off, s[0:3], 0 offset:172
	;; [unrolled: 1-line block ×22, first 2 shown]
	ds_read2_b64 v[105:108], v104 offset0:73 offset1:74
	ds_read2_b64 v[109:112], v104 offset0:75 offset1:76
	v_cmp_lt_u32_e32 vcc, 19, v0
	s_waitcnt vmcnt(20) lgkmcnt(1)
	v_fma_f64 v[105:106], v[113:114], v[105:106], 0
	s_waitcnt vmcnt(18)
	v_fma_f64 v[105:106], v[115:116], v[107:108], v[105:106]
	buffer_load_dword v114, off, s[0:3], 0 offset:260
	buffer_load_dword v115, off, s[0:3], 0 offset:280
	;; [unrolled: 1-line block ×7, first 2 shown]
	s_waitcnt vmcnt(23) lgkmcnt(0)
	v_fma_f64 v[105:106], v[117:118], v[109:110], v[105:106]
	s_waitcnt vmcnt(21)
	v_fma_f64 v[116:117], v[119:120], v[111:112], v[105:106]
	ds_read2_b64 v[105:108], v104 offset0:77 offset1:78
	ds_read2_b64 v[109:112], v104 offset0:79 offset1:80
	s_waitcnt vmcnt(19) lgkmcnt(1)
	v_fma_f64 v[105:106], v[121:122], v[105:106], v[116:117]
	buffer_load_dword v116, off, s[0:3], 0 offset:284
	s_waitcnt vmcnt(18)
	v_fma_f64 v[105:106], v[123:124], v[107:108], v[105:106]
	buffer_load_dword v118, off, s[0:3], 0 offset:292
	buffer_load_dword v119, off, s[0:3], 0 offset:312
	;; [unrolled: 1-line block ×7, first 2 shown]
	s_waitcnt vmcnt(23) lgkmcnt(0)
	v_fma_f64 v[105:106], v[125:126], v[109:110], v[105:106]
	s_waitcnt vmcnt(18)
	v_fma_f64 v[125:126], v[127:128], v[111:112], v[105:106]
	ds_read2_b64 v[105:108], v104 offset0:81 offset1:82
	ds_read2_b64 v[109:112], v104 offset0:83 offset1:84
	buffer_load_dword v120, off, s[0:3], 0 offset:316
	s_waitcnt vmcnt(18) lgkmcnt(1)
	v_fma_f64 v[105:106], v[133:134], v[105:106], v[125:126]
	s_waitcnt vmcnt(17)
	v_fma_f64 v[105:106], v[131:132], v[107:108], v[105:106]
	buffer_load_dword v126, off, s[0:3], 0 offset:324
	buffer_load_dword v127, off, s[0:3], 0 offset:344
	;; [unrolled: 1-line block ×8, first 2 shown]
	s_waitcnt vmcnt(24) lgkmcnt(0)
	v_fma_f64 v[105:106], v[129:130], v[109:110], v[105:106]
	s_waitcnt vmcnt(19)
	v_fma_f64 v[113:114], v[113:114], v[111:112], v[105:106]
	ds_read2_b64 v[105:108], v104 offset0:85 offset1:86
	ds_read2_b64 v[109:112], v104 offset0:87 offset1:88
	s_waitcnt vmcnt(18) lgkmcnt(1)
	v_fma_f64 v[105:106], v[137:138], v[105:106], v[113:114]
	s_waitcnt vmcnt(17)
	v_fma_f64 v[105:106], v[135:136], v[107:108], v[105:106]
	buffer_load_dword v114, off, s[0:3], 0 offset:356
	buffer_load_dword v129, off, s[0:3], 0 offset:376
	;; [unrolled: 1-line block ×8, first 2 shown]
	s_waitcnt vmcnt(24) lgkmcnt(0)
	v_fma_f64 v[105:106], v[115:116], v[109:110], v[105:106]
	s_waitcnt vmcnt(19)
	v_fma_f64 v[115:116], v[117:118], v[111:112], v[105:106]
	ds_read2_b64 v[105:108], v104 offset0:89 offset1:90
	ds_read2_b64 v[109:112], v104 offset0:91 offset1:92
	s_waitcnt vmcnt(18) lgkmcnt(1)
	v_fma_f64 v[105:106], v[123:124], v[105:106], v[115:116]
	s_waitcnt vmcnt(17)
	v_fma_f64 v[105:106], v[121:122], v[107:108], v[105:106]
	buffer_load_dword v116, off, s[0:3], 0 offset:388
	buffer_load_dword v117, off, s[0:3], 0 offset:400
	;; [unrolled: 1-line block ×6, first 2 shown]
	s_waitcnt vmcnt(22) lgkmcnt(0)
	v_fma_f64 v[105:106], v[119:120], v[109:110], v[105:106]
	s_waitcnt vmcnt(17)
	v_fma_f64 v[119:120], v[125:126], v[111:112], v[105:106]
	ds_read2_b64 v[105:108], v104 offset0:93 offset1:94
	buffer_load_dword v123, off, s[0:3], 0 offset:160
	buffer_load_dword v124, off, s[0:3], 0 offset:164
	ds_read2_b64 v[109:112], v104 offset0:95 offset1:96
	s_waitcnt vmcnt(18) lgkmcnt(1)
	v_fma_f64 v[105:106], v[133:134], v[105:106], v[119:120]
	s_waitcnt vmcnt(17)
	v_fma_f64 v[105:106], v[131:132], v[107:108], v[105:106]
	s_waitcnt vmcnt(16) lgkmcnt(0)
	v_fma_f64 v[105:106], v[127:128], v[109:110], v[105:106]
	s_waitcnt vmcnt(11)
	v_fma_f64 v[113:114], v[113:114], v[111:112], v[105:106]
	ds_read2_b64 v[105:108], v104 offset0:97 offset1:98
	ds_read2_b64 v[109:112], v104 offset0:99 offset1:100
	s_waitcnt vmcnt(10) lgkmcnt(1)
	v_fma_f64 v[105:106], v[137:138], v[105:106], v[113:114]
	s_waitcnt vmcnt(9)
	v_fma_f64 v[105:106], v[135:136], v[107:108], v[105:106]
	s_waitcnt vmcnt(8) lgkmcnt(0)
	v_fma_f64 v[105:106], v[129:130], v[109:110], v[105:106]
	s_waitcnt vmcnt(4)
	v_fma_f64 v[108:109], v[115:116], v[111:112], v[105:106]
	ds_read2_b64 v[104:107], v104 offset0:101 offset1:102
	s_waitcnt vmcnt(3) lgkmcnt(0)
	v_fma_f64 v[104:105], v[121:122], v[104:105], v[108:109]
	s_waitcnt vmcnt(2)
	v_fma_f64 v[104:105], v[117:118], v[106:107], v[104:105]
	s_waitcnt vmcnt(0)
	v_add_f64 v[104:105], v[123:124], -v[104:105]
	buffer_store_dword v105, off, s[0:3], 0 offset:164
	buffer_store_dword v104, off, s[0:3], 0 offset:160
	s_and_saveexec_b64 s[4:5], vcc
	s_cbranch_execz .LBB50_275
; %bb.274:
	buffer_load_dword v104, off, s[0:3], 0 offset:152
	buffer_load_dword v105, off, s[0:3], 0 offset:156
	v_mov_b32_e32 v106, 0
	buffer_store_dword v106, off, s[0:3], 0 offset:152
	buffer_store_dword v106, off, s[0:3], 0 offset:156
	s_waitcnt vmcnt(2)
	ds_write_b64 v103, v[104:105]
.LBB50_275:
	s_or_b64 exec, exec, s[4:5]
	s_waitcnt lgkmcnt(0)
	; wave barrier
	buffer_load_dword v113, off, s[0:3], 0 offset:160
	buffer_load_dword v114, off, s[0:3], 0 offset:164
	;; [unrolled: 1-line block ×22, first 2 shown]
	v_mov_b32_e32 v104, 0
	ds_read_b128 v[105:108], v104 offset:576
	ds_read_b128 v[109:112], v104 offset:592
	v_cmp_lt_u32_e32 vcc, 18, v0
	s_waitcnt vmcnt(20) lgkmcnt(1)
	v_fma_f64 v[105:106], v[113:114], v[105:106], 0
	s_waitcnt vmcnt(18)
	v_fma_f64 v[105:106], v[115:116], v[107:108], v[105:106]
	buffer_load_dword v114, off, s[0:3], 0 offset:252
	buffer_load_dword v115, off, s[0:3], 0 offset:272
	;; [unrolled: 1-line block ×7, first 2 shown]
	s_waitcnt vmcnt(23) lgkmcnt(0)
	v_fma_f64 v[105:106], v[117:118], v[109:110], v[105:106]
	s_waitcnt vmcnt(21)
	v_fma_f64 v[116:117], v[119:120], v[111:112], v[105:106]
	ds_read_b128 v[105:108], v104 offset:608
	ds_read_b128 v[109:112], v104 offset:624
	s_waitcnt vmcnt(19) lgkmcnt(1)
	v_fma_f64 v[105:106], v[121:122], v[105:106], v[116:117]
	buffer_load_dword v116, off, s[0:3], 0 offset:276
	s_waitcnt vmcnt(18)
	v_fma_f64 v[105:106], v[123:124], v[107:108], v[105:106]
	buffer_load_dword v118, off, s[0:3], 0 offset:284
	buffer_load_dword v119, off, s[0:3], 0 offset:304
	;; [unrolled: 1-line block ×7, first 2 shown]
	s_waitcnt vmcnt(23) lgkmcnt(0)
	v_fma_f64 v[105:106], v[125:126], v[109:110], v[105:106]
	s_waitcnt vmcnt(18)
	v_fma_f64 v[125:126], v[127:128], v[111:112], v[105:106]
	ds_read_b128 v[105:108], v104 offset:640
	ds_read_b128 v[109:112], v104 offset:656
	buffer_load_dword v120, off, s[0:3], 0 offset:308
	s_waitcnt vmcnt(18) lgkmcnt(1)
	v_fma_f64 v[105:106], v[133:134], v[105:106], v[125:126]
	s_waitcnt vmcnt(17)
	v_fma_f64 v[105:106], v[131:132], v[107:108], v[105:106]
	buffer_load_dword v126, off, s[0:3], 0 offset:316
	buffer_load_dword v127, off, s[0:3], 0 offset:336
	buffer_load_dword v131, off, s[0:3], 0 offset:328
	buffer_load_dword v133, off, s[0:3], 0 offset:320
	buffer_load_dword v125, off, s[0:3], 0 offset:312
	buffer_load_dword v134, off, s[0:3], 0 offset:324
	buffer_load_dword v132, off, s[0:3], 0 offset:332
	buffer_load_dword v128, off, s[0:3], 0 offset:340
	s_waitcnt vmcnt(24) lgkmcnt(0)
	v_fma_f64 v[105:106], v[129:130], v[109:110], v[105:106]
	s_waitcnt vmcnt(19)
	v_fma_f64 v[113:114], v[113:114], v[111:112], v[105:106]
	ds_read_b128 v[105:108], v104 offset:672
	ds_read_b128 v[109:112], v104 offset:688
	s_waitcnt vmcnt(18) lgkmcnt(1)
	v_fma_f64 v[105:106], v[137:138], v[105:106], v[113:114]
	s_waitcnt vmcnt(17)
	v_fma_f64 v[105:106], v[135:136], v[107:108], v[105:106]
	buffer_load_dword v114, off, s[0:3], 0 offset:348
	buffer_load_dword v129, off, s[0:3], 0 offset:368
	buffer_load_dword v135, off, s[0:3], 0 offset:360
	buffer_load_dword v137, off, s[0:3], 0 offset:352
	buffer_load_dword v113, off, s[0:3], 0 offset:344
	buffer_load_dword v138, off, s[0:3], 0 offset:356
	buffer_load_dword v136, off, s[0:3], 0 offset:364
	buffer_load_dword v130, off, s[0:3], 0 offset:372
	s_waitcnt vmcnt(24) lgkmcnt(0)
	v_fma_f64 v[105:106], v[115:116], v[109:110], v[105:106]
	s_waitcnt vmcnt(19)
	v_fma_f64 v[115:116], v[117:118], v[111:112], v[105:106]
	ds_read_b128 v[105:108], v104 offset:704
	ds_read_b128 v[109:112], v104 offset:720
	;; [unrolled: 18-line block ×3, first 2 shown]
	s_waitcnt vmcnt(18) lgkmcnt(1)
	v_fma_f64 v[105:106], v[133:134], v[105:106], v[119:120]
	buffer_load_dword v119, off, s[0:3], 0 offset:152
	buffer_load_dword v120, off, s[0:3], 0 offset:156
	s_waitcnt vmcnt(19)
	v_fma_f64 v[105:106], v[131:132], v[107:108], v[105:106]
	s_waitcnt vmcnt(18) lgkmcnt(0)
	v_fma_f64 v[105:106], v[127:128], v[109:110], v[105:106]
	s_waitcnt vmcnt(13)
	v_fma_f64 v[113:114], v[113:114], v[111:112], v[105:106]
	ds_read_b128 v[105:108], v104 offset:768
	ds_read_b128 v[109:112], v104 offset:784
	s_waitcnt vmcnt(12) lgkmcnt(1)
	v_fma_f64 v[105:106], v[137:138], v[105:106], v[113:114]
	s_waitcnt vmcnt(11)
	v_fma_f64 v[105:106], v[135:136], v[107:108], v[105:106]
	s_waitcnt vmcnt(10) lgkmcnt(0)
	v_fma_f64 v[105:106], v[129:130], v[109:110], v[105:106]
	s_waitcnt vmcnt(5)
	v_fma_f64 v[109:110], v[115:116], v[111:112], v[105:106]
	ds_read_b128 v[105:108], v104 offset:800
	ds_read_b64 v[111:112], v104 offset:816
	s_waitcnt vmcnt(4) lgkmcnt(1)
	v_fma_f64 v[105:106], v[123:124], v[105:106], v[109:110]
	s_waitcnt vmcnt(3)
	v_fma_f64 v[105:106], v[121:122], v[107:108], v[105:106]
	s_waitcnt vmcnt(2) lgkmcnt(0)
	v_fma_f64 v[105:106], v[117:118], v[111:112], v[105:106]
	s_waitcnt vmcnt(0)
	v_add_f64 v[105:106], v[119:120], -v[105:106]
	buffer_store_dword v106, off, s[0:3], 0 offset:156
	buffer_store_dword v105, off, s[0:3], 0 offset:152
	s_and_saveexec_b64 s[4:5], vcc
	s_cbranch_execz .LBB50_277
; %bb.276:
	buffer_load_dword v105, off, s[0:3], 0 offset:144
	buffer_load_dword v106, off, s[0:3], 0 offset:148
	s_waitcnt vmcnt(0)
	ds_write_b64 v103, v[105:106]
	buffer_store_dword v104, off, s[0:3], 0 offset:144
	buffer_store_dword v104, off, s[0:3], 0 offset:148
.LBB50_277:
	s_or_b64 exec, exec, s[4:5]
	s_waitcnt lgkmcnt(0)
	; wave barrier
	buffer_load_dword v113, off, s[0:3], 0 offset:152
	buffer_load_dword v114, off, s[0:3], 0 offset:156
	;; [unrolled: 1-line block ×22, first 2 shown]
	ds_read2_b64 v[105:108], v104 offset0:71 offset1:72
	ds_read2_b64 v[109:112], v104 offset0:73 offset1:74
	v_cmp_lt_u32_e32 vcc, 17, v0
	s_waitcnt vmcnt(20) lgkmcnt(1)
	v_fma_f64 v[105:106], v[113:114], v[105:106], 0
	s_waitcnt vmcnt(18)
	v_fma_f64 v[105:106], v[115:116], v[107:108], v[105:106]
	buffer_load_dword v114, off, s[0:3], 0 offset:244
	buffer_load_dword v115, off, s[0:3], 0 offset:264
	;; [unrolled: 1-line block ×7, first 2 shown]
	s_waitcnt vmcnt(23) lgkmcnt(0)
	v_fma_f64 v[105:106], v[117:118], v[109:110], v[105:106]
	s_waitcnt vmcnt(21)
	v_fma_f64 v[116:117], v[119:120], v[111:112], v[105:106]
	ds_read2_b64 v[105:108], v104 offset0:75 offset1:76
	ds_read2_b64 v[109:112], v104 offset0:77 offset1:78
	s_waitcnt vmcnt(19) lgkmcnt(1)
	v_fma_f64 v[105:106], v[121:122], v[105:106], v[116:117]
	buffer_load_dword v116, off, s[0:3], 0 offset:268
	s_waitcnt vmcnt(18)
	v_fma_f64 v[105:106], v[123:124], v[107:108], v[105:106]
	buffer_load_dword v118, off, s[0:3], 0 offset:276
	buffer_load_dword v119, off, s[0:3], 0 offset:296
	;; [unrolled: 1-line block ×7, first 2 shown]
	s_waitcnt vmcnt(23) lgkmcnt(0)
	v_fma_f64 v[105:106], v[125:126], v[109:110], v[105:106]
	s_waitcnt vmcnt(18)
	v_fma_f64 v[125:126], v[127:128], v[111:112], v[105:106]
	ds_read2_b64 v[105:108], v104 offset0:79 offset1:80
	ds_read2_b64 v[109:112], v104 offset0:81 offset1:82
	buffer_load_dword v120, off, s[0:3], 0 offset:300
	s_waitcnt vmcnt(18) lgkmcnt(1)
	v_fma_f64 v[105:106], v[133:134], v[105:106], v[125:126]
	s_waitcnt vmcnt(17)
	v_fma_f64 v[105:106], v[131:132], v[107:108], v[105:106]
	buffer_load_dword v126, off, s[0:3], 0 offset:308
	buffer_load_dword v127, off, s[0:3], 0 offset:328
	buffer_load_dword v131, off, s[0:3], 0 offset:320
	buffer_load_dword v133, off, s[0:3], 0 offset:312
	buffer_load_dword v125, off, s[0:3], 0 offset:304
	buffer_load_dword v134, off, s[0:3], 0 offset:316
	buffer_load_dword v132, off, s[0:3], 0 offset:324
	buffer_load_dword v128, off, s[0:3], 0 offset:332
	s_waitcnt vmcnt(24) lgkmcnt(0)
	v_fma_f64 v[105:106], v[129:130], v[109:110], v[105:106]
	s_waitcnt vmcnt(19)
	v_fma_f64 v[113:114], v[113:114], v[111:112], v[105:106]
	ds_read2_b64 v[105:108], v104 offset0:83 offset1:84
	ds_read2_b64 v[109:112], v104 offset0:85 offset1:86
	s_waitcnt vmcnt(18) lgkmcnt(1)
	v_fma_f64 v[105:106], v[137:138], v[105:106], v[113:114]
	s_waitcnt vmcnt(17)
	v_fma_f64 v[105:106], v[135:136], v[107:108], v[105:106]
	buffer_load_dword v114, off, s[0:3], 0 offset:340
	buffer_load_dword v129, off, s[0:3], 0 offset:360
	buffer_load_dword v135, off, s[0:3], 0 offset:352
	buffer_load_dword v137, off, s[0:3], 0 offset:344
	buffer_load_dword v113, off, s[0:3], 0 offset:336
	buffer_load_dword v138, off, s[0:3], 0 offset:348
	buffer_load_dword v136, off, s[0:3], 0 offset:356
	buffer_load_dword v130, off, s[0:3], 0 offset:364
	s_waitcnt vmcnt(24) lgkmcnt(0)
	v_fma_f64 v[105:106], v[115:116], v[109:110], v[105:106]
	s_waitcnt vmcnt(19)
	v_fma_f64 v[115:116], v[117:118], v[111:112], v[105:106]
	ds_read2_b64 v[105:108], v104 offset0:87 offset1:88
	ds_read2_b64 v[109:112], v104 offset0:89 offset1:90
	;; [unrolled: 18-line block ×3, first 2 shown]
	s_waitcnt vmcnt(18) lgkmcnt(1)
	v_fma_f64 v[105:106], v[133:134], v[105:106], v[119:120]
	buffer_load_dword v120, off, s[0:3], 0 offset:404
	buffer_load_dword v119, off, s[0:3], 0 offset:400
	;; [unrolled: 1-line block ×4, first 2 shown]
	s_waitcnt vmcnt(21)
	v_fma_f64 v[105:106], v[131:132], v[107:108], v[105:106]
	s_waitcnt vmcnt(20) lgkmcnt(0)
	v_fma_f64 v[105:106], v[127:128], v[109:110], v[105:106]
	s_waitcnt vmcnt(15)
	v_fma_f64 v[113:114], v[113:114], v[111:112], v[105:106]
	ds_read2_b64 v[105:108], v104 offset0:95 offset1:96
	ds_read2_b64 v[109:112], v104 offset0:97 offset1:98
	s_waitcnt vmcnt(14) lgkmcnt(1)
	v_fma_f64 v[105:106], v[137:138], v[105:106], v[113:114]
	s_waitcnt vmcnt(13)
	v_fma_f64 v[105:106], v[135:136], v[107:108], v[105:106]
	s_waitcnt vmcnt(12) lgkmcnt(0)
	v_fma_f64 v[105:106], v[129:130], v[109:110], v[105:106]
	s_waitcnt vmcnt(7)
	v_fma_f64 v[113:114], v[115:116], v[111:112], v[105:106]
	ds_read2_b64 v[105:108], v104 offset0:99 offset1:100
	ds_read2_b64 v[109:112], v104 offset0:101 offset1:102
	s_waitcnt vmcnt(6) lgkmcnt(1)
	v_fma_f64 v[104:105], v[123:124], v[105:106], v[113:114]
	s_waitcnt vmcnt(5)
	v_fma_f64 v[104:105], v[121:122], v[107:108], v[104:105]
	s_waitcnt vmcnt(4) lgkmcnt(0)
	v_fma_f64 v[104:105], v[117:118], v[109:110], v[104:105]
	s_waitcnt vmcnt(2)
	v_fma_f64 v[104:105], v[119:120], v[111:112], v[104:105]
	s_waitcnt vmcnt(0)
	v_add_f64 v[104:105], v[125:126], -v[104:105]
	buffer_store_dword v105, off, s[0:3], 0 offset:148
	buffer_store_dword v104, off, s[0:3], 0 offset:144
	s_and_saveexec_b64 s[4:5], vcc
	s_cbranch_execz .LBB50_279
; %bb.278:
	buffer_load_dword v104, off, s[0:3], 0 offset:136
	buffer_load_dword v105, off, s[0:3], 0 offset:140
	v_mov_b32_e32 v106, 0
	buffer_store_dword v106, off, s[0:3], 0 offset:136
	buffer_store_dword v106, off, s[0:3], 0 offset:140
	s_waitcnt vmcnt(2)
	ds_write_b64 v103, v[104:105]
.LBB50_279:
	s_or_b64 exec, exec, s[4:5]
	s_waitcnt lgkmcnt(0)
	; wave barrier
	buffer_load_dword v113, off, s[0:3], 0 offset:144
	buffer_load_dword v114, off, s[0:3], 0 offset:148
	;; [unrolled: 1-line block ×21, first 2 shown]
	v_mov_b32_e32 v104, 0
	ds_read_b128 v[105:108], v104 offset:560
	ds_read_b128 v[109:112], v104 offset:576
	buffer_load_dword v130, off, s[0:3], 0 offset:228
	v_cmp_lt_u32_e32 vcc, 16, v0
	s_waitcnt vmcnt(20) lgkmcnt(1)
	v_fma_f64 v[105:106], v[113:114], v[105:106], 0
	s_waitcnt vmcnt(18)
	v_fma_f64 v[105:106], v[115:116], v[107:108], v[105:106]
	buffer_load_dword v114, off, s[0:3], 0 offset:236
	buffer_load_dword v115, off, s[0:3], 0 offset:256
	;; [unrolled: 1-line block ×7, first 2 shown]
	s_waitcnt vmcnt(23) lgkmcnt(0)
	v_fma_f64 v[105:106], v[117:118], v[109:110], v[105:106]
	s_waitcnt vmcnt(21)
	v_fma_f64 v[116:117], v[119:120], v[111:112], v[105:106]
	ds_read_b128 v[105:108], v104 offset:592
	ds_read_b128 v[109:112], v104 offset:608
	s_waitcnt vmcnt(19) lgkmcnt(1)
	v_fma_f64 v[105:106], v[121:122], v[105:106], v[116:117]
	buffer_load_dword v116, off, s[0:3], 0 offset:260
	s_waitcnt vmcnt(18)
	v_fma_f64 v[105:106], v[123:124], v[107:108], v[105:106]
	buffer_load_dword v118, off, s[0:3], 0 offset:268
	buffer_load_dword v119, off, s[0:3], 0 offset:288
	;; [unrolled: 1-line block ×7, first 2 shown]
	s_waitcnt vmcnt(23) lgkmcnt(0)
	v_fma_f64 v[105:106], v[125:126], v[109:110], v[105:106]
	s_waitcnt vmcnt(18)
	v_fma_f64 v[125:126], v[127:128], v[111:112], v[105:106]
	ds_read_b128 v[105:108], v104 offset:624
	ds_read_b128 v[109:112], v104 offset:640
	buffer_load_dword v120, off, s[0:3], 0 offset:292
	s_waitcnt vmcnt(18) lgkmcnt(1)
	v_fma_f64 v[105:106], v[133:134], v[105:106], v[125:126]
	s_waitcnt vmcnt(17)
	v_fma_f64 v[105:106], v[131:132], v[107:108], v[105:106]
	buffer_load_dword v126, off, s[0:3], 0 offset:300
	buffer_load_dword v127, off, s[0:3], 0 offset:320
	;; [unrolled: 1-line block ×7, first 2 shown]
	s_waitcnt vmcnt(23) lgkmcnt(0)
	v_fma_f64 v[105:106], v[129:130], v[109:110], v[105:106]
	s_waitcnt vmcnt(18)
	v_fma_f64 v[113:114], v[113:114], v[111:112], v[105:106]
	ds_read_b128 v[105:108], v104 offset:656
	ds_read_b128 v[109:112], v104 offset:672
	buffer_load_dword v128, off, s[0:3], 0 offset:324
	s_waitcnt vmcnt(18) lgkmcnt(1)
	v_fma_f64 v[105:106], v[137:138], v[105:106], v[113:114]
	s_waitcnt vmcnt(17)
	v_fma_f64 v[105:106], v[135:136], v[107:108], v[105:106]
	buffer_load_dword v114, off, s[0:3], 0 offset:332
	buffer_load_dword v129, off, s[0:3], 0 offset:352
	;; [unrolled: 1-line block ×8, first 2 shown]
	s_waitcnt vmcnt(24) lgkmcnt(0)
	v_fma_f64 v[105:106], v[115:116], v[109:110], v[105:106]
	s_waitcnt vmcnt(19)
	v_fma_f64 v[115:116], v[117:118], v[111:112], v[105:106]
	ds_read_b128 v[105:108], v104 offset:688
	ds_read_b128 v[109:112], v104 offset:704
	s_waitcnt vmcnt(18) lgkmcnt(1)
	v_fma_f64 v[105:106], v[123:124], v[105:106], v[115:116]
	s_waitcnt vmcnt(17)
	v_fma_f64 v[105:106], v[121:122], v[107:108], v[105:106]
	buffer_load_dword v116, off, s[0:3], 0 offset:364
	buffer_load_dword v117, off, s[0:3], 0 offset:384
	;; [unrolled: 1-line block ×7, first 2 shown]
	s_waitcnt vmcnt(23) lgkmcnt(0)
	v_fma_f64 v[105:106], v[119:120], v[109:110], v[105:106]
	s_waitcnt vmcnt(18)
	v_fma_f64 v[118:119], v[125:126], v[111:112], v[105:106]
	ds_read_b128 v[105:108], v104 offset:720
	ds_read_b128 v[109:112], v104 offset:736
	s_waitcnt vmcnt(17) lgkmcnt(1)
	v_fma_f64 v[105:106], v[133:134], v[105:106], v[118:119]
	buffer_load_dword v118, off, s[0:3], 0 offset:388
	buffer_load_dword v120, off, s[0:3], 0 offset:396
	;; [unrolled: 1-line block ×5, first 2 shown]
	s_waitcnt vmcnt(21)
	v_fma_f64 v[105:106], v[131:132], v[107:108], v[105:106]
	s_waitcnt vmcnt(20) lgkmcnt(0)
	v_fma_f64 v[105:106], v[127:128], v[109:110], v[105:106]
	buffer_load_dword v127, off, s[0:3], 0 offset:136
	buffer_load_dword v128, off, s[0:3], 0 offset:140
	s_waitcnt vmcnt(17)
	v_fma_f64 v[113:114], v[113:114], v[111:112], v[105:106]
	ds_read_b128 v[105:108], v104 offset:752
	ds_read_b128 v[109:112], v104 offset:768
	s_waitcnt vmcnt(16) lgkmcnt(1)
	v_fma_f64 v[105:106], v[137:138], v[105:106], v[113:114]
	s_waitcnt vmcnt(15)
	v_fma_f64 v[105:106], v[135:136], v[107:108], v[105:106]
	s_waitcnt vmcnt(14) lgkmcnt(0)
	v_fma_f64 v[105:106], v[129:130], v[109:110], v[105:106]
	s_waitcnt vmcnt(9)
	v_fma_f64 v[113:114], v[115:116], v[111:112], v[105:106]
	ds_read_b128 v[105:108], v104 offset:784
	ds_read_b128 v[109:112], v104 offset:800
	s_waitcnt vmcnt(8) lgkmcnt(1)
	v_fma_f64 v[105:106], v[123:124], v[105:106], v[113:114]
	s_waitcnt vmcnt(7)
	v_fma_f64 v[105:106], v[121:122], v[107:108], v[105:106]
	ds_read_b64 v[107:108], v104 offset:816
	s_waitcnt vmcnt(6) lgkmcnt(1)
	v_fma_f64 v[105:106], v[117:118], v[109:110], v[105:106]
	s_waitcnt vmcnt(3)
	v_fma_f64 v[105:106], v[119:120], v[111:112], v[105:106]
	s_waitcnt vmcnt(2) lgkmcnt(0)
	v_fma_f64 v[105:106], v[125:126], v[107:108], v[105:106]
	s_waitcnt vmcnt(0)
	v_add_f64 v[105:106], v[127:128], -v[105:106]
	buffer_store_dword v106, off, s[0:3], 0 offset:140
	buffer_store_dword v105, off, s[0:3], 0 offset:136
	s_and_saveexec_b64 s[4:5], vcc
	s_cbranch_execz .LBB50_281
; %bb.280:
	buffer_load_dword v105, off, s[0:3], 0 offset:128
	buffer_load_dword v106, off, s[0:3], 0 offset:132
	s_waitcnt vmcnt(0)
	ds_write_b64 v103, v[105:106]
	buffer_store_dword v104, off, s[0:3], 0 offset:128
	buffer_store_dword v104, off, s[0:3], 0 offset:132
.LBB50_281:
	s_or_b64 exec, exec, s[4:5]
	s_waitcnt lgkmcnt(0)
	; wave barrier
	buffer_load_dword v113, off, s[0:3], 0 offset:136
	buffer_load_dword v114, off, s[0:3], 0 offset:140
	;; [unrolled: 1-line block ×21, first 2 shown]
	ds_read2_b64 v[105:108], v104 offset0:69 offset1:70
	ds_read2_b64 v[109:112], v104 offset0:71 offset1:72
	buffer_load_dword v130, off, s[0:3], 0 offset:220
	v_cmp_lt_u32_e32 vcc, 15, v0
	s_waitcnt vmcnt(20) lgkmcnt(1)
	v_fma_f64 v[105:106], v[113:114], v[105:106], 0
	s_waitcnt vmcnt(18)
	v_fma_f64 v[105:106], v[115:116], v[107:108], v[105:106]
	buffer_load_dword v114, off, s[0:3], 0 offset:228
	buffer_load_dword v115, off, s[0:3], 0 offset:248
	;; [unrolled: 1-line block ×7, first 2 shown]
	s_waitcnt vmcnt(23) lgkmcnt(0)
	v_fma_f64 v[105:106], v[117:118], v[109:110], v[105:106]
	s_waitcnt vmcnt(21)
	v_fma_f64 v[116:117], v[119:120], v[111:112], v[105:106]
	ds_read2_b64 v[105:108], v104 offset0:73 offset1:74
	ds_read2_b64 v[109:112], v104 offset0:75 offset1:76
	s_waitcnt vmcnt(19) lgkmcnt(1)
	v_fma_f64 v[105:106], v[121:122], v[105:106], v[116:117]
	buffer_load_dword v116, off, s[0:3], 0 offset:252
	s_waitcnt vmcnt(18)
	v_fma_f64 v[105:106], v[123:124], v[107:108], v[105:106]
	buffer_load_dword v118, off, s[0:3], 0 offset:260
	buffer_load_dword v119, off, s[0:3], 0 offset:280
	;; [unrolled: 1-line block ×8, first 2 shown]
	s_waitcnt vmcnt(24) lgkmcnt(0)
	v_fma_f64 v[105:106], v[125:126], v[109:110], v[105:106]
	s_waitcnt vmcnt(19)
	v_fma_f64 v[125:126], v[127:128], v[111:112], v[105:106]
	ds_read2_b64 v[105:108], v104 offset0:77 offset1:78
	ds_read2_b64 v[109:112], v104 offset0:79 offset1:80
	s_waitcnt vmcnt(18) lgkmcnt(1)
	v_fma_f64 v[105:106], v[133:134], v[105:106], v[125:126]
	s_waitcnt vmcnt(17)
	v_fma_f64 v[105:106], v[131:132], v[107:108], v[105:106]
	buffer_load_dword v126, off, s[0:3], 0 offset:292
	buffer_load_dword v127, off, s[0:3], 0 offset:312
	;; [unrolled: 1-line block ×7, first 2 shown]
	s_waitcnt vmcnt(23) lgkmcnt(0)
	v_fma_f64 v[105:106], v[129:130], v[109:110], v[105:106]
	s_waitcnt vmcnt(18)
	v_fma_f64 v[113:114], v[113:114], v[111:112], v[105:106]
	ds_read2_b64 v[105:108], v104 offset0:81 offset1:82
	ds_read2_b64 v[109:112], v104 offset0:83 offset1:84
	buffer_load_dword v128, off, s[0:3], 0 offset:316
	s_waitcnt vmcnt(18) lgkmcnt(1)
	v_fma_f64 v[105:106], v[137:138], v[105:106], v[113:114]
	s_waitcnt vmcnt(17)
	v_fma_f64 v[105:106], v[135:136], v[107:108], v[105:106]
	buffer_load_dword v114, off, s[0:3], 0 offset:324
	buffer_load_dword v129, off, s[0:3], 0 offset:344
	buffer_load_dword v135, off, s[0:3], 0 offset:336
	buffer_load_dword v137, off, s[0:3], 0 offset:328
	buffer_load_dword v113, off, s[0:3], 0 offset:320
	buffer_load_dword v138, off, s[0:3], 0 offset:332
	buffer_load_dword v136, off, s[0:3], 0 offset:340
	buffer_load_dword v130, off, s[0:3], 0 offset:348
	s_waitcnt vmcnt(24) lgkmcnt(0)
	v_fma_f64 v[105:106], v[115:116], v[109:110], v[105:106]
	s_waitcnt vmcnt(19)
	v_fma_f64 v[115:116], v[117:118], v[111:112], v[105:106]
	ds_read2_b64 v[105:108], v104 offset0:85 offset1:86
	ds_read2_b64 v[109:112], v104 offset0:87 offset1:88
	s_waitcnt vmcnt(18) lgkmcnt(1)
	v_fma_f64 v[105:106], v[123:124], v[105:106], v[115:116]
	s_waitcnt vmcnt(17)
	v_fma_f64 v[105:106], v[121:122], v[107:108], v[105:106]
	buffer_load_dword v116, off, s[0:3], 0 offset:356
	buffer_load_dword v117, off, s[0:3], 0 offset:376
	;; [unrolled: 1-line block ×7, first 2 shown]
	s_waitcnt vmcnt(23) lgkmcnt(0)
	v_fma_f64 v[105:106], v[119:120], v[109:110], v[105:106]
	s_waitcnt vmcnt(18)
	v_fma_f64 v[118:119], v[125:126], v[111:112], v[105:106]
	ds_read2_b64 v[105:108], v104 offset0:89 offset1:90
	ds_read2_b64 v[109:112], v104 offset0:91 offset1:92
	s_waitcnt vmcnt(17) lgkmcnt(1)
	v_fma_f64 v[105:106], v[133:134], v[105:106], v[118:119]
	buffer_load_dword v118, off, s[0:3], 0 offset:380
	s_waitcnt vmcnt(17)
	v_fma_f64 v[105:106], v[131:132], v[107:108], v[105:106]
	buffer_load_dword v120, off, s[0:3], 0 offset:388
	buffer_load_dword v125, off, s[0:3], 0 offset:400
	;; [unrolled: 1-line block ×6, first 2 shown]
	s_waitcnt vmcnt(22) lgkmcnt(0)
	v_fma_f64 v[105:106], v[127:128], v[109:110], v[105:106]
	s_waitcnt vmcnt(17)
	v_fma_f64 v[113:114], v[113:114], v[111:112], v[105:106]
	ds_read2_b64 v[105:108], v104 offset0:93 offset1:94
	buffer_load_dword v127, off, s[0:3], 0 offset:128
	buffer_load_dword v128, off, s[0:3], 0 offset:132
	ds_read2_b64 v[109:112], v104 offset0:95 offset1:96
	s_waitcnt vmcnt(18) lgkmcnt(1)
	v_fma_f64 v[105:106], v[137:138], v[105:106], v[113:114]
	s_waitcnt vmcnt(17)
	v_fma_f64 v[105:106], v[135:136], v[107:108], v[105:106]
	s_waitcnt vmcnt(16) lgkmcnt(0)
	v_fma_f64 v[105:106], v[129:130], v[109:110], v[105:106]
	s_waitcnt vmcnt(11)
	v_fma_f64 v[113:114], v[115:116], v[111:112], v[105:106]
	ds_read2_b64 v[105:108], v104 offset0:97 offset1:98
	ds_read2_b64 v[109:112], v104 offset0:99 offset1:100
	s_waitcnt vmcnt(10) lgkmcnt(1)
	v_fma_f64 v[105:106], v[123:124], v[105:106], v[113:114]
	s_waitcnt vmcnt(9)
	v_fma_f64 v[105:106], v[121:122], v[107:108], v[105:106]
	s_waitcnt vmcnt(8) lgkmcnt(0)
	v_fma_f64 v[105:106], v[117:118], v[109:110], v[105:106]
	s_waitcnt vmcnt(4)
	v_fma_f64 v[108:109], v[119:120], v[111:112], v[105:106]
	ds_read2_b64 v[104:107], v104 offset0:101 offset1:102
	s_waitcnt vmcnt(3) lgkmcnt(0)
	v_fma_f64 v[104:105], v[131:132], v[104:105], v[108:109]
	s_waitcnt vmcnt(2)
	v_fma_f64 v[104:105], v[125:126], v[106:107], v[104:105]
	s_waitcnt vmcnt(0)
	v_add_f64 v[104:105], v[127:128], -v[104:105]
	buffer_store_dword v105, off, s[0:3], 0 offset:132
	buffer_store_dword v104, off, s[0:3], 0 offset:128
	s_and_saveexec_b64 s[4:5], vcc
	s_cbranch_execz .LBB50_283
; %bb.282:
	buffer_load_dword v104, off, s[0:3], 0 offset:120
	buffer_load_dword v105, off, s[0:3], 0 offset:124
	v_mov_b32_e32 v106, 0
	buffer_store_dword v106, off, s[0:3], 0 offset:120
	buffer_store_dword v106, off, s[0:3], 0 offset:124
	s_waitcnt vmcnt(2)
	ds_write_b64 v103, v[104:105]
.LBB50_283:
	s_or_b64 exec, exec, s[4:5]
	s_waitcnt lgkmcnt(0)
	; wave barrier
	buffer_load_dword v113, off, s[0:3], 0 offset:128
	buffer_load_dword v114, off, s[0:3], 0 offset:132
	;; [unrolled: 1-line block ×21, first 2 shown]
	v_mov_b32_e32 v104, 0
	ds_read_b128 v[105:108], v104 offset:544
	ds_read_b128 v[109:112], v104 offset:560
	buffer_load_dword v130, off, s[0:3], 0 offset:212
	v_cmp_lt_u32_e32 vcc, 14, v0
	s_waitcnt vmcnt(20) lgkmcnt(1)
	v_fma_f64 v[105:106], v[113:114], v[105:106], 0
	s_waitcnt vmcnt(18)
	v_fma_f64 v[105:106], v[115:116], v[107:108], v[105:106]
	buffer_load_dword v114, off, s[0:3], 0 offset:220
	buffer_load_dword v115, off, s[0:3], 0 offset:240
	;; [unrolled: 1-line block ×7, first 2 shown]
	s_waitcnt vmcnt(23) lgkmcnt(0)
	v_fma_f64 v[105:106], v[117:118], v[109:110], v[105:106]
	s_waitcnt vmcnt(21)
	v_fma_f64 v[116:117], v[119:120], v[111:112], v[105:106]
	ds_read_b128 v[105:108], v104 offset:576
	ds_read_b128 v[109:112], v104 offset:592
	s_waitcnt vmcnt(19) lgkmcnt(1)
	v_fma_f64 v[105:106], v[121:122], v[105:106], v[116:117]
	buffer_load_dword v116, off, s[0:3], 0 offset:244
	s_waitcnt vmcnt(18)
	v_fma_f64 v[105:106], v[123:124], v[107:108], v[105:106]
	buffer_load_dword v118, off, s[0:3], 0 offset:252
	buffer_load_dword v119, off, s[0:3], 0 offset:272
	;; [unrolled: 1-line block ×8, first 2 shown]
	s_waitcnt vmcnt(24) lgkmcnt(0)
	v_fma_f64 v[105:106], v[125:126], v[109:110], v[105:106]
	s_waitcnt vmcnt(19)
	v_fma_f64 v[125:126], v[127:128], v[111:112], v[105:106]
	ds_read_b128 v[105:108], v104 offset:608
	ds_read_b128 v[109:112], v104 offset:624
	s_waitcnt vmcnt(18) lgkmcnt(1)
	v_fma_f64 v[105:106], v[133:134], v[105:106], v[125:126]
	s_waitcnt vmcnt(17)
	v_fma_f64 v[105:106], v[131:132], v[107:108], v[105:106]
	buffer_load_dword v126, off, s[0:3], 0 offset:284
	buffer_load_dword v127, off, s[0:3], 0 offset:304
	;; [unrolled: 1-line block ×7, first 2 shown]
	s_waitcnt vmcnt(23) lgkmcnt(0)
	v_fma_f64 v[105:106], v[129:130], v[109:110], v[105:106]
	s_waitcnt vmcnt(18)
	v_fma_f64 v[113:114], v[113:114], v[111:112], v[105:106]
	ds_read_b128 v[105:108], v104 offset:640
	ds_read_b128 v[109:112], v104 offset:656
	buffer_load_dword v128, off, s[0:3], 0 offset:308
	s_waitcnt vmcnt(18) lgkmcnt(1)
	v_fma_f64 v[105:106], v[137:138], v[105:106], v[113:114]
	s_waitcnt vmcnt(17)
	v_fma_f64 v[105:106], v[135:136], v[107:108], v[105:106]
	buffer_load_dword v114, off, s[0:3], 0 offset:316
	buffer_load_dword v129, off, s[0:3], 0 offset:336
	;; [unrolled: 1-line block ×8, first 2 shown]
	s_waitcnt vmcnt(24) lgkmcnt(0)
	v_fma_f64 v[105:106], v[115:116], v[109:110], v[105:106]
	s_waitcnt vmcnt(19)
	v_fma_f64 v[115:116], v[117:118], v[111:112], v[105:106]
	ds_read_b128 v[105:108], v104 offset:672
	ds_read_b128 v[109:112], v104 offset:688
	s_waitcnt vmcnt(18) lgkmcnt(1)
	v_fma_f64 v[105:106], v[123:124], v[105:106], v[115:116]
	s_waitcnt vmcnt(17)
	v_fma_f64 v[105:106], v[121:122], v[107:108], v[105:106]
	buffer_load_dword v116, off, s[0:3], 0 offset:348
	buffer_load_dword v117, off, s[0:3], 0 offset:368
	buffer_load_dword v121, off, s[0:3], 0 offset:360
	buffer_load_dword v123, off, s[0:3], 0 offset:352
	buffer_load_dword v115, off, s[0:3], 0 offset:344
	buffer_load_dword v124, off, s[0:3], 0 offset:356
	buffer_load_dword v122, off, s[0:3], 0 offset:364
	s_waitcnt vmcnt(23) lgkmcnt(0)
	v_fma_f64 v[105:106], v[119:120], v[109:110], v[105:106]
	s_waitcnt vmcnt(18)
	v_fma_f64 v[118:119], v[125:126], v[111:112], v[105:106]
	ds_read_b128 v[105:108], v104 offset:704
	ds_read_b128 v[109:112], v104 offset:720
	s_waitcnt vmcnt(17) lgkmcnt(1)
	v_fma_f64 v[105:106], v[133:134], v[105:106], v[118:119]
	buffer_load_dword v118, off, s[0:3], 0 offset:372
	s_waitcnt vmcnt(17)
	v_fma_f64 v[105:106], v[131:132], v[107:108], v[105:106]
	buffer_load_dword v120, off, s[0:3], 0 offset:380
	buffer_load_dword v125, off, s[0:3], 0 offset:400
	;; [unrolled: 1-line block ×8, first 2 shown]
	s_waitcnt vmcnt(24) lgkmcnt(0)
	v_fma_f64 v[105:106], v[127:128], v[109:110], v[105:106]
	s_waitcnt vmcnt(19)
	v_fma_f64 v[113:114], v[113:114], v[111:112], v[105:106]
	ds_read_b128 v[105:108], v104 offset:736
	ds_read_b128 v[109:112], v104 offset:752
	s_waitcnt vmcnt(18) lgkmcnt(1)
	v_fma_f64 v[105:106], v[137:138], v[105:106], v[113:114]
	buffer_load_dword v113, off, s[0:3], 0 offset:120
	buffer_load_dword v114, off, s[0:3], 0 offset:124
	s_waitcnt vmcnt(19)
	v_fma_f64 v[105:106], v[135:136], v[107:108], v[105:106]
	s_waitcnt vmcnt(18) lgkmcnt(0)
	v_fma_f64 v[105:106], v[129:130], v[109:110], v[105:106]
	s_waitcnt vmcnt(13)
	v_fma_f64 v[115:116], v[115:116], v[111:112], v[105:106]
	ds_read_b128 v[105:108], v104 offset:768
	ds_read_b128 v[109:112], v104 offset:784
	s_waitcnt vmcnt(12) lgkmcnt(1)
	v_fma_f64 v[105:106], v[123:124], v[105:106], v[115:116]
	s_waitcnt vmcnt(11)
	v_fma_f64 v[105:106], v[121:122], v[107:108], v[105:106]
	s_waitcnt vmcnt(10) lgkmcnt(0)
	v_fma_f64 v[105:106], v[117:118], v[109:110], v[105:106]
	s_waitcnt vmcnt(5)
	v_fma_f64 v[109:110], v[119:120], v[111:112], v[105:106]
	ds_read_b128 v[105:108], v104 offset:800
	ds_read_b64 v[111:112], v104 offset:816
	s_waitcnt vmcnt(4) lgkmcnt(1)
	v_fma_f64 v[105:106], v[133:134], v[105:106], v[109:110]
	s_waitcnt vmcnt(3)
	v_fma_f64 v[105:106], v[131:132], v[107:108], v[105:106]
	s_waitcnt vmcnt(2) lgkmcnt(0)
	v_fma_f64 v[105:106], v[125:126], v[111:112], v[105:106]
	s_waitcnt vmcnt(0)
	v_add_f64 v[105:106], v[113:114], -v[105:106]
	buffer_store_dword v106, off, s[0:3], 0 offset:124
	buffer_store_dword v105, off, s[0:3], 0 offset:120
	s_and_saveexec_b64 s[4:5], vcc
	s_cbranch_execz .LBB50_285
; %bb.284:
	buffer_load_dword v105, off, s[0:3], 0 offset:112
	buffer_load_dword v106, off, s[0:3], 0 offset:116
	s_waitcnt vmcnt(0)
	ds_write_b64 v103, v[105:106]
	buffer_store_dword v104, off, s[0:3], 0 offset:112
	buffer_store_dword v104, off, s[0:3], 0 offset:116
.LBB50_285:
	s_or_b64 exec, exec, s[4:5]
	s_waitcnt lgkmcnt(0)
	; wave barrier
	buffer_load_dword v113, off, s[0:3], 0 offset:120
	buffer_load_dword v114, off, s[0:3], 0 offset:124
	;; [unrolled: 1-line block ×21, first 2 shown]
	ds_read2_b64 v[105:108], v104 offset0:67 offset1:68
	ds_read2_b64 v[109:112], v104 offset0:69 offset1:70
	buffer_load_dword v130, off, s[0:3], 0 offset:204
	v_cmp_lt_u32_e32 vcc, 13, v0
	s_waitcnt vmcnt(20) lgkmcnt(1)
	v_fma_f64 v[105:106], v[113:114], v[105:106], 0
	s_waitcnt vmcnt(18)
	v_fma_f64 v[105:106], v[115:116], v[107:108], v[105:106]
	buffer_load_dword v114, off, s[0:3], 0 offset:212
	buffer_load_dword v115, off, s[0:3], 0 offset:232
	;; [unrolled: 1-line block ×7, first 2 shown]
	s_waitcnt vmcnt(23) lgkmcnt(0)
	v_fma_f64 v[105:106], v[117:118], v[109:110], v[105:106]
	s_waitcnt vmcnt(21)
	v_fma_f64 v[116:117], v[119:120], v[111:112], v[105:106]
	ds_read2_b64 v[105:108], v104 offset0:71 offset1:72
	ds_read2_b64 v[109:112], v104 offset0:73 offset1:74
	s_waitcnt vmcnt(19) lgkmcnt(1)
	v_fma_f64 v[105:106], v[121:122], v[105:106], v[116:117]
	buffer_load_dword v116, off, s[0:3], 0 offset:236
	s_waitcnt vmcnt(18)
	v_fma_f64 v[105:106], v[123:124], v[107:108], v[105:106]
	buffer_load_dword v118, off, s[0:3], 0 offset:244
	buffer_load_dword v119, off, s[0:3], 0 offset:264
	;; [unrolled: 1-line block ×8, first 2 shown]
	s_waitcnt vmcnt(24) lgkmcnt(0)
	v_fma_f64 v[105:106], v[125:126], v[109:110], v[105:106]
	s_waitcnt vmcnt(19)
	v_fma_f64 v[125:126], v[127:128], v[111:112], v[105:106]
	ds_read2_b64 v[105:108], v104 offset0:75 offset1:76
	ds_read2_b64 v[109:112], v104 offset0:77 offset1:78
	s_waitcnt vmcnt(18) lgkmcnt(1)
	v_fma_f64 v[105:106], v[133:134], v[105:106], v[125:126]
	s_waitcnt vmcnt(17)
	v_fma_f64 v[105:106], v[131:132], v[107:108], v[105:106]
	buffer_load_dword v126, off, s[0:3], 0 offset:276
	buffer_load_dword v127, off, s[0:3], 0 offset:296
	;; [unrolled: 1-line block ×7, first 2 shown]
	s_waitcnt vmcnt(23) lgkmcnt(0)
	v_fma_f64 v[105:106], v[129:130], v[109:110], v[105:106]
	s_waitcnt vmcnt(18)
	v_fma_f64 v[113:114], v[113:114], v[111:112], v[105:106]
	ds_read2_b64 v[105:108], v104 offset0:79 offset1:80
	ds_read2_b64 v[109:112], v104 offset0:81 offset1:82
	buffer_load_dword v128, off, s[0:3], 0 offset:300
	s_waitcnt vmcnt(18) lgkmcnt(1)
	v_fma_f64 v[105:106], v[137:138], v[105:106], v[113:114]
	s_waitcnt vmcnt(17)
	v_fma_f64 v[105:106], v[135:136], v[107:108], v[105:106]
	buffer_load_dword v114, off, s[0:3], 0 offset:308
	buffer_load_dword v129, off, s[0:3], 0 offset:328
	;; [unrolled: 1-line block ×8, first 2 shown]
	s_waitcnt vmcnt(24) lgkmcnt(0)
	v_fma_f64 v[105:106], v[115:116], v[109:110], v[105:106]
	s_waitcnt vmcnt(19)
	v_fma_f64 v[115:116], v[117:118], v[111:112], v[105:106]
	ds_read2_b64 v[105:108], v104 offset0:83 offset1:84
	ds_read2_b64 v[109:112], v104 offset0:85 offset1:86
	s_waitcnt vmcnt(18) lgkmcnt(1)
	v_fma_f64 v[105:106], v[123:124], v[105:106], v[115:116]
	s_waitcnt vmcnt(17)
	v_fma_f64 v[105:106], v[121:122], v[107:108], v[105:106]
	buffer_load_dword v116, off, s[0:3], 0 offset:340
	buffer_load_dword v117, off, s[0:3], 0 offset:360
	;; [unrolled: 1-line block ×7, first 2 shown]
	s_waitcnt vmcnt(23) lgkmcnt(0)
	v_fma_f64 v[105:106], v[119:120], v[109:110], v[105:106]
	s_waitcnt vmcnt(18)
	v_fma_f64 v[118:119], v[125:126], v[111:112], v[105:106]
	ds_read2_b64 v[105:108], v104 offset0:87 offset1:88
	ds_read2_b64 v[109:112], v104 offset0:89 offset1:90
	s_waitcnt vmcnt(17) lgkmcnt(1)
	v_fma_f64 v[105:106], v[133:134], v[105:106], v[118:119]
	buffer_load_dword v118, off, s[0:3], 0 offset:364
	s_waitcnt vmcnt(17)
	v_fma_f64 v[105:106], v[131:132], v[107:108], v[105:106]
	buffer_load_dword v120, off, s[0:3], 0 offset:372
	buffer_load_dword v125, off, s[0:3], 0 offset:392
	;; [unrolled: 1-line block ×8, first 2 shown]
	s_waitcnt vmcnt(24) lgkmcnt(0)
	v_fma_f64 v[105:106], v[127:128], v[109:110], v[105:106]
	s_waitcnt vmcnt(19)
	v_fma_f64 v[113:114], v[113:114], v[111:112], v[105:106]
	ds_read2_b64 v[105:108], v104 offset0:91 offset1:92
	ds_read2_b64 v[109:112], v104 offset0:93 offset1:94
	s_waitcnt vmcnt(18) lgkmcnt(1)
	v_fma_f64 v[105:106], v[137:138], v[105:106], v[113:114]
	buffer_load_dword v114, off, s[0:3], 0 offset:404
	buffer_load_dword v113, off, s[0:3], 0 offset:400
	buffer_load_dword v127, off, s[0:3], 0 offset:112
	buffer_load_dword v128, off, s[0:3], 0 offset:116
	s_waitcnt vmcnt(21)
	v_fma_f64 v[105:106], v[135:136], v[107:108], v[105:106]
	s_waitcnt vmcnt(20) lgkmcnt(0)
	v_fma_f64 v[105:106], v[129:130], v[109:110], v[105:106]
	s_waitcnt vmcnt(15)
	v_fma_f64 v[115:116], v[115:116], v[111:112], v[105:106]
	ds_read2_b64 v[105:108], v104 offset0:95 offset1:96
	ds_read2_b64 v[109:112], v104 offset0:97 offset1:98
	s_waitcnt vmcnt(14) lgkmcnt(1)
	v_fma_f64 v[105:106], v[123:124], v[105:106], v[115:116]
	s_waitcnt vmcnt(13)
	v_fma_f64 v[105:106], v[121:122], v[107:108], v[105:106]
	s_waitcnt vmcnt(12) lgkmcnt(0)
	v_fma_f64 v[105:106], v[117:118], v[109:110], v[105:106]
	s_waitcnt vmcnt(7)
	v_fma_f64 v[115:116], v[119:120], v[111:112], v[105:106]
	ds_read2_b64 v[105:108], v104 offset0:99 offset1:100
	ds_read2_b64 v[109:112], v104 offset0:101 offset1:102
	s_waitcnt vmcnt(6) lgkmcnt(1)
	v_fma_f64 v[104:105], v[133:134], v[105:106], v[115:116]
	s_waitcnt vmcnt(5)
	v_fma_f64 v[104:105], v[131:132], v[107:108], v[104:105]
	s_waitcnt vmcnt(4) lgkmcnt(0)
	v_fma_f64 v[104:105], v[125:126], v[109:110], v[104:105]
	s_waitcnt vmcnt(2)
	v_fma_f64 v[104:105], v[113:114], v[111:112], v[104:105]
	s_waitcnt vmcnt(0)
	v_add_f64 v[104:105], v[127:128], -v[104:105]
	buffer_store_dword v105, off, s[0:3], 0 offset:116
	buffer_store_dword v104, off, s[0:3], 0 offset:112
	s_and_saveexec_b64 s[4:5], vcc
	s_cbranch_execz .LBB50_287
; %bb.286:
	buffer_load_dword v104, off, s[0:3], 0 offset:104
	buffer_load_dword v105, off, s[0:3], 0 offset:108
	v_mov_b32_e32 v106, 0
	buffer_store_dword v106, off, s[0:3], 0 offset:104
	buffer_store_dword v106, off, s[0:3], 0 offset:108
	s_waitcnt vmcnt(2)
	ds_write_b64 v103, v[104:105]
.LBB50_287:
	s_or_b64 exec, exec, s[4:5]
	s_waitcnt lgkmcnt(0)
	; wave barrier
	buffer_load_dword v113, off, s[0:3], 0 offset:112
	buffer_load_dword v114, off, s[0:3], 0 offset:116
	buffer_load_dword v115, off, s[0:3], 0 offset:120
	buffer_load_dword v116, off, s[0:3], 0 offset:124
	buffer_load_dword v117, off, s[0:3], 0 offset:128
	buffer_load_dword v118, off, s[0:3], 0 offset:132
	buffer_load_dword v119, off, s[0:3], 0 offset:136
	buffer_load_dword v120, off, s[0:3], 0 offset:140
	buffer_load_dword v121, off, s[0:3], 0 offset:144
	buffer_load_dword v122, off, s[0:3], 0 offset:148
	buffer_load_dword v123, off, s[0:3], 0 offset:152
	buffer_load_dword v124, off, s[0:3], 0 offset:156
	buffer_load_dword v125, off, s[0:3], 0 offset:160
	buffer_load_dword v126, off, s[0:3], 0 offset:164
	buffer_load_dword v128, off, s[0:3], 0 offset:172
	buffer_load_dword v129, off, s[0:3], 0 offset:192
	buffer_load_dword v131, off, s[0:3], 0 offset:184
	buffer_load_dword v133, off, s[0:3], 0 offset:176
	buffer_load_dword v127, off, s[0:3], 0 offset:168
	buffer_load_dword v134, off, s[0:3], 0 offset:180
	buffer_load_dword v132, off, s[0:3], 0 offset:188
	v_mov_b32_e32 v104, 0
	ds_read_b128 v[105:108], v104 offset:528
	ds_read_b128 v[109:112], v104 offset:544
	buffer_load_dword v130, off, s[0:3], 0 offset:196
	v_cmp_lt_u32_e32 vcc, 12, v0
	s_waitcnt vmcnt(20) lgkmcnt(1)
	v_fma_f64 v[105:106], v[113:114], v[105:106], 0
	s_waitcnt vmcnt(18)
	v_fma_f64 v[105:106], v[115:116], v[107:108], v[105:106]
	buffer_load_dword v114, off, s[0:3], 0 offset:204
	buffer_load_dword v115, off, s[0:3], 0 offset:224
	;; [unrolled: 1-line block ×7, first 2 shown]
	s_waitcnt vmcnt(23) lgkmcnt(0)
	v_fma_f64 v[105:106], v[117:118], v[109:110], v[105:106]
	s_waitcnt vmcnt(21)
	v_fma_f64 v[116:117], v[119:120], v[111:112], v[105:106]
	ds_read_b128 v[105:108], v104 offset:560
	ds_read_b128 v[109:112], v104 offset:576
	s_waitcnt vmcnt(19) lgkmcnt(1)
	v_fma_f64 v[105:106], v[121:122], v[105:106], v[116:117]
	buffer_load_dword v116, off, s[0:3], 0 offset:228
	s_waitcnt vmcnt(18)
	v_fma_f64 v[105:106], v[123:124], v[107:108], v[105:106]
	buffer_load_dword v118, off, s[0:3], 0 offset:236
	buffer_load_dword v119, off, s[0:3], 0 offset:256
	;; [unrolled: 1-line block ×8, first 2 shown]
	s_waitcnt vmcnt(24) lgkmcnt(0)
	v_fma_f64 v[105:106], v[125:126], v[109:110], v[105:106]
	s_waitcnt vmcnt(19)
	v_fma_f64 v[125:126], v[127:128], v[111:112], v[105:106]
	ds_read_b128 v[105:108], v104 offset:592
	ds_read_b128 v[109:112], v104 offset:608
	s_waitcnt vmcnt(18) lgkmcnt(1)
	v_fma_f64 v[105:106], v[133:134], v[105:106], v[125:126]
	s_waitcnt vmcnt(17)
	v_fma_f64 v[105:106], v[131:132], v[107:108], v[105:106]
	buffer_load_dword v126, off, s[0:3], 0 offset:268
	buffer_load_dword v127, off, s[0:3], 0 offset:288
	;; [unrolled: 1-line block ×7, first 2 shown]
	s_waitcnt vmcnt(23) lgkmcnt(0)
	v_fma_f64 v[105:106], v[129:130], v[109:110], v[105:106]
	s_waitcnt vmcnt(18)
	v_fma_f64 v[113:114], v[113:114], v[111:112], v[105:106]
	ds_read_b128 v[105:108], v104 offset:624
	ds_read_b128 v[109:112], v104 offset:640
	buffer_load_dword v128, off, s[0:3], 0 offset:292
	s_waitcnt vmcnt(18) lgkmcnt(1)
	v_fma_f64 v[105:106], v[137:138], v[105:106], v[113:114]
	s_waitcnt vmcnt(17)
	v_fma_f64 v[105:106], v[135:136], v[107:108], v[105:106]
	buffer_load_dword v114, off, s[0:3], 0 offset:300
	buffer_load_dword v129, off, s[0:3], 0 offset:320
	;; [unrolled: 1-line block ×7, first 2 shown]
	s_waitcnt vmcnt(23) lgkmcnt(0)
	v_fma_f64 v[105:106], v[115:116], v[109:110], v[105:106]
	s_waitcnt vmcnt(18)
	v_fma_f64 v[115:116], v[117:118], v[111:112], v[105:106]
	ds_read_b128 v[105:108], v104 offset:656
	ds_read_b128 v[109:112], v104 offset:672
	buffer_load_dword v130, off, s[0:3], 0 offset:324
	s_waitcnt vmcnt(18) lgkmcnt(1)
	v_fma_f64 v[105:106], v[123:124], v[105:106], v[115:116]
	s_waitcnt vmcnt(17)
	v_fma_f64 v[105:106], v[121:122], v[107:108], v[105:106]
	buffer_load_dword v116, off, s[0:3], 0 offset:332
	buffer_load_dword v117, off, s[0:3], 0 offset:352
	;; [unrolled: 1-line block ×7, first 2 shown]
	s_waitcnt vmcnt(23) lgkmcnt(0)
	v_fma_f64 v[105:106], v[119:120], v[109:110], v[105:106]
	s_waitcnt vmcnt(18)
	v_fma_f64 v[118:119], v[125:126], v[111:112], v[105:106]
	ds_read_b128 v[105:108], v104 offset:688
	ds_read_b128 v[109:112], v104 offset:704
	s_waitcnt vmcnt(17) lgkmcnt(1)
	v_fma_f64 v[105:106], v[133:134], v[105:106], v[118:119]
	buffer_load_dword v118, off, s[0:3], 0 offset:356
	s_waitcnt vmcnt(17)
	v_fma_f64 v[105:106], v[131:132], v[107:108], v[105:106]
	buffer_load_dword v120, off, s[0:3], 0 offset:364
	buffer_load_dword v125, off, s[0:3], 0 offset:384
	;; [unrolled: 1-line block ×7, first 2 shown]
	s_waitcnt vmcnt(23) lgkmcnt(0)
	v_fma_f64 v[105:106], v[127:128], v[109:110], v[105:106]
	s_waitcnt vmcnt(18)
	v_fma_f64 v[113:114], v[113:114], v[111:112], v[105:106]
	ds_read_b128 v[105:108], v104 offset:720
	ds_read_b128 v[109:112], v104 offset:736
	buffer_load_dword v126, off, s[0:3], 0 offset:388
	s_waitcnt vmcnt(18) lgkmcnt(1)
	v_fma_f64 v[105:106], v[137:138], v[105:106], v[113:114]
	buffer_load_dword v114, off, s[0:3], 0 offset:396
	buffer_load_dword v127, off, s[0:3], 0 offset:400
	;; [unrolled: 1-line block ×4, first 2 shown]
	s_waitcnt vmcnt(21)
	v_fma_f64 v[105:106], v[135:136], v[107:108], v[105:106]
	s_waitcnt vmcnt(20) lgkmcnt(0)
	v_fma_f64 v[105:106], v[129:130], v[109:110], v[105:106]
	buffer_load_dword v129, off, s[0:3], 0 offset:104
	buffer_load_dword v130, off, s[0:3], 0 offset:108
	s_waitcnt vmcnt(17)
	v_fma_f64 v[115:116], v[115:116], v[111:112], v[105:106]
	ds_read_b128 v[105:108], v104 offset:752
	ds_read_b128 v[109:112], v104 offset:768
	s_waitcnt vmcnt(16) lgkmcnt(1)
	v_fma_f64 v[105:106], v[123:124], v[105:106], v[115:116]
	s_waitcnt vmcnt(15)
	v_fma_f64 v[105:106], v[121:122], v[107:108], v[105:106]
	s_waitcnt vmcnt(14) lgkmcnt(0)
	v_fma_f64 v[105:106], v[117:118], v[109:110], v[105:106]
	s_waitcnt vmcnt(9)
	v_fma_f64 v[115:116], v[119:120], v[111:112], v[105:106]
	ds_read_b128 v[105:108], v104 offset:784
	ds_read_b128 v[109:112], v104 offset:800
	s_waitcnt vmcnt(8) lgkmcnt(1)
	v_fma_f64 v[105:106], v[133:134], v[105:106], v[115:116]
	s_waitcnt vmcnt(7)
	v_fma_f64 v[105:106], v[131:132], v[107:108], v[105:106]
	ds_read_b64 v[107:108], v104 offset:816
	s_waitcnt vmcnt(6) lgkmcnt(1)
	v_fma_f64 v[105:106], v[125:126], v[109:110], v[105:106]
	s_waitcnt vmcnt(3)
	v_fma_f64 v[105:106], v[113:114], v[111:112], v[105:106]
	s_waitcnt vmcnt(2) lgkmcnt(0)
	v_fma_f64 v[105:106], v[127:128], v[107:108], v[105:106]
	s_waitcnt vmcnt(0)
	v_add_f64 v[105:106], v[129:130], -v[105:106]
	buffer_store_dword v106, off, s[0:3], 0 offset:108
	buffer_store_dword v105, off, s[0:3], 0 offset:104
	s_and_saveexec_b64 s[4:5], vcc
	s_cbranch_execz .LBB50_289
; %bb.288:
	buffer_load_dword v105, off, s[0:3], 0 offset:96
	buffer_load_dword v106, off, s[0:3], 0 offset:100
	s_waitcnt vmcnt(0)
	ds_write_b64 v103, v[105:106]
	buffer_store_dword v104, off, s[0:3], 0 offset:96
	buffer_store_dword v104, off, s[0:3], 0 offset:100
.LBB50_289:
	s_or_b64 exec, exec, s[4:5]
	s_waitcnt lgkmcnt(0)
	; wave barrier
	buffer_load_dword v113, off, s[0:3], 0 offset:104
	buffer_load_dword v114, off, s[0:3], 0 offset:108
	;; [unrolled: 1-line block ×22, first 2 shown]
	ds_read2_b64 v[105:108], v104 offset0:65 offset1:66
	ds_read2_b64 v[109:112], v104 offset0:67 offset1:68
	v_cmp_lt_u32_e32 vcc, 11, v0
	s_waitcnt vmcnt(20) lgkmcnt(1)
	v_fma_f64 v[105:106], v[113:114], v[105:106], 0
	s_waitcnt vmcnt(18)
	v_fma_f64 v[105:106], v[115:116], v[107:108], v[105:106]
	buffer_load_dword v114, off, s[0:3], 0 offset:196
	buffer_load_dword v115, off, s[0:3], 0 offset:216
	buffer_load_dword v135, off, s[0:3], 0 offset:208
	buffer_load_dword v137, off, s[0:3], 0 offset:200
	buffer_load_dword v113, off, s[0:3], 0 offset:192
	buffer_load_dword v138, off, s[0:3], 0 offset:204
	buffer_load_dword v136, off, s[0:3], 0 offset:212
	s_waitcnt vmcnt(23) lgkmcnt(0)
	v_fma_f64 v[105:106], v[117:118], v[109:110], v[105:106]
	s_waitcnt vmcnt(21)
	v_fma_f64 v[116:117], v[119:120], v[111:112], v[105:106]
	ds_read2_b64 v[105:108], v104 offset0:69 offset1:70
	ds_read2_b64 v[109:112], v104 offset0:71 offset1:72
	s_waitcnt vmcnt(19) lgkmcnt(1)
	v_fma_f64 v[105:106], v[121:122], v[105:106], v[116:117]
	buffer_load_dword v116, off, s[0:3], 0 offset:220
	s_waitcnt vmcnt(18)
	v_fma_f64 v[105:106], v[123:124], v[107:108], v[105:106]
	buffer_load_dword v118, off, s[0:3], 0 offset:228
	buffer_load_dword v119, off, s[0:3], 0 offset:248
	;; [unrolled: 1-line block ×8, first 2 shown]
	s_waitcnt vmcnt(24) lgkmcnt(0)
	v_fma_f64 v[105:106], v[125:126], v[109:110], v[105:106]
	s_waitcnt vmcnt(19)
	v_fma_f64 v[125:126], v[127:128], v[111:112], v[105:106]
	ds_read2_b64 v[105:108], v104 offset0:73 offset1:74
	ds_read2_b64 v[109:112], v104 offset0:75 offset1:76
	s_waitcnt vmcnt(18) lgkmcnt(1)
	v_fma_f64 v[105:106], v[133:134], v[105:106], v[125:126]
	s_waitcnt vmcnt(17)
	v_fma_f64 v[105:106], v[131:132], v[107:108], v[105:106]
	buffer_load_dword v126, off, s[0:3], 0 offset:260
	buffer_load_dword v127, off, s[0:3], 0 offset:280
	;; [unrolled: 1-line block ×8, first 2 shown]
	s_waitcnt vmcnt(24) lgkmcnt(0)
	v_fma_f64 v[105:106], v[129:130], v[109:110], v[105:106]
	s_waitcnt vmcnt(19)
	v_fma_f64 v[113:114], v[113:114], v[111:112], v[105:106]
	ds_read2_b64 v[105:108], v104 offset0:77 offset1:78
	ds_read2_b64 v[109:112], v104 offset0:79 offset1:80
	s_waitcnt vmcnt(18) lgkmcnt(1)
	v_fma_f64 v[105:106], v[137:138], v[105:106], v[113:114]
	s_waitcnt vmcnt(17)
	v_fma_f64 v[105:106], v[135:136], v[107:108], v[105:106]
	buffer_load_dword v114, off, s[0:3], 0 offset:292
	buffer_load_dword v129, off, s[0:3], 0 offset:312
	;; [unrolled: 1-line block ×7, first 2 shown]
	s_waitcnt vmcnt(23) lgkmcnt(0)
	v_fma_f64 v[105:106], v[115:116], v[109:110], v[105:106]
	s_waitcnt vmcnt(18)
	v_fma_f64 v[115:116], v[117:118], v[111:112], v[105:106]
	ds_read2_b64 v[105:108], v104 offset0:81 offset1:82
	ds_read2_b64 v[109:112], v104 offset0:83 offset1:84
	buffer_load_dword v130, off, s[0:3], 0 offset:316
	s_waitcnt vmcnt(18) lgkmcnt(1)
	v_fma_f64 v[105:106], v[123:124], v[105:106], v[115:116]
	s_waitcnt vmcnt(17)
	v_fma_f64 v[105:106], v[121:122], v[107:108], v[105:106]
	buffer_load_dword v116, off, s[0:3], 0 offset:324
	buffer_load_dword v117, off, s[0:3], 0 offset:344
	;; [unrolled: 1-line block ×7, first 2 shown]
	s_waitcnt vmcnt(23) lgkmcnt(0)
	v_fma_f64 v[105:106], v[119:120], v[109:110], v[105:106]
	s_waitcnt vmcnt(18)
	v_fma_f64 v[118:119], v[125:126], v[111:112], v[105:106]
	ds_read2_b64 v[105:108], v104 offset0:85 offset1:86
	ds_read2_b64 v[109:112], v104 offset0:87 offset1:88
	s_waitcnt vmcnt(17) lgkmcnt(1)
	v_fma_f64 v[105:106], v[133:134], v[105:106], v[118:119]
	buffer_load_dword v118, off, s[0:3], 0 offset:348
	s_waitcnt vmcnt(17)
	v_fma_f64 v[105:106], v[131:132], v[107:108], v[105:106]
	buffer_load_dword v120, off, s[0:3], 0 offset:356
	buffer_load_dword v125, off, s[0:3], 0 offset:376
	;; [unrolled: 1-line block ×8, first 2 shown]
	s_waitcnt vmcnt(24) lgkmcnt(0)
	v_fma_f64 v[105:106], v[127:128], v[109:110], v[105:106]
	s_waitcnt vmcnt(19)
	v_fma_f64 v[113:114], v[113:114], v[111:112], v[105:106]
	ds_read2_b64 v[105:108], v104 offset0:89 offset1:90
	ds_read2_b64 v[109:112], v104 offset0:91 offset1:92
	s_waitcnt vmcnt(18) lgkmcnt(1)
	v_fma_f64 v[105:106], v[137:138], v[105:106], v[113:114]
	s_waitcnt vmcnt(17)
	v_fma_f64 v[105:106], v[135:136], v[107:108], v[105:106]
	buffer_load_dword v114, off, s[0:3], 0 offset:388
	buffer_load_dword v127, off, s[0:3], 0 offset:400
	;; [unrolled: 1-line block ×6, first 2 shown]
	s_waitcnt vmcnt(22) lgkmcnt(0)
	v_fma_f64 v[105:106], v[129:130], v[109:110], v[105:106]
	s_waitcnt vmcnt(17)
	v_fma_f64 v[115:116], v[115:116], v[111:112], v[105:106]
	ds_read2_b64 v[105:108], v104 offset0:93 offset1:94
	buffer_load_dword v129, off, s[0:3], 0 offset:96
	buffer_load_dword v130, off, s[0:3], 0 offset:100
	ds_read2_b64 v[109:112], v104 offset0:95 offset1:96
	s_waitcnt vmcnt(18) lgkmcnt(1)
	v_fma_f64 v[105:106], v[123:124], v[105:106], v[115:116]
	s_waitcnt vmcnt(17)
	v_fma_f64 v[105:106], v[121:122], v[107:108], v[105:106]
	s_waitcnt vmcnt(16) lgkmcnt(0)
	v_fma_f64 v[105:106], v[117:118], v[109:110], v[105:106]
	s_waitcnt vmcnt(11)
	v_fma_f64 v[115:116], v[119:120], v[111:112], v[105:106]
	ds_read2_b64 v[105:108], v104 offset0:97 offset1:98
	ds_read2_b64 v[109:112], v104 offset0:99 offset1:100
	s_waitcnt vmcnt(10) lgkmcnt(1)
	v_fma_f64 v[105:106], v[133:134], v[105:106], v[115:116]
	s_waitcnt vmcnt(9)
	v_fma_f64 v[105:106], v[131:132], v[107:108], v[105:106]
	s_waitcnt vmcnt(8) lgkmcnt(0)
	v_fma_f64 v[105:106], v[125:126], v[109:110], v[105:106]
	s_waitcnt vmcnt(4)
	v_fma_f64 v[108:109], v[113:114], v[111:112], v[105:106]
	ds_read2_b64 v[104:107], v104 offset0:101 offset1:102
	s_waitcnt vmcnt(3) lgkmcnt(0)
	v_fma_f64 v[104:105], v[135:136], v[104:105], v[108:109]
	s_waitcnt vmcnt(2)
	v_fma_f64 v[104:105], v[127:128], v[106:107], v[104:105]
	s_waitcnt vmcnt(0)
	v_add_f64 v[104:105], v[129:130], -v[104:105]
	buffer_store_dword v105, off, s[0:3], 0 offset:100
	buffer_store_dword v104, off, s[0:3], 0 offset:96
	s_and_saveexec_b64 s[4:5], vcc
	s_cbranch_execz .LBB50_291
; %bb.290:
	buffer_load_dword v104, off, s[0:3], 0 offset:88
	buffer_load_dword v105, off, s[0:3], 0 offset:92
	v_mov_b32_e32 v106, 0
	buffer_store_dword v106, off, s[0:3], 0 offset:88
	buffer_store_dword v106, off, s[0:3], 0 offset:92
	s_waitcnt vmcnt(2)
	ds_write_b64 v103, v[104:105]
.LBB50_291:
	s_or_b64 exec, exec, s[4:5]
	s_waitcnt lgkmcnt(0)
	; wave barrier
	buffer_load_dword v113, off, s[0:3], 0 offset:96
	buffer_load_dword v114, off, s[0:3], 0 offset:100
	;; [unrolled: 1-line block ×22, first 2 shown]
	v_mov_b32_e32 v104, 0
	ds_read_b128 v[105:108], v104 offset:512
	ds_read_b128 v[109:112], v104 offset:528
	v_cmp_lt_u32_e32 vcc, 10, v0
	s_waitcnt vmcnt(20) lgkmcnt(1)
	v_fma_f64 v[105:106], v[113:114], v[105:106], 0
	s_waitcnt vmcnt(18)
	v_fma_f64 v[105:106], v[115:116], v[107:108], v[105:106]
	buffer_load_dword v114, off, s[0:3], 0 offset:188
	buffer_load_dword v115, off, s[0:3], 0 offset:208
	;; [unrolled: 1-line block ×7, first 2 shown]
	s_waitcnt vmcnt(23) lgkmcnt(0)
	v_fma_f64 v[105:106], v[117:118], v[109:110], v[105:106]
	s_waitcnt vmcnt(21)
	v_fma_f64 v[116:117], v[119:120], v[111:112], v[105:106]
	ds_read_b128 v[105:108], v104 offset:544
	ds_read_b128 v[109:112], v104 offset:560
	s_waitcnt vmcnt(19) lgkmcnt(1)
	v_fma_f64 v[105:106], v[121:122], v[105:106], v[116:117]
	buffer_load_dword v116, off, s[0:3], 0 offset:212
	s_waitcnt vmcnt(18)
	v_fma_f64 v[105:106], v[123:124], v[107:108], v[105:106]
	buffer_load_dword v118, off, s[0:3], 0 offset:220
	buffer_load_dword v119, off, s[0:3], 0 offset:240
	;; [unrolled: 1-line block ×8, first 2 shown]
	s_waitcnt vmcnt(24) lgkmcnt(0)
	v_fma_f64 v[105:106], v[125:126], v[109:110], v[105:106]
	s_waitcnt vmcnt(19)
	v_fma_f64 v[125:126], v[127:128], v[111:112], v[105:106]
	ds_read_b128 v[105:108], v104 offset:576
	ds_read_b128 v[109:112], v104 offset:592
	s_waitcnt vmcnt(18) lgkmcnt(1)
	v_fma_f64 v[105:106], v[133:134], v[105:106], v[125:126]
	s_waitcnt vmcnt(17)
	v_fma_f64 v[105:106], v[131:132], v[107:108], v[105:106]
	buffer_load_dword v126, off, s[0:3], 0 offset:252
	buffer_load_dword v127, off, s[0:3], 0 offset:272
	;; [unrolled: 1-line block ×8, first 2 shown]
	s_waitcnt vmcnt(24) lgkmcnt(0)
	v_fma_f64 v[105:106], v[129:130], v[109:110], v[105:106]
	s_waitcnt vmcnt(19)
	v_fma_f64 v[113:114], v[113:114], v[111:112], v[105:106]
	ds_read_b128 v[105:108], v104 offset:608
	ds_read_b128 v[109:112], v104 offset:624
	s_waitcnt vmcnt(18) lgkmcnt(1)
	v_fma_f64 v[105:106], v[137:138], v[105:106], v[113:114]
	s_waitcnt vmcnt(17)
	v_fma_f64 v[105:106], v[135:136], v[107:108], v[105:106]
	buffer_load_dword v114, off, s[0:3], 0 offset:284
	buffer_load_dword v129, off, s[0:3], 0 offset:304
	;; [unrolled: 1-line block ×7, first 2 shown]
	s_waitcnt vmcnt(23) lgkmcnt(0)
	v_fma_f64 v[105:106], v[115:116], v[109:110], v[105:106]
	s_waitcnt vmcnt(18)
	v_fma_f64 v[115:116], v[117:118], v[111:112], v[105:106]
	ds_read_b128 v[105:108], v104 offset:640
	ds_read_b128 v[109:112], v104 offset:656
	buffer_load_dword v130, off, s[0:3], 0 offset:308
	s_waitcnt vmcnt(18) lgkmcnt(1)
	v_fma_f64 v[105:106], v[123:124], v[105:106], v[115:116]
	s_waitcnt vmcnt(17)
	v_fma_f64 v[105:106], v[121:122], v[107:108], v[105:106]
	buffer_load_dword v116, off, s[0:3], 0 offset:316
	buffer_load_dword v117, off, s[0:3], 0 offset:336
	;; [unrolled: 1-line block ×7, first 2 shown]
	s_waitcnt vmcnt(23) lgkmcnt(0)
	v_fma_f64 v[105:106], v[119:120], v[109:110], v[105:106]
	s_waitcnt vmcnt(18)
	v_fma_f64 v[118:119], v[125:126], v[111:112], v[105:106]
	ds_read_b128 v[105:108], v104 offset:672
	ds_read_b128 v[109:112], v104 offset:688
	s_waitcnt vmcnt(17) lgkmcnt(1)
	v_fma_f64 v[105:106], v[133:134], v[105:106], v[118:119]
	buffer_load_dword v118, off, s[0:3], 0 offset:340
	s_waitcnt vmcnt(17)
	v_fma_f64 v[105:106], v[131:132], v[107:108], v[105:106]
	buffer_load_dword v120, off, s[0:3], 0 offset:348
	buffer_load_dword v125, off, s[0:3], 0 offset:368
	buffer_load_dword v131, off, s[0:3], 0 offset:360
	buffer_load_dword v133, off, s[0:3], 0 offset:352
	buffer_load_dword v119, off, s[0:3], 0 offset:344
	buffer_load_dword v134, off, s[0:3], 0 offset:356
	buffer_load_dword v132, off, s[0:3], 0 offset:364
	buffer_load_dword v126, off, s[0:3], 0 offset:372
	s_waitcnt vmcnt(24) lgkmcnt(0)
	v_fma_f64 v[105:106], v[127:128], v[109:110], v[105:106]
	s_waitcnt vmcnt(19)
	v_fma_f64 v[113:114], v[113:114], v[111:112], v[105:106]
	ds_read_b128 v[105:108], v104 offset:704
	ds_read_b128 v[109:112], v104 offset:720
	s_waitcnt vmcnt(18) lgkmcnt(1)
	v_fma_f64 v[105:106], v[137:138], v[105:106], v[113:114]
	s_waitcnt vmcnt(17)
	v_fma_f64 v[105:106], v[135:136], v[107:108], v[105:106]
	buffer_load_dword v114, off, s[0:3], 0 offset:380
	buffer_load_dword v127, off, s[0:3], 0 offset:400
	;; [unrolled: 1-line block ×8, first 2 shown]
	s_waitcnt vmcnt(24) lgkmcnt(0)
	v_fma_f64 v[105:106], v[129:130], v[109:110], v[105:106]
	s_waitcnt vmcnt(19)
	v_fma_f64 v[115:116], v[115:116], v[111:112], v[105:106]
	ds_read_b128 v[105:108], v104 offset:736
	ds_read_b128 v[109:112], v104 offset:752
	s_waitcnt vmcnt(18) lgkmcnt(1)
	v_fma_f64 v[105:106], v[123:124], v[105:106], v[115:116]
	buffer_load_dword v115, off, s[0:3], 0 offset:88
	buffer_load_dword v116, off, s[0:3], 0 offset:92
	s_waitcnt vmcnt(19)
	v_fma_f64 v[105:106], v[121:122], v[107:108], v[105:106]
	s_waitcnt vmcnt(18) lgkmcnt(0)
	v_fma_f64 v[105:106], v[117:118], v[109:110], v[105:106]
	s_waitcnt vmcnt(13)
	v_fma_f64 v[117:118], v[119:120], v[111:112], v[105:106]
	ds_read_b128 v[105:108], v104 offset:768
	ds_read_b128 v[109:112], v104 offset:784
	s_waitcnt vmcnt(12) lgkmcnt(1)
	v_fma_f64 v[105:106], v[133:134], v[105:106], v[117:118]
	s_waitcnt vmcnt(11)
	v_fma_f64 v[105:106], v[131:132], v[107:108], v[105:106]
	s_waitcnt vmcnt(10) lgkmcnt(0)
	v_fma_f64 v[105:106], v[125:126], v[109:110], v[105:106]
	s_waitcnt vmcnt(5)
	v_fma_f64 v[109:110], v[113:114], v[111:112], v[105:106]
	ds_read_b128 v[105:108], v104 offset:800
	ds_read_b64 v[111:112], v104 offset:816
	s_waitcnt vmcnt(4) lgkmcnt(1)
	v_fma_f64 v[105:106], v[137:138], v[105:106], v[109:110]
	s_waitcnt vmcnt(3)
	v_fma_f64 v[105:106], v[135:136], v[107:108], v[105:106]
	s_waitcnt vmcnt(2) lgkmcnt(0)
	v_fma_f64 v[105:106], v[127:128], v[111:112], v[105:106]
	s_waitcnt vmcnt(0)
	v_add_f64 v[105:106], v[115:116], -v[105:106]
	buffer_store_dword v106, off, s[0:3], 0 offset:92
	buffer_store_dword v105, off, s[0:3], 0 offset:88
	s_and_saveexec_b64 s[4:5], vcc
	s_cbranch_execz .LBB50_293
; %bb.292:
	buffer_load_dword v105, off, s[0:3], 0 offset:80
	buffer_load_dword v106, off, s[0:3], 0 offset:84
	s_waitcnt vmcnt(0)
	ds_write_b64 v103, v[105:106]
	buffer_store_dword v104, off, s[0:3], 0 offset:80
	buffer_store_dword v104, off, s[0:3], 0 offset:84
.LBB50_293:
	s_or_b64 exec, exec, s[4:5]
	s_waitcnt lgkmcnt(0)
	; wave barrier
	buffer_load_dword v113, off, s[0:3], 0 offset:88
	buffer_load_dword v114, off, s[0:3], 0 offset:92
	;; [unrolled: 1-line block ×22, first 2 shown]
	ds_read2_b64 v[105:108], v104 offset0:63 offset1:64
	ds_read2_b64 v[109:112], v104 offset0:65 offset1:66
	v_cmp_lt_u32_e32 vcc, 9, v0
	s_waitcnt vmcnt(20) lgkmcnt(1)
	v_fma_f64 v[105:106], v[113:114], v[105:106], 0
	s_waitcnt vmcnt(18)
	v_fma_f64 v[105:106], v[115:116], v[107:108], v[105:106]
	buffer_load_dword v114, off, s[0:3], 0 offset:180
	buffer_load_dword v115, off, s[0:3], 0 offset:200
	;; [unrolled: 1-line block ×7, first 2 shown]
	s_waitcnt vmcnt(23) lgkmcnt(0)
	v_fma_f64 v[105:106], v[117:118], v[109:110], v[105:106]
	s_waitcnt vmcnt(21)
	v_fma_f64 v[116:117], v[119:120], v[111:112], v[105:106]
	ds_read2_b64 v[105:108], v104 offset0:67 offset1:68
	ds_read2_b64 v[109:112], v104 offset0:69 offset1:70
	s_waitcnt vmcnt(19) lgkmcnt(1)
	v_fma_f64 v[105:106], v[121:122], v[105:106], v[116:117]
	buffer_load_dword v116, off, s[0:3], 0 offset:204
	s_waitcnt vmcnt(18)
	v_fma_f64 v[105:106], v[123:124], v[107:108], v[105:106]
	buffer_load_dword v118, off, s[0:3], 0 offset:212
	buffer_load_dword v119, off, s[0:3], 0 offset:232
	;; [unrolled: 1-line block ×8, first 2 shown]
	s_waitcnt vmcnt(24) lgkmcnt(0)
	v_fma_f64 v[105:106], v[125:126], v[109:110], v[105:106]
	s_waitcnt vmcnt(19)
	v_fma_f64 v[125:126], v[127:128], v[111:112], v[105:106]
	ds_read2_b64 v[105:108], v104 offset0:71 offset1:72
	ds_read2_b64 v[109:112], v104 offset0:73 offset1:74
	s_waitcnt vmcnt(18) lgkmcnt(1)
	v_fma_f64 v[105:106], v[133:134], v[105:106], v[125:126]
	s_waitcnt vmcnt(17)
	v_fma_f64 v[105:106], v[131:132], v[107:108], v[105:106]
	buffer_load_dword v126, off, s[0:3], 0 offset:244
	buffer_load_dword v127, off, s[0:3], 0 offset:264
	buffer_load_dword v131, off, s[0:3], 0 offset:256
	buffer_load_dword v133, off, s[0:3], 0 offset:248
	buffer_load_dword v125, off, s[0:3], 0 offset:240
	buffer_load_dword v134, off, s[0:3], 0 offset:252
	buffer_load_dword v132, off, s[0:3], 0 offset:260
	buffer_load_dword v128, off, s[0:3], 0 offset:268
	s_waitcnt vmcnt(24) lgkmcnt(0)
	v_fma_f64 v[105:106], v[129:130], v[109:110], v[105:106]
	s_waitcnt vmcnt(19)
	v_fma_f64 v[113:114], v[113:114], v[111:112], v[105:106]
	ds_read2_b64 v[105:108], v104 offset0:75 offset1:76
	ds_read2_b64 v[109:112], v104 offset0:77 offset1:78
	s_waitcnt vmcnt(18) lgkmcnt(1)
	v_fma_f64 v[105:106], v[137:138], v[105:106], v[113:114]
	s_waitcnt vmcnt(17)
	v_fma_f64 v[105:106], v[135:136], v[107:108], v[105:106]
	buffer_load_dword v114, off, s[0:3], 0 offset:276
	buffer_load_dword v129, off, s[0:3], 0 offset:296
	;; [unrolled: 1-line block ×7, first 2 shown]
	s_waitcnt vmcnt(23) lgkmcnt(0)
	v_fma_f64 v[105:106], v[115:116], v[109:110], v[105:106]
	s_waitcnt vmcnt(18)
	v_fma_f64 v[115:116], v[117:118], v[111:112], v[105:106]
	ds_read2_b64 v[105:108], v104 offset0:79 offset1:80
	ds_read2_b64 v[109:112], v104 offset0:81 offset1:82
	buffer_load_dword v130, off, s[0:3], 0 offset:300
	s_waitcnt vmcnt(18) lgkmcnt(1)
	v_fma_f64 v[105:106], v[123:124], v[105:106], v[115:116]
	s_waitcnt vmcnt(17)
	v_fma_f64 v[105:106], v[121:122], v[107:108], v[105:106]
	buffer_load_dword v116, off, s[0:3], 0 offset:308
	buffer_load_dword v117, off, s[0:3], 0 offset:328
	;; [unrolled: 1-line block ×7, first 2 shown]
	s_waitcnt vmcnt(23) lgkmcnt(0)
	v_fma_f64 v[105:106], v[119:120], v[109:110], v[105:106]
	s_waitcnt vmcnt(18)
	v_fma_f64 v[118:119], v[125:126], v[111:112], v[105:106]
	ds_read2_b64 v[105:108], v104 offset0:83 offset1:84
	ds_read2_b64 v[109:112], v104 offset0:85 offset1:86
	s_waitcnt vmcnt(17) lgkmcnt(1)
	v_fma_f64 v[105:106], v[133:134], v[105:106], v[118:119]
	buffer_load_dword v118, off, s[0:3], 0 offset:332
	s_waitcnt vmcnt(17)
	v_fma_f64 v[105:106], v[131:132], v[107:108], v[105:106]
	buffer_load_dword v120, off, s[0:3], 0 offset:340
	buffer_load_dword v125, off, s[0:3], 0 offset:360
	;; [unrolled: 1-line block ×8, first 2 shown]
	s_waitcnt vmcnt(24) lgkmcnt(0)
	v_fma_f64 v[105:106], v[127:128], v[109:110], v[105:106]
	s_waitcnt vmcnt(19)
	v_fma_f64 v[113:114], v[113:114], v[111:112], v[105:106]
	ds_read2_b64 v[105:108], v104 offset0:87 offset1:88
	ds_read2_b64 v[109:112], v104 offset0:89 offset1:90
	s_waitcnt vmcnt(18) lgkmcnt(1)
	v_fma_f64 v[105:106], v[137:138], v[105:106], v[113:114]
	s_waitcnt vmcnt(17)
	v_fma_f64 v[105:106], v[135:136], v[107:108], v[105:106]
	buffer_load_dword v114, off, s[0:3], 0 offset:372
	buffer_load_dword v127, off, s[0:3], 0 offset:392
	;; [unrolled: 1-line block ×8, first 2 shown]
	s_waitcnt vmcnt(24) lgkmcnt(0)
	v_fma_f64 v[105:106], v[129:130], v[109:110], v[105:106]
	s_waitcnt vmcnt(19)
	v_fma_f64 v[115:116], v[115:116], v[111:112], v[105:106]
	ds_read2_b64 v[105:108], v104 offset0:91 offset1:92
	ds_read2_b64 v[109:112], v104 offset0:93 offset1:94
	s_waitcnt vmcnt(18) lgkmcnt(1)
	v_fma_f64 v[105:106], v[123:124], v[105:106], v[115:116]
	buffer_load_dword v116, off, s[0:3], 0 offset:404
	buffer_load_dword v115, off, s[0:3], 0 offset:400
	s_waitcnt vmcnt(19)
	v_fma_f64 v[105:106], v[121:122], v[107:108], v[105:106]
	buffer_load_dword v121, off, s[0:3], 0 offset:80
	buffer_load_dword v122, off, s[0:3], 0 offset:84
	s_waitcnt vmcnt(20) lgkmcnt(0)
	v_fma_f64 v[105:106], v[117:118], v[109:110], v[105:106]
	s_waitcnt vmcnt(15)
	v_fma_f64 v[117:118], v[119:120], v[111:112], v[105:106]
	ds_read2_b64 v[105:108], v104 offset0:95 offset1:96
	ds_read2_b64 v[109:112], v104 offset0:97 offset1:98
	s_waitcnt vmcnt(14) lgkmcnt(1)
	v_fma_f64 v[105:106], v[133:134], v[105:106], v[117:118]
	s_waitcnt vmcnt(13)
	v_fma_f64 v[105:106], v[131:132], v[107:108], v[105:106]
	s_waitcnt vmcnt(12) lgkmcnt(0)
	v_fma_f64 v[105:106], v[125:126], v[109:110], v[105:106]
	s_waitcnt vmcnt(7)
	v_fma_f64 v[113:114], v[113:114], v[111:112], v[105:106]
	ds_read2_b64 v[105:108], v104 offset0:99 offset1:100
	ds_read2_b64 v[109:112], v104 offset0:101 offset1:102
	s_waitcnt vmcnt(6) lgkmcnt(1)
	v_fma_f64 v[104:105], v[137:138], v[105:106], v[113:114]
	s_waitcnt vmcnt(5)
	v_fma_f64 v[104:105], v[135:136], v[107:108], v[104:105]
	s_waitcnt vmcnt(4) lgkmcnt(0)
	v_fma_f64 v[104:105], v[127:128], v[109:110], v[104:105]
	s_waitcnt vmcnt(2)
	v_fma_f64 v[104:105], v[115:116], v[111:112], v[104:105]
	s_waitcnt vmcnt(0)
	v_add_f64 v[104:105], v[121:122], -v[104:105]
	buffer_store_dword v105, off, s[0:3], 0 offset:84
	buffer_store_dword v104, off, s[0:3], 0 offset:80
	s_and_saveexec_b64 s[4:5], vcc
	s_cbranch_execz .LBB50_295
; %bb.294:
	buffer_load_dword v104, off, s[0:3], 0 offset:72
	buffer_load_dword v105, off, s[0:3], 0 offset:76
	v_mov_b32_e32 v106, 0
	buffer_store_dword v106, off, s[0:3], 0 offset:72
	buffer_store_dword v106, off, s[0:3], 0 offset:76
	s_waitcnt vmcnt(2)
	ds_write_b64 v103, v[104:105]
.LBB50_295:
	s_or_b64 exec, exec, s[4:5]
	s_waitcnt lgkmcnt(0)
	; wave barrier
	buffer_load_dword v113, off, s[0:3], 0 offset:80
	buffer_load_dword v114, off, s[0:3], 0 offset:84
	;; [unrolled: 1-line block ×22, first 2 shown]
	v_mov_b32_e32 v104, 0
	ds_read_b128 v[105:108], v104 offset:496
	ds_read_b128 v[109:112], v104 offset:512
	v_cmp_lt_u32_e32 vcc, 8, v0
	s_waitcnt vmcnt(20) lgkmcnt(1)
	v_fma_f64 v[105:106], v[113:114], v[105:106], 0
	s_waitcnt vmcnt(18)
	v_fma_f64 v[105:106], v[115:116], v[107:108], v[105:106]
	buffer_load_dword v114, off, s[0:3], 0 offset:172
	buffer_load_dword v115, off, s[0:3], 0 offset:192
	;; [unrolled: 1-line block ×7, first 2 shown]
	s_waitcnt vmcnt(23) lgkmcnt(0)
	v_fma_f64 v[105:106], v[117:118], v[109:110], v[105:106]
	s_waitcnt vmcnt(21)
	v_fma_f64 v[116:117], v[119:120], v[111:112], v[105:106]
	ds_read_b128 v[105:108], v104 offset:528
	ds_read_b128 v[109:112], v104 offset:544
	s_waitcnt vmcnt(19) lgkmcnt(1)
	v_fma_f64 v[105:106], v[121:122], v[105:106], v[116:117]
	buffer_load_dword v116, off, s[0:3], 0 offset:196
	s_waitcnt vmcnt(18)
	v_fma_f64 v[105:106], v[123:124], v[107:108], v[105:106]
	buffer_load_dword v118, off, s[0:3], 0 offset:204
	buffer_load_dword v119, off, s[0:3], 0 offset:224
	;; [unrolled: 1-line block ×7, first 2 shown]
	s_waitcnt vmcnt(23) lgkmcnt(0)
	v_fma_f64 v[105:106], v[125:126], v[109:110], v[105:106]
	s_waitcnt vmcnt(18)
	v_fma_f64 v[125:126], v[127:128], v[111:112], v[105:106]
	ds_read_b128 v[105:108], v104 offset:560
	ds_read_b128 v[109:112], v104 offset:576
	buffer_load_dword v120, off, s[0:3], 0 offset:228
	s_waitcnt vmcnt(18) lgkmcnt(1)
	v_fma_f64 v[105:106], v[133:134], v[105:106], v[125:126]
	s_waitcnt vmcnt(17)
	v_fma_f64 v[105:106], v[131:132], v[107:108], v[105:106]
	buffer_load_dword v126, off, s[0:3], 0 offset:236
	buffer_load_dword v127, off, s[0:3], 0 offset:256
	;; [unrolled: 1-line block ×8, first 2 shown]
	s_waitcnt vmcnt(24) lgkmcnt(0)
	v_fma_f64 v[105:106], v[129:130], v[109:110], v[105:106]
	s_waitcnt vmcnt(19)
	v_fma_f64 v[113:114], v[113:114], v[111:112], v[105:106]
	ds_read_b128 v[105:108], v104 offset:592
	ds_read_b128 v[109:112], v104 offset:608
	s_waitcnt vmcnt(18) lgkmcnt(1)
	v_fma_f64 v[105:106], v[137:138], v[105:106], v[113:114]
	s_waitcnt vmcnt(17)
	v_fma_f64 v[105:106], v[135:136], v[107:108], v[105:106]
	buffer_load_dword v114, off, s[0:3], 0 offset:268
	buffer_load_dword v129, off, s[0:3], 0 offset:288
	;; [unrolled: 1-line block ×7, first 2 shown]
	s_waitcnt vmcnt(23) lgkmcnt(0)
	v_fma_f64 v[105:106], v[115:116], v[109:110], v[105:106]
	s_waitcnt vmcnt(18)
	v_fma_f64 v[115:116], v[117:118], v[111:112], v[105:106]
	ds_read_b128 v[105:108], v104 offset:624
	ds_read_b128 v[109:112], v104 offset:640
	buffer_load_dword v130, off, s[0:3], 0 offset:292
	s_waitcnt vmcnt(18) lgkmcnt(1)
	v_fma_f64 v[105:106], v[123:124], v[105:106], v[115:116]
	s_waitcnt vmcnt(17)
	v_fma_f64 v[105:106], v[121:122], v[107:108], v[105:106]
	buffer_load_dword v116, off, s[0:3], 0 offset:300
	buffer_load_dword v117, off, s[0:3], 0 offset:320
	;; [unrolled: 1-line block ×7, first 2 shown]
	s_waitcnt vmcnt(23) lgkmcnt(0)
	v_fma_f64 v[105:106], v[119:120], v[109:110], v[105:106]
	s_waitcnt vmcnt(18)
	v_fma_f64 v[118:119], v[125:126], v[111:112], v[105:106]
	ds_read_b128 v[105:108], v104 offset:656
	ds_read_b128 v[109:112], v104 offset:672
	s_waitcnt vmcnt(17) lgkmcnt(1)
	v_fma_f64 v[105:106], v[133:134], v[105:106], v[118:119]
	buffer_load_dword v118, off, s[0:3], 0 offset:324
	s_waitcnt vmcnt(17)
	v_fma_f64 v[105:106], v[131:132], v[107:108], v[105:106]
	buffer_load_dword v120, off, s[0:3], 0 offset:332
	buffer_load_dword v125, off, s[0:3], 0 offset:352
	;; [unrolled: 1-line block ×8, first 2 shown]
	s_waitcnt vmcnt(24) lgkmcnt(0)
	v_fma_f64 v[105:106], v[127:128], v[109:110], v[105:106]
	s_waitcnt vmcnt(19)
	v_fma_f64 v[113:114], v[113:114], v[111:112], v[105:106]
	ds_read_b128 v[105:108], v104 offset:688
	ds_read_b128 v[109:112], v104 offset:704
	s_waitcnt vmcnt(18) lgkmcnt(1)
	v_fma_f64 v[105:106], v[137:138], v[105:106], v[113:114]
	s_waitcnt vmcnt(17)
	v_fma_f64 v[105:106], v[135:136], v[107:108], v[105:106]
	buffer_load_dword v114, off, s[0:3], 0 offset:364
	buffer_load_dword v127, off, s[0:3], 0 offset:384
	;; [unrolled: 1-line block ×7, first 2 shown]
	s_waitcnt vmcnt(23) lgkmcnt(0)
	v_fma_f64 v[105:106], v[129:130], v[109:110], v[105:106]
	s_waitcnt vmcnt(18)
	v_fma_f64 v[115:116], v[115:116], v[111:112], v[105:106]
	ds_read_b128 v[105:108], v104 offset:720
	ds_read_b128 v[109:112], v104 offset:736
	buffer_load_dword v128, off, s[0:3], 0 offset:388
	s_waitcnt vmcnt(18) lgkmcnt(1)
	v_fma_f64 v[105:106], v[123:124], v[105:106], v[115:116]
	s_waitcnt vmcnt(17)
	v_fma_f64 v[105:106], v[121:122], v[107:108], v[105:106]
	buffer_load_dword v116, off, s[0:3], 0 offset:396
	buffer_load_dword v121, off, s[0:3], 0 offset:400
	;; [unrolled: 1-line block ×4, first 2 shown]
	s_waitcnt vmcnt(20) lgkmcnt(0)
	v_fma_f64 v[105:106], v[117:118], v[109:110], v[105:106]
	buffer_load_dword v117, off, s[0:3], 0 offset:72
	buffer_load_dword v118, off, s[0:3], 0 offset:76
	s_waitcnt vmcnt(17)
	v_fma_f64 v[119:120], v[119:120], v[111:112], v[105:106]
	ds_read_b128 v[105:108], v104 offset:752
	ds_read_b128 v[109:112], v104 offset:768
	s_waitcnt vmcnt(16) lgkmcnt(1)
	v_fma_f64 v[105:106], v[133:134], v[105:106], v[119:120]
	s_waitcnt vmcnt(15)
	v_fma_f64 v[105:106], v[131:132], v[107:108], v[105:106]
	s_waitcnt vmcnt(14) lgkmcnt(0)
	v_fma_f64 v[105:106], v[125:126], v[109:110], v[105:106]
	s_waitcnt vmcnt(9)
	v_fma_f64 v[113:114], v[113:114], v[111:112], v[105:106]
	ds_read_b128 v[105:108], v104 offset:784
	ds_read_b128 v[109:112], v104 offset:800
	s_waitcnt vmcnt(8) lgkmcnt(1)
	v_fma_f64 v[105:106], v[137:138], v[105:106], v[113:114]
	s_waitcnt vmcnt(7)
	v_fma_f64 v[105:106], v[135:136], v[107:108], v[105:106]
	ds_read_b64 v[107:108], v104 offset:816
	s_waitcnt vmcnt(6) lgkmcnt(1)
	v_fma_f64 v[105:106], v[127:128], v[109:110], v[105:106]
	s_waitcnt vmcnt(3)
	v_fma_f64 v[105:106], v[115:116], v[111:112], v[105:106]
	s_waitcnt vmcnt(2) lgkmcnt(0)
	v_fma_f64 v[105:106], v[121:122], v[107:108], v[105:106]
	s_waitcnt vmcnt(0)
	v_add_f64 v[105:106], v[117:118], -v[105:106]
	buffer_store_dword v106, off, s[0:3], 0 offset:76
	buffer_store_dword v105, off, s[0:3], 0 offset:72
	s_and_saveexec_b64 s[4:5], vcc
	s_cbranch_execz .LBB50_297
; %bb.296:
	buffer_load_dword v105, off, s[0:3], 0 offset:64
	buffer_load_dword v106, off, s[0:3], 0 offset:68
	s_waitcnt vmcnt(0)
	ds_write_b64 v103, v[105:106]
	buffer_store_dword v104, off, s[0:3], 0 offset:64
	buffer_store_dword v104, off, s[0:3], 0 offset:68
.LBB50_297:
	s_or_b64 exec, exec, s[4:5]
	s_waitcnt lgkmcnt(0)
	; wave barrier
	buffer_load_dword v113, off, s[0:3], 0 offset:72
	buffer_load_dword v114, off, s[0:3], 0 offset:76
	;; [unrolled: 1-line block ×22, first 2 shown]
	ds_read2_b64 v[105:108], v104 offset0:61 offset1:62
	ds_read2_b64 v[109:112], v104 offset0:63 offset1:64
	v_cmp_lt_u32_e32 vcc, 7, v0
	s_waitcnt vmcnt(20) lgkmcnt(1)
	v_fma_f64 v[105:106], v[113:114], v[105:106], 0
	s_waitcnt vmcnt(18)
	v_fma_f64 v[105:106], v[115:116], v[107:108], v[105:106]
	buffer_load_dword v114, off, s[0:3], 0 offset:164
	buffer_load_dword v115, off, s[0:3], 0 offset:184
	;; [unrolled: 1-line block ×7, first 2 shown]
	s_waitcnt vmcnt(23) lgkmcnt(0)
	v_fma_f64 v[105:106], v[117:118], v[109:110], v[105:106]
	s_waitcnt vmcnt(21)
	v_fma_f64 v[116:117], v[119:120], v[111:112], v[105:106]
	ds_read2_b64 v[105:108], v104 offset0:65 offset1:66
	ds_read2_b64 v[109:112], v104 offset0:67 offset1:68
	s_waitcnt vmcnt(19) lgkmcnt(1)
	v_fma_f64 v[105:106], v[121:122], v[105:106], v[116:117]
	buffer_load_dword v116, off, s[0:3], 0 offset:188
	s_waitcnt vmcnt(18)
	v_fma_f64 v[105:106], v[123:124], v[107:108], v[105:106]
	buffer_load_dword v118, off, s[0:3], 0 offset:196
	buffer_load_dword v119, off, s[0:3], 0 offset:216
	buffer_load_dword v121, off, s[0:3], 0 offset:208
	buffer_load_dword v123, off, s[0:3], 0 offset:200
	buffer_load_dword v117, off, s[0:3], 0 offset:192
	buffer_load_dword v124, off, s[0:3], 0 offset:204
	buffer_load_dword v122, off, s[0:3], 0 offset:212
	s_waitcnt vmcnt(23) lgkmcnt(0)
	v_fma_f64 v[105:106], v[125:126], v[109:110], v[105:106]
	s_waitcnt vmcnt(18)
	v_fma_f64 v[125:126], v[127:128], v[111:112], v[105:106]
	ds_read2_b64 v[105:108], v104 offset0:69 offset1:70
	ds_read2_b64 v[109:112], v104 offset0:71 offset1:72
	buffer_load_dword v120, off, s[0:3], 0 offset:220
	s_waitcnt vmcnt(18) lgkmcnt(1)
	v_fma_f64 v[105:106], v[133:134], v[105:106], v[125:126]
	s_waitcnt vmcnt(17)
	v_fma_f64 v[105:106], v[131:132], v[107:108], v[105:106]
	buffer_load_dword v126, off, s[0:3], 0 offset:228
	buffer_load_dword v127, off, s[0:3], 0 offset:248
	;; [unrolled: 1-line block ×8, first 2 shown]
	s_waitcnt vmcnt(24) lgkmcnt(0)
	v_fma_f64 v[105:106], v[129:130], v[109:110], v[105:106]
	s_waitcnt vmcnt(19)
	v_fma_f64 v[113:114], v[113:114], v[111:112], v[105:106]
	ds_read2_b64 v[105:108], v104 offset0:73 offset1:74
	ds_read2_b64 v[109:112], v104 offset0:75 offset1:76
	s_waitcnt vmcnt(18) lgkmcnt(1)
	v_fma_f64 v[105:106], v[137:138], v[105:106], v[113:114]
	s_waitcnt vmcnt(17)
	v_fma_f64 v[105:106], v[135:136], v[107:108], v[105:106]
	buffer_load_dword v114, off, s[0:3], 0 offset:260
	buffer_load_dword v129, off, s[0:3], 0 offset:280
	;; [unrolled: 1-line block ×8, first 2 shown]
	s_waitcnt vmcnt(24) lgkmcnt(0)
	v_fma_f64 v[105:106], v[115:116], v[109:110], v[105:106]
	s_waitcnt vmcnt(19)
	v_fma_f64 v[115:116], v[117:118], v[111:112], v[105:106]
	ds_read2_b64 v[105:108], v104 offset0:77 offset1:78
	ds_read2_b64 v[109:112], v104 offset0:79 offset1:80
	s_waitcnt vmcnt(18) lgkmcnt(1)
	v_fma_f64 v[105:106], v[123:124], v[105:106], v[115:116]
	s_waitcnt vmcnt(17)
	v_fma_f64 v[105:106], v[121:122], v[107:108], v[105:106]
	buffer_load_dword v116, off, s[0:3], 0 offset:292
	buffer_load_dword v117, off, s[0:3], 0 offset:312
	;; [unrolled: 1-line block ×7, first 2 shown]
	s_waitcnt vmcnt(23) lgkmcnt(0)
	v_fma_f64 v[105:106], v[119:120], v[109:110], v[105:106]
	s_waitcnt vmcnt(18)
	v_fma_f64 v[118:119], v[125:126], v[111:112], v[105:106]
	ds_read2_b64 v[105:108], v104 offset0:81 offset1:82
	ds_read2_b64 v[109:112], v104 offset0:83 offset1:84
	s_waitcnt vmcnt(17) lgkmcnt(1)
	v_fma_f64 v[105:106], v[133:134], v[105:106], v[118:119]
	buffer_load_dword v118, off, s[0:3], 0 offset:316
	s_waitcnt vmcnt(17)
	v_fma_f64 v[105:106], v[131:132], v[107:108], v[105:106]
	buffer_load_dword v120, off, s[0:3], 0 offset:324
	buffer_load_dword v125, off, s[0:3], 0 offset:344
	;; [unrolled: 1-line block ×8, first 2 shown]
	s_waitcnt vmcnt(24) lgkmcnt(0)
	v_fma_f64 v[105:106], v[127:128], v[109:110], v[105:106]
	s_waitcnt vmcnt(19)
	v_fma_f64 v[113:114], v[113:114], v[111:112], v[105:106]
	ds_read2_b64 v[105:108], v104 offset0:85 offset1:86
	ds_read2_b64 v[109:112], v104 offset0:87 offset1:88
	s_waitcnt vmcnt(18) lgkmcnt(1)
	v_fma_f64 v[105:106], v[137:138], v[105:106], v[113:114]
	s_waitcnt vmcnt(17)
	v_fma_f64 v[105:106], v[135:136], v[107:108], v[105:106]
	buffer_load_dword v114, off, s[0:3], 0 offset:356
	buffer_load_dword v127, off, s[0:3], 0 offset:376
	;; [unrolled: 1-line block ×8, first 2 shown]
	s_waitcnt vmcnt(24) lgkmcnt(0)
	v_fma_f64 v[105:106], v[129:130], v[109:110], v[105:106]
	s_waitcnt vmcnt(19)
	v_fma_f64 v[115:116], v[115:116], v[111:112], v[105:106]
	ds_read2_b64 v[105:108], v104 offset0:89 offset1:90
	ds_read2_b64 v[109:112], v104 offset0:91 offset1:92
	s_waitcnt vmcnt(18) lgkmcnt(1)
	v_fma_f64 v[105:106], v[123:124], v[105:106], v[115:116]
	s_waitcnt vmcnt(17)
	v_fma_f64 v[105:106], v[121:122], v[107:108], v[105:106]
	buffer_load_dword v116, off, s[0:3], 0 offset:388
	buffer_load_dword v121, off, s[0:3], 0 offset:400
	;; [unrolled: 1-line block ×6, first 2 shown]
	s_waitcnt vmcnt(22) lgkmcnt(0)
	v_fma_f64 v[105:106], v[117:118], v[109:110], v[105:106]
	s_waitcnt vmcnt(17)
	v_fma_f64 v[117:118], v[119:120], v[111:112], v[105:106]
	ds_read2_b64 v[105:108], v104 offset0:93 offset1:94
	buffer_load_dword v119, off, s[0:3], 0 offset:64
	buffer_load_dword v120, off, s[0:3], 0 offset:68
	ds_read2_b64 v[109:112], v104 offset0:95 offset1:96
	s_waitcnt vmcnt(18) lgkmcnt(1)
	v_fma_f64 v[105:106], v[133:134], v[105:106], v[117:118]
	s_waitcnt vmcnt(17)
	v_fma_f64 v[105:106], v[131:132], v[107:108], v[105:106]
	s_waitcnt vmcnt(16) lgkmcnt(0)
	v_fma_f64 v[105:106], v[125:126], v[109:110], v[105:106]
	s_waitcnt vmcnt(11)
	v_fma_f64 v[113:114], v[113:114], v[111:112], v[105:106]
	ds_read2_b64 v[105:108], v104 offset0:97 offset1:98
	ds_read2_b64 v[109:112], v104 offset0:99 offset1:100
	s_waitcnt vmcnt(10) lgkmcnt(1)
	v_fma_f64 v[105:106], v[137:138], v[105:106], v[113:114]
	s_waitcnt vmcnt(9)
	v_fma_f64 v[105:106], v[135:136], v[107:108], v[105:106]
	s_waitcnt vmcnt(8) lgkmcnt(0)
	v_fma_f64 v[105:106], v[127:128], v[109:110], v[105:106]
	s_waitcnt vmcnt(4)
	v_fma_f64 v[108:109], v[115:116], v[111:112], v[105:106]
	ds_read2_b64 v[104:107], v104 offset0:101 offset1:102
	s_waitcnt vmcnt(3) lgkmcnt(0)
	v_fma_f64 v[104:105], v[123:124], v[104:105], v[108:109]
	s_waitcnt vmcnt(2)
	v_fma_f64 v[104:105], v[121:122], v[106:107], v[104:105]
	s_waitcnt vmcnt(0)
	v_add_f64 v[104:105], v[119:120], -v[104:105]
	buffer_store_dword v105, off, s[0:3], 0 offset:68
	buffer_store_dword v104, off, s[0:3], 0 offset:64
	s_and_saveexec_b64 s[4:5], vcc
	s_cbranch_execz .LBB50_299
; %bb.298:
	buffer_load_dword v104, off, s[0:3], 0 offset:56
	buffer_load_dword v105, off, s[0:3], 0 offset:60
	v_mov_b32_e32 v106, 0
	buffer_store_dword v106, off, s[0:3], 0 offset:56
	buffer_store_dword v106, off, s[0:3], 0 offset:60
	s_waitcnt vmcnt(2)
	ds_write_b64 v103, v[104:105]
.LBB50_299:
	s_or_b64 exec, exec, s[4:5]
	s_waitcnt lgkmcnt(0)
	; wave barrier
	buffer_load_dword v113, off, s[0:3], 0 offset:64
	buffer_load_dword v114, off, s[0:3], 0 offset:68
	;; [unrolled: 1-line block ×22, first 2 shown]
	v_mov_b32_e32 v104, 0
	ds_read_b128 v[105:108], v104 offset:480
	ds_read_b128 v[109:112], v104 offset:496
	v_cmp_lt_u32_e32 vcc, 6, v0
	s_waitcnt vmcnt(20) lgkmcnt(1)
	v_fma_f64 v[105:106], v[113:114], v[105:106], 0
	s_waitcnt vmcnt(18)
	v_fma_f64 v[105:106], v[115:116], v[107:108], v[105:106]
	buffer_load_dword v114, off, s[0:3], 0 offset:156
	buffer_load_dword v115, off, s[0:3], 0 offset:176
	;; [unrolled: 1-line block ×7, first 2 shown]
	s_waitcnt vmcnt(23) lgkmcnt(0)
	v_fma_f64 v[105:106], v[117:118], v[109:110], v[105:106]
	s_waitcnt vmcnt(21)
	v_fma_f64 v[116:117], v[119:120], v[111:112], v[105:106]
	ds_read_b128 v[105:108], v104 offset:512
	ds_read_b128 v[109:112], v104 offset:528
	s_waitcnt vmcnt(19) lgkmcnt(1)
	v_fma_f64 v[105:106], v[121:122], v[105:106], v[116:117]
	buffer_load_dword v116, off, s[0:3], 0 offset:180
	s_waitcnt vmcnt(18)
	v_fma_f64 v[105:106], v[123:124], v[107:108], v[105:106]
	buffer_load_dword v118, off, s[0:3], 0 offset:188
	buffer_load_dword v119, off, s[0:3], 0 offset:208
	;; [unrolled: 1-line block ×7, first 2 shown]
	s_waitcnt vmcnt(23) lgkmcnt(0)
	v_fma_f64 v[105:106], v[125:126], v[109:110], v[105:106]
	s_waitcnt vmcnt(18)
	v_fma_f64 v[125:126], v[127:128], v[111:112], v[105:106]
	ds_read_b128 v[105:108], v104 offset:544
	ds_read_b128 v[109:112], v104 offset:560
	buffer_load_dword v120, off, s[0:3], 0 offset:212
	s_waitcnt vmcnt(18) lgkmcnt(1)
	v_fma_f64 v[105:106], v[133:134], v[105:106], v[125:126]
	s_waitcnt vmcnt(17)
	v_fma_f64 v[105:106], v[131:132], v[107:108], v[105:106]
	buffer_load_dword v126, off, s[0:3], 0 offset:220
	buffer_load_dword v127, off, s[0:3], 0 offset:240
	;; [unrolled: 1-line block ×8, first 2 shown]
	s_waitcnt vmcnt(24) lgkmcnt(0)
	v_fma_f64 v[105:106], v[129:130], v[109:110], v[105:106]
	s_waitcnt vmcnt(19)
	v_fma_f64 v[113:114], v[113:114], v[111:112], v[105:106]
	ds_read_b128 v[105:108], v104 offset:576
	ds_read_b128 v[109:112], v104 offset:592
	s_waitcnt vmcnt(18) lgkmcnt(1)
	v_fma_f64 v[105:106], v[137:138], v[105:106], v[113:114]
	s_waitcnt vmcnt(17)
	v_fma_f64 v[105:106], v[135:136], v[107:108], v[105:106]
	buffer_load_dword v114, off, s[0:3], 0 offset:252
	buffer_load_dword v129, off, s[0:3], 0 offset:272
	buffer_load_dword v135, off, s[0:3], 0 offset:264
	buffer_load_dword v137, off, s[0:3], 0 offset:256
	buffer_load_dword v113, off, s[0:3], 0 offset:248
	buffer_load_dword v138, off, s[0:3], 0 offset:260
	buffer_load_dword v136, off, s[0:3], 0 offset:268
	buffer_load_dword v130, off, s[0:3], 0 offset:276
	s_waitcnt vmcnt(24) lgkmcnt(0)
	v_fma_f64 v[105:106], v[115:116], v[109:110], v[105:106]
	s_waitcnt vmcnt(19)
	v_fma_f64 v[115:116], v[117:118], v[111:112], v[105:106]
	ds_read_b128 v[105:108], v104 offset:608
	ds_read_b128 v[109:112], v104 offset:624
	s_waitcnt vmcnt(18) lgkmcnt(1)
	v_fma_f64 v[105:106], v[123:124], v[105:106], v[115:116]
	s_waitcnt vmcnt(17)
	v_fma_f64 v[105:106], v[121:122], v[107:108], v[105:106]
	buffer_load_dword v116, off, s[0:3], 0 offset:284
	buffer_load_dword v117, off, s[0:3], 0 offset:304
	;; [unrolled: 1-line block ×7, first 2 shown]
	s_waitcnt vmcnt(23) lgkmcnt(0)
	v_fma_f64 v[105:106], v[119:120], v[109:110], v[105:106]
	s_waitcnt vmcnt(18)
	v_fma_f64 v[118:119], v[125:126], v[111:112], v[105:106]
	ds_read_b128 v[105:108], v104 offset:640
	ds_read_b128 v[109:112], v104 offset:656
	s_waitcnt vmcnt(17) lgkmcnt(1)
	v_fma_f64 v[105:106], v[133:134], v[105:106], v[118:119]
	buffer_load_dword v118, off, s[0:3], 0 offset:308
	s_waitcnt vmcnt(17)
	v_fma_f64 v[105:106], v[131:132], v[107:108], v[105:106]
	buffer_load_dword v120, off, s[0:3], 0 offset:316
	buffer_load_dword v125, off, s[0:3], 0 offset:336
	buffer_load_dword v131, off, s[0:3], 0 offset:328
	buffer_load_dword v133, off, s[0:3], 0 offset:320
	buffer_load_dword v119, off, s[0:3], 0 offset:312
	buffer_load_dword v134, off, s[0:3], 0 offset:324
	buffer_load_dword v132, off, s[0:3], 0 offset:332
	buffer_load_dword v126, off, s[0:3], 0 offset:340
	s_waitcnt vmcnt(24) lgkmcnt(0)
	v_fma_f64 v[105:106], v[127:128], v[109:110], v[105:106]
	s_waitcnt vmcnt(19)
	v_fma_f64 v[113:114], v[113:114], v[111:112], v[105:106]
	ds_read_b128 v[105:108], v104 offset:672
	ds_read_b128 v[109:112], v104 offset:688
	s_waitcnt vmcnt(18) lgkmcnt(1)
	v_fma_f64 v[105:106], v[137:138], v[105:106], v[113:114]
	s_waitcnt vmcnt(17)
	v_fma_f64 v[105:106], v[135:136], v[107:108], v[105:106]
	buffer_load_dword v114, off, s[0:3], 0 offset:348
	buffer_load_dword v127, off, s[0:3], 0 offset:368
	buffer_load_dword v135, off, s[0:3], 0 offset:360
	buffer_load_dword v137, off, s[0:3], 0 offset:352
	buffer_load_dword v113, off, s[0:3], 0 offset:344
	buffer_load_dword v138, off, s[0:3], 0 offset:356
	buffer_load_dword v136, off, s[0:3], 0 offset:364
	buffer_load_dword v128, off, s[0:3], 0 offset:372
	s_waitcnt vmcnt(24) lgkmcnt(0)
	v_fma_f64 v[105:106], v[129:130], v[109:110], v[105:106]
	s_waitcnt vmcnt(19)
	v_fma_f64 v[115:116], v[115:116], v[111:112], v[105:106]
	ds_read_b128 v[105:108], v104 offset:704
	ds_read_b128 v[109:112], v104 offset:720
	s_waitcnt vmcnt(18) lgkmcnt(1)
	v_fma_f64 v[105:106], v[123:124], v[105:106], v[115:116]
	;; [unrolled: 18-line block ×3, first 2 shown]
	buffer_load_dword v117, off, s[0:3], 0 offset:56
	buffer_load_dword v118, off, s[0:3], 0 offset:60
	s_waitcnt vmcnt(19)
	v_fma_f64 v[105:106], v[131:132], v[107:108], v[105:106]
	s_waitcnt vmcnt(18) lgkmcnt(0)
	v_fma_f64 v[105:106], v[125:126], v[109:110], v[105:106]
	s_waitcnt vmcnt(13)
	v_fma_f64 v[113:114], v[113:114], v[111:112], v[105:106]
	ds_read_b128 v[105:108], v104 offset:768
	ds_read_b128 v[109:112], v104 offset:784
	s_waitcnt vmcnt(12) lgkmcnt(1)
	v_fma_f64 v[105:106], v[137:138], v[105:106], v[113:114]
	s_waitcnt vmcnt(11)
	v_fma_f64 v[105:106], v[135:136], v[107:108], v[105:106]
	s_waitcnt vmcnt(10) lgkmcnt(0)
	v_fma_f64 v[105:106], v[127:128], v[109:110], v[105:106]
	s_waitcnt vmcnt(5)
	v_fma_f64 v[109:110], v[115:116], v[111:112], v[105:106]
	ds_read_b128 v[105:108], v104 offset:800
	ds_read_b64 v[111:112], v104 offset:816
	s_waitcnt vmcnt(4) lgkmcnt(1)
	v_fma_f64 v[105:106], v[129:130], v[105:106], v[109:110]
	s_waitcnt vmcnt(3)
	v_fma_f64 v[105:106], v[123:124], v[107:108], v[105:106]
	s_waitcnt vmcnt(2) lgkmcnt(0)
	v_fma_f64 v[105:106], v[121:122], v[111:112], v[105:106]
	s_waitcnt vmcnt(0)
	v_add_f64 v[105:106], v[117:118], -v[105:106]
	buffer_store_dword v106, off, s[0:3], 0 offset:60
	buffer_store_dword v105, off, s[0:3], 0 offset:56
	s_and_saveexec_b64 s[4:5], vcc
	s_cbranch_execz .LBB50_301
; %bb.300:
	buffer_load_dword v105, off, s[0:3], 0 offset:48
	buffer_load_dword v106, off, s[0:3], 0 offset:52
	s_waitcnt vmcnt(0)
	ds_write_b64 v103, v[105:106]
	buffer_store_dword v104, off, s[0:3], 0 offset:48
	buffer_store_dword v104, off, s[0:3], 0 offset:52
.LBB50_301:
	s_or_b64 exec, exec, s[4:5]
	s_waitcnt lgkmcnt(0)
	; wave barrier
	buffer_load_dword v113, off, s[0:3], 0 offset:56
	buffer_load_dword v114, off, s[0:3], 0 offset:60
	;; [unrolled: 1-line block ×22, first 2 shown]
	ds_read2_b64 v[105:108], v104 offset0:59 offset1:60
	ds_read2_b64 v[109:112], v104 offset0:61 offset1:62
	v_cmp_lt_u32_e32 vcc, 5, v0
	s_waitcnt vmcnt(20) lgkmcnt(1)
	v_fma_f64 v[105:106], v[113:114], v[105:106], 0
	s_waitcnt vmcnt(18)
	v_fma_f64 v[105:106], v[115:116], v[107:108], v[105:106]
	buffer_load_dword v114, off, s[0:3], 0 offset:148
	buffer_load_dword v115, off, s[0:3], 0 offset:168
	;; [unrolled: 1-line block ×7, first 2 shown]
	s_waitcnt vmcnt(23) lgkmcnt(0)
	v_fma_f64 v[105:106], v[117:118], v[109:110], v[105:106]
	s_waitcnt vmcnt(21)
	v_fma_f64 v[116:117], v[119:120], v[111:112], v[105:106]
	ds_read2_b64 v[105:108], v104 offset0:63 offset1:64
	ds_read2_b64 v[109:112], v104 offset0:65 offset1:66
	s_waitcnt vmcnt(19) lgkmcnt(1)
	v_fma_f64 v[105:106], v[121:122], v[105:106], v[116:117]
	buffer_load_dword v116, off, s[0:3], 0 offset:172
	s_waitcnt vmcnt(18)
	v_fma_f64 v[105:106], v[123:124], v[107:108], v[105:106]
	buffer_load_dword v118, off, s[0:3], 0 offset:180
	buffer_load_dword v119, off, s[0:3], 0 offset:200
	buffer_load_dword v121, off, s[0:3], 0 offset:192
	buffer_load_dword v123, off, s[0:3], 0 offset:184
	buffer_load_dword v117, off, s[0:3], 0 offset:176
	buffer_load_dword v124, off, s[0:3], 0 offset:188
	buffer_load_dword v122, off, s[0:3], 0 offset:196
	s_waitcnt vmcnt(23) lgkmcnt(0)
	v_fma_f64 v[105:106], v[125:126], v[109:110], v[105:106]
	s_waitcnt vmcnt(18)
	v_fma_f64 v[125:126], v[127:128], v[111:112], v[105:106]
	ds_read2_b64 v[105:108], v104 offset0:67 offset1:68
	ds_read2_b64 v[109:112], v104 offset0:69 offset1:70
	buffer_load_dword v120, off, s[0:3], 0 offset:204
	s_waitcnt vmcnt(18) lgkmcnt(1)
	v_fma_f64 v[105:106], v[133:134], v[105:106], v[125:126]
	s_waitcnt vmcnt(17)
	v_fma_f64 v[105:106], v[131:132], v[107:108], v[105:106]
	buffer_load_dword v126, off, s[0:3], 0 offset:212
	buffer_load_dword v127, off, s[0:3], 0 offset:232
	;; [unrolled: 1-line block ×8, first 2 shown]
	s_waitcnt vmcnt(24) lgkmcnt(0)
	v_fma_f64 v[105:106], v[129:130], v[109:110], v[105:106]
	s_waitcnt vmcnt(19)
	v_fma_f64 v[113:114], v[113:114], v[111:112], v[105:106]
	ds_read2_b64 v[105:108], v104 offset0:71 offset1:72
	ds_read2_b64 v[109:112], v104 offset0:73 offset1:74
	s_waitcnt vmcnt(18) lgkmcnt(1)
	v_fma_f64 v[105:106], v[137:138], v[105:106], v[113:114]
	s_waitcnt vmcnt(17)
	v_fma_f64 v[105:106], v[135:136], v[107:108], v[105:106]
	buffer_load_dword v114, off, s[0:3], 0 offset:244
	buffer_load_dword v129, off, s[0:3], 0 offset:264
	;; [unrolled: 1-line block ×8, first 2 shown]
	s_waitcnt vmcnt(24) lgkmcnt(0)
	v_fma_f64 v[105:106], v[115:116], v[109:110], v[105:106]
	s_waitcnt vmcnt(19)
	v_fma_f64 v[115:116], v[117:118], v[111:112], v[105:106]
	ds_read2_b64 v[105:108], v104 offset0:75 offset1:76
	ds_read2_b64 v[109:112], v104 offset0:77 offset1:78
	s_waitcnt vmcnt(18) lgkmcnt(1)
	v_fma_f64 v[105:106], v[123:124], v[105:106], v[115:116]
	s_waitcnt vmcnt(17)
	v_fma_f64 v[105:106], v[121:122], v[107:108], v[105:106]
	buffer_load_dword v116, off, s[0:3], 0 offset:276
	buffer_load_dword v117, off, s[0:3], 0 offset:296
	;; [unrolled: 1-line block ×7, first 2 shown]
	s_waitcnt vmcnt(23) lgkmcnt(0)
	v_fma_f64 v[105:106], v[119:120], v[109:110], v[105:106]
	s_waitcnt vmcnt(18)
	v_fma_f64 v[118:119], v[125:126], v[111:112], v[105:106]
	ds_read2_b64 v[105:108], v104 offset0:79 offset1:80
	ds_read2_b64 v[109:112], v104 offset0:81 offset1:82
	s_waitcnt vmcnt(17) lgkmcnt(1)
	v_fma_f64 v[105:106], v[133:134], v[105:106], v[118:119]
	buffer_load_dword v118, off, s[0:3], 0 offset:300
	s_waitcnt vmcnt(17)
	v_fma_f64 v[105:106], v[131:132], v[107:108], v[105:106]
	buffer_load_dword v120, off, s[0:3], 0 offset:308
	buffer_load_dword v125, off, s[0:3], 0 offset:328
	buffer_load_dword v131, off, s[0:3], 0 offset:320
	buffer_load_dword v133, off, s[0:3], 0 offset:312
	buffer_load_dword v119, off, s[0:3], 0 offset:304
	buffer_load_dword v134, off, s[0:3], 0 offset:316
	buffer_load_dword v132, off, s[0:3], 0 offset:324
	buffer_load_dword v126, off, s[0:3], 0 offset:332
	s_waitcnt vmcnt(24) lgkmcnt(0)
	v_fma_f64 v[105:106], v[127:128], v[109:110], v[105:106]
	s_waitcnt vmcnt(19)
	v_fma_f64 v[113:114], v[113:114], v[111:112], v[105:106]
	ds_read2_b64 v[105:108], v104 offset0:83 offset1:84
	ds_read2_b64 v[109:112], v104 offset0:85 offset1:86
	s_waitcnt vmcnt(18) lgkmcnt(1)
	v_fma_f64 v[105:106], v[137:138], v[105:106], v[113:114]
	s_waitcnt vmcnt(17)
	v_fma_f64 v[105:106], v[135:136], v[107:108], v[105:106]
	buffer_load_dword v114, off, s[0:3], 0 offset:340
	buffer_load_dword v127, off, s[0:3], 0 offset:360
	buffer_load_dword v135, off, s[0:3], 0 offset:352
	buffer_load_dword v137, off, s[0:3], 0 offset:344
	buffer_load_dword v113, off, s[0:3], 0 offset:336
	buffer_load_dword v138, off, s[0:3], 0 offset:348
	buffer_load_dword v136, off, s[0:3], 0 offset:356
	buffer_load_dword v128, off, s[0:3], 0 offset:364
	s_waitcnt vmcnt(24) lgkmcnt(0)
	v_fma_f64 v[105:106], v[129:130], v[109:110], v[105:106]
	s_waitcnt vmcnt(19)
	v_fma_f64 v[115:116], v[115:116], v[111:112], v[105:106]
	ds_read2_b64 v[105:108], v104 offset0:87 offset1:88
	ds_read2_b64 v[109:112], v104 offset0:89 offset1:90
	s_waitcnt vmcnt(18) lgkmcnt(1)
	v_fma_f64 v[105:106], v[123:124], v[105:106], v[115:116]
	;; [unrolled: 18-line block ×3, first 2 shown]
	buffer_load_dword v118, off, s[0:3], 0 offset:404
	buffer_load_dword v117, off, s[0:3], 0 offset:400
	;; [unrolled: 1-line block ×4, first 2 shown]
	s_waitcnt vmcnt(21)
	v_fma_f64 v[105:106], v[131:132], v[107:108], v[105:106]
	s_waitcnt vmcnt(20) lgkmcnt(0)
	v_fma_f64 v[105:106], v[125:126], v[109:110], v[105:106]
	s_waitcnt vmcnt(15)
	v_fma_f64 v[113:114], v[113:114], v[111:112], v[105:106]
	ds_read2_b64 v[105:108], v104 offset0:95 offset1:96
	ds_read2_b64 v[109:112], v104 offset0:97 offset1:98
	s_waitcnt vmcnt(14) lgkmcnt(1)
	v_fma_f64 v[105:106], v[137:138], v[105:106], v[113:114]
	s_waitcnt vmcnt(13)
	v_fma_f64 v[105:106], v[135:136], v[107:108], v[105:106]
	s_waitcnt vmcnt(12) lgkmcnt(0)
	v_fma_f64 v[105:106], v[127:128], v[109:110], v[105:106]
	s_waitcnt vmcnt(7)
	v_fma_f64 v[113:114], v[115:116], v[111:112], v[105:106]
	ds_read2_b64 v[105:108], v104 offset0:99 offset1:100
	ds_read2_b64 v[109:112], v104 offset0:101 offset1:102
	s_waitcnt vmcnt(6) lgkmcnt(1)
	v_fma_f64 v[104:105], v[129:130], v[105:106], v[113:114]
	s_waitcnt vmcnt(5)
	v_fma_f64 v[104:105], v[123:124], v[107:108], v[104:105]
	s_waitcnt vmcnt(4) lgkmcnt(0)
	v_fma_f64 v[104:105], v[121:122], v[109:110], v[104:105]
	s_waitcnt vmcnt(2)
	v_fma_f64 v[104:105], v[117:118], v[111:112], v[104:105]
	s_waitcnt vmcnt(0)
	v_add_f64 v[104:105], v[119:120], -v[104:105]
	buffer_store_dword v105, off, s[0:3], 0 offset:52
	buffer_store_dword v104, off, s[0:3], 0 offset:48
	s_and_saveexec_b64 s[4:5], vcc
	s_cbranch_execz .LBB50_303
; %bb.302:
	buffer_load_dword v104, off, s[0:3], 0 offset:40
	buffer_load_dword v105, off, s[0:3], 0 offset:44
	v_mov_b32_e32 v106, 0
	buffer_store_dword v106, off, s[0:3], 0 offset:40
	buffer_store_dword v106, off, s[0:3], 0 offset:44
	s_waitcnt vmcnt(2)
	ds_write_b64 v103, v[104:105]
.LBB50_303:
	s_or_b64 exec, exec, s[4:5]
	s_waitcnt lgkmcnt(0)
	; wave barrier
	buffer_load_dword v113, off, s[0:3], 0 offset:48
	buffer_load_dword v114, off, s[0:3], 0 offset:52
	;; [unrolled: 1-line block ×21, first 2 shown]
	v_mov_b32_e32 v104, 0
	ds_read_b128 v[105:108], v104 offset:464
	ds_read_b128 v[109:112], v104 offset:480
	buffer_load_dword v130, off, s[0:3], 0 offset:132
	v_cmp_lt_u32_e32 vcc, 4, v0
	s_waitcnt vmcnt(20) lgkmcnt(1)
	v_fma_f64 v[105:106], v[113:114], v[105:106], 0
	s_waitcnt vmcnt(18)
	v_fma_f64 v[105:106], v[115:116], v[107:108], v[105:106]
	buffer_load_dword v114, off, s[0:3], 0 offset:140
	buffer_load_dword v115, off, s[0:3], 0 offset:160
	;; [unrolled: 1-line block ×7, first 2 shown]
	s_waitcnt vmcnt(23) lgkmcnt(0)
	v_fma_f64 v[105:106], v[117:118], v[109:110], v[105:106]
	s_waitcnt vmcnt(21)
	v_fma_f64 v[116:117], v[119:120], v[111:112], v[105:106]
	ds_read_b128 v[105:108], v104 offset:496
	ds_read_b128 v[109:112], v104 offset:512
	s_waitcnt vmcnt(19) lgkmcnt(1)
	v_fma_f64 v[105:106], v[121:122], v[105:106], v[116:117]
	buffer_load_dword v116, off, s[0:3], 0 offset:164
	s_waitcnt vmcnt(18)
	v_fma_f64 v[105:106], v[123:124], v[107:108], v[105:106]
	buffer_load_dword v118, off, s[0:3], 0 offset:172
	buffer_load_dword v119, off, s[0:3], 0 offset:192
	;; [unrolled: 1-line block ×7, first 2 shown]
	s_waitcnt vmcnt(23) lgkmcnt(0)
	v_fma_f64 v[105:106], v[125:126], v[109:110], v[105:106]
	s_waitcnt vmcnt(18)
	v_fma_f64 v[125:126], v[127:128], v[111:112], v[105:106]
	ds_read_b128 v[105:108], v104 offset:528
	ds_read_b128 v[109:112], v104 offset:544
	buffer_load_dword v120, off, s[0:3], 0 offset:196
	s_waitcnt vmcnt(18) lgkmcnt(1)
	v_fma_f64 v[105:106], v[133:134], v[105:106], v[125:126]
	s_waitcnt vmcnt(17)
	v_fma_f64 v[105:106], v[131:132], v[107:108], v[105:106]
	buffer_load_dword v126, off, s[0:3], 0 offset:204
	buffer_load_dword v127, off, s[0:3], 0 offset:224
	;; [unrolled: 1-line block ×7, first 2 shown]
	s_waitcnt vmcnt(23) lgkmcnt(0)
	v_fma_f64 v[105:106], v[129:130], v[109:110], v[105:106]
	s_waitcnt vmcnt(18)
	v_fma_f64 v[113:114], v[113:114], v[111:112], v[105:106]
	ds_read_b128 v[105:108], v104 offset:560
	ds_read_b128 v[109:112], v104 offset:576
	buffer_load_dword v128, off, s[0:3], 0 offset:228
	s_waitcnt vmcnt(18) lgkmcnt(1)
	v_fma_f64 v[105:106], v[137:138], v[105:106], v[113:114]
	s_waitcnt vmcnt(17)
	v_fma_f64 v[105:106], v[135:136], v[107:108], v[105:106]
	buffer_load_dword v114, off, s[0:3], 0 offset:236
	buffer_load_dword v129, off, s[0:3], 0 offset:256
	;; [unrolled: 1-line block ×8, first 2 shown]
	s_waitcnt vmcnt(24) lgkmcnt(0)
	v_fma_f64 v[105:106], v[115:116], v[109:110], v[105:106]
	s_waitcnt vmcnt(19)
	v_fma_f64 v[115:116], v[117:118], v[111:112], v[105:106]
	ds_read_b128 v[105:108], v104 offset:592
	ds_read_b128 v[109:112], v104 offset:608
	s_waitcnt vmcnt(18) lgkmcnt(1)
	v_fma_f64 v[105:106], v[123:124], v[105:106], v[115:116]
	s_waitcnt vmcnt(17)
	v_fma_f64 v[105:106], v[121:122], v[107:108], v[105:106]
	buffer_load_dword v116, off, s[0:3], 0 offset:268
	buffer_load_dword v117, off, s[0:3], 0 offset:288
	;; [unrolled: 1-line block ×7, first 2 shown]
	s_waitcnt vmcnt(23) lgkmcnt(0)
	v_fma_f64 v[105:106], v[119:120], v[109:110], v[105:106]
	s_waitcnt vmcnt(18)
	v_fma_f64 v[118:119], v[125:126], v[111:112], v[105:106]
	ds_read_b128 v[105:108], v104 offset:624
	ds_read_b128 v[109:112], v104 offset:640
	s_waitcnt vmcnt(17) lgkmcnt(1)
	v_fma_f64 v[105:106], v[133:134], v[105:106], v[118:119]
	buffer_load_dword v118, off, s[0:3], 0 offset:292
	s_waitcnt vmcnt(17)
	v_fma_f64 v[105:106], v[131:132], v[107:108], v[105:106]
	buffer_load_dword v120, off, s[0:3], 0 offset:300
	buffer_load_dword v125, off, s[0:3], 0 offset:320
	;; [unrolled: 1-line block ×7, first 2 shown]
	s_waitcnt vmcnt(23) lgkmcnt(0)
	v_fma_f64 v[105:106], v[127:128], v[109:110], v[105:106]
	s_waitcnt vmcnt(18)
	v_fma_f64 v[113:114], v[113:114], v[111:112], v[105:106]
	ds_read_b128 v[105:108], v104 offset:656
	ds_read_b128 v[109:112], v104 offset:672
	buffer_load_dword v126, off, s[0:3], 0 offset:324
	s_waitcnt vmcnt(18) lgkmcnt(1)
	v_fma_f64 v[105:106], v[137:138], v[105:106], v[113:114]
	s_waitcnt vmcnt(17)
	v_fma_f64 v[105:106], v[135:136], v[107:108], v[105:106]
	buffer_load_dword v114, off, s[0:3], 0 offset:332
	buffer_load_dword v127, off, s[0:3], 0 offset:352
	;; [unrolled: 1-line block ×8, first 2 shown]
	s_waitcnt vmcnt(24) lgkmcnt(0)
	v_fma_f64 v[105:106], v[129:130], v[109:110], v[105:106]
	s_waitcnt vmcnt(19)
	v_fma_f64 v[115:116], v[115:116], v[111:112], v[105:106]
	ds_read_b128 v[105:108], v104 offset:688
	ds_read_b128 v[109:112], v104 offset:704
	s_waitcnt vmcnt(18) lgkmcnt(1)
	v_fma_f64 v[105:106], v[123:124], v[105:106], v[115:116]
	s_waitcnt vmcnt(17)
	v_fma_f64 v[105:106], v[121:122], v[107:108], v[105:106]
	buffer_load_dword v116, off, s[0:3], 0 offset:364
	buffer_load_dword v121, off, s[0:3], 0 offset:384
	;; [unrolled: 1-line block ×7, first 2 shown]
	s_waitcnt vmcnt(23) lgkmcnt(0)
	v_fma_f64 v[105:106], v[117:118], v[109:110], v[105:106]
	s_waitcnt vmcnt(18)
	v_fma_f64 v[117:118], v[119:120], v[111:112], v[105:106]
	ds_read_b128 v[105:108], v104 offset:720
	ds_read_b128 v[109:112], v104 offset:736
	buffer_load_dword v122, off, s[0:3], 0 offset:388
	s_waitcnt vmcnt(18) lgkmcnt(1)
	v_fma_f64 v[105:106], v[133:134], v[105:106], v[117:118]
	buffer_load_dword v118, off, s[0:3], 0 offset:396
	buffer_load_dword v119, off, s[0:3], 0 offset:400
	;; [unrolled: 1-line block ×4, first 2 shown]
	s_waitcnt vmcnt(21)
	v_fma_f64 v[105:106], v[131:132], v[107:108], v[105:106]
	s_waitcnt vmcnt(20) lgkmcnt(0)
	v_fma_f64 v[105:106], v[125:126], v[109:110], v[105:106]
	buffer_load_dword v125, off, s[0:3], 0 offset:40
	buffer_load_dword v126, off, s[0:3], 0 offset:44
	s_waitcnt vmcnt(17)
	v_fma_f64 v[113:114], v[113:114], v[111:112], v[105:106]
	ds_read_b128 v[105:108], v104 offset:752
	ds_read_b128 v[109:112], v104 offset:768
	s_waitcnt vmcnt(16) lgkmcnt(1)
	v_fma_f64 v[105:106], v[137:138], v[105:106], v[113:114]
	s_waitcnt vmcnt(15)
	v_fma_f64 v[105:106], v[135:136], v[107:108], v[105:106]
	s_waitcnt vmcnt(14) lgkmcnt(0)
	v_fma_f64 v[105:106], v[127:128], v[109:110], v[105:106]
	s_waitcnt vmcnt(9)
	v_fma_f64 v[113:114], v[115:116], v[111:112], v[105:106]
	ds_read_b128 v[105:108], v104 offset:784
	ds_read_b128 v[109:112], v104 offset:800
	s_waitcnt vmcnt(8) lgkmcnt(1)
	v_fma_f64 v[105:106], v[129:130], v[105:106], v[113:114]
	s_waitcnt vmcnt(7)
	v_fma_f64 v[105:106], v[123:124], v[107:108], v[105:106]
	ds_read_b64 v[107:108], v104 offset:816
	s_waitcnt vmcnt(6) lgkmcnt(1)
	v_fma_f64 v[105:106], v[121:122], v[109:110], v[105:106]
	s_waitcnt vmcnt(3)
	v_fma_f64 v[105:106], v[117:118], v[111:112], v[105:106]
	s_waitcnt vmcnt(2) lgkmcnt(0)
	v_fma_f64 v[105:106], v[119:120], v[107:108], v[105:106]
	s_waitcnt vmcnt(0)
	v_add_f64 v[105:106], v[125:126], -v[105:106]
	buffer_store_dword v106, off, s[0:3], 0 offset:44
	buffer_store_dword v105, off, s[0:3], 0 offset:40
	s_and_saveexec_b64 s[4:5], vcc
	s_cbranch_execz .LBB50_305
; %bb.304:
	buffer_load_dword v105, off, s[0:3], 0 offset:32
	buffer_load_dword v106, off, s[0:3], 0 offset:36
	s_waitcnt vmcnt(0)
	ds_write_b64 v103, v[105:106]
	buffer_store_dword v104, off, s[0:3], 0 offset:32
	buffer_store_dword v104, off, s[0:3], 0 offset:36
.LBB50_305:
	s_or_b64 exec, exec, s[4:5]
	s_waitcnt lgkmcnt(0)
	; wave barrier
	buffer_load_dword v113, off, s[0:3], 0 offset:40
	buffer_load_dword v114, off, s[0:3], 0 offset:44
	;; [unrolled: 1-line block ×21, first 2 shown]
	ds_read2_b64 v[105:108], v104 offset0:57 offset1:58
	ds_read2_b64 v[109:112], v104 offset0:59 offset1:60
	buffer_load_dword v130, off, s[0:3], 0 offset:124
	v_cmp_lt_u32_e32 vcc, 3, v0
	s_waitcnt vmcnt(20) lgkmcnt(1)
	v_fma_f64 v[105:106], v[113:114], v[105:106], 0
	s_waitcnt vmcnt(18)
	v_fma_f64 v[105:106], v[115:116], v[107:108], v[105:106]
	buffer_load_dword v114, off, s[0:3], 0 offset:132
	buffer_load_dword v115, off, s[0:3], 0 offset:152
	;; [unrolled: 1-line block ×7, first 2 shown]
	s_waitcnt vmcnt(23) lgkmcnt(0)
	v_fma_f64 v[105:106], v[117:118], v[109:110], v[105:106]
	s_waitcnt vmcnt(21)
	v_fma_f64 v[116:117], v[119:120], v[111:112], v[105:106]
	ds_read2_b64 v[105:108], v104 offset0:61 offset1:62
	ds_read2_b64 v[109:112], v104 offset0:63 offset1:64
	s_waitcnt vmcnt(19) lgkmcnt(1)
	v_fma_f64 v[105:106], v[121:122], v[105:106], v[116:117]
	buffer_load_dword v116, off, s[0:3], 0 offset:156
	s_waitcnt vmcnt(18)
	v_fma_f64 v[105:106], v[123:124], v[107:108], v[105:106]
	buffer_load_dword v118, off, s[0:3], 0 offset:164
	buffer_load_dword v119, off, s[0:3], 0 offset:184
	;; [unrolled: 1-line block ×8, first 2 shown]
	s_waitcnt vmcnt(24) lgkmcnt(0)
	v_fma_f64 v[105:106], v[125:126], v[109:110], v[105:106]
	s_waitcnt vmcnt(19)
	v_fma_f64 v[125:126], v[127:128], v[111:112], v[105:106]
	ds_read2_b64 v[105:108], v104 offset0:65 offset1:66
	ds_read2_b64 v[109:112], v104 offset0:67 offset1:68
	s_waitcnt vmcnt(18) lgkmcnt(1)
	v_fma_f64 v[105:106], v[133:134], v[105:106], v[125:126]
	s_waitcnt vmcnt(17)
	v_fma_f64 v[105:106], v[131:132], v[107:108], v[105:106]
	buffer_load_dword v126, off, s[0:3], 0 offset:196
	buffer_load_dword v127, off, s[0:3], 0 offset:216
	;; [unrolled: 1-line block ×7, first 2 shown]
	s_waitcnt vmcnt(23) lgkmcnt(0)
	v_fma_f64 v[105:106], v[129:130], v[109:110], v[105:106]
	s_waitcnt vmcnt(18)
	v_fma_f64 v[113:114], v[113:114], v[111:112], v[105:106]
	ds_read2_b64 v[105:108], v104 offset0:69 offset1:70
	ds_read2_b64 v[109:112], v104 offset0:71 offset1:72
	buffer_load_dword v128, off, s[0:3], 0 offset:220
	s_waitcnt vmcnt(18) lgkmcnt(1)
	v_fma_f64 v[105:106], v[137:138], v[105:106], v[113:114]
	s_waitcnt vmcnt(17)
	v_fma_f64 v[105:106], v[135:136], v[107:108], v[105:106]
	buffer_load_dword v114, off, s[0:3], 0 offset:228
	buffer_load_dword v129, off, s[0:3], 0 offset:248
	;; [unrolled: 1-line block ×8, first 2 shown]
	s_waitcnt vmcnt(24) lgkmcnt(0)
	v_fma_f64 v[105:106], v[115:116], v[109:110], v[105:106]
	s_waitcnt vmcnt(19)
	v_fma_f64 v[115:116], v[117:118], v[111:112], v[105:106]
	ds_read2_b64 v[105:108], v104 offset0:73 offset1:74
	ds_read2_b64 v[109:112], v104 offset0:75 offset1:76
	s_waitcnt vmcnt(18) lgkmcnt(1)
	v_fma_f64 v[105:106], v[123:124], v[105:106], v[115:116]
	s_waitcnt vmcnt(17)
	v_fma_f64 v[105:106], v[121:122], v[107:108], v[105:106]
	buffer_load_dword v116, off, s[0:3], 0 offset:260
	buffer_load_dword v117, off, s[0:3], 0 offset:280
	;; [unrolled: 1-line block ×7, first 2 shown]
	s_waitcnt vmcnt(23) lgkmcnt(0)
	v_fma_f64 v[105:106], v[119:120], v[109:110], v[105:106]
	s_waitcnt vmcnt(18)
	v_fma_f64 v[118:119], v[125:126], v[111:112], v[105:106]
	ds_read2_b64 v[105:108], v104 offset0:77 offset1:78
	ds_read2_b64 v[109:112], v104 offset0:79 offset1:80
	s_waitcnt vmcnt(17) lgkmcnt(1)
	v_fma_f64 v[105:106], v[133:134], v[105:106], v[118:119]
	buffer_load_dword v118, off, s[0:3], 0 offset:284
	s_waitcnt vmcnt(17)
	v_fma_f64 v[105:106], v[131:132], v[107:108], v[105:106]
	buffer_load_dword v120, off, s[0:3], 0 offset:292
	buffer_load_dword v125, off, s[0:3], 0 offset:312
	;; [unrolled: 1-line block ×7, first 2 shown]
	s_waitcnt vmcnt(23) lgkmcnt(0)
	v_fma_f64 v[105:106], v[127:128], v[109:110], v[105:106]
	s_waitcnt vmcnt(18)
	v_fma_f64 v[113:114], v[113:114], v[111:112], v[105:106]
	ds_read2_b64 v[105:108], v104 offset0:81 offset1:82
	ds_read2_b64 v[109:112], v104 offset0:83 offset1:84
	buffer_load_dword v126, off, s[0:3], 0 offset:316
	s_waitcnt vmcnt(18) lgkmcnt(1)
	v_fma_f64 v[105:106], v[137:138], v[105:106], v[113:114]
	s_waitcnt vmcnt(17)
	v_fma_f64 v[105:106], v[135:136], v[107:108], v[105:106]
	buffer_load_dword v114, off, s[0:3], 0 offset:324
	buffer_load_dword v127, off, s[0:3], 0 offset:344
	;; [unrolled: 1-line block ×8, first 2 shown]
	s_waitcnt vmcnt(24) lgkmcnt(0)
	v_fma_f64 v[105:106], v[129:130], v[109:110], v[105:106]
	s_waitcnt vmcnt(19)
	v_fma_f64 v[115:116], v[115:116], v[111:112], v[105:106]
	ds_read2_b64 v[105:108], v104 offset0:85 offset1:86
	ds_read2_b64 v[109:112], v104 offset0:87 offset1:88
	s_waitcnt vmcnt(18) lgkmcnt(1)
	v_fma_f64 v[105:106], v[123:124], v[105:106], v[115:116]
	s_waitcnt vmcnt(17)
	v_fma_f64 v[105:106], v[121:122], v[107:108], v[105:106]
	buffer_load_dword v116, off, s[0:3], 0 offset:356
	buffer_load_dword v121, off, s[0:3], 0 offset:376
	;; [unrolled: 1-line block ×8, first 2 shown]
	s_waitcnt vmcnt(24) lgkmcnt(0)
	v_fma_f64 v[105:106], v[117:118], v[109:110], v[105:106]
	s_waitcnt vmcnt(19)
	v_fma_f64 v[117:118], v[119:120], v[111:112], v[105:106]
	ds_read2_b64 v[105:108], v104 offset0:89 offset1:90
	ds_read2_b64 v[109:112], v104 offset0:91 offset1:92
	s_waitcnt vmcnt(18) lgkmcnt(1)
	v_fma_f64 v[105:106], v[133:134], v[105:106], v[117:118]
	s_waitcnt vmcnt(17)
	v_fma_f64 v[105:106], v[131:132], v[107:108], v[105:106]
	buffer_load_dword v118, off, s[0:3], 0 offset:388
	buffer_load_dword v119, off, s[0:3], 0 offset:400
	;; [unrolled: 1-line block ×6, first 2 shown]
	s_waitcnt vmcnt(22) lgkmcnt(0)
	v_fma_f64 v[105:106], v[125:126], v[109:110], v[105:106]
	s_waitcnt vmcnt(17)
	v_fma_f64 v[113:114], v[113:114], v[111:112], v[105:106]
	ds_read2_b64 v[105:108], v104 offset0:93 offset1:94
	buffer_load_dword v125, off, s[0:3], 0 offset:32
	buffer_load_dword v126, off, s[0:3], 0 offset:36
	ds_read2_b64 v[109:112], v104 offset0:95 offset1:96
	s_waitcnt vmcnt(18) lgkmcnt(1)
	v_fma_f64 v[105:106], v[137:138], v[105:106], v[113:114]
	s_waitcnt vmcnt(17)
	v_fma_f64 v[105:106], v[135:136], v[107:108], v[105:106]
	s_waitcnt vmcnt(16) lgkmcnt(0)
	v_fma_f64 v[105:106], v[127:128], v[109:110], v[105:106]
	s_waitcnt vmcnt(11)
	v_fma_f64 v[113:114], v[115:116], v[111:112], v[105:106]
	ds_read2_b64 v[105:108], v104 offset0:97 offset1:98
	ds_read2_b64 v[109:112], v104 offset0:99 offset1:100
	s_waitcnt vmcnt(10) lgkmcnt(1)
	v_fma_f64 v[105:106], v[129:130], v[105:106], v[113:114]
	s_waitcnt vmcnt(9)
	v_fma_f64 v[105:106], v[123:124], v[107:108], v[105:106]
	s_waitcnt vmcnt(8) lgkmcnt(0)
	v_fma_f64 v[105:106], v[121:122], v[109:110], v[105:106]
	s_waitcnt vmcnt(4)
	v_fma_f64 v[108:109], v[117:118], v[111:112], v[105:106]
	ds_read2_b64 v[104:107], v104 offset0:101 offset1:102
	s_waitcnt vmcnt(3) lgkmcnt(0)
	v_fma_f64 v[104:105], v[131:132], v[104:105], v[108:109]
	s_waitcnt vmcnt(2)
	v_fma_f64 v[104:105], v[119:120], v[106:107], v[104:105]
	s_waitcnt vmcnt(0)
	v_add_f64 v[104:105], v[125:126], -v[104:105]
	buffer_store_dword v105, off, s[0:3], 0 offset:36
	buffer_store_dword v104, off, s[0:3], 0 offset:32
	s_and_saveexec_b64 s[4:5], vcc
	s_cbranch_execz .LBB50_307
; %bb.306:
	buffer_load_dword v104, off, s[0:3], 0 offset:24
	buffer_load_dword v105, off, s[0:3], 0 offset:28
	v_mov_b32_e32 v106, 0
	buffer_store_dword v106, off, s[0:3], 0 offset:24
	buffer_store_dword v106, off, s[0:3], 0 offset:28
	s_waitcnt vmcnt(2)
	ds_write_b64 v103, v[104:105]
.LBB50_307:
	s_or_b64 exec, exec, s[4:5]
	s_waitcnt lgkmcnt(0)
	; wave barrier
	buffer_load_dword v113, off, s[0:3], 0 offset:32
	buffer_load_dword v114, off, s[0:3], 0 offset:36
	;; [unrolled: 1-line block ×21, first 2 shown]
	v_mov_b32_e32 v104, 0
	ds_read_b128 v[105:108], v104 offset:448
	ds_read_b128 v[109:112], v104 offset:464
	buffer_load_dword v130, off, s[0:3], 0 offset:116
	v_cmp_lt_u32_e32 vcc, 2, v0
	s_waitcnt vmcnt(20) lgkmcnt(1)
	v_fma_f64 v[105:106], v[113:114], v[105:106], 0
	s_waitcnt vmcnt(18)
	v_fma_f64 v[105:106], v[115:116], v[107:108], v[105:106]
	buffer_load_dword v114, off, s[0:3], 0 offset:124
	buffer_load_dword v115, off, s[0:3], 0 offset:144
	;; [unrolled: 1-line block ×7, first 2 shown]
	s_waitcnt vmcnt(23) lgkmcnt(0)
	v_fma_f64 v[105:106], v[117:118], v[109:110], v[105:106]
	s_waitcnt vmcnt(21)
	v_fma_f64 v[116:117], v[119:120], v[111:112], v[105:106]
	ds_read_b128 v[105:108], v104 offset:480
	ds_read_b128 v[109:112], v104 offset:496
	s_waitcnt vmcnt(19) lgkmcnt(1)
	v_fma_f64 v[105:106], v[121:122], v[105:106], v[116:117]
	buffer_load_dword v116, off, s[0:3], 0 offset:148
	s_waitcnt vmcnt(18)
	v_fma_f64 v[105:106], v[123:124], v[107:108], v[105:106]
	buffer_load_dword v118, off, s[0:3], 0 offset:156
	buffer_load_dword v119, off, s[0:3], 0 offset:176
	;; [unrolled: 1-line block ×8, first 2 shown]
	s_waitcnt vmcnt(24) lgkmcnt(0)
	v_fma_f64 v[105:106], v[125:126], v[109:110], v[105:106]
	s_waitcnt vmcnt(19)
	v_fma_f64 v[125:126], v[127:128], v[111:112], v[105:106]
	ds_read_b128 v[105:108], v104 offset:512
	ds_read_b128 v[109:112], v104 offset:528
	s_waitcnt vmcnt(18) lgkmcnt(1)
	v_fma_f64 v[105:106], v[133:134], v[105:106], v[125:126]
	s_waitcnt vmcnt(17)
	v_fma_f64 v[105:106], v[131:132], v[107:108], v[105:106]
	buffer_load_dword v126, off, s[0:3], 0 offset:188
	buffer_load_dword v127, off, s[0:3], 0 offset:208
	;; [unrolled: 1-line block ×7, first 2 shown]
	s_waitcnt vmcnt(23) lgkmcnt(0)
	v_fma_f64 v[105:106], v[129:130], v[109:110], v[105:106]
	s_waitcnt vmcnt(18)
	v_fma_f64 v[113:114], v[113:114], v[111:112], v[105:106]
	ds_read_b128 v[105:108], v104 offset:544
	ds_read_b128 v[109:112], v104 offset:560
	buffer_load_dword v128, off, s[0:3], 0 offset:212
	s_waitcnt vmcnt(18) lgkmcnt(1)
	v_fma_f64 v[105:106], v[137:138], v[105:106], v[113:114]
	s_waitcnt vmcnt(17)
	v_fma_f64 v[105:106], v[135:136], v[107:108], v[105:106]
	buffer_load_dword v114, off, s[0:3], 0 offset:220
	buffer_load_dword v129, off, s[0:3], 0 offset:240
	;; [unrolled: 1-line block ×8, first 2 shown]
	s_waitcnt vmcnt(24) lgkmcnt(0)
	v_fma_f64 v[105:106], v[115:116], v[109:110], v[105:106]
	s_waitcnt vmcnt(19)
	v_fma_f64 v[115:116], v[117:118], v[111:112], v[105:106]
	ds_read_b128 v[105:108], v104 offset:576
	ds_read_b128 v[109:112], v104 offset:592
	s_waitcnt vmcnt(18) lgkmcnt(1)
	v_fma_f64 v[105:106], v[123:124], v[105:106], v[115:116]
	s_waitcnt vmcnt(17)
	v_fma_f64 v[105:106], v[121:122], v[107:108], v[105:106]
	buffer_load_dword v116, off, s[0:3], 0 offset:252
	buffer_load_dword v117, off, s[0:3], 0 offset:272
	;; [unrolled: 1-line block ×7, first 2 shown]
	s_waitcnt vmcnt(23) lgkmcnt(0)
	v_fma_f64 v[105:106], v[119:120], v[109:110], v[105:106]
	s_waitcnt vmcnt(18)
	v_fma_f64 v[118:119], v[125:126], v[111:112], v[105:106]
	ds_read_b128 v[105:108], v104 offset:608
	ds_read_b128 v[109:112], v104 offset:624
	s_waitcnt vmcnt(17) lgkmcnt(1)
	v_fma_f64 v[105:106], v[133:134], v[105:106], v[118:119]
	buffer_load_dword v118, off, s[0:3], 0 offset:276
	s_waitcnt vmcnt(17)
	v_fma_f64 v[105:106], v[131:132], v[107:108], v[105:106]
	buffer_load_dword v120, off, s[0:3], 0 offset:284
	buffer_load_dword v125, off, s[0:3], 0 offset:304
	;; [unrolled: 1-line block ×7, first 2 shown]
	s_waitcnt vmcnt(23) lgkmcnt(0)
	v_fma_f64 v[105:106], v[127:128], v[109:110], v[105:106]
	s_waitcnt vmcnt(18)
	v_fma_f64 v[113:114], v[113:114], v[111:112], v[105:106]
	ds_read_b128 v[105:108], v104 offset:640
	ds_read_b128 v[109:112], v104 offset:656
	buffer_load_dword v126, off, s[0:3], 0 offset:308
	s_waitcnt vmcnt(18) lgkmcnt(1)
	v_fma_f64 v[105:106], v[137:138], v[105:106], v[113:114]
	s_waitcnt vmcnt(17)
	v_fma_f64 v[105:106], v[135:136], v[107:108], v[105:106]
	buffer_load_dword v114, off, s[0:3], 0 offset:316
	buffer_load_dword v127, off, s[0:3], 0 offset:336
	buffer_load_dword v135, off, s[0:3], 0 offset:328
	buffer_load_dword v137, off, s[0:3], 0 offset:320
	buffer_load_dword v113, off, s[0:3], 0 offset:312
	buffer_load_dword v138, off, s[0:3], 0 offset:324
	buffer_load_dword v136, off, s[0:3], 0 offset:332
	buffer_load_dword v128, off, s[0:3], 0 offset:340
	s_waitcnt vmcnt(24) lgkmcnt(0)
	v_fma_f64 v[105:106], v[129:130], v[109:110], v[105:106]
	s_waitcnt vmcnt(19)
	v_fma_f64 v[115:116], v[115:116], v[111:112], v[105:106]
	ds_read_b128 v[105:108], v104 offset:672
	ds_read_b128 v[109:112], v104 offset:688
	s_waitcnt vmcnt(18) lgkmcnt(1)
	v_fma_f64 v[105:106], v[123:124], v[105:106], v[115:116]
	s_waitcnt vmcnt(17)
	v_fma_f64 v[105:106], v[121:122], v[107:108], v[105:106]
	buffer_load_dword v116, off, s[0:3], 0 offset:348
	buffer_load_dword v121, off, s[0:3], 0 offset:368
	buffer_load_dword v123, off, s[0:3], 0 offset:360
	buffer_load_dword v129, off, s[0:3], 0 offset:352
	buffer_load_dword v115, off, s[0:3], 0 offset:344
	buffer_load_dword v130, off, s[0:3], 0 offset:356
	buffer_load_dword v124, off, s[0:3], 0 offset:364
	buffer_load_dword v122, off, s[0:3], 0 offset:372
	s_waitcnt vmcnt(24) lgkmcnt(0)
	v_fma_f64 v[105:106], v[117:118], v[109:110], v[105:106]
	s_waitcnt vmcnt(19)
	v_fma_f64 v[117:118], v[119:120], v[111:112], v[105:106]
	ds_read_b128 v[105:108], v104 offset:704
	ds_read_b128 v[109:112], v104 offset:720
	;; [unrolled: 18-line block ×3, first 2 shown]
	s_waitcnt vmcnt(18) lgkmcnt(1)
	v_fma_f64 v[105:106], v[137:138], v[105:106], v[113:114]
	buffer_load_dword v113, off, s[0:3], 0 offset:24
	buffer_load_dword v114, off, s[0:3], 0 offset:28
	s_waitcnt vmcnt(19)
	v_fma_f64 v[105:106], v[135:136], v[107:108], v[105:106]
	s_waitcnt vmcnt(18) lgkmcnt(0)
	v_fma_f64 v[105:106], v[127:128], v[109:110], v[105:106]
	s_waitcnt vmcnt(13)
	v_fma_f64 v[115:116], v[115:116], v[111:112], v[105:106]
	ds_read_b128 v[105:108], v104 offset:768
	ds_read_b128 v[109:112], v104 offset:784
	s_waitcnt vmcnt(12) lgkmcnt(1)
	v_fma_f64 v[105:106], v[129:130], v[105:106], v[115:116]
	s_waitcnt vmcnt(11)
	v_fma_f64 v[105:106], v[123:124], v[107:108], v[105:106]
	s_waitcnt vmcnt(10) lgkmcnt(0)
	v_fma_f64 v[105:106], v[121:122], v[109:110], v[105:106]
	s_waitcnt vmcnt(5)
	v_fma_f64 v[109:110], v[117:118], v[111:112], v[105:106]
	ds_read_b128 v[105:108], v104 offset:800
	ds_read_b64 v[111:112], v104 offset:816
	s_waitcnt vmcnt(4) lgkmcnt(1)
	v_fma_f64 v[105:106], v[133:134], v[105:106], v[109:110]
	s_waitcnt vmcnt(3)
	v_fma_f64 v[105:106], v[131:132], v[107:108], v[105:106]
	s_waitcnt vmcnt(2) lgkmcnt(0)
	v_fma_f64 v[105:106], v[119:120], v[111:112], v[105:106]
	s_waitcnt vmcnt(0)
	v_add_f64 v[105:106], v[113:114], -v[105:106]
	buffer_store_dword v106, off, s[0:3], 0 offset:28
	buffer_store_dword v105, off, s[0:3], 0 offset:24
	s_and_saveexec_b64 s[4:5], vcc
	s_cbranch_execz .LBB50_309
; %bb.308:
	buffer_load_dword v105, off, s[0:3], 0 offset:16
	buffer_load_dword v106, off, s[0:3], 0 offset:20
	s_waitcnt vmcnt(0)
	ds_write_b64 v103, v[105:106]
	buffer_store_dword v104, off, s[0:3], 0 offset:16
	buffer_store_dword v104, off, s[0:3], 0 offset:20
.LBB50_309:
	s_or_b64 exec, exec, s[4:5]
	s_waitcnt lgkmcnt(0)
	; wave barrier
	buffer_load_dword v113, off, s[0:3], 0 offset:24
	buffer_load_dword v114, off, s[0:3], 0 offset:28
	;; [unrolled: 1-line block ×21, first 2 shown]
	ds_read2_b64 v[105:108], v104 offset0:55 offset1:56
	ds_read2_b64 v[109:112], v104 offset0:57 offset1:58
	buffer_load_dword v130, off, s[0:3], 0 offset:108
	v_cmp_lt_u32_e32 vcc, 1, v0
	s_waitcnt vmcnt(20) lgkmcnt(1)
	v_fma_f64 v[105:106], v[113:114], v[105:106], 0
	s_waitcnt vmcnt(18)
	v_fma_f64 v[105:106], v[115:116], v[107:108], v[105:106]
	buffer_load_dword v114, off, s[0:3], 0 offset:116
	buffer_load_dword v115, off, s[0:3], 0 offset:136
	;; [unrolled: 1-line block ×7, first 2 shown]
	s_waitcnt vmcnt(23) lgkmcnt(0)
	v_fma_f64 v[105:106], v[117:118], v[109:110], v[105:106]
	s_waitcnt vmcnt(21)
	v_fma_f64 v[116:117], v[119:120], v[111:112], v[105:106]
	ds_read2_b64 v[105:108], v104 offset0:59 offset1:60
	ds_read2_b64 v[109:112], v104 offset0:61 offset1:62
	s_waitcnt vmcnt(19) lgkmcnt(1)
	v_fma_f64 v[105:106], v[121:122], v[105:106], v[116:117]
	buffer_load_dword v116, off, s[0:3], 0 offset:140
	s_waitcnt vmcnt(18)
	v_fma_f64 v[105:106], v[123:124], v[107:108], v[105:106]
	buffer_load_dword v118, off, s[0:3], 0 offset:148
	buffer_load_dword v119, off, s[0:3], 0 offset:168
	;; [unrolled: 1-line block ×8, first 2 shown]
	s_waitcnt vmcnt(24) lgkmcnt(0)
	v_fma_f64 v[105:106], v[125:126], v[109:110], v[105:106]
	s_waitcnt vmcnt(19)
	v_fma_f64 v[125:126], v[127:128], v[111:112], v[105:106]
	ds_read2_b64 v[105:108], v104 offset0:63 offset1:64
	ds_read2_b64 v[109:112], v104 offset0:65 offset1:66
	s_waitcnt vmcnt(18) lgkmcnt(1)
	v_fma_f64 v[105:106], v[133:134], v[105:106], v[125:126]
	s_waitcnt vmcnt(17)
	v_fma_f64 v[105:106], v[131:132], v[107:108], v[105:106]
	buffer_load_dword v126, off, s[0:3], 0 offset:180
	buffer_load_dword v127, off, s[0:3], 0 offset:200
	;; [unrolled: 1-line block ×7, first 2 shown]
	s_waitcnt vmcnt(23) lgkmcnt(0)
	v_fma_f64 v[105:106], v[129:130], v[109:110], v[105:106]
	s_waitcnt vmcnt(18)
	v_fma_f64 v[113:114], v[113:114], v[111:112], v[105:106]
	ds_read2_b64 v[105:108], v104 offset0:67 offset1:68
	ds_read2_b64 v[109:112], v104 offset0:69 offset1:70
	buffer_load_dword v128, off, s[0:3], 0 offset:204
	s_waitcnt vmcnt(18) lgkmcnt(1)
	v_fma_f64 v[105:106], v[137:138], v[105:106], v[113:114]
	s_waitcnt vmcnt(17)
	v_fma_f64 v[105:106], v[135:136], v[107:108], v[105:106]
	buffer_load_dword v114, off, s[0:3], 0 offset:212
	buffer_load_dword v129, off, s[0:3], 0 offset:232
	;; [unrolled: 1-line block ×8, first 2 shown]
	s_waitcnt vmcnt(24) lgkmcnt(0)
	v_fma_f64 v[105:106], v[115:116], v[109:110], v[105:106]
	s_waitcnt vmcnt(19)
	v_fma_f64 v[115:116], v[117:118], v[111:112], v[105:106]
	ds_read2_b64 v[105:108], v104 offset0:71 offset1:72
	ds_read2_b64 v[109:112], v104 offset0:73 offset1:74
	s_waitcnt vmcnt(18) lgkmcnt(1)
	v_fma_f64 v[105:106], v[123:124], v[105:106], v[115:116]
	s_waitcnt vmcnt(17)
	v_fma_f64 v[105:106], v[121:122], v[107:108], v[105:106]
	buffer_load_dword v116, off, s[0:3], 0 offset:244
	buffer_load_dword v117, off, s[0:3], 0 offset:264
	;; [unrolled: 1-line block ×7, first 2 shown]
	s_waitcnt vmcnt(23) lgkmcnt(0)
	v_fma_f64 v[105:106], v[119:120], v[109:110], v[105:106]
	s_waitcnt vmcnt(18)
	v_fma_f64 v[118:119], v[125:126], v[111:112], v[105:106]
	ds_read2_b64 v[105:108], v104 offset0:75 offset1:76
	ds_read2_b64 v[109:112], v104 offset0:77 offset1:78
	s_waitcnt vmcnt(17) lgkmcnt(1)
	v_fma_f64 v[105:106], v[133:134], v[105:106], v[118:119]
	buffer_load_dword v118, off, s[0:3], 0 offset:268
	s_waitcnt vmcnt(17)
	v_fma_f64 v[105:106], v[131:132], v[107:108], v[105:106]
	buffer_load_dword v120, off, s[0:3], 0 offset:276
	buffer_load_dword v125, off, s[0:3], 0 offset:296
	;; [unrolled: 1-line block ×7, first 2 shown]
	s_waitcnt vmcnt(23) lgkmcnt(0)
	v_fma_f64 v[105:106], v[127:128], v[109:110], v[105:106]
	s_waitcnt vmcnt(18)
	v_fma_f64 v[113:114], v[113:114], v[111:112], v[105:106]
	ds_read2_b64 v[105:108], v104 offset0:79 offset1:80
	ds_read2_b64 v[109:112], v104 offset0:81 offset1:82
	buffer_load_dword v126, off, s[0:3], 0 offset:300
	s_waitcnt vmcnt(18) lgkmcnt(1)
	v_fma_f64 v[105:106], v[137:138], v[105:106], v[113:114]
	s_waitcnt vmcnt(17)
	v_fma_f64 v[105:106], v[135:136], v[107:108], v[105:106]
	buffer_load_dword v114, off, s[0:3], 0 offset:308
	buffer_load_dword v127, off, s[0:3], 0 offset:328
	buffer_load_dword v135, off, s[0:3], 0 offset:320
	buffer_load_dword v137, off, s[0:3], 0 offset:312
	buffer_load_dword v113, off, s[0:3], 0 offset:304
	buffer_load_dword v138, off, s[0:3], 0 offset:316
	buffer_load_dword v136, off, s[0:3], 0 offset:324
	buffer_load_dword v128, off, s[0:3], 0 offset:332
	s_waitcnt vmcnt(24) lgkmcnt(0)
	v_fma_f64 v[105:106], v[129:130], v[109:110], v[105:106]
	s_waitcnt vmcnt(19)
	v_fma_f64 v[115:116], v[115:116], v[111:112], v[105:106]
	ds_read2_b64 v[105:108], v104 offset0:83 offset1:84
	ds_read2_b64 v[109:112], v104 offset0:85 offset1:86
	s_waitcnt vmcnt(18) lgkmcnt(1)
	v_fma_f64 v[105:106], v[123:124], v[105:106], v[115:116]
	s_waitcnt vmcnt(17)
	v_fma_f64 v[105:106], v[121:122], v[107:108], v[105:106]
	buffer_load_dword v116, off, s[0:3], 0 offset:340
	buffer_load_dword v121, off, s[0:3], 0 offset:360
	buffer_load_dword v123, off, s[0:3], 0 offset:352
	buffer_load_dword v129, off, s[0:3], 0 offset:344
	buffer_load_dword v115, off, s[0:3], 0 offset:336
	buffer_load_dword v130, off, s[0:3], 0 offset:348
	buffer_load_dword v124, off, s[0:3], 0 offset:356
	buffer_load_dword v122, off, s[0:3], 0 offset:364
	s_waitcnt vmcnt(24) lgkmcnt(0)
	v_fma_f64 v[105:106], v[117:118], v[109:110], v[105:106]
	s_waitcnt vmcnt(19)
	v_fma_f64 v[117:118], v[119:120], v[111:112], v[105:106]
	ds_read2_b64 v[105:108], v104 offset0:87 offset1:88
	ds_read2_b64 v[109:112], v104 offset0:89 offset1:90
	;; [unrolled: 18-line block ×3, first 2 shown]
	s_waitcnt vmcnt(18) lgkmcnt(1)
	v_fma_f64 v[105:106], v[137:138], v[105:106], v[113:114]
	buffer_load_dword v114, off, s[0:3], 0 offset:404
	buffer_load_dword v113, off, s[0:3], 0 offset:400
	;; [unrolled: 1-line block ×4, first 2 shown]
	s_waitcnt vmcnt(21)
	v_fma_f64 v[105:106], v[135:136], v[107:108], v[105:106]
	s_waitcnt vmcnt(20) lgkmcnt(0)
	v_fma_f64 v[105:106], v[127:128], v[109:110], v[105:106]
	s_waitcnt vmcnt(15)
	v_fma_f64 v[115:116], v[115:116], v[111:112], v[105:106]
	ds_read2_b64 v[105:108], v104 offset0:95 offset1:96
	ds_read2_b64 v[109:112], v104 offset0:97 offset1:98
	s_waitcnt vmcnt(14) lgkmcnt(1)
	v_fma_f64 v[105:106], v[129:130], v[105:106], v[115:116]
	s_waitcnt vmcnt(13)
	v_fma_f64 v[105:106], v[123:124], v[107:108], v[105:106]
	s_waitcnt vmcnt(12) lgkmcnt(0)
	v_fma_f64 v[105:106], v[121:122], v[109:110], v[105:106]
	s_waitcnt vmcnt(7)
	v_fma_f64 v[115:116], v[117:118], v[111:112], v[105:106]
	ds_read2_b64 v[105:108], v104 offset0:99 offset1:100
	ds_read2_b64 v[109:112], v104 offset0:101 offset1:102
	s_waitcnt vmcnt(6) lgkmcnt(1)
	v_fma_f64 v[104:105], v[133:134], v[105:106], v[115:116]
	s_waitcnt vmcnt(5)
	v_fma_f64 v[104:105], v[131:132], v[107:108], v[104:105]
	s_waitcnt vmcnt(4) lgkmcnt(0)
	v_fma_f64 v[104:105], v[119:120], v[109:110], v[104:105]
	s_waitcnt vmcnt(2)
	v_fma_f64 v[104:105], v[113:114], v[111:112], v[104:105]
	s_waitcnt vmcnt(0)
	v_add_f64 v[104:105], v[125:126], -v[104:105]
	buffer_store_dword v105, off, s[0:3], 0 offset:20
	buffer_store_dword v104, off, s[0:3], 0 offset:16
	s_and_saveexec_b64 s[4:5], vcc
	s_cbranch_execz .LBB50_311
; %bb.310:
	buffer_load_dword v104, off, s[0:3], 0 offset:8
	buffer_load_dword v105, off, s[0:3], 0 offset:12
	v_mov_b32_e32 v106, 0
	buffer_store_dword v106, off, s[0:3], 0 offset:8
	buffer_store_dword v106, off, s[0:3], 0 offset:12
	s_waitcnt vmcnt(2)
	ds_write_b64 v103, v[104:105]
.LBB50_311:
	s_or_b64 exec, exec, s[4:5]
	s_waitcnt lgkmcnt(0)
	; wave barrier
	buffer_load_dword v113, off, s[0:3], 0 offset:16
	buffer_load_dword v114, off, s[0:3], 0 offset:20
	;; [unrolled: 1-line block ×21, first 2 shown]
	v_mov_b32_e32 v104, 0
	ds_read_b128 v[105:108], v104 offset:432
	ds_read_b128 v[109:112], v104 offset:448
	buffer_load_dword v130, off, s[0:3], 0 offset:100
	v_cmp_ne_u32_e32 vcc, 0, v0
	s_waitcnt vmcnt(20) lgkmcnt(1)
	v_fma_f64 v[105:106], v[113:114], v[105:106], 0
	s_waitcnt vmcnt(18)
	v_fma_f64 v[105:106], v[115:116], v[107:108], v[105:106]
	buffer_load_dword v114, off, s[0:3], 0 offset:108
	buffer_load_dword v115, off, s[0:3], 0 offset:128
	;; [unrolled: 1-line block ×7, first 2 shown]
	s_waitcnt vmcnt(23) lgkmcnt(0)
	v_fma_f64 v[105:106], v[117:118], v[109:110], v[105:106]
	s_waitcnt vmcnt(21)
	v_fma_f64 v[116:117], v[119:120], v[111:112], v[105:106]
	ds_read_b128 v[105:108], v104 offset:464
	ds_read_b128 v[109:112], v104 offset:480
	s_waitcnt vmcnt(19) lgkmcnt(1)
	v_fma_f64 v[105:106], v[121:122], v[105:106], v[116:117]
	buffer_load_dword v116, off, s[0:3], 0 offset:132
	s_waitcnt vmcnt(18)
	v_fma_f64 v[105:106], v[123:124], v[107:108], v[105:106]
	buffer_load_dword v118, off, s[0:3], 0 offset:140
	buffer_load_dword v119, off, s[0:3], 0 offset:160
	;; [unrolled: 1-line block ×8, first 2 shown]
	s_waitcnt vmcnt(24) lgkmcnt(0)
	v_fma_f64 v[105:106], v[125:126], v[109:110], v[105:106]
	s_waitcnt vmcnt(19)
	v_fma_f64 v[125:126], v[127:128], v[111:112], v[105:106]
	ds_read_b128 v[105:108], v104 offset:496
	ds_read_b128 v[109:112], v104 offset:512
	s_waitcnt vmcnt(18) lgkmcnt(1)
	v_fma_f64 v[105:106], v[133:134], v[105:106], v[125:126]
	s_waitcnt vmcnt(17)
	v_fma_f64 v[105:106], v[131:132], v[107:108], v[105:106]
	buffer_load_dword v126, off, s[0:3], 0 offset:172
	buffer_load_dword v127, off, s[0:3], 0 offset:192
	;; [unrolled: 1-line block ×7, first 2 shown]
	s_waitcnt vmcnt(23) lgkmcnt(0)
	v_fma_f64 v[105:106], v[129:130], v[109:110], v[105:106]
	s_waitcnt vmcnt(18)
	v_fma_f64 v[113:114], v[113:114], v[111:112], v[105:106]
	ds_read_b128 v[105:108], v104 offset:528
	ds_read_b128 v[109:112], v104 offset:544
	buffer_load_dword v128, off, s[0:3], 0 offset:196
	s_waitcnt vmcnt(18) lgkmcnt(1)
	v_fma_f64 v[105:106], v[137:138], v[105:106], v[113:114]
	s_waitcnt vmcnt(17)
	v_fma_f64 v[105:106], v[135:136], v[107:108], v[105:106]
	buffer_load_dword v114, off, s[0:3], 0 offset:204
	buffer_load_dword v129, off, s[0:3], 0 offset:224
	;; [unrolled: 1-line block ×7, first 2 shown]
	s_waitcnt vmcnt(23) lgkmcnt(0)
	v_fma_f64 v[105:106], v[115:116], v[109:110], v[105:106]
	s_waitcnt vmcnt(18)
	v_fma_f64 v[115:116], v[117:118], v[111:112], v[105:106]
	ds_read_b128 v[105:108], v104 offset:560
	ds_read_b128 v[109:112], v104 offset:576
	buffer_load_dword v130, off, s[0:3], 0 offset:228
	s_waitcnt vmcnt(18) lgkmcnt(1)
	v_fma_f64 v[105:106], v[123:124], v[105:106], v[115:116]
	s_waitcnt vmcnt(17)
	v_fma_f64 v[105:106], v[121:122], v[107:108], v[105:106]
	buffer_load_dword v116, off, s[0:3], 0 offset:236
	buffer_load_dword v117, off, s[0:3], 0 offset:256
	;; [unrolled: 1-line block ×7, first 2 shown]
	s_waitcnt vmcnt(23) lgkmcnt(0)
	v_fma_f64 v[105:106], v[119:120], v[109:110], v[105:106]
	s_waitcnt vmcnt(18)
	v_fma_f64 v[118:119], v[125:126], v[111:112], v[105:106]
	ds_read_b128 v[105:108], v104 offset:592
	ds_read_b128 v[109:112], v104 offset:608
	s_waitcnt vmcnt(17) lgkmcnt(1)
	v_fma_f64 v[105:106], v[133:134], v[105:106], v[118:119]
	buffer_load_dword v118, off, s[0:3], 0 offset:260
	s_waitcnt vmcnt(17)
	v_fma_f64 v[105:106], v[131:132], v[107:108], v[105:106]
	buffer_load_dword v120, off, s[0:3], 0 offset:268
	buffer_load_dword v125, off, s[0:3], 0 offset:288
	;; [unrolled: 1-line block ×7, first 2 shown]
	s_waitcnt vmcnt(23) lgkmcnt(0)
	v_fma_f64 v[105:106], v[127:128], v[109:110], v[105:106]
	s_waitcnt vmcnt(18)
	v_fma_f64 v[113:114], v[113:114], v[111:112], v[105:106]
	ds_read_b128 v[105:108], v104 offset:624
	ds_read_b128 v[109:112], v104 offset:640
	buffer_load_dword v126, off, s[0:3], 0 offset:292
	s_waitcnt vmcnt(18) lgkmcnt(1)
	v_fma_f64 v[105:106], v[137:138], v[105:106], v[113:114]
	s_waitcnt vmcnt(17)
	v_fma_f64 v[105:106], v[135:136], v[107:108], v[105:106]
	buffer_load_dword v114, off, s[0:3], 0 offset:300
	buffer_load_dword v127, off, s[0:3], 0 offset:320
	buffer_load_dword v135, off, s[0:3], 0 offset:312
	buffer_load_dword v137, off, s[0:3], 0 offset:304
	buffer_load_dword v113, off, s[0:3], 0 offset:296
	buffer_load_dword v138, off, s[0:3], 0 offset:308
	buffer_load_dword v136, off, s[0:3], 0 offset:316
	s_waitcnt vmcnt(23) lgkmcnt(0)
	v_fma_f64 v[105:106], v[129:130], v[109:110], v[105:106]
	s_waitcnt vmcnt(18)
	v_fma_f64 v[115:116], v[115:116], v[111:112], v[105:106]
	ds_read_b128 v[105:108], v104 offset:656
	ds_read_b128 v[109:112], v104 offset:672
	buffer_load_dword v128, off, s[0:3], 0 offset:324
	s_waitcnt vmcnt(18) lgkmcnt(1)
	v_fma_f64 v[105:106], v[123:124], v[105:106], v[115:116]
	s_waitcnt vmcnt(17)
	v_fma_f64 v[105:106], v[121:122], v[107:108], v[105:106]
	buffer_load_dword v116, off, s[0:3], 0 offset:332
	buffer_load_dword v121, off, s[0:3], 0 offset:352
	;; [unrolled: 1-line block ×8, first 2 shown]
	s_waitcnt vmcnt(24) lgkmcnt(0)
	v_fma_f64 v[105:106], v[117:118], v[109:110], v[105:106]
	s_waitcnt vmcnt(19)
	v_fma_f64 v[117:118], v[119:120], v[111:112], v[105:106]
	ds_read_b128 v[105:108], v104 offset:688
	ds_read_b128 v[109:112], v104 offset:704
	s_waitcnt vmcnt(18) lgkmcnt(1)
	v_fma_f64 v[105:106], v[133:134], v[105:106], v[117:118]
	s_waitcnt vmcnt(17)
	v_fma_f64 v[105:106], v[131:132], v[107:108], v[105:106]
	buffer_load_dword v118, off, s[0:3], 0 offset:364
	buffer_load_dword v119, off, s[0:3], 0 offset:384
	;; [unrolled: 1-line block ×7, first 2 shown]
	s_waitcnt vmcnt(23) lgkmcnt(0)
	v_fma_f64 v[105:106], v[125:126], v[109:110], v[105:106]
	s_waitcnt vmcnt(18)
	v_fma_f64 v[113:114], v[113:114], v[111:112], v[105:106]
	ds_read_b128 v[105:108], v104 offset:720
	ds_read_b128 v[109:112], v104 offset:736
	buffer_load_dword v120, off, s[0:3], 0 offset:388
	s_waitcnt vmcnt(18) lgkmcnt(1)
	v_fma_f64 v[105:106], v[137:138], v[105:106], v[113:114]
	buffer_load_dword v114, off, s[0:3], 0 offset:396
	buffer_load_dword v125, off, s[0:3], 0 offset:400
	;; [unrolled: 1-line block ×4, first 2 shown]
	s_waitcnt vmcnt(21)
	v_fma_f64 v[105:106], v[135:136], v[107:108], v[105:106]
	s_waitcnt vmcnt(20) lgkmcnt(0)
	v_fma_f64 v[105:106], v[127:128], v[109:110], v[105:106]
	buffer_load_dword v127, off, s[0:3], 0 offset:8
	buffer_load_dword v128, off, s[0:3], 0 offset:12
	s_waitcnt vmcnt(17)
	v_fma_f64 v[115:116], v[115:116], v[111:112], v[105:106]
	ds_read_b128 v[105:108], v104 offset:752
	ds_read_b128 v[109:112], v104 offset:768
	s_waitcnt vmcnt(16) lgkmcnt(1)
	v_fma_f64 v[105:106], v[129:130], v[105:106], v[115:116]
	s_waitcnt vmcnt(15)
	v_fma_f64 v[105:106], v[123:124], v[107:108], v[105:106]
	s_waitcnt vmcnt(14) lgkmcnt(0)
	v_fma_f64 v[105:106], v[121:122], v[109:110], v[105:106]
	s_waitcnt vmcnt(9)
	v_fma_f64 v[115:116], v[117:118], v[111:112], v[105:106]
	ds_read_b128 v[105:108], v104 offset:784
	ds_read_b128 v[109:112], v104 offset:800
	s_waitcnt vmcnt(8) lgkmcnt(1)
	v_fma_f64 v[105:106], v[133:134], v[105:106], v[115:116]
	s_waitcnt vmcnt(7)
	v_fma_f64 v[105:106], v[131:132], v[107:108], v[105:106]
	ds_read_b64 v[107:108], v104 offset:816
	s_waitcnt vmcnt(6) lgkmcnt(1)
	v_fma_f64 v[105:106], v[119:120], v[109:110], v[105:106]
	s_waitcnt vmcnt(3)
	v_fma_f64 v[105:106], v[113:114], v[111:112], v[105:106]
	s_waitcnt vmcnt(2) lgkmcnt(0)
	v_fma_f64 v[105:106], v[125:126], v[107:108], v[105:106]
	s_waitcnt vmcnt(0)
	v_add_f64 v[105:106], v[127:128], -v[105:106]
	buffer_store_dword v106, off, s[0:3], 0 offset:12
	buffer_store_dword v105, off, s[0:3], 0 offset:8
	s_and_saveexec_b64 s[4:5], vcc
	s_cbranch_execz .LBB50_313
; %bb.312:
	buffer_load_dword v105, off, s[0:3], 0
	buffer_load_dword v106, off, s[0:3], 0 offset:4
	s_waitcnt vmcnt(0)
	ds_write_b64 v103, v[105:106]
	buffer_store_dword v104, off, s[0:3], 0
	buffer_store_dword v104, off, s[0:3], 0 offset:4
.LBB50_313:
	s_or_b64 exec, exec, s[4:5]
	s_waitcnt lgkmcnt(0)
	; wave barrier
	buffer_load_dword v113, off, s[0:3], 0 offset:8
	buffer_load_dword v114, off, s[0:3], 0 offset:12
	;; [unrolled: 1-line block ×22, first 2 shown]
	ds_read2_b64 v[105:108], v104 offset0:53 offset1:54
	ds_read2_b64 v[109:112], v104 offset0:55 offset1:56
	s_and_b64 vcc, exec, s[22:23]
	s_waitcnt vmcnt(20) lgkmcnt(1)
	v_fma_f64 v[105:106], v[113:114], v[105:106], 0
	s_waitcnt vmcnt(18)
	v_fma_f64 v[105:106], v[115:116], v[107:108], v[105:106]
	buffer_load_dword v114, off, s[0:3], 0 offset:100
	buffer_load_dword v115, off, s[0:3], 0 offset:120
	;; [unrolled: 1-line block ×7, first 2 shown]
	s_waitcnt vmcnt(23) lgkmcnt(0)
	v_fma_f64 v[105:106], v[117:118], v[109:110], v[105:106]
	s_waitcnt vmcnt(21)
	v_fma_f64 v[116:117], v[119:120], v[111:112], v[105:106]
	ds_read2_b64 v[105:108], v104 offset0:57 offset1:58
	ds_read2_b64 v[109:112], v104 offset0:59 offset1:60
	s_waitcnt vmcnt(19) lgkmcnt(1)
	v_fma_f64 v[105:106], v[121:122], v[105:106], v[116:117]
	buffer_load_dword v116, off, s[0:3], 0 offset:124
	s_waitcnt vmcnt(18)
	v_fma_f64 v[105:106], v[123:124], v[107:108], v[105:106]
	buffer_load_dword v118, off, s[0:3], 0 offset:132
	buffer_load_dword v119, off, s[0:3], 0 offset:152
	;; [unrolled: 1-line block ×8, first 2 shown]
	s_waitcnt vmcnt(24) lgkmcnt(0)
	v_fma_f64 v[105:106], v[125:126], v[109:110], v[105:106]
	s_waitcnt vmcnt(19)
	v_fma_f64 v[125:126], v[127:128], v[111:112], v[105:106]
	ds_read2_b64 v[105:108], v104 offset0:61 offset1:62
	ds_read2_b64 v[109:112], v104 offset0:63 offset1:64
	s_waitcnt vmcnt(18) lgkmcnt(1)
	v_fma_f64 v[105:106], v[133:134], v[105:106], v[125:126]
	s_waitcnt vmcnt(17)
	v_fma_f64 v[105:106], v[131:132], v[107:108], v[105:106]
	buffer_load_dword v126, off, s[0:3], 0 offset:164
	buffer_load_dword v127, off, s[0:3], 0 offset:184
	;; [unrolled: 1-line block ×8, first 2 shown]
	s_waitcnt vmcnt(24) lgkmcnt(0)
	v_fma_f64 v[105:106], v[129:130], v[109:110], v[105:106]
	s_waitcnt vmcnt(19)
	v_fma_f64 v[113:114], v[113:114], v[111:112], v[105:106]
	ds_read2_b64 v[105:108], v104 offset0:65 offset1:66
	ds_read2_b64 v[109:112], v104 offset0:67 offset1:68
	s_waitcnt vmcnt(18) lgkmcnt(1)
	v_fma_f64 v[105:106], v[137:138], v[105:106], v[113:114]
	s_waitcnt vmcnt(17)
	v_fma_f64 v[105:106], v[135:136], v[107:108], v[105:106]
	buffer_load_dword v114, off, s[0:3], 0 offset:196
	buffer_load_dword v129, off, s[0:3], 0 offset:216
	;; [unrolled: 1-line block ×7, first 2 shown]
	s_waitcnt vmcnt(23) lgkmcnt(0)
	v_fma_f64 v[105:106], v[115:116], v[109:110], v[105:106]
	s_waitcnt vmcnt(18)
	v_fma_f64 v[115:116], v[117:118], v[111:112], v[105:106]
	ds_read2_b64 v[105:108], v104 offset0:69 offset1:70
	ds_read2_b64 v[109:112], v104 offset0:71 offset1:72
	buffer_load_dword v130, off, s[0:3], 0 offset:220
	s_waitcnt vmcnt(18) lgkmcnt(1)
	v_fma_f64 v[105:106], v[123:124], v[105:106], v[115:116]
	s_waitcnt vmcnt(17)
	v_fma_f64 v[105:106], v[121:122], v[107:108], v[105:106]
	buffer_load_dword v116, off, s[0:3], 0 offset:228
	buffer_load_dword v117, off, s[0:3], 0 offset:248
	;; [unrolled: 1-line block ×7, first 2 shown]
	s_waitcnt vmcnt(23) lgkmcnt(0)
	v_fma_f64 v[105:106], v[119:120], v[109:110], v[105:106]
	s_waitcnt vmcnt(18)
	v_fma_f64 v[118:119], v[125:126], v[111:112], v[105:106]
	ds_read2_b64 v[105:108], v104 offset0:73 offset1:74
	ds_read2_b64 v[109:112], v104 offset0:75 offset1:76
	s_waitcnt vmcnt(17) lgkmcnt(1)
	v_fma_f64 v[105:106], v[133:134], v[105:106], v[118:119]
	buffer_load_dword v118, off, s[0:3], 0 offset:252
	s_waitcnt vmcnt(17)
	v_fma_f64 v[105:106], v[131:132], v[107:108], v[105:106]
	buffer_load_dword v120, off, s[0:3], 0 offset:260
	buffer_load_dword v125, off, s[0:3], 0 offset:280
	;; [unrolled: 1-line block ×8, first 2 shown]
	s_waitcnt vmcnt(24) lgkmcnt(0)
	v_fma_f64 v[105:106], v[127:128], v[109:110], v[105:106]
	s_waitcnt vmcnt(19)
	v_fma_f64 v[113:114], v[113:114], v[111:112], v[105:106]
	ds_read2_b64 v[105:108], v104 offset0:77 offset1:78
	ds_read2_b64 v[109:112], v104 offset0:79 offset1:80
	s_waitcnt vmcnt(18) lgkmcnt(1)
	v_fma_f64 v[105:106], v[137:138], v[105:106], v[113:114]
	s_waitcnt vmcnt(17)
	v_fma_f64 v[105:106], v[135:136], v[107:108], v[105:106]
	buffer_load_dword v114, off, s[0:3], 0 offset:292
	buffer_load_dword v127, off, s[0:3], 0 offset:312
	buffer_load_dword v135, off, s[0:3], 0 offset:304
	buffer_load_dword v137, off, s[0:3], 0 offset:296
	buffer_load_dword v113, off, s[0:3], 0 offset:288
	buffer_load_dword v138, off, s[0:3], 0 offset:300
	buffer_load_dword v136, off, s[0:3], 0 offset:308
	s_waitcnt vmcnt(23) lgkmcnt(0)
	v_fma_f64 v[105:106], v[129:130], v[109:110], v[105:106]
	s_waitcnt vmcnt(18)
	v_fma_f64 v[115:116], v[115:116], v[111:112], v[105:106]
	ds_read2_b64 v[105:108], v104 offset0:81 offset1:82
	ds_read2_b64 v[109:112], v104 offset0:83 offset1:84
	buffer_load_dword v128, off, s[0:3], 0 offset:316
	s_waitcnt vmcnt(18) lgkmcnt(1)
	v_fma_f64 v[105:106], v[123:124], v[105:106], v[115:116]
	s_waitcnt vmcnt(17)
	v_fma_f64 v[105:106], v[121:122], v[107:108], v[105:106]
	buffer_load_dword v116, off, s[0:3], 0 offset:324
	buffer_load_dword v121, off, s[0:3], 0 offset:344
	;; [unrolled: 1-line block ×8, first 2 shown]
	s_waitcnt vmcnt(24) lgkmcnt(0)
	v_fma_f64 v[105:106], v[117:118], v[109:110], v[105:106]
	s_waitcnt vmcnt(19)
	v_fma_f64 v[117:118], v[119:120], v[111:112], v[105:106]
	ds_read2_b64 v[105:108], v104 offset0:85 offset1:86
	ds_read2_b64 v[109:112], v104 offset0:87 offset1:88
	s_waitcnt vmcnt(18) lgkmcnt(1)
	v_fma_f64 v[105:106], v[133:134], v[105:106], v[117:118]
	s_waitcnt vmcnt(17)
	v_fma_f64 v[105:106], v[131:132], v[107:108], v[105:106]
	buffer_load_dword v118, off, s[0:3], 0 offset:356
	buffer_load_dword v119, off, s[0:3], 0 offset:376
	buffer_load_dword v131, off, s[0:3], 0 offset:368
	buffer_load_dword v133, off, s[0:3], 0 offset:360
	buffer_load_dword v117, off, s[0:3], 0 offset:352
	buffer_load_dword v134, off, s[0:3], 0 offset:364
	buffer_load_dword v132, off, s[0:3], 0 offset:372
	buffer_load_dword v120, off, s[0:3], 0 offset:380
	s_waitcnt vmcnt(24) lgkmcnt(0)
	v_fma_f64 v[105:106], v[125:126], v[109:110], v[105:106]
	s_waitcnt vmcnt(19)
	v_fma_f64 v[113:114], v[113:114], v[111:112], v[105:106]
	ds_read2_b64 v[105:108], v104 offset0:89 offset1:90
	ds_read2_b64 v[109:112], v104 offset0:91 offset1:92
	s_waitcnt vmcnt(18) lgkmcnt(1)
	v_fma_f64 v[105:106], v[137:138], v[105:106], v[113:114]
	s_waitcnt vmcnt(17)
	v_fma_f64 v[106:107], v[135:136], v[107:108], v[105:106]
	buffer_load_dword v126, off, s[0:3], 0 offset:388
	buffer_load_dword v135, off, s[0:3], 0 offset:400
	;; [unrolled: 1-line block ×4, first 2 shown]
	s_waitcnt vmcnt(20) lgkmcnt(0)
	v_fma_f64 v[107:108], v[127:128], v[109:110], v[106:107]
	buffer_load_dword v106, off, s[0:3], 0 offset:396
	buffer_load_dword v136, off, s[0:3], 0 offset:404
	s_waitcnt vmcnt(17)
	v_fma_f64 v[115:116], v[115:116], v[111:112], v[107:108]
	ds_read2_b64 v[107:110], v104 offset0:93 offset1:94
	buffer_load_dword v127, off, s[0:3], 0
	buffer_load_dword v128, off, s[0:3], 0 offset:4
	ds_read2_b64 v[111:114], v104 offset0:95 offset1:96
	s_waitcnt vmcnt(18) lgkmcnt(1)
	v_fma_f64 v[107:108], v[129:130], v[107:108], v[115:116]
	s_waitcnt vmcnt(17)
	v_fma_f64 v[107:108], v[123:124], v[109:110], v[107:108]
	s_waitcnt vmcnt(16) lgkmcnt(0)
	v_fma_f64 v[107:108], v[121:122], v[111:112], v[107:108]
	s_waitcnt vmcnt(11)
	v_fma_f64 v[115:116], v[117:118], v[113:114], v[107:108]
	ds_read2_b64 v[107:110], v104 offset0:97 offset1:98
	ds_read2_b64 v[111:114], v104 offset0:99 offset1:100
	s_waitcnt vmcnt(10) lgkmcnt(1)
	v_fma_f64 v[107:108], v[133:134], v[107:108], v[115:116]
	s_waitcnt vmcnt(9)
	v_fma_f64 v[107:108], v[131:132], v[109:110], v[107:108]
	s_waitcnt vmcnt(8) lgkmcnt(0)
	v_fma_f64 v[107:108], v[119:120], v[111:112], v[107:108]
	s_waitcnt vmcnt(4)
	v_fma_f64 v[111:112], v[125:126], v[113:114], v[107:108]
	ds_read2_b64 v[107:110], v104 offset0:101 offset1:102
	s_waitcnt vmcnt(3) lgkmcnt(0)
	v_fma_f64 v[103:104], v[105:106], v[107:108], v[111:112]
	s_waitcnt vmcnt(2)
	v_fma_f64 v[103:104], v[135:136], v[109:110], v[103:104]
	s_waitcnt vmcnt(0)
	v_add_f64 v[103:104], v[127:128], -v[103:104]
	buffer_store_dword v104, off, s[0:3], 0 offset:4
	buffer_store_dword v103, off, s[0:3], 0
	s_cbranch_vccz .LBB50_414
; %bb.314:
	v_mov_b32_e32 v0, 0
	global_load_dword v103, v0, s[20:21] offset:196
	s_waitcnt vmcnt(0)
	v_add_u32_e32 v103, -1, v103
	v_cmp_ne_u32_e32 vcc, 49, v103
	s_cbranch_vccz .LBB50_316
; %bb.315:
	v_lshlrev_b32_e32 v103, 3, v103
	buffer_load_dword v104, v103, s[0:3], 0 offen
	buffer_load_dword v107, v103, s[0:3], 0 offen offset:4
	s_waitcnt vmcnt(1)
	buffer_store_dword v104, off, s[0:3], 0 offset:392
	s_waitcnt vmcnt(1)
	buffer_store_dword v107, off, s[0:3], 0 offset:396
	buffer_store_dword v105, v103, s[0:3], 0 offen
	buffer_store_dword v106, v103, s[0:3], 0 offen offset:4
.LBB50_316:
	global_load_dword v0, v0, s[20:21] offset:192
	s_waitcnt vmcnt(0)
	v_add_u32_e32 v0, -1, v0
	v_cmp_eq_u32_e32 vcc, 48, v0
	s_cbranch_vccnz .LBB50_318
; %bb.317:
	v_lshlrev_b32_e32 v0, 3, v0
	buffer_load_dword v103, v0, s[0:3], 0 offen
	buffer_load_dword v104, v0, s[0:3], 0 offen offset:4
	buffer_load_dword v105, off, s[0:3], 0 offset:388
	buffer_load_dword v106, off, s[0:3], 0 offset:384
	s_waitcnt vmcnt(3)
	buffer_store_dword v103, off, s[0:3], 0 offset:384
	s_waitcnt vmcnt(3)
	buffer_store_dword v104, off, s[0:3], 0 offset:388
	s_waitcnt vmcnt(3)
	buffer_store_dword v105, v0, s[0:3], 0 offen offset:4
	s_waitcnt vmcnt(3)
	buffer_store_dword v106, v0, s[0:3], 0 offen
.LBB50_318:
	v_mov_b32_e32 v0, 0
	global_load_dword v103, v0, s[20:21] offset:188
	s_waitcnt vmcnt(0)
	v_add_u32_e32 v103, -1, v103
	v_cmp_eq_u32_e32 vcc, 47, v103
	s_cbranch_vccnz .LBB50_320
; %bb.319:
	v_lshlrev_b32_e32 v103, 3, v103
	buffer_load_dword v104, v103, s[0:3], 0 offen
	buffer_load_dword v105, v103, s[0:3], 0 offen offset:4
	buffer_load_dword v106, off, s[0:3], 0 offset:376
	buffer_load_dword v107, off, s[0:3], 0 offset:380
	s_waitcnt vmcnt(3)
	buffer_store_dword v104, off, s[0:3], 0 offset:376
	s_waitcnt vmcnt(3)
	buffer_store_dword v105, off, s[0:3], 0 offset:380
	s_waitcnt vmcnt(3)
	buffer_store_dword v106, v103, s[0:3], 0 offen
	s_waitcnt vmcnt(3)
	buffer_store_dword v107, v103, s[0:3], 0 offen offset:4
.LBB50_320:
	global_load_dword v0, v0, s[20:21] offset:184
	s_waitcnt vmcnt(0)
	v_add_u32_e32 v0, -1, v0
	v_cmp_eq_u32_e32 vcc, 46, v0
	s_cbranch_vccnz .LBB50_322
; %bb.321:
	v_lshlrev_b32_e32 v0, 3, v0
	buffer_load_dword v103, v0, s[0:3], 0 offen
	buffer_load_dword v104, v0, s[0:3], 0 offen offset:4
	buffer_load_dword v105, off, s[0:3], 0 offset:372
	buffer_load_dword v106, off, s[0:3], 0 offset:368
	s_waitcnt vmcnt(3)
	buffer_store_dword v103, off, s[0:3], 0 offset:368
	s_waitcnt vmcnt(3)
	buffer_store_dword v104, off, s[0:3], 0 offset:372
	s_waitcnt vmcnt(3)
	buffer_store_dword v105, v0, s[0:3], 0 offen offset:4
	s_waitcnt vmcnt(3)
	buffer_store_dword v106, v0, s[0:3], 0 offen
.LBB50_322:
	v_mov_b32_e32 v0, 0
	global_load_dword v103, v0, s[20:21] offset:180
	s_waitcnt vmcnt(0)
	v_add_u32_e32 v103, -1, v103
	v_cmp_eq_u32_e32 vcc, 45, v103
	s_cbranch_vccnz .LBB50_324
; %bb.323:
	v_lshlrev_b32_e32 v103, 3, v103
	buffer_load_dword v104, v103, s[0:3], 0 offen
	buffer_load_dword v105, v103, s[0:3], 0 offen offset:4
	buffer_load_dword v106, off, s[0:3], 0 offset:360
	buffer_load_dword v107, off, s[0:3], 0 offset:364
	s_waitcnt vmcnt(3)
	buffer_store_dword v104, off, s[0:3], 0 offset:360
	s_waitcnt vmcnt(3)
	buffer_store_dword v105, off, s[0:3], 0 offset:364
	s_waitcnt vmcnt(3)
	buffer_store_dword v106, v103, s[0:3], 0 offen
	s_waitcnt vmcnt(3)
	buffer_store_dword v107, v103, s[0:3], 0 offen offset:4
.LBB50_324:
	;; [unrolled: 41-line block ×24, first 2 shown]
	global_load_dword v0, v0, s[20:21]
	s_nop 0
	buffer_load_dword v103, off, s[0:3], 0
	buffer_load_dword v104, off, s[0:3], 0 offset:4
	s_waitcnt vmcnt(2)
	v_add_u32_e32 v0, -1, v0
	v_cmp_eq_u32_e32 vcc, 0, v0
	s_cbranch_vccnz .LBB50_414
; %bb.413:
	v_lshlrev_b32_e32 v0, 3, v0
	buffer_load_dword v105, v0, s[0:3], 0 offen offset:4
	buffer_load_dword v106, v0, s[0:3], 0 offen
	s_waitcnt vmcnt(1)
	buffer_store_dword v105, off, s[0:3], 0 offset:4
	s_waitcnt vmcnt(1)
	buffer_store_dword v106, off, s[0:3], 0
	buffer_store_dword v104, v0, s[0:3], 0 offen offset:4
	buffer_store_dword v103, v0, s[0:3], 0 offen
	buffer_load_dword v103, off, s[0:3], 0
	s_nop 0
	buffer_load_dword v104, off, s[0:3], 0 offset:4
.LBB50_414:
	buffer_load_dword v105, off, s[0:3], 0 offset:8
	buffer_load_dword v106, off, s[0:3], 0 offset:12
	;; [unrolled: 1-line block ×100, first 2 shown]
	s_waitcnt vmcnt(62)
	global_store_dwordx2 v[93:94], v[103:104], off
	global_store_dwordx2 v[95:96], v[105:106], off
	;; [unrolled: 1-line block ×20, first 2 shown]
	s_waitcnt vmcnt(62)
	global_store_dwordx2 v[37:38], v[143:144], off
	global_store_dwordx2 v[39:40], v[145:146], off
	global_store_dwordx2 v[41:42], v[147:148], off
	global_store_dwordx2 v[43:44], v[149:150], off
	global_store_dwordx2 v[45:46], v[151:152], off
	global_store_dwordx2 v[47:48], v[153:154], off
	global_store_dwordx2 v[49:50], v[155:156], off
	global_store_dwordx2 v[51:52], v[157:158], off
	global_store_dwordx2 v[53:54], v[159:160], off
	global_store_dwordx2 v[55:56], v[161:162], off
	s_waitcnt vmcnt(62)
	global_store_dwordx2 v[57:58], v[163:164], off
	global_store_dwordx2 v[59:60], v[165:166], off
	global_store_dwordx2 v[61:62], v[167:168], off
	global_store_dwordx2 v[63:64], v[169:170], off
	global_store_dwordx2 v[65:66], v[171:172], off
	s_waitcnt vmcnt(62)
	global_store_dwordx2 v[67:68], v[173:174], off
	global_store_dwordx2 v[69:70], v[175:176], off
	s_waitcnt vmcnt(62)
	global_store_dwordx2 v[71:72], v[177:178], off
	s_waitcnt vmcnt(62)
	;; [unrolled: 2-line block ×14, first 2 shown]
	global_store_dwordx2 v[101:102], v[203:204], off
	s_endpgm
	.section	.rodata,"a",@progbits
	.p2align	6, 0x0
	.amdhsa_kernel _ZN9rocsolver6v33100L18getri_kernel_smallILi51EdPdEEvT1_iilPiilS4_bb
		.amdhsa_group_segment_fixed_size 824
		.amdhsa_private_segment_fixed_size 416
		.amdhsa_kernarg_size 60
		.amdhsa_user_sgpr_count 6
		.amdhsa_user_sgpr_private_segment_buffer 1
		.amdhsa_user_sgpr_dispatch_ptr 0
		.amdhsa_user_sgpr_queue_ptr 0
		.amdhsa_user_sgpr_kernarg_segment_ptr 1
		.amdhsa_user_sgpr_dispatch_id 0
		.amdhsa_user_sgpr_flat_scratch_init 0
		.amdhsa_user_sgpr_private_segment_size 0
		.amdhsa_uses_dynamic_stack 0
		.amdhsa_system_sgpr_private_segment_wavefront_offset 1
		.amdhsa_system_sgpr_workgroup_id_x 1
		.amdhsa_system_sgpr_workgroup_id_y 0
		.amdhsa_system_sgpr_workgroup_id_z 0
		.amdhsa_system_sgpr_workgroup_info 0
		.amdhsa_system_vgpr_workitem_id 0
		.amdhsa_next_free_vgpr 205
		.amdhsa_next_free_sgpr 24
		.amdhsa_reserve_vcc 1
		.amdhsa_reserve_flat_scratch 0
		.amdhsa_float_round_mode_32 0
		.amdhsa_float_round_mode_16_64 0
		.amdhsa_float_denorm_mode_32 3
		.amdhsa_float_denorm_mode_16_64 3
		.amdhsa_dx10_clamp 1
		.amdhsa_ieee_mode 1
		.amdhsa_fp16_overflow 0
		.amdhsa_exception_fp_ieee_invalid_op 0
		.amdhsa_exception_fp_denorm_src 0
		.amdhsa_exception_fp_ieee_div_zero 0
		.amdhsa_exception_fp_ieee_overflow 0
		.amdhsa_exception_fp_ieee_underflow 0
		.amdhsa_exception_fp_ieee_inexact 0
		.amdhsa_exception_int_div_zero 0
	.end_amdhsa_kernel
	.section	.text._ZN9rocsolver6v33100L18getri_kernel_smallILi51EdPdEEvT1_iilPiilS4_bb,"axG",@progbits,_ZN9rocsolver6v33100L18getri_kernel_smallILi51EdPdEEvT1_iilPiilS4_bb,comdat
.Lfunc_end50:
	.size	_ZN9rocsolver6v33100L18getri_kernel_smallILi51EdPdEEvT1_iilPiilS4_bb, .Lfunc_end50-_ZN9rocsolver6v33100L18getri_kernel_smallILi51EdPdEEvT1_iilPiilS4_bb
                                        ; -- End function
	.set _ZN9rocsolver6v33100L18getri_kernel_smallILi51EdPdEEvT1_iilPiilS4_bb.num_vgpr, 205
	.set _ZN9rocsolver6v33100L18getri_kernel_smallILi51EdPdEEvT1_iilPiilS4_bb.num_agpr, 0
	.set _ZN9rocsolver6v33100L18getri_kernel_smallILi51EdPdEEvT1_iilPiilS4_bb.numbered_sgpr, 24
	.set _ZN9rocsolver6v33100L18getri_kernel_smallILi51EdPdEEvT1_iilPiilS4_bb.num_named_barrier, 0
	.set _ZN9rocsolver6v33100L18getri_kernel_smallILi51EdPdEEvT1_iilPiilS4_bb.private_seg_size, 416
	.set _ZN9rocsolver6v33100L18getri_kernel_smallILi51EdPdEEvT1_iilPiilS4_bb.uses_vcc, 1
	.set _ZN9rocsolver6v33100L18getri_kernel_smallILi51EdPdEEvT1_iilPiilS4_bb.uses_flat_scratch, 0
	.set _ZN9rocsolver6v33100L18getri_kernel_smallILi51EdPdEEvT1_iilPiilS4_bb.has_dyn_sized_stack, 0
	.set _ZN9rocsolver6v33100L18getri_kernel_smallILi51EdPdEEvT1_iilPiilS4_bb.has_recursion, 0
	.set _ZN9rocsolver6v33100L18getri_kernel_smallILi51EdPdEEvT1_iilPiilS4_bb.has_indirect_call, 0
	.section	.AMDGPU.csdata,"",@progbits
; Kernel info:
; codeLenInByte = 65792
; TotalNumSgprs: 28
; NumVgprs: 205
; ScratchSize: 416
; MemoryBound: 1
; FloatMode: 240
; IeeeMode: 1
; LDSByteSize: 824 bytes/workgroup (compile time only)
; SGPRBlocks: 3
; VGPRBlocks: 51
; NumSGPRsForWavesPerEU: 28
; NumVGPRsForWavesPerEU: 205
; Occupancy: 1
; WaveLimiterHint : 1
; COMPUTE_PGM_RSRC2:SCRATCH_EN: 1
; COMPUTE_PGM_RSRC2:USER_SGPR: 6
; COMPUTE_PGM_RSRC2:TRAP_HANDLER: 0
; COMPUTE_PGM_RSRC2:TGID_X_EN: 1
; COMPUTE_PGM_RSRC2:TGID_Y_EN: 0
; COMPUTE_PGM_RSRC2:TGID_Z_EN: 0
; COMPUTE_PGM_RSRC2:TIDIG_COMP_CNT: 0
	.section	.text._ZN9rocsolver6v33100L18getri_kernel_smallILi52EdPdEEvT1_iilPiilS4_bb,"axG",@progbits,_ZN9rocsolver6v33100L18getri_kernel_smallILi52EdPdEEvT1_iilPiilS4_bb,comdat
	.globl	_ZN9rocsolver6v33100L18getri_kernel_smallILi52EdPdEEvT1_iilPiilS4_bb ; -- Begin function _ZN9rocsolver6v33100L18getri_kernel_smallILi52EdPdEEvT1_iilPiilS4_bb
	.p2align	8
	.type	_ZN9rocsolver6v33100L18getri_kernel_smallILi52EdPdEEvT1_iilPiilS4_bb,@function
_ZN9rocsolver6v33100L18getri_kernel_smallILi52EdPdEEvT1_iilPiilS4_bb: ; @_ZN9rocsolver6v33100L18getri_kernel_smallILi52EdPdEEvT1_iilPiilS4_bb
; %bb.0:
	s_add_u32 s0, s0, s7
	s_addc_u32 s1, s1, 0
	v_cmp_gt_u32_e32 vcc, 52, v0
	s_and_saveexec_b64 s[8:9], vcc
	s_cbranch_execz .LBB51_216
; %bb.1:
	s_load_dword s12, s[4:5], 0x38
	s_load_dwordx4 s[16:19], s[4:5], 0x10
	s_load_dwordx4 s[8:11], s[4:5], 0x28
                                        ; implicit-def: $sgpr20_sgpr21
	s_waitcnt lgkmcnt(0)
	s_bitcmp1_b32 s12, 8
	s_cselect_b64 s[22:23], -1, 0
	s_ashr_i32 s7, s6, 31
	s_bfe_u32 s12, s12, 0x10008
	s_cmp_eq_u32 s12, 0
	s_cbranch_scc1 .LBB51_3
; %bb.2:
	s_load_dword s12, s[4:5], 0x20
	s_mul_i32 s13, s8, s7
	s_mul_hi_u32 s14, s8, s6
	s_mul_i32 s9, s9, s6
	s_add_i32 s14, s14, s13
	s_add_i32 s9, s14, s9
	s_mul_i32 s8, s8, s6
	s_waitcnt lgkmcnt(0)
	s_ashr_i32 s13, s12, 31
	s_lshl_b64 s[8:9], s[8:9], 2
	s_add_u32 s14, s18, s8
	s_addc_u32 s15, s19, s9
	s_lshl_b64 s[8:9], s[12:13], 2
	s_add_u32 s20, s14, s8
	s_addc_u32 s21, s15, s9
.LBB51_3:
	s_load_dwordx4 s[12:15], s[4:5], 0x0
	s_load_dword s8, s[4:5], 0x38
	s_mul_i32 s9, s16, s7
	s_mul_hi_u32 s18, s16, s6
	s_add_i32 s9, s18, s9
	s_waitcnt lgkmcnt(0)
	s_ashr_i32 s5, s14, 31
	s_mov_b32 s4, s14
	s_mul_i32 s14, s17, s6
	s_add_i32 s17, s9, s14
	s_mul_i32 s16, s16, s6
	s_lshl_b64 s[16:17], s[16:17], 3
	s_add_u32 s9, s12, s16
	s_addc_u32 s12, s13, s17
	s_lshl_b64 s[4:5], s[4:5], 3
	s_add_u32 s4, s9, s4
	s_addc_u32 s5, s12, s5
	s_add_i32 s9, s15, s15
	v_add_u32_e32 v3, s9, v0
	v_ashrrev_i32_e32 v4, 31, v3
	v_lshlrev_b64 v[1:2], 3, v[3:4]
	v_add_u32_e32 v5, s15, v3
	v_mov_b32_e32 v4, s5
	v_add_co_u32_e32 v1, vcc, s4, v1
	v_ashrrev_i32_e32 v6, 31, v5
	v_addc_co_u32_e32 v2, vcc, v4, v2, vcc
	v_lshlrev_b64 v[3:4], 3, v[5:6]
	v_add_u32_e32 v7, s15, v5
	v_mov_b32_e32 v6, s5
	v_add_co_u32_e32 v3, vcc, s4, v3
	v_ashrrev_i32_e32 v8, 31, v7
	v_addc_co_u32_e32 v4, vcc, v6, v4, vcc
	;; [unrolled: 6-line block ×8, first 2 shown]
	v_lshlrev_b64 v[17:18], 3, v[19:20]
	v_mov_b32_e32 v21, s5
	v_add_co_u32_e32 v17, vcc, s4, v17
	v_addc_co_u32_e32 v18, vcc, v21, v18, vcc
	v_add_u32_e32 v21, s15, v19
	v_ashrrev_i32_e32 v22, 31, v21
	v_lshlrev_b64 v[19:20], 3, v[21:22]
	v_mov_b32_e32 v23, s5
	v_add_co_u32_e32 v19, vcc, s4, v19
	v_addc_co_u32_e32 v20, vcc, v23, v20, vcc
	v_add_u32_e32 v23, s15, v21
	v_ashrrev_i32_e32 v24, 31, v23
	;; [unrolled: 6-line block ×35, first 2 shown]
	v_lshlrev_b64 v[87:88], 3, v[89:90]
	v_mov_b32_e32 v91, s5
	v_add_co_u32_e32 v87, vcc, s4, v87
	v_addc_co_u32_e32 v88, vcc, v91, v88, vcc
	v_lshlrev_b32_e32 v107, 3, v0
	global_load_dwordx2 v[105:106], v107, s[4:5]
	global_load_dwordx2 v[110:111], v[1:2], off
	global_load_dwordx2 v[112:113], v[3:4], off
	;; [unrolled: 1-line block ×3, first 2 shown]
	v_mov_b32_e32 v90, s5
	v_add_co_u32_e32 v95, vcc, s4, v107
	s_ashr_i32 s13, s15, 31
	s_mov_b32 s12, s15
	v_addc_co_u32_e32 v96, vcc, 0, v90, vcc
	s_lshl_b64 s[12:13], s[12:13], 3
	v_mov_b32_e32 v90, s13
	v_add_co_u32_e32 v97, vcc, s12, v95
	v_addc_co_u32_e32 v98, vcc, v96, v90, vcc
	global_load_dwordx2 v[108:109], v[97:98], off
	v_add_u32_e32 v91, s15, v89
	v_ashrrev_i32_e32 v92, 31, v91
	v_lshlrev_b64 v[89:90], 3, v[91:92]
	global_load_dwordx2 v[116:117], v[7:8], off
	global_load_dwordx2 v[118:119], v[9:10], off
	v_mov_b32_e32 v93, s5
	v_add_co_u32_e32 v89, vcc, s4, v89
	v_addc_co_u32_e32 v90, vcc, v93, v90, vcc
	v_add_u32_e32 v93, s15, v91
	v_ashrrev_i32_e32 v94, 31, v93
	v_lshlrev_b64 v[91:92], 3, v[93:94]
	v_mov_b32_e32 v99, s5
	v_add_co_u32_e32 v91, vcc, s4, v91
	v_addc_co_u32_e32 v92, vcc, v99, v92, vcc
	v_add_u32_e32 v99, s15, v93
	global_load_dwordx2 v[120:121], v[11:12], off
	global_load_dwordx2 v[122:123], v[13:14], off
	;; [unrolled: 1-line block ×4, first 2 shown]
	v_ashrrev_i32_e32 v100, 31, v99
	v_lshlrev_b64 v[93:94], 3, v[99:100]
	v_mov_b32_e32 v101, s5
	v_add_co_u32_e32 v93, vcc, s4, v93
	v_addc_co_u32_e32 v94, vcc, v101, v94, vcc
	v_add_u32_e32 v101, s15, v99
	v_ashrrev_i32_e32 v102, 31, v101
	v_lshlrev_b64 v[99:100], 3, v[101:102]
	v_mov_b32_e32 v103, s5
	v_add_co_u32_e32 v99, vcc, s4, v99
	v_addc_co_u32_e32 v100, vcc, v103, v100, vcc
	v_add_u32_e32 v103, s15, v101
	v_ashrrev_i32_e32 v104, 31, v103
	v_lshlrev_b64 v[101:102], 3, v[103:104]
	v_mov_b32_e32 v146, s5
	v_add_co_u32_e32 v101, vcc, s4, v101
	global_load_dwordx2 v[128:129], v[19:20], off
	global_load_dwordx2 v[130:131], v[21:22], off
	global_load_dwordx2 v[132:133], v[23:24], off
	global_load_dwordx2 v[134:135], v[25:26], off
	global_load_dwordx2 v[136:137], v[27:28], off
	global_load_dwordx2 v[138:139], v[29:30], off
	global_load_dwordx2 v[140:141], v[31:32], off
	global_load_dwordx2 v[142:143], v[33:34], off
	global_load_dwordx2 v[144:145], v[35:36], off
	v_addc_co_u32_e32 v102, vcc, v146, v102, vcc
	global_load_dwordx2 v[146:147], v[37:38], off
	global_load_dwordx2 v[148:149], v[39:40], off
	;; [unrolled: 1-line block ×8, first 2 shown]
	v_add_u32_e32 v103, s15, v103
	v_ashrrev_i32_e32 v104, 31, v103
	v_lshlrev_b64 v[103:104], 3, v[103:104]
	v_mov_b32_e32 v162, s5
	v_add_co_u32_e32 v103, vcc, s4, v103
	v_addc_co_u32_e32 v104, vcc, v162, v104, vcc
	global_load_dwordx2 v[162:163], v[53:54], off
	global_load_dwordx2 v[164:165], v[55:56], off
	;; [unrolled: 1-line block ×13, first 2 shown]
	s_bitcmp0_b32 s8, 0
	s_waitcnt vmcnt(40)
	buffer_store_dword v106, off, s[0:3], 0 offset:4
	buffer_store_dword v105, off, s[0:3], 0
	global_load_dwordx2 v[105:106], v[57:58], off
	s_mov_b64 s[8:9], -1
	s_waitcnt vmcnt(39)
	buffer_store_dword v109, off, s[0:3], 0 offset:12
	buffer_store_dword v108, off, s[0:3], 0 offset:8
	global_load_dwordx2 v[108:109], v[61:62], off
	s_nop 0
	buffer_store_dword v111, off, s[0:3], 0 offset:20
	buffer_store_dword v110, off, s[0:3], 0 offset:16
	global_load_dwordx2 v[110:111], v[65:66], off
	s_nop 0
	;; [unrolled: 4-line block ×3, first 2 shown]
	buffer_store_dword v115, off, s[0:3], 0 offset:36
	buffer_store_dword v114, off, s[0:3], 0 offset:32
	global_load_dwordx2 v[114:115], v[73:74], off
	s_waitcnt vmcnt(50)
	buffer_store_dword v117, off, s[0:3], 0 offset:44
	buffer_store_dword v116, off, s[0:3], 0 offset:40
	global_load_dwordx2 v[116:117], v[77:78], off
	s_waitcnt vmcnt(52)
	;; [unrolled: 4-line block ×7, first 2 shown]
	buffer_store_dword v128, off, s[0:3], 0 offset:88
	buffer_store_dword v129, off, s[0:3], 0 offset:92
	s_waitcnt vmcnt(62)
	buffer_store_dword v130, off, s[0:3], 0 offset:96
	buffer_store_dword v131, off, s[0:3], 0 offset:100
	;; [unrolled: 1-line block ×4, first 2 shown]
	s_waitcnt vmcnt(62)
	buffer_store_dword v135, off, s[0:3], 0 offset:116
	buffer_store_dword v134, off, s[0:3], 0 offset:112
	;; [unrolled: 1-line block ×8, first 2 shown]
	s_waitcnt vmcnt(62)
	buffer_store_dword v142, off, s[0:3], 0 offset:144
	buffer_store_dword v143, off, s[0:3], 0 offset:148
	;; [unrolled: 1-line block ×16, first 2 shown]
	s_waitcnt vmcnt(62)
	buffer_store_dword v159, off, s[0:3], 0 offset:212
	buffer_store_dword v158, off, s[0:3], 0 offset:208
	;; [unrolled: 1-line block ×8, first 2 shown]
	s_waitcnt vmcnt(62)
	buffer_store_dword v105, off, s[0:3], 0 offset:240
	buffer_store_dword v106, off, s[0:3], 0 offset:244
	;; [unrolled: 1-line block ×12, first 2 shown]
	s_waitcnt vmcnt(62)
	buffer_store_dword v112, off, s[0:3], 0 offset:288
	buffer_store_dword v113, off, s[0:3], 0 offset:292
	;; [unrolled: 1-line block ×16, first 2 shown]
	s_waitcnt vmcnt(62)
	buffer_store_dword v121, off, s[0:3], 0 offset:356
	buffer_store_dword v120, off, s[0:3], 0 offset:352
	;; [unrolled: 1-line block ×16, first 2 shown]
	s_cbranch_scc1 .LBB51_214
; %bb.4:
	v_cmp_eq_u32_e64 s[4:5], 0, v0
	s_and_saveexec_b64 s[8:9], s[4:5]
; %bb.5:
	v_mov_b32_e32 v105, 0
	ds_write_b32 v105, v105 offset:832
; %bb.6:
	s_or_b64 exec, exec, s[8:9]
	v_mov_b32_e32 v105, 0
	v_lshl_add_u32 v105, v0, 3, v105
	s_waitcnt lgkmcnt(0)
	; wave barrier
	buffer_load_dword v108, v105, s[0:3], 0 offen
	buffer_load_dword v109, v105, s[0:3], 0 offen offset:4
	s_waitcnt vmcnt(0)
	v_cmp_eq_f64_e32 vcc, 0, v[108:109]
	s_and_saveexec_b64 s[12:13], vcc
	s_cbranch_execz .LBB51_10
; %bb.7:
	v_mov_b32_e32 v106, 0
	ds_read_b32 v109, v106 offset:832
	v_add_u32_e32 v108, 1, v0
	s_waitcnt lgkmcnt(0)
	v_readfirstlane_b32 s8, v109
	s_cmp_eq_u32 s8, 0
	s_cselect_b64 s[14:15], -1, 0
	v_cmp_gt_i32_e32 vcc, s8, v108
	s_or_b64 s[14:15], s[14:15], vcc
	s_and_b64 exec, exec, s[14:15]
	s_cbranch_execz .LBB51_10
; %bb.8:
	s_mov_b64 s[14:15], 0
	v_mov_b32_e32 v109, s8
.LBB51_9:                               ; =>This Inner Loop Header: Depth=1
	ds_cmpst_rtn_b32 v109, v106, v109, v108 offset:832
	s_waitcnt lgkmcnt(0)
	v_cmp_ne_u32_e32 vcc, 0, v109
	v_cmp_le_i32_e64 s[8:9], v109, v108
	s_and_b64 s[8:9], vcc, s[8:9]
	s_and_b64 s[8:9], exec, s[8:9]
	s_or_b64 s[14:15], s[8:9], s[14:15]
	s_andn2_b64 exec, exec, s[14:15]
	s_cbranch_execnz .LBB51_9
.LBB51_10:
	s_or_b64 exec, exec, s[12:13]
	v_mov_b32_e32 v108, 0
	; wave barrier
	ds_read_b32 v106, v108 offset:832
	s_and_saveexec_b64 s[8:9], s[4:5]
	s_cbranch_execz .LBB51_12
; %bb.11:
	s_lshl_b64 s[12:13], s[6:7], 2
	s_add_u32 s12, s10, s12
	s_addc_u32 s13, s11, s13
	s_waitcnt lgkmcnt(0)
	global_store_dword v108, v106, s[12:13]
.LBB51_12:
	s_or_b64 exec, exec, s[8:9]
	s_waitcnt lgkmcnt(0)
	v_cmp_ne_u32_e32 vcc, 0, v106
	s_mov_b64 s[8:9], 0
	s_cbranch_vccnz .LBB51_214
; %bb.13:
	buffer_load_dword v108, v105, s[0:3], 0 offen
	buffer_load_dword v109, v105, s[0:3], 0 offen offset:4
	s_waitcnt vmcnt(0)
	v_div_scale_f64 v[110:111], s[8:9], v[108:109], v[108:109], 1.0
	v_rcp_f64_e32 v[112:113], v[110:111]
	v_fma_f64 v[114:115], -v[110:111], v[112:113], 1.0
	v_fma_f64 v[112:113], v[112:113], v[114:115], v[112:113]
	v_div_scale_f64 v[114:115], vcc, 1.0, v[108:109], 1.0
	v_fma_f64 v[116:117], -v[110:111], v[112:113], 1.0
	v_fma_f64 v[112:113], v[112:113], v[116:117], v[112:113]
	v_mul_f64 v[116:117], v[114:115], v[112:113]
	v_fma_f64 v[110:111], -v[110:111], v[116:117], v[114:115]
	v_div_fmas_f64 v[110:111], v[110:111], v[112:113], v[116:117]
	v_div_fixup_f64 v[109:110], v[110:111], v[108:109], 1.0
	v_add_u32_e32 v108, 0x1a0, v107
	buffer_store_dword v110, v105, s[0:3], 0 offen offset:4
	buffer_store_dword v109, v105, s[0:3], 0 offen
	buffer_load_dword v112, off, s[0:3], 0 offset:12
	buffer_load_dword v111, off, s[0:3], 0 offset:8
	v_xor_b32_e32 v110, 0x80000000, v110
	s_waitcnt vmcnt(0)
	ds_write2_b64 v107, v[109:110], v[111:112] offset1:52
	s_waitcnt lgkmcnt(0)
	; wave barrier
	s_and_saveexec_b64 s[8:9], s[4:5]
	s_cbranch_execz .LBB51_15
; %bb.14:
	buffer_load_dword v109, v105, s[0:3], 0 offen
	buffer_load_dword v110, v105, s[0:3], 0 offen offset:4
	ds_read_b64 v[111:112], v108
	v_mov_b32_e32 v106, 0
	ds_read_b64 v[113:114], v106 offset:8
	s_waitcnt vmcnt(0) lgkmcnt(1)
	v_fma_f64 v[109:110], v[109:110], v[111:112], 0
	s_waitcnt lgkmcnt(0)
	v_mul_f64 v[109:110], v[109:110], v[113:114]
	buffer_store_dword v109, off, s[0:3], 0 offset:8
	buffer_store_dword v110, off, s[0:3], 0 offset:12
.LBB51_15:
	s_or_b64 exec, exec, s[8:9]
	; wave barrier
	buffer_load_dword v109, off, s[0:3], 0 offset:16
	buffer_load_dword v110, off, s[0:3], 0 offset:20
	v_cmp_gt_u32_e32 vcc, 2, v0
	s_waitcnt vmcnt(0)
	ds_write_b64 v108, v[109:110]
	s_waitcnt lgkmcnt(0)
	; wave barrier
	s_and_saveexec_b64 s[8:9], vcc
	s_cbranch_execz .LBB51_17
; %bb.16:
	buffer_load_dword v109, v105, s[0:3], 0 offen
	buffer_load_dword v110, v105, s[0:3], 0 offen offset:4
                                        ; kill: killed $vgpr105
	s_nop 0
	buffer_load_dword v105, off, s[0:3], 0 offset:8
	buffer_load_dword v106, off, s[0:3], 0 offset:12
	ds_read_b64 v[111:112], v108
	s_waitcnt vmcnt(2) lgkmcnt(0)
	v_fma_f64 v[113:114], v[109:110], v[111:112], 0
	v_mov_b32_e32 v109, 0
	ds_read2_b64 v[109:112], v109 offset0:2 offset1:53
	s_waitcnt vmcnt(0) lgkmcnt(0)
	v_fma_f64 v[105:106], v[105:106], v[111:112], v[113:114]
	v_cndmask_b32_e64 v106, v114, v106, s[4:5]
	v_cndmask_b32_e64 v105, v113, v105, s[4:5]
	v_mul_f64 v[105:106], v[105:106], v[109:110]
	buffer_store_dword v106, off, s[0:3], 0 offset:20
	buffer_store_dword v105, off, s[0:3], 0 offset:16
.LBB51_17:
	s_or_b64 exec, exec, s[8:9]
	; wave barrier
	buffer_load_dword v105, off, s[0:3], 0 offset:24
	buffer_load_dword v106, off, s[0:3], 0 offset:28
	v_cmp_gt_u32_e32 vcc, 3, v0
	v_add_u32_e32 v109, -1, v0
	s_waitcnt vmcnt(0)
	ds_write_b64 v108, v[105:106]
	s_waitcnt lgkmcnt(0)
	; wave barrier
	s_and_saveexec_b64 s[4:5], vcc
	s_cbranch_execz .LBB51_21
; %bb.18:
	v_mov_b32_e32 v105, 0
	v_add_u32_e32 v110, -1, v0
	v_add_u32_e32 v111, 0x1a0, v107
	v_mov_b32_e32 v112, v107
	v_mov_b32_e32 v106, 0
	s_mov_b64 s[8:9], 0
.LBB51_19:                              ; =>This Inner Loop Header: Depth=1
	buffer_load_dword v113, v112, s[0:3], 0 offen
	buffer_load_dword v114, v112, s[0:3], 0 offen offset:4
	ds_read_b64 v[115:116], v111
	v_add_u32_e32 v110, 1, v110
	v_cmp_lt_u32_e32 vcc, 1, v110
	v_add_u32_e32 v111, 8, v111
	s_or_b64 s[8:9], vcc, s[8:9]
	v_add_u32_e32 v112, 8, v112
	s_waitcnt vmcnt(0) lgkmcnt(0)
	v_fma_f64 v[105:106], v[113:114], v[115:116], v[105:106]
	s_andn2_b64 exec, exec, s[8:9]
	s_cbranch_execnz .LBB51_19
; %bb.20:
	s_or_b64 exec, exec, s[8:9]
	v_mov_b32_e32 v110, 0
	ds_read_b64 v[110:111], v110 offset:24
	s_waitcnt lgkmcnt(0)
	v_mul_f64 v[105:106], v[105:106], v[110:111]
	buffer_store_dword v106, off, s[0:3], 0 offset:28
	buffer_store_dword v105, off, s[0:3], 0 offset:24
.LBB51_21:
	s_or_b64 exec, exec, s[4:5]
	; wave barrier
	buffer_load_dword v105, off, s[0:3], 0 offset:32
	buffer_load_dword v106, off, s[0:3], 0 offset:36
	v_cmp_gt_u32_e32 vcc, 4, v0
	s_waitcnt vmcnt(0)
	ds_write_b64 v108, v[105:106]
	s_waitcnt lgkmcnt(0)
	; wave barrier
	s_and_saveexec_b64 s[4:5], vcc
	s_cbranch_execz .LBB51_25
; %bb.22:
	v_mov_b32_e32 v105, 0
	v_add_u32_e32 v110, -1, v0
	v_add_u32_e32 v111, 0x1a0, v107
	v_mov_b32_e32 v112, v107
	v_mov_b32_e32 v106, 0
	s_mov_b64 s[8:9], 0
.LBB51_23:                              ; =>This Inner Loop Header: Depth=1
	buffer_load_dword v113, v112, s[0:3], 0 offen
	buffer_load_dword v114, v112, s[0:3], 0 offen offset:4
	ds_read_b64 v[115:116], v111
	v_add_u32_e32 v110, 1, v110
	v_cmp_lt_u32_e32 vcc, 2, v110
	v_add_u32_e32 v111, 8, v111
	s_or_b64 s[8:9], vcc, s[8:9]
	v_add_u32_e32 v112, 8, v112
	s_waitcnt vmcnt(0) lgkmcnt(0)
	v_fma_f64 v[105:106], v[113:114], v[115:116], v[105:106]
	s_andn2_b64 exec, exec, s[8:9]
	s_cbranch_execnz .LBB51_23
; %bb.24:
	s_or_b64 exec, exec, s[8:9]
	v_mov_b32_e32 v110, 0
	ds_read_b64 v[110:111], v110 offset:32
	s_waitcnt lgkmcnt(0)
	v_mul_f64 v[105:106], v[105:106], v[110:111]
	buffer_store_dword v106, off, s[0:3], 0 offset:36
	buffer_store_dword v105, off, s[0:3], 0 offset:32
.LBB51_25:
	s_or_b64 exec, exec, s[4:5]
	; wave barrier
	buffer_load_dword v105, off, s[0:3], 0 offset:40
	buffer_load_dword v106, off, s[0:3], 0 offset:44
	v_cmp_gt_u32_e32 vcc, 5, v0
	;; [unrolled: 40-line block ×21, first 2 shown]
	s_waitcnt vmcnt(0)
	ds_write_b64 v108, v[105:106]
	s_waitcnt lgkmcnt(0)
	; wave barrier
	s_and_saveexec_b64 s[4:5], vcc
	s_cbranch_execz .LBB51_105
; %bb.102:
	v_mov_b32_e32 v105, 0
	v_add_u32_e32 v110, -1, v0
	v_add_u32_e32 v111, 0x1a0, v107
	v_mov_b32_e32 v112, v107
	v_mov_b32_e32 v106, 0
	s_mov_b64 s[8:9], 0
.LBB51_103:                             ; =>This Inner Loop Header: Depth=1
	buffer_load_dword v113, v112, s[0:3], 0 offen
	buffer_load_dword v114, v112, s[0:3], 0 offen offset:4
	ds_read_b64 v[115:116], v111
	v_add_u32_e32 v110, 1, v110
	v_cmp_lt_u32_e32 vcc, 22, v110
	v_add_u32_e32 v111, 8, v111
	s_or_b64 s[8:9], vcc, s[8:9]
	v_add_u32_e32 v112, 8, v112
	s_waitcnt vmcnt(0) lgkmcnt(0)
	v_fma_f64 v[105:106], v[113:114], v[115:116], v[105:106]
	s_andn2_b64 exec, exec, s[8:9]
	s_cbranch_execnz .LBB51_103
; %bb.104:
	s_or_b64 exec, exec, s[8:9]
	v_mov_b32_e32 v110, 0
	ds_read_b64 v[110:111], v110 offset:192
	s_waitcnt lgkmcnt(0)
	v_mul_f64 v[105:106], v[105:106], v[110:111]
	buffer_store_dword v106, off, s[0:3], 0 offset:196
	buffer_store_dword v105, off, s[0:3], 0 offset:192
.LBB51_105:
	s_or_b64 exec, exec, s[4:5]
	; wave barrier
	buffer_load_dword v105, off, s[0:3], 0 offset:200
	buffer_load_dword v106, off, s[0:3], 0 offset:204
	v_cmp_gt_u32_e32 vcc, 25, v0
	s_waitcnt vmcnt(0)
	ds_write_b64 v108, v[105:106]
	s_waitcnt lgkmcnt(0)
	; wave barrier
	s_and_saveexec_b64 s[4:5], vcc
	s_cbranch_execz .LBB51_109
; %bb.106:
	v_mov_b32_e32 v105, 0
	v_add_u32_e32 v110, -1, v0
	v_add_u32_e32 v111, 0x1a0, v107
	v_mov_b32_e32 v112, v107
	v_mov_b32_e32 v106, 0
	s_mov_b64 s[8:9], 0
.LBB51_107:                             ; =>This Inner Loop Header: Depth=1
	buffer_load_dword v113, v112, s[0:3], 0 offen
	buffer_load_dword v114, v112, s[0:3], 0 offen offset:4
	ds_read_b64 v[115:116], v111
	v_add_u32_e32 v110, 1, v110
	v_cmp_lt_u32_e32 vcc, 23, v110
	v_add_u32_e32 v111, 8, v111
	s_or_b64 s[8:9], vcc, s[8:9]
	v_add_u32_e32 v112, 8, v112
	s_waitcnt vmcnt(0) lgkmcnt(0)
	v_fma_f64 v[105:106], v[113:114], v[115:116], v[105:106]
	s_andn2_b64 exec, exec, s[8:9]
	s_cbranch_execnz .LBB51_107
; %bb.108:
	s_or_b64 exec, exec, s[8:9]
	v_mov_b32_e32 v110, 0
	ds_read_b64 v[110:111], v110 offset:200
	s_waitcnt lgkmcnt(0)
	v_mul_f64 v[105:106], v[105:106], v[110:111]
	buffer_store_dword v106, off, s[0:3], 0 offset:204
	buffer_store_dword v105, off, s[0:3], 0 offset:200
.LBB51_109:
	s_or_b64 exec, exec, s[4:5]
	; wave barrier
	buffer_load_dword v105, off, s[0:3], 0 offset:208
	buffer_load_dword v106, off, s[0:3], 0 offset:212
	v_cmp_gt_u32_e32 vcc, 26, v0
	;; [unrolled: 40-line block ×26, first 2 shown]
	s_waitcnt vmcnt(0)
	ds_write_b64 v108, v[105:106]
	s_waitcnt lgkmcnt(0)
	; wave barrier
	s_and_saveexec_b64 s[4:5], vcc
	s_cbranch_execz .LBB51_209
; %bb.206:
	v_mov_b32_e32 v105, 0
	v_add_u32_e32 v110, -1, v0
	v_add_u32_e32 v111, 0x1a0, v107
	v_mov_b32_e32 v112, v107
	v_mov_b32_e32 v106, 0
	s_mov_b64 s[8:9], 0
.LBB51_207:                             ; =>This Inner Loop Header: Depth=1
	buffer_load_dword v113, v112, s[0:3], 0 offen
	buffer_load_dword v114, v112, s[0:3], 0 offen offset:4
	ds_read_b64 v[115:116], v111
	v_add_u32_e32 v110, 1, v110
	v_cmp_lt_u32_e32 vcc, 48, v110
	v_add_u32_e32 v111, 8, v111
	s_or_b64 s[8:9], vcc, s[8:9]
	v_add_u32_e32 v112, 8, v112
	s_waitcnt vmcnt(0) lgkmcnt(0)
	v_fma_f64 v[105:106], v[113:114], v[115:116], v[105:106]
	s_andn2_b64 exec, exec, s[8:9]
	s_cbranch_execnz .LBB51_207
; %bb.208:
	s_or_b64 exec, exec, s[8:9]
	v_mov_b32_e32 v110, 0
	ds_read_b64 v[110:111], v110 offset:400
	s_waitcnt lgkmcnt(0)
	v_mul_f64 v[105:106], v[105:106], v[110:111]
	buffer_store_dword v106, off, s[0:3], 0 offset:404
	buffer_store_dword v105, off, s[0:3], 0 offset:400
.LBB51_209:
	s_or_b64 exec, exec, s[4:5]
	; wave barrier
	buffer_load_dword v105, off, s[0:3], 0 offset:408
	buffer_load_dword v106, off, s[0:3], 0 offset:412
	v_cmp_ne_u32_e32 vcc, 51, v0
	s_waitcnt vmcnt(0)
	ds_write_b64 v108, v[105:106]
	s_waitcnt lgkmcnt(0)
	; wave barrier
	s_and_saveexec_b64 s[4:5], vcc
	s_cbranch_execz .LBB51_213
; %bb.210:
	v_mov_b32_e32 v105, 0
	v_add_u32_e32 v108, 0x1a0, v107
	v_mov_b32_e32 v106, 0
	s_mov_b64 s[8:9], 0
.LBB51_211:                             ; =>This Inner Loop Header: Depth=1
	buffer_load_dword v110, v107, s[0:3], 0 offen
	buffer_load_dword v111, v107, s[0:3], 0 offen offset:4
	ds_read_b64 v[112:113], v108
	v_add_u32_e32 v109, 1, v109
	v_cmp_lt_u32_e32 vcc, 49, v109
	v_add_u32_e32 v108, 8, v108
	s_or_b64 s[8:9], vcc, s[8:9]
	v_add_u32_e32 v107, 8, v107
	s_waitcnt vmcnt(0) lgkmcnt(0)
	v_fma_f64 v[105:106], v[110:111], v[112:113], v[105:106]
	s_andn2_b64 exec, exec, s[8:9]
	s_cbranch_execnz .LBB51_211
; %bb.212:
	s_or_b64 exec, exec, s[8:9]
	v_mov_b32_e32 v107, 0
	ds_read_b64 v[107:108], v107 offset:408
	s_waitcnt lgkmcnt(0)
	v_mul_f64 v[105:106], v[105:106], v[107:108]
	buffer_store_dword v106, off, s[0:3], 0 offset:412
	buffer_store_dword v105, off, s[0:3], 0 offset:408
.LBB51_213:
	s_or_b64 exec, exec, s[4:5]
	s_mov_b64 s[8:9], -1
	; wave barrier
.LBB51_214:
	s_and_b64 vcc, exec, s[8:9]
	s_cbranch_vccz .LBB51_216
; %bb.215:
	s_lshl_b64 s[4:5], s[6:7], 2
	s_add_u32 s4, s10, s4
	s_addc_u32 s5, s11, s5
	v_mov_b32_e32 v105, 0
	global_load_dword v105, v105, s[4:5]
	s_waitcnt vmcnt(0)
	v_cmp_ne_u32_e32 vcc, 0, v105
	s_cbranch_vccz .LBB51_217
.LBB51_216:
	s_endpgm
.LBB51_217:
	v_mov_b32_e32 v105, 0x1a0
	v_lshl_add_u32 v105, v0, 3, v105
	v_cmp_eq_u32_e32 vcc, 51, v0
	s_and_saveexec_b64 s[4:5], vcc
	s_cbranch_execz .LBB51_219
; %bb.218:
	buffer_load_dword v106, off, s[0:3], 0 offset:400
	buffer_load_dword v107, off, s[0:3], 0 offset:404
	v_mov_b32_e32 v108, 0
	buffer_store_dword v108, off, s[0:3], 0 offset:400
	buffer_store_dword v108, off, s[0:3], 0 offset:404
	s_waitcnt vmcnt(2)
	ds_write_b64 v105, v[106:107]
.LBB51_219:
	s_or_b64 exec, exec, s[4:5]
	s_waitcnt lgkmcnt(0)
	; wave barrier
	buffer_load_dword v107, off, s[0:3], 0 offset:408
	buffer_load_dword v108, off, s[0:3], 0 offset:412
	;; [unrolled: 1-line block ×4, first 2 shown]
	v_mov_b32_e32 v106, 0
	ds_read_b64 v[111:112], v106 offset:824
	v_cmp_lt_u32_e32 vcc, 49, v0
	s_waitcnt vmcnt(2) lgkmcnt(0)
	v_fma_f64 v[107:108], v[107:108], v[111:112], 0
	s_waitcnt vmcnt(0)
	v_add_f64 v[107:108], v[109:110], -v[107:108]
	buffer_store_dword v107, off, s[0:3], 0 offset:400
	buffer_store_dword v108, off, s[0:3], 0 offset:404
	s_and_saveexec_b64 s[4:5], vcc
	s_cbranch_execz .LBB51_221
; %bb.220:
	buffer_load_dword v107, off, s[0:3], 0 offset:392
	buffer_load_dword v108, off, s[0:3], 0 offset:396
	s_waitcnt vmcnt(0)
	ds_write_b64 v105, v[107:108]
	buffer_store_dword v106, off, s[0:3], 0 offset:392
	buffer_store_dword v106, off, s[0:3], 0 offset:396
.LBB51_221:
	s_or_b64 exec, exec, s[4:5]
	s_waitcnt lgkmcnt(0)
	; wave barrier
	buffer_load_dword v110, off, s[0:3], 0 offset:400
	buffer_load_dword v111, off, s[0:3], 0 offset:404
	;; [unrolled: 1-line block ×6, first 2 shown]
	ds_read_b128 v[106:109], v106 offset:816
	v_cmp_lt_u32_e32 vcc, 48, v0
	s_waitcnt vmcnt(4) lgkmcnt(0)
	v_fma_f64 v[106:107], v[110:111], v[106:107], 0
	s_waitcnt vmcnt(2)
	v_fma_f64 v[106:107], v[112:113], v[108:109], v[106:107]
	s_waitcnt vmcnt(0)
	v_add_f64 v[106:107], v[114:115], -v[106:107]
	buffer_store_dword v106, off, s[0:3], 0 offset:392
	buffer_store_dword v107, off, s[0:3], 0 offset:396
	s_and_saveexec_b64 s[4:5], vcc
	s_cbranch_execz .LBB51_223
; %bb.222:
	buffer_load_dword v106, off, s[0:3], 0 offset:384
	buffer_load_dword v107, off, s[0:3], 0 offset:388
	v_mov_b32_e32 v108, 0
	buffer_store_dword v108, off, s[0:3], 0 offset:384
	buffer_store_dword v108, off, s[0:3], 0 offset:388
	s_waitcnt vmcnt(2)
	ds_write_b64 v105, v[106:107]
.LBB51_223:
	s_or_b64 exec, exec, s[4:5]
	s_waitcnt lgkmcnt(0)
	; wave barrier
	buffer_load_dword v111, off, s[0:3], 0 offset:392
	buffer_load_dword v112, off, s[0:3], 0 offset:396
	;; [unrolled: 1-line block ×8, first 2 shown]
	v_mov_b32_e32 v106, 0
	ds_read2_b64 v[107:110], v106 offset0:101 offset1:102
	ds_read_b64 v[119:120], v106 offset:824
	v_cmp_lt_u32_e32 vcc, 47, v0
	s_waitcnt vmcnt(6) lgkmcnt(1)
	v_fma_f64 v[107:108], v[111:112], v[107:108], 0
	s_waitcnt vmcnt(4)
	v_fma_f64 v[107:108], v[113:114], v[109:110], v[107:108]
	s_waitcnt vmcnt(2) lgkmcnt(0)
	v_fma_f64 v[107:108], v[115:116], v[119:120], v[107:108]
	s_waitcnt vmcnt(0)
	v_add_f64 v[107:108], v[117:118], -v[107:108]
	buffer_store_dword v107, off, s[0:3], 0 offset:384
	buffer_store_dword v108, off, s[0:3], 0 offset:388
	s_and_saveexec_b64 s[4:5], vcc
	s_cbranch_execz .LBB51_225
; %bb.224:
	buffer_load_dword v107, off, s[0:3], 0 offset:376
	buffer_load_dword v108, off, s[0:3], 0 offset:380
	s_waitcnt vmcnt(0)
	ds_write_b64 v105, v[107:108]
	buffer_store_dword v106, off, s[0:3], 0 offset:376
	buffer_store_dword v106, off, s[0:3], 0 offset:380
.LBB51_225:
	s_or_b64 exec, exec, s[4:5]
	s_waitcnt lgkmcnt(0)
	; wave barrier
	buffer_load_dword v115, off, s[0:3], 0 offset:384
	buffer_load_dword v116, off, s[0:3], 0 offset:388
	;; [unrolled: 1-line block ×10, first 2 shown]
	ds_read_b128 v[107:110], v106 offset:800
	ds_read_b128 v[111:114], v106 offset:816
	v_cmp_lt_u32_e32 vcc, 46, v0
	s_waitcnt vmcnt(8) lgkmcnt(1)
	v_fma_f64 v[106:107], v[115:116], v[107:108], 0
	s_waitcnt vmcnt(6)
	v_fma_f64 v[106:107], v[117:118], v[109:110], v[106:107]
	s_waitcnt vmcnt(4) lgkmcnt(0)
	v_fma_f64 v[106:107], v[119:120], v[111:112], v[106:107]
	s_waitcnt vmcnt(2)
	v_fma_f64 v[106:107], v[121:122], v[113:114], v[106:107]
	s_waitcnt vmcnt(0)
	v_add_f64 v[106:107], v[123:124], -v[106:107]
	buffer_store_dword v106, off, s[0:3], 0 offset:376
	buffer_store_dword v107, off, s[0:3], 0 offset:380
	s_and_saveexec_b64 s[4:5], vcc
	s_cbranch_execz .LBB51_227
; %bb.226:
	buffer_load_dword v106, off, s[0:3], 0 offset:368
	buffer_load_dword v107, off, s[0:3], 0 offset:372
	v_mov_b32_e32 v108, 0
	buffer_store_dword v108, off, s[0:3], 0 offset:368
	buffer_store_dword v108, off, s[0:3], 0 offset:372
	s_waitcnt vmcnt(2)
	ds_write_b64 v105, v[106:107]
.LBB51_227:
	s_or_b64 exec, exec, s[4:5]
	s_waitcnt lgkmcnt(0)
	; wave barrier
	buffer_load_dword v111, off, s[0:3], 0 offset:368
	buffer_load_dword v112, off, s[0:3], 0 offset:372
	;; [unrolled: 1-line block ×12, first 2 shown]
	v_mov_b32_e32 v106, 0
	ds_read2_b64 v[107:110], v106 offset0:99 offset1:100
	v_cmp_lt_u32_e32 vcc, 45, v0
	s_waitcnt vmcnt(8) lgkmcnt(0)
	v_fma_f64 v[107:108], v[113:114], v[107:108], 0
	s_waitcnt vmcnt(6)
	v_fma_f64 v[113:114], v[115:116], v[109:110], v[107:108]
	ds_read2_b64 v[107:110], v106 offset0:101 offset1:102
	s_waitcnt vmcnt(4) lgkmcnt(0)
	v_fma_f64 v[107:108], v[117:118], v[107:108], v[113:114]
	s_waitcnt vmcnt(2)
	v_fma_f64 v[107:108], v[119:120], v[109:110], v[107:108]
	ds_read_b64 v[109:110], v106 offset:824
	s_waitcnt vmcnt(0) lgkmcnt(0)
	v_fma_f64 v[107:108], v[121:122], v[109:110], v[107:108]
	v_add_f64 v[107:108], v[111:112], -v[107:108]
	buffer_store_dword v107, off, s[0:3], 0 offset:368
	buffer_store_dword v108, off, s[0:3], 0 offset:372
	s_and_saveexec_b64 s[4:5], vcc
	s_cbranch_execz .LBB51_229
; %bb.228:
	buffer_load_dword v107, off, s[0:3], 0 offset:360
	buffer_load_dword v108, off, s[0:3], 0 offset:364
	s_waitcnt vmcnt(0)
	ds_write_b64 v105, v[107:108]
	buffer_store_dword v106, off, s[0:3], 0 offset:360
	buffer_store_dword v106, off, s[0:3], 0 offset:364
.LBB51_229:
	s_or_b64 exec, exec, s[4:5]
	s_waitcnt lgkmcnt(0)
	; wave barrier
	buffer_load_dword v111, off, s[0:3], 0 offset:368
	buffer_load_dword v112, off, s[0:3], 0 offset:372
	;; [unrolled: 1-line block ×14, first 2 shown]
	ds_read_b128 v[107:110], v106 offset:784
	v_cmp_lt_u32_e32 vcc, 44, v0
	s_waitcnt vmcnt(12) lgkmcnt(0)
	v_fma_f64 v[107:108], v[111:112], v[107:108], 0
	s_waitcnt vmcnt(10)
	v_fma_f64 v[111:112], v[113:114], v[109:110], v[107:108]
	ds_read_b128 v[107:110], v106 offset:800
	s_waitcnt vmcnt(8) lgkmcnt(0)
	v_fma_f64 v[107:108], v[115:116], v[107:108], v[111:112]
	s_waitcnt vmcnt(6)
	v_fma_f64 v[110:111], v[117:118], v[109:110], v[107:108]
	ds_read_b128 v[106:109], v106 offset:816
	s_waitcnt vmcnt(4) lgkmcnt(0)
	v_fma_f64 v[106:107], v[119:120], v[106:107], v[110:111]
	s_waitcnt vmcnt(2)
	v_fma_f64 v[106:107], v[121:122], v[108:109], v[106:107]
	s_waitcnt vmcnt(0)
	v_add_f64 v[106:107], v[123:124], -v[106:107]
	buffer_store_dword v106, off, s[0:3], 0 offset:360
	buffer_store_dword v107, off, s[0:3], 0 offset:364
	s_and_saveexec_b64 s[4:5], vcc
	s_cbranch_execz .LBB51_231
; %bb.230:
	buffer_load_dword v106, off, s[0:3], 0 offset:352
	buffer_load_dword v107, off, s[0:3], 0 offset:356
	v_mov_b32_e32 v108, 0
	buffer_store_dword v108, off, s[0:3], 0 offset:352
	buffer_store_dword v108, off, s[0:3], 0 offset:356
	s_waitcnt vmcnt(2)
	ds_write_b64 v105, v[106:107]
.LBB51_231:
	s_or_b64 exec, exec, s[4:5]
	s_waitcnt lgkmcnt(0)
	; wave barrier
	buffer_load_dword v111, off, s[0:3], 0 offset:360
	buffer_load_dword v112, off, s[0:3], 0 offset:364
	;; [unrolled: 1-line block ×16, first 2 shown]
	v_mov_b32_e32 v106, 0
	ds_read2_b64 v[107:110], v106 offset0:97 offset1:98
	v_cmp_lt_u32_e32 vcc, 43, v0
	s_waitcnt vmcnt(14) lgkmcnt(0)
	v_fma_f64 v[107:108], v[111:112], v[107:108], 0
	s_waitcnt vmcnt(12)
	v_fma_f64 v[111:112], v[113:114], v[109:110], v[107:108]
	ds_read2_b64 v[107:110], v106 offset0:99 offset1:100
	s_waitcnt vmcnt(10) lgkmcnt(0)
	v_fma_f64 v[107:108], v[115:116], v[107:108], v[111:112]
	s_waitcnt vmcnt(8)
	v_fma_f64 v[111:112], v[117:118], v[109:110], v[107:108]
	ds_read2_b64 v[107:110], v106 offset0:101 offset1:102
	s_waitcnt vmcnt(6) lgkmcnt(0)
	v_fma_f64 v[107:108], v[119:120], v[107:108], v[111:112]
	s_waitcnt vmcnt(4)
	v_fma_f64 v[107:108], v[121:122], v[109:110], v[107:108]
	ds_read_b64 v[109:110], v106 offset:824
	s_waitcnt vmcnt(2) lgkmcnt(0)
	v_fma_f64 v[107:108], v[123:124], v[109:110], v[107:108]
	s_waitcnt vmcnt(0)
	v_add_f64 v[107:108], v[125:126], -v[107:108]
	buffer_store_dword v107, off, s[0:3], 0 offset:352
	buffer_store_dword v108, off, s[0:3], 0 offset:356
	s_and_saveexec_b64 s[4:5], vcc
	s_cbranch_execz .LBB51_233
; %bb.232:
	buffer_load_dword v107, off, s[0:3], 0 offset:344
	buffer_load_dword v108, off, s[0:3], 0 offset:348
	s_waitcnt vmcnt(0)
	ds_write_b64 v105, v[107:108]
	buffer_store_dword v106, off, s[0:3], 0 offset:344
	buffer_store_dword v106, off, s[0:3], 0 offset:348
.LBB51_233:
	s_or_b64 exec, exec, s[4:5]
	s_waitcnt lgkmcnt(0)
	; wave barrier
	buffer_load_dword v115, off, s[0:3], 0 offset:352
	buffer_load_dword v116, off, s[0:3], 0 offset:356
	;; [unrolled: 1-line block ×18, first 2 shown]
	ds_read_b128 v[107:110], v106 offset:768
	ds_read_b128 v[111:114], v106 offset:784
	v_cmp_lt_u32_e32 vcc, 42, v0
	s_waitcnt vmcnt(16) lgkmcnt(1)
	v_fma_f64 v[107:108], v[115:116], v[107:108], 0
	s_waitcnt vmcnt(14)
	v_fma_f64 v[107:108], v[117:118], v[109:110], v[107:108]
	s_waitcnt vmcnt(12) lgkmcnt(0)
	v_fma_f64 v[107:108], v[119:120], v[111:112], v[107:108]
	s_waitcnt vmcnt(10)
	v_fma_f64 v[115:116], v[121:122], v[113:114], v[107:108]
	ds_read_b128 v[107:110], v106 offset:800
	ds_read_b128 v[111:114], v106 offset:816
	s_waitcnt vmcnt(8) lgkmcnt(1)
	v_fma_f64 v[106:107], v[123:124], v[107:108], v[115:116]
	s_waitcnt vmcnt(6)
	v_fma_f64 v[106:107], v[125:126], v[109:110], v[106:107]
	s_waitcnt vmcnt(4) lgkmcnt(0)
	v_fma_f64 v[106:107], v[127:128], v[111:112], v[106:107]
	s_waitcnt vmcnt(2)
	v_fma_f64 v[106:107], v[129:130], v[113:114], v[106:107]
	s_waitcnt vmcnt(0)
	v_add_f64 v[106:107], v[131:132], -v[106:107]
	buffer_store_dword v106, off, s[0:3], 0 offset:344
	buffer_store_dword v107, off, s[0:3], 0 offset:348
	s_and_saveexec_b64 s[4:5], vcc
	s_cbranch_execz .LBB51_235
; %bb.234:
	buffer_load_dword v106, off, s[0:3], 0 offset:336
	buffer_load_dword v107, off, s[0:3], 0 offset:340
	v_mov_b32_e32 v108, 0
	buffer_store_dword v108, off, s[0:3], 0 offset:336
	buffer_store_dword v108, off, s[0:3], 0 offset:340
	s_waitcnt vmcnt(2)
	ds_write_b64 v105, v[106:107]
.LBB51_235:
	s_or_b64 exec, exec, s[4:5]
	s_waitcnt lgkmcnt(0)
	; wave barrier
	buffer_load_dword v115, off, s[0:3], 0 offset:344
	buffer_load_dword v116, off, s[0:3], 0 offset:348
	;; [unrolled: 1-line block ×20, first 2 shown]
	v_mov_b32_e32 v106, 0
	ds_read2_b64 v[107:110], v106 offset0:95 offset1:96
	ds_read2_b64 v[111:114], v106 offset0:97 offset1:98
	v_cmp_lt_u32_e32 vcc, 41, v0
	s_waitcnt vmcnt(18) lgkmcnt(1)
	v_fma_f64 v[107:108], v[115:116], v[107:108], 0
	s_waitcnt vmcnt(16)
	v_fma_f64 v[107:108], v[117:118], v[109:110], v[107:108]
	s_waitcnt vmcnt(14) lgkmcnt(0)
	v_fma_f64 v[107:108], v[119:120], v[111:112], v[107:108]
	s_waitcnt vmcnt(12)
	v_fma_f64 v[115:116], v[121:122], v[113:114], v[107:108]
	ds_read2_b64 v[107:110], v106 offset0:99 offset1:100
	ds_read2_b64 v[111:114], v106 offset0:101 offset1:102
	s_waitcnt vmcnt(10) lgkmcnt(1)
	v_fma_f64 v[107:108], v[123:124], v[107:108], v[115:116]
	s_waitcnt vmcnt(8)
	v_fma_f64 v[107:108], v[125:126], v[109:110], v[107:108]
	ds_read_b64 v[109:110], v106 offset:824
	s_waitcnt vmcnt(6) lgkmcnt(1)
	v_fma_f64 v[107:108], v[127:128], v[111:112], v[107:108]
	s_waitcnt vmcnt(3)
	v_fma_f64 v[107:108], v[129:130], v[113:114], v[107:108]
	s_waitcnt vmcnt(2) lgkmcnt(0)
	v_fma_f64 v[107:108], v[131:132], v[109:110], v[107:108]
	s_waitcnt vmcnt(0)
	v_add_f64 v[107:108], v[133:134], -v[107:108]
	buffer_store_dword v107, off, s[0:3], 0 offset:336
	buffer_store_dword v108, off, s[0:3], 0 offset:340
	s_and_saveexec_b64 s[4:5], vcc
	s_cbranch_execz .LBB51_237
; %bb.236:
	buffer_load_dword v107, off, s[0:3], 0 offset:328
	buffer_load_dword v108, off, s[0:3], 0 offset:332
	s_waitcnt vmcnt(0)
	ds_write_b64 v105, v[107:108]
	buffer_store_dword v106, off, s[0:3], 0 offset:328
	buffer_store_dword v106, off, s[0:3], 0 offset:332
.LBB51_237:
	s_or_b64 exec, exec, s[4:5]
	s_waitcnt lgkmcnt(0)
	; wave barrier
	buffer_load_dword v115, off, s[0:3], 0 offset:336
	buffer_load_dword v116, off, s[0:3], 0 offset:340
	;; [unrolled: 1-line block ×20, first 2 shown]
	ds_read_b128 v[107:110], v106 offset:752
	buffer_load_dword v135, off, s[0:3], 0 offset:328
	buffer_load_dword v136, off, s[0:3], 0 offset:332
	ds_read_b128 v[111:114], v106 offset:768
	v_cmp_lt_u32_e32 vcc, 40, v0
	s_waitcnt vmcnt(20) lgkmcnt(1)
	v_fma_f64 v[107:108], v[115:116], v[107:108], 0
	s_waitcnt vmcnt(18)
	v_fma_f64 v[107:108], v[117:118], v[109:110], v[107:108]
	s_waitcnt vmcnt(16) lgkmcnt(0)
	v_fma_f64 v[107:108], v[119:120], v[111:112], v[107:108]
	s_waitcnt vmcnt(14)
	v_fma_f64 v[115:116], v[121:122], v[113:114], v[107:108]
	ds_read_b128 v[107:110], v106 offset:784
	ds_read_b128 v[111:114], v106 offset:800
	s_waitcnt vmcnt(12) lgkmcnt(1)
	v_fma_f64 v[107:108], v[123:124], v[107:108], v[115:116]
	s_waitcnt vmcnt(10)
	v_fma_f64 v[107:108], v[125:126], v[109:110], v[107:108]
	s_waitcnt vmcnt(8) lgkmcnt(0)
	v_fma_f64 v[107:108], v[127:128], v[111:112], v[107:108]
	s_waitcnt vmcnt(4)
	v_fma_f64 v[110:111], v[129:130], v[113:114], v[107:108]
	ds_read_b128 v[106:109], v106 offset:816
	s_waitcnt vmcnt(3) lgkmcnt(0)
	v_fma_f64 v[106:107], v[133:134], v[106:107], v[110:111]
	s_waitcnt vmcnt(2)
	v_fma_f64 v[106:107], v[131:132], v[108:109], v[106:107]
	s_waitcnt vmcnt(0)
	v_add_f64 v[106:107], v[135:136], -v[106:107]
	buffer_store_dword v106, off, s[0:3], 0 offset:328
	buffer_store_dword v107, off, s[0:3], 0 offset:332
	s_and_saveexec_b64 s[4:5], vcc
	s_cbranch_execz .LBB51_239
; %bb.238:
	buffer_load_dword v106, off, s[0:3], 0 offset:320
	buffer_load_dword v107, off, s[0:3], 0 offset:324
	v_mov_b32_e32 v108, 0
	buffer_store_dword v108, off, s[0:3], 0 offset:320
	buffer_store_dword v108, off, s[0:3], 0 offset:324
	s_waitcnt vmcnt(2)
	ds_write_b64 v105, v[106:107]
.LBB51_239:
	s_or_b64 exec, exec, s[4:5]
	s_waitcnt lgkmcnt(0)
	; wave barrier
	buffer_load_dword v115, off, s[0:3], 0 offset:328
	buffer_load_dword v116, off, s[0:3], 0 offset:332
	;; [unrolled: 1-line block ×21, first 2 shown]
	v_mov_b32_e32 v106, 0
	ds_read2_b64 v[107:110], v106 offset0:93 offset1:94
	ds_read2_b64 v[111:114], v106 offset0:95 offset1:96
	buffer_load_dword v132, off, s[0:3], 0 offset:412
	v_cmp_lt_u32_e32 vcc, 39, v0
	s_waitcnt vmcnt(20) lgkmcnt(1)
	v_fma_f64 v[107:108], v[115:116], v[107:108], 0
	buffer_load_dword v115, off, s[0:3], 0 offset:320
	buffer_load_dword v116, off, s[0:3], 0 offset:324
	s_waitcnt vmcnt(20)
	v_fma_f64 v[107:108], v[117:118], v[109:110], v[107:108]
	s_waitcnt vmcnt(18) lgkmcnt(0)
	v_fma_f64 v[107:108], v[119:120], v[111:112], v[107:108]
	s_waitcnt vmcnt(16)
	v_fma_f64 v[117:118], v[121:122], v[113:114], v[107:108]
	ds_read2_b64 v[107:110], v106 offset0:97 offset1:98
	ds_read2_b64 v[111:114], v106 offset0:99 offset1:100
	s_waitcnt vmcnt(14) lgkmcnt(1)
	v_fma_f64 v[107:108], v[123:124], v[107:108], v[117:118]
	s_waitcnt vmcnt(12)
	v_fma_f64 v[107:108], v[125:126], v[109:110], v[107:108]
	s_waitcnt vmcnt(10) lgkmcnt(0)
	v_fma_f64 v[107:108], v[127:128], v[111:112], v[107:108]
	s_waitcnt vmcnt(5)
	v_fma_f64 v[111:112], v[129:130], v[113:114], v[107:108]
	ds_read2_b64 v[107:110], v106 offset0:101 offset1:102
	ds_read_b64 v[113:114], v106 offset:824
	s_waitcnt vmcnt(4) lgkmcnt(1)
	v_fma_f64 v[107:108], v[135:136], v[107:108], v[111:112]
	s_waitcnt vmcnt(3)
	v_fma_f64 v[107:108], v[133:134], v[109:110], v[107:108]
	s_waitcnt vmcnt(2) lgkmcnt(0)
	v_fma_f64 v[107:108], v[131:132], v[113:114], v[107:108]
	s_waitcnt vmcnt(0)
	v_add_f64 v[107:108], v[115:116], -v[107:108]
	buffer_store_dword v108, off, s[0:3], 0 offset:324
	buffer_store_dword v107, off, s[0:3], 0 offset:320
	s_and_saveexec_b64 s[4:5], vcc
	s_cbranch_execz .LBB51_241
; %bb.240:
	buffer_load_dword v107, off, s[0:3], 0 offset:312
	buffer_load_dword v108, off, s[0:3], 0 offset:316
	s_waitcnt vmcnt(0)
	ds_write_b64 v105, v[107:108]
	buffer_store_dword v106, off, s[0:3], 0 offset:312
	buffer_store_dword v106, off, s[0:3], 0 offset:316
.LBB51_241:
	s_or_b64 exec, exec, s[4:5]
	s_waitcnt lgkmcnt(0)
	; wave barrier
	buffer_load_dword v115, off, s[0:3], 0 offset:320
	buffer_load_dword v116, off, s[0:3], 0 offset:324
	buffer_load_dword v117, off, s[0:3], 0 offset:328
	buffer_load_dword v118, off, s[0:3], 0 offset:332
	buffer_load_dword v119, off, s[0:3], 0 offset:336
	buffer_load_dword v120, off, s[0:3], 0 offset:340
	buffer_load_dword v121, off, s[0:3], 0 offset:344
	buffer_load_dword v122, off, s[0:3], 0 offset:348
	buffer_load_dword v123, off, s[0:3], 0 offset:352
	buffer_load_dword v124, off, s[0:3], 0 offset:356
	buffer_load_dword v125, off, s[0:3], 0 offset:360
	buffer_load_dword v126, off, s[0:3], 0 offset:364
	buffer_load_dword v127, off, s[0:3], 0 offset:368
	buffer_load_dword v128, off, s[0:3], 0 offset:372
	buffer_load_dword v130, off, s[0:3], 0 offset:380
	buffer_load_dword v131, off, s[0:3], 0 offset:400
	buffer_load_dword v133, off, s[0:3], 0 offset:392
	buffer_load_dword v135, off, s[0:3], 0 offset:384
	buffer_load_dword v129, off, s[0:3], 0 offset:376
	buffer_load_dword v136, off, s[0:3], 0 offset:388
	buffer_load_dword v134, off, s[0:3], 0 offset:396
	ds_read_b128 v[107:110], v106 offset:736
	ds_read_b128 v[111:114], v106 offset:752
	buffer_load_dword v132, off, s[0:3], 0 offset:404
	v_cmp_lt_u32_e32 vcc, 38, v0
	s_waitcnt vmcnt(20) lgkmcnt(1)
	v_fma_f64 v[107:108], v[115:116], v[107:108], 0
	buffer_load_dword v116, off, s[0:3], 0 offset:412
	buffer_load_dword v115, off, s[0:3], 0 offset:408
	s_waitcnt vmcnt(20)
	v_fma_f64 v[107:108], v[117:118], v[109:110], v[107:108]
	buffer_load_dword v117, off, s[0:3], 0 offset:312
	buffer_load_dword v118, off, s[0:3], 0 offset:316
	s_waitcnt vmcnt(20) lgkmcnt(0)
	v_fma_f64 v[107:108], v[119:120], v[111:112], v[107:108]
	s_waitcnt vmcnt(18)
	v_fma_f64 v[119:120], v[121:122], v[113:114], v[107:108]
	ds_read_b128 v[107:110], v106 offset:768
	ds_read_b128 v[111:114], v106 offset:784
	s_waitcnt vmcnt(16) lgkmcnt(1)
	v_fma_f64 v[107:108], v[123:124], v[107:108], v[119:120]
	s_waitcnt vmcnt(14)
	v_fma_f64 v[107:108], v[125:126], v[109:110], v[107:108]
	s_waitcnt vmcnt(12) lgkmcnt(0)
	v_fma_f64 v[107:108], v[127:128], v[111:112], v[107:108]
	s_waitcnt vmcnt(7)
	v_fma_f64 v[119:120], v[129:130], v[113:114], v[107:108]
	ds_read_b128 v[107:110], v106 offset:800
	ds_read_b128 v[111:114], v106 offset:816
	s_waitcnt vmcnt(6) lgkmcnt(1)
	v_fma_f64 v[106:107], v[135:136], v[107:108], v[119:120]
	s_waitcnt vmcnt(5)
	v_fma_f64 v[106:107], v[133:134], v[109:110], v[106:107]
	s_waitcnt vmcnt(4) lgkmcnt(0)
	v_fma_f64 v[106:107], v[131:132], v[111:112], v[106:107]
	s_waitcnt vmcnt(2)
	v_fma_f64 v[106:107], v[115:116], v[113:114], v[106:107]
	s_waitcnt vmcnt(0)
	v_add_f64 v[106:107], v[117:118], -v[106:107]
	buffer_store_dword v107, off, s[0:3], 0 offset:316
	buffer_store_dword v106, off, s[0:3], 0 offset:312
	s_and_saveexec_b64 s[4:5], vcc
	s_cbranch_execz .LBB51_243
; %bb.242:
	buffer_load_dword v106, off, s[0:3], 0 offset:304
	buffer_load_dword v107, off, s[0:3], 0 offset:308
	v_mov_b32_e32 v108, 0
	buffer_store_dword v108, off, s[0:3], 0 offset:304
	buffer_store_dword v108, off, s[0:3], 0 offset:308
	s_waitcnt vmcnt(2)
	ds_write_b64 v105, v[106:107]
.LBB51_243:
	s_or_b64 exec, exec, s[4:5]
	s_waitcnt lgkmcnt(0)
	; wave barrier
	buffer_load_dword v115, off, s[0:3], 0 offset:312
	buffer_load_dword v116, off, s[0:3], 0 offset:316
	;; [unrolled: 1-line block ×21, first 2 shown]
	v_mov_b32_e32 v106, 0
	ds_read2_b64 v[107:110], v106 offset0:91 offset1:92
	ds_read2_b64 v[111:114], v106 offset0:93 offset1:94
	buffer_load_dword v132, off, s[0:3], 0 offset:396
	v_cmp_lt_u32_e32 vcc, 37, v0
	s_waitcnt vmcnt(20) lgkmcnt(1)
	v_fma_f64 v[107:108], v[115:116], v[107:108], 0
	s_waitcnt vmcnt(18)
	v_fma_f64 v[107:108], v[117:118], v[109:110], v[107:108]
	buffer_load_dword v116, off, s[0:3], 0 offset:404
	buffer_load_dword v117, off, s[0:3], 0 offset:408
	buffer_load_dword v115, off, s[0:3], 0 offset:400
	buffer_load_dword v118, off, s[0:3], 0 offset:412
	s_waitcnt vmcnt(20) lgkmcnt(0)
	v_fma_f64 v[107:108], v[119:120], v[111:112], v[107:108]
	buffer_load_dword v119, off, s[0:3], 0 offset:304
	buffer_load_dword v120, off, s[0:3], 0 offset:308
	s_waitcnt vmcnt(20)
	v_fma_f64 v[121:122], v[121:122], v[113:114], v[107:108]
	ds_read2_b64 v[107:110], v106 offset0:95 offset1:96
	ds_read2_b64 v[111:114], v106 offset0:97 offset1:98
	s_waitcnt vmcnt(18) lgkmcnt(1)
	v_fma_f64 v[107:108], v[123:124], v[107:108], v[121:122]
	s_waitcnt vmcnt(16)
	v_fma_f64 v[107:108], v[125:126], v[109:110], v[107:108]
	s_waitcnt vmcnt(14) lgkmcnt(0)
	v_fma_f64 v[107:108], v[127:128], v[111:112], v[107:108]
	s_waitcnt vmcnt(9)
	v_fma_f64 v[121:122], v[129:130], v[113:114], v[107:108]
	ds_read2_b64 v[107:110], v106 offset0:99 offset1:100
	ds_read2_b64 v[111:114], v106 offset0:101 offset1:102
	s_waitcnt vmcnt(8) lgkmcnt(1)
	v_fma_f64 v[107:108], v[135:136], v[107:108], v[121:122]
	s_waitcnt vmcnt(7)
	v_fma_f64 v[107:108], v[133:134], v[109:110], v[107:108]
	ds_read_b64 v[109:110], v106 offset:824
	s_waitcnt vmcnt(6) lgkmcnt(1)
	v_fma_f64 v[107:108], v[131:132], v[111:112], v[107:108]
	s_waitcnt vmcnt(3)
	v_fma_f64 v[107:108], v[115:116], v[113:114], v[107:108]
	s_waitcnt vmcnt(2) lgkmcnt(0)
	v_fma_f64 v[107:108], v[117:118], v[109:110], v[107:108]
	s_waitcnt vmcnt(0)
	v_add_f64 v[107:108], v[119:120], -v[107:108]
	buffer_store_dword v108, off, s[0:3], 0 offset:308
	buffer_store_dword v107, off, s[0:3], 0 offset:304
	s_and_saveexec_b64 s[4:5], vcc
	s_cbranch_execz .LBB51_245
; %bb.244:
	buffer_load_dword v107, off, s[0:3], 0 offset:296
	buffer_load_dword v108, off, s[0:3], 0 offset:300
	s_waitcnt vmcnt(0)
	ds_write_b64 v105, v[107:108]
	buffer_store_dword v106, off, s[0:3], 0 offset:296
	buffer_store_dword v106, off, s[0:3], 0 offset:300
.LBB51_245:
	s_or_b64 exec, exec, s[4:5]
	s_waitcnt lgkmcnt(0)
	; wave barrier
	buffer_load_dword v115, off, s[0:3], 0 offset:304
	buffer_load_dword v116, off, s[0:3], 0 offset:308
	;; [unrolled: 1-line block ×22, first 2 shown]
	ds_read_b128 v[107:110], v106 offset:720
	ds_read_b128 v[111:114], v106 offset:736
	v_cmp_lt_u32_e32 vcc, 36, v0
	s_waitcnt vmcnt(20) lgkmcnt(1)
	v_fma_f64 v[107:108], v[115:116], v[107:108], 0
	s_waitcnt vmcnt(18)
	v_fma_f64 v[107:108], v[117:118], v[109:110], v[107:108]
	buffer_load_dword v116, off, s[0:3], 0 offset:396
	buffer_load_dword v117, off, s[0:3], 0 offset:408
	;; [unrolled: 1-line block ×6, first 2 shown]
	s_waitcnt vmcnt(22) lgkmcnt(0)
	v_fma_f64 v[107:108], v[119:120], v[111:112], v[107:108]
	s_waitcnt vmcnt(20)
	v_fma_f64 v[119:120], v[121:122], v[113:114], v[107:108]
	ds_read_b128 v[107:110], v106 offset:752
	buffer_load_dword v121, off, s[0:3], 0 offset:296
	buffer_load_dword v122, off, s[0:3], 0 offset:300
	ds_read_b128 v[111:114], v106 offset:768
	s_waitcnt vmcnt(20) lgkmcnt(1)
	v_fma_f64 v[107:108], v[123:124], v[107:108], v[119:120]
	s_waitcnt vmcnt(18)
	v_fma_f64 v[107:108], v[125:126], v[109:110], v[107:108]
	s_waitcnt vmcnt(16) lgkmcnt(0)
	v_fma_f64 v[107:108], v[127:128], v[111:112], v[107:108]
	s_waitcnt vmcnt(11)
	v_fma_f64 v[119:120], v[129:130], v[113:114], v[107:108]
	ds_read_b128 v[107:110], v106 offset:784
	ds_read_b128 v[111:114], v106 offset:800
	s_waitcnt vmcnt(10) lgkmcnt(1)
	v_fma_f64 v[107:108], v[135:136], v[107:108], v[119:120]
	s_waitcnt vmcnt(9)
	v_fma_f64 v[107:108], v[133:134], v[109:110], v[107:108]
	s_waitcnt vmcnt(8) lgkmcnt(0)
	v_fma_f64 v[107:108], v[131:132], v[111:112], v[107:108]
	s_waitcnt vmcnt(4)
	v_fma_f64 v[110:111], v[115:116], v[113:114], v[107:108]
	ds_read_b128 v[106:109], v106 offset:816
	s_waitcnt vmcnt(3) lgkmcnt(0)
	v_fma_f64 v[106:107], v[137:138], v[106:107], v[110:111]
	s_waitcnt vmcnt(2)
	v_fma_f64 v[106:107], v[117:118], v[108:109], v[106:107]
	s_waitcnt vmcnt(0)
	v_add_f64 v[106:107], v[121:122], -v[106:107]
	buffer_store_dword v107, off, s[0:3], 0 offset:300
	buffer_store_dword v106, off, s[0:3], 0 offset:296
	s_and_saveexec_b64 s[4:5], vcc
	s_cbranch_execz .LBB51_247
; %bb.246:
	buffer_load_dword v106, off, s[0:3], 0 offset:288
	buffer_load_dword v107, off, s[0:3], 0 offset:292
	v_mov_b32_e32 v108, 0
	buffer_store_dword v108, off, s[0:3], 0 offset:288
	buffer_store_dword v108, off, s[0:3], 0 offset:292
	s_waitcnt vmcnt(2)
	ds_write_b64 v105, v[106:107]
.LBB51_247:
	s_or_b64 exec, exec, s[4:5]
	s_waitcnt lgkmcnt(0)
	; wave barrier
	buffer_load_dword v115, off, s[0:3], 0 offset:296
	buffer_load_dword v116, off, s[0:3], 0 offset:300
	;; [unrolled: 1-line block ×22, first 2 shown]
	v_mov_b32_e32 v106, 0
	ds_read2_b64 v[107:110], v106 offset0:89 offset1:90
	ds_read2_b64 v[111:114], v106 offset0:91 offset1:92
	v_cmp_lt_u32_e32 vcc, 35, v0
	s_waitcnt vmcnt(20) lgkmcnt(1)
	v_fma_f64 v[107:108], v[115:116], v[107:108], 0
	s_waitcnt vmcnt(18)
	v_fma_f64 v[107:108], v[117:118], v[109:110], v[107:108]
	buffer_load_dword v116, off, s[0:3], 0 offset:388
	buffer_load_dword v117, off, s[0:3], 0 offset:408
	;; [unrolled: 1-line block ×8, first 2 shown]
	s_waitcnt vmcnt(24) lgkmcnt(0)
	v_fma_f64 v[107:108], v[119:120], v[111:112], v[107:108]
	s_waitcnt vmcnt(22)
	v_fma_f64 v[119:120], v[121:122], v[113:114], v[107:108]
	ds_read2_b64 v[107:110], v106 offset0:93 offset1:94
	ds_read2_b64 v[111:114], v106 offset0:95 offset1:96
	s_waitcnt vmcnt(20) lgkmcnt(1)
	v_fma_f64 v[107:108], v[123:124], v[107:108], v[119:120]
	buffer_load_dword v119, off, s[0:3], 0 offset:288
	buffer_load_dword v120, off, s[0:3], 0 offset:292
	s_waitcnt vmcnt(20)
	v_fma_f64 v[107:108], v[125:126], v[109:110], v[107:108]
	s_waitcnt vmcnt(18) lgkmcnt(0)
	v_fma_f64 v[107:108], v[127:128], v[111:112], v[107:108]
	s_waitcnt vmcnt(13)
	v_fma_f64 v[121:122], v[129:130], v[113:114], v[107:108]
	ds_read2_b64 v[107:110], v106 offset0:97 offset1:98
	ds_read2_b64 v[111:114], v106 offset0:99 offset1:100
	s_waitcnt vmcnt(12) lgkmcnt(1)
	v_fma_f64 v[107:108], v[135:136], v[107:108], v[121:122]
	s_waitcnt vmcnt(11)
	v_fma_f64 v[107:108], v[133:134], v[109:110], v[107:108]
	s_waitcnt vmcnt(10) lgkmcnt(0)
	v_fma_f64 v[107:108], v[131:132], v[111:112], v[107:108]
	s_waitcnt vmcnt(5)
	v_fma_f64 v[111:112], v[115:116], v[113:114], v[107:108]
	ds_read2_b64 v[107:110], v106 offset0:101 offset1:102
	ds_read_b64 v[113:114], v106 offset:824
	s_waitcnt vmcnt(4) lgkmcnt(1)
	v_fma_f64 v[107:108], v[139:140], v[107:108], v[111:112]
	s_waitcnt vmcnt(3)
	v_fma_f64 v[107:108], v[137:138], v[109:110], v[107:108]
	s_waitcnt vmcnt(2) lgkmcnt(0)
	v_fma_f64 v[107:108], v[117:118], v[113:114], v[107:108]
	s_waitcnt vmcnt(0)
	v_add_f64 v[107:108], v[119:120], -v[107:108]
	buffer_store_dword v108, off, s[0:3], 0 offset:292
	buffer_store_dword v107, off, s[0:3], 0 offset:288
	s_and_saveexec_b64 s[4:5], vcc
	s_cbranch_execz .LBB51_249
; %bb.248:
	buffer_load_dword v107, off, s[0:3], 0 offset:280
	buffer_load_dword v108, off, s[0:3], 0 offset:284
	s_waitcnt vmcnt(0)
	ds_write_b64 v105, v[107:108]
	buffer_store_dword v106, off, s[0:3], 0 offset:280
	buffer_store_dword v106, off, s[0:3], 0 offset:284
.LBB51_249:
	s_or_b64 exec, exec, s[4:5]
	s_waitcnt lgkmcnt(0)
	; wave barrier
	buffer_load_dword v115, off, s[0:3], 0 offset:288
	buffer_load_dword v116, off, s[0:3], 0 offset:292
	;; [unrolled: 1-line block ×22, first 2 shown]
	ds_read_b128 v[107:110], v106 offset:704
	ds_read_b128 v[111:114], v106 offset:720
	v_cmp_lt_u32_e32 vcc, 34, v0
	s_waitcnt vmcnt(20) lgkmcnt(1)
	v_fma_f64 v[107:108], v[115:116], v[107:108], 0
	s_waitcnt vmcnt(18)
	v_fma_f64 v[107:108], v[117:118], v[109:110], v[107:108]
	buffer_load_dword v116, off, s[0:3], 0 offset:380
	buffer_load_dword v117, off, s[0:3], 0 offset:400
	buffer_load_dword v137, off, s[0:3], 0 offset:392
	buffer_load_dword v139, off, s[0:3], 0 offset:384
	buffer_load_dword v115, off, s[0:3], 0 offset:376
	buffer_load_dword v140, off, s[0:3], 0 offset:388
	buffer_load_dword v138, off, s[0:3], 0 offset:396
	buffer_load_dword v118, off, s[0:3], 0 offset:404
	s_waitcnt vmcnt(24) lgkmcnt(0)
	v_fma_f64 v[107:108], v[119:120], v[111:112], v[107:108]
	s_waitcnt vmcnt(22)
	v_fma_f64 v[119:120], v[121:122], v[113:114], v[107:108]
	ds_read_b128 v[107:110], v106 offset:736
	ds_read_b128 v[111:114], v106 offset:752
	s_waitcnt vmcnt(20) lgkmcnt(1)
	v_fma_f64 v[107:108], v[123:124], v[107:108], v[119:120]
	buffer_load_dword v120, off, s[0:3], 0 offset:412
	buffer_load_dword v119, off, s[0:3], 0 offset:408
	;; [unrolled: 1-line block ×4, first 2 shown]
	s_waitcnt vmcnt(22)
	v_fma_f64 v[107:108], v[125:126], v[109:110], v[107:108]
	s_waitcnt vmcnt(20) lgkmcnt(0)
	v_fma_f64 v[107:108], v[127:128], v[111:112], v[107:108]
	s_waitcnt vmcnt(15)
	v_fma_f64 v[123:124], v[129:130], v[113:114], v[107:108]
	ds_read_b128 v[107:110], v106 offset:768
	ds_read_b128 v[111:114], v106 offset:784
	s_waitcnt vmcnt(14) lgkmcnt(1)
	v_fma_f64 v[107:108], v[135:136], v[107:108], v[123:124]
	s_waitcnt vmcnt(13)
	v_fma_f64 v[107:108], v[133:134], v[109:110], v[107:108]
	s_waitcnt vmcnt(12) lgkmcnt(0)
	v_fma_f64 v[107:108], v[131:132], v[111:112], v[107:108]
	s_waitcnt vmcnt(7)
	v_fma_f64 v[115:116], v[115:116], v[113:114], v[107:108]
	ds_read_b128 v[107:110], v106 offset:800
	ds_read_b128 v[111:114], v106 offset:816
	s_waitcnt vmcnt(6) lgkmcnt(1)
	v_fma_f64 v[106:107], v[139:140], v[107:108], v[115:116]
	s_waitcnt vmcnt(5)
	v_fma_f64 v[106:107], v[137:138], v[109:110], v[106:107]
	s_waitcnt vmcnt(4) lgkmcnt(0)
	v_fma_f64 v[106:107], v[117:118], v[111:112], v[106:107]
	s_waitcnt vmcnt(2)
	v_fma_f64 v[106:107], v[119:120], v[113:114], v[106:107]
	s_waitcnt vmcnt(0)
	v_add_f64 v[106:107], v[121:122], -v[106:107]
	buffer_store_dword v107, off, s[0:3], 0 offset:284
	buffer_store_dword v106, off, s[0:3], 0 offset:280
	s_and_saveexec_b64 s[4:5], vcc
	s_cbranch_execz .LBB51_251
; %bb.250:
	buffer_load_dword v106, off, s[0:3], 0 offset:272
	buffer_load_dword v107, off, s[0:3], 0 offset:276
	v_mov_b32_e32 v108, 0
	buffer_store_dword v108, off, s[0:3], 0 offset:272
	buffer_store_dword v108, off, s[0:3], 0 offset:276
	s_waitcnt vmcnt(2)
	ds_write_b64 v105, v[106:107]
.LBB51_251:
	s_or_b64 exec, exec, s[4:5]
	s_waitcnt lgkmcnt(0)
	; wave barrier
	buffer_load_dword v115, off, s[0:3], 0 offset:280
	buffer_load_dword v116, off, s[0:3], 0 offset:284
	;; [unrolled: 1-line block ×22, first 2 shown]
	v_mov_b32_e32 v106, 0
	ds_read2_b64 v[107:110], v106 offset0:87 offset1:88
	ds_read2_b64 v[111:114], v106 offset0:89 offset1:90
	v_cmp_lt_u32_e32 vcc, 33, v0
	s_waitcnt vmcnt(20) lgkmcnt(1)
	v_fma_f64 v[107:108], v[115:116], v[107:108], 0
	s_waitcnt vmcnt(18)
	v_fma_f64 v[107:108], v[117:118], v[109:110], v[107:108]
	buffer_load_dword v116, off, s[0:3], 0 offset:372
	buffer_load_dword v117, off, s[0:3], 0 offset:392
	;; [unrolled: 1-line block ×7, first 2 shown]
	s_waitcnt vmcnt(23) lgkmcnt(0)
	v_fma_f64 v[107:108], v[119:120], v[111:112], v[107:108]
	s_waitcnt vmcnt(21)
	v_fma_f64 v[118:119], v[121:122], v[113:114], v[107:108]
	ds_read2_b64 v[107:110], v106 offset0:91 offset1:92
	ds_read2_b64 v[111:114], v106 offset0:93 offset1:94
	s_waitcnt vmcnt(19) lgkmcnt(1)
	v_fma_f64 v[107:108], v[123:124], v[107:108], v[118:119]
	buffer_load_dword v118, off, s[0:3], 0 offset:396
	buffer_load_dword v120, off, s[0:3], 0 offset:404
	;; [unrolled: 1-line block ×7, first 2 shown]
	s_waitcnt vmcnt(24)
	v_fma_f64 v[107:108], v[125:126], v[109:110], v[107:108]
	s_waitcnt vmcnt(22) lgkmcnt(0)
	v_fma_f64 v[107:108], v[127:128], v[111:112], v[107:108]
	s_waitcnt vmcnt(17)
	v_fma_f64 v[125:126], v[129:130], v[113:114], v[107:108]
	ds_read2_b64 v[107:110], v106 offset0:95 offset1:96
	ds_read2_b64 v[111:114], v106 offset0:97 offset1:98
	s_waitcnt vmcnt(16) lgkmcnt(1)
	v_fma_f64 v[107:108], v[135:136], v[107:108], v[125:126]
	s_waitcnt vmcnt(15)
	v_fma_f64 v[107:108], v[133:134], v[109:110], v[107:108]
	s_waitcnt vmcnt(14) lgkmcnt(0)
	v_fma_f64 v[107:108], v[131:132], v[111:112], v[107:108]
	s_waitcnt vmcnt(9)
	v_fma_f64 v[115:116], v[115:116], v[113:114], v[107:108]
	ds_read2_b64 v[107:110], v106 offset0:99 offset1:100
	ds_read2_b64 v[111:114], v106 offset0:101 offset1:102
	s_waitcnt vmcnt(8) lgkmcnt(1)
	v_fma_f64 v[107:108], v[139:140], v[107:108], v[115:116]
	s_waitcnt vmcnt(7)
	v_fma_f64 v[107:108], v[137:138], v[109:110], v[107:108]
	ds_read_b64 v[109:110], v106 offset:824
	s_waitcnt vmcnt(6) lgkmcnt(1)
	v_fma_f64 v[107:108], v[117:118], v[111:112], v[107:108]
	s_waitcnt vmcnt(3)
	v_fma_f64 v[107:108], v[119:120], v[113:114], v[107:108]
	s_waitcnt vmcnt(2) lgkmcnt(0)
	v_fma_f64 v[107:108], v[121:122], v[109:110], v[107:108]
	s_waitcnt vmcnt(0)
	v_add_f64 v[107:108], v[123:124], -v[107:108]
	buffer_store_dword v108, off, s[0:3], 0 offset:276
	buffer_store_dword v107, off, s[0:3], 0 offset:272
	s_and_saveexec_b64 s[4:5], vcc
	s_cbranch_execz .LBB51_253
; %bb.252:
	buffer_load_dword v107, off, s[0:3], 0 offset:264
	buffer_load_dword v108, off, s[0:3], 0 offset:268
	s_waitcnt vmcnt(0)
	ds_write_b64 v105, v[107:108]
	buffer_store_dword v106, off, s[0:3], 0 offset:264
	buffer_store_dword v106, off, s[0:3], 0 offset:268
.LBB51_253:
	s_or_b64 exec, exec, s[4:5]
	s_waitcnt lgkmcnt(0)
	; wave barrier
	buffer_load_dword v115, off, s[0:3], 0 offset:272
	buffer_load_dword v116, off, s[0:3], 0 offset:276
	buffer_load_dword v117, off, s[0:3], 0 offset:280
	buffer_load_dword v118, off, s[0:3], 0 offset:284
	buffer_load_dword v119, off, s[0:3], 0 offset:288
	buffer_load_dword v120, off, s[0:3], 0 offset:292
	buffer_load_dword v121, off, s[0:3], 0 offset:296
	buffer_load_dword v122, off, s[0:3], 0 offset:300
	buffer_load_dword v123, off, s[0:3], 0 offset:304
	buffer_load_dword v124, off, s[0:3], 0 offset:308
	buffer_load_dword v125, off, s[0:3], 0 offset:312
	buffer_load_dword v126, off, s[0:3], 0 offset:316
	buffer_load_dword v127, off, s[0:3], 0 offset:320
	buffer_load_dword v128, off, s[0:3], 0 offset:324
	buffer_load_dword v130, off, s[0:3], 0 offset:332
	buffer_load_dword v131, off, s[0:3], 0 offset:352
	buffer_load_dword v133, off, s[0:3], 0 offset:344
	buffer_load_dword v135, off, s[0:3], 0 offset:336
	buffer_load_dword v129, off, s[0:3], 0 offset:328
	buffer_load_dword v136, off, s[0:3], 0 offset:340
	buffer_load_dword v134, off, s[0:3], 0 offset:348
	buffer_load_dword v132, off, s[0:3], 0 offset:356
	ds_read_b128 v[107:110], v106 offset:688
	ds_read_b128 v[111:114], v106 offset:704
	v_cmp_lt_u32_e32 vcc, 32, v0
	s_waitcnt vmcnt(20) lgkmcnt(1)
	v_fma_f64 v[107:108], v[115:116], v[107:108], 0
	s_waitcnt vmcnt(18)
	v_fma_f64 v[107:108], v[117:118], v[109:110], v[107:108]
	buffer_load_dword v116, off, s[0:3], 0 offset:364
	buffer_load_dword v117, off, s[0:3], 0 offset:384
	;; [unrolled: 1-line block ×7, first 2 shown]
	s_waitcnt vmcnt(23) lgkmcnt(0)
	v_fma_f64 v[107:108], v[119:120], v[111:112], v[107:108]
	s_waitcnt vmcnt(21)
	v_fma_f64 v[118:119], v[121:122], v[113:114], v[107:108]
	ds_read_b128 v[107:110], v106 offset:720
	ds_read_b128 v[111:114], v106 offset:736
	s_waitcnt vmcnt(19) lgkmcnt(1)
	v_fma_f64 v[107:108], v[123:124], v[107:108], v[118:119]
	buffer_load_dword v118, off, s[0:3], 0 offset:388
	buffer_load_dword v120, off, s[0:3], 0 offset:396
	;; [unrolled: 1-line block ×7, first 2 shown]
	s_waitcnt vmcnt(24)
	v_fma_f64 v[107:108], v[125:126], v[109:110], v[107:108]
	s_waitcnt vmcnt(22) lgkmcnt(0)
	v_fma_f64 v[107:108], v[127:128], v[111:112], v[107:108]
	s_waitcnt vmcnt(17)
	v_fma_f64 v[125:126], v[129:130], v[113:114], v[107:108]
	ds_read_b128 v[107:110], v106 offset:752
	buffer_load_dword v127, off, s[0:3], 0 offset:264
	buffer_load_dword v128, off, s[0:3], 0 offset:268
	ds_read_b128 v[111:114], v106 offset:768
	s_waitcnt vmcnt(18) lgkmcnt(1)
	v_fma_f64 v[107:108], v[135:136], v[107:108], v[125:126]
	s_waitcnt vmcnt(17)
	v_fma_f64 v[107:108], v[133:134], v[109:110], v[107:108]
	s_waitcnt vmcnt(16) lgkmcnt(0)
	v_fma_f64 v[107:108], v[131:132], v[111:112], v[107:108]
	s_waitcnt vmcnt(11)
	v_fma_f64 v[115:116], v[115:116], v[113:114], v[107:108]
	ds_read_b128 v[107:110], v106 offset:784
	ds_read_b128 v[111:114], v106 offset:800
	s_waitcnt vmcnt(10) lgkmcnt(1)
	v_fma_f64 v[107:108], v[139:140], v[107:108], v[115:116]
	s_waitcnt vmcnt(9)
	v_fma_f64 v[107:108], v[137:138], v[109:110], v[107:108]
	s_waitcnt vmcnt(8) lgkmcnt(0)
	v_fma_f64 v[107:108], v[117:118], v[111:112], v[107:108]
	s_waitcnt vmcnt(4)
	v_fma_f64 v[110:111], v[119:120], v[113:114], v[107:108]
	ds_read_b128 v[106:109], v106 offset:816
	s_waitcnt vmcnt(3) lgkmcnt(0)
	v_fma_f64 v[106:107], v[123:124], v[106:107], v[110:111]
	s_waitcnt vmcnt(2)
	v_fma_f64 v[106:107], v[121:122], v[108:109], v[106:107]
	s_waitcnt vmcnt(0)
	v_add_f64 v[106:107], v[127:128], -v[106:107]
	buffer_store_dword v107, off, s[0:3], 0 offset:268
	buffer_store_dword v106, off, s[0:3], 0 offset:264
	s_and_saveexec_b64 s[4:5], vcc
	s_cbranch_execz .LBB51_255
; %bb.254:
	buffer_load_dword v106, off, s[0:3], 0 offset:256
	buffer_load_dword v107, off, s[0:3], 0 offset:260
	v_mov_b32_e32 v108, 0
	buffer_store_dword v108, off, s[0:3], 0 offset:256
	buffer_store_dword v108, off, s[0:3], 0 offset:260
	s_waitcnt vmcnt(2)
	ds_write_b64 v105, v[106:107]
.LBB51_255:
	s_or_b64 exec, exec, s[4:5]
	s_waitcnt lgkmcnt(0)
	; wave barrier
	buffer_load_dword v115, off, s[0:3], 0 offset:264
	buffer_load_dword v116, off, s[0:3], 0 offset:268
	;; [unrolled: 1-line block ×22, first 2 shown]
	v_mov_b32_e32 v106, 0
	ds_read2_b64 v[107:110], v106 offset0:85 offset1:86
	ds_read2_b64 v[111:114], v106 offset0:87 offset1:88
	v_cmp_lt_u32_e32 vcc, 31, v0
	s_waitcnt vmcnt(20) lgkmcnt(1)
	v_fma_f64 v[107:108], v[115:116], v[107:108], 0
	s_waitcnt vmcnt(18)
	v_fma_f64 v[107:108], v[117:118], v[109:110], v[107:108]
	buffer_load_dword v116, off, s[0:3], 0 offset:356
	buffer_load_dword v117, off, s[0:3], 0 offset:376
	;; [unrolled: 1-line block ×7, first 2 shown]
	s_waitcnt vmcnt(23) lgkmcnt(0)
	v_fma_f64 v[107:108], v[119:120], v[111:112], v[107:108]
	s_waitcnt vmcnt(21)
	v_fma_f64 v[118:119], v[121:122], v[113:114], v[107:108]
	ds_read2_b64 v[107:110], v106 offset0:89 offset1:90
	ds_read2_b64 v[111:114], v106 offset0:91 offset1:92
	s_waitcnt vmcnt(19) lgkmcnt(1)
	v_fma_f64 v[107:108], v[123:124], v[107:108], v[118:119]
	buffer_load_dword v118, off, s[0:3], 0 offset:380
	s_waitcnt vmcnt(18)
	v_fma_f64 v[107:108], v[125:126], v[109:110], v[107:108]
	buffer_load_dword v120, off, s[0:3], 0 offset:388
	buffer_load_dword v121, off, s[0:3], 0 offset:408
	;; [unrolled: 1-line block ×8, first 2 shown]
	s_waitcnt vmcnt(24) lgkmcnt(0)
	v_fma_f64 v[107:108], v[127:128], v[111:112], v[107:108]
	s_waitcnt vmcnt(19)
	v_fma_f64 v[127:128], v[129:130], v[113:114], v[107:108]
	ds_read2_b64 v[107:110], v106 offset0:93 offset1:94
	ds_read2_b64 v[111:114], v106 offset0:95 offset1:96
	s_waitcnt vmcnt(18) lgkmcnt(1)
	v_fma_f64 v[107:108], v[135:136], v[107:108], v[127:128]
	buffer_load_dword v127, off, s[0:3], 0 offset:256
	buffer_load_dword v128, off, s[0:3], 0 offset:260
	s_waitcnt vmcnt(19)
	v_fma_f64 v[107:108], v[133:134], v[109:110], v[107:108]
	s_waitcnt vmcnt(18) lgkmcnt(0)
	v_fma_f64 v[107:108], v[131:132], v[111:112], v[107:108]
	s_waitcnt vmcnt(13)
	v_fma_f64 v[115:116], v[115:116], v[113:114], v[107:108]
	ds_read2_b64 v[107:110], v106 offset0:97 offset1:98
	ds_read2_b64 v[111:114], v106 offset0:99 offset1:100
	s_waitcnt vmcnt(12) lgkmcnt(1)
	v_fma_f64 v[107:108], v[139:140], v[107:108], v[115:116]
	s_waitcnt vmcnt(11)
	v_fma_f64 v[107:108], v[137:138], v[109:110], v[107:108]
	s_waitcnt vmcnt(10) lgkmcnt(0)
	v_fma_f64 v[107:108], v[117:118], v[111:112], v[107:108]
	s_waitcnt vmcnt(5)
	v_fma_f64 v[111:112], v[119:120], v[113:114], v[107:108]
	ds_read2_b64 v[107:110], v106 offset0:101 offset1:102
	ds_read_b64 v[113:114], v106 offset:824
	s_waitcnt vmcnt(4) lgkmcnt(1)
	v_fma_f64 v[107:108], v[125:126], v[107:108], v[111:112]
	s_waitcnt vmcnt(3)
	v_fma_f64 v[107:108], v[123:124], v[109:110], v[107:108]
	s_waitcnt vmcnt(2) lgkmcnt(0)
	v_fma_f64 v[107:108], v[121:122], v[113:114], v[107:108]
	s_waitcnt vmcnt(0)
	v_add_f64 v[107:108], v[127:128], -v[107:108]
	buffer_store_dword v108, off, s[0:3], 0 offset:260
	buffer_store_dword v107, off, s[0:3], 0 offset:256
	s_and_saveexec_b64 s[4:5], vcc
	s_cbranch_execz .LBB51_257
; %bb.256:
	buffer_load_dword v107, off, s[0:3], 0 offset:248
	buffer_load_dword v108, off, s[0:3], 0 offset:252
	s_waitcnt vmcnt(0)
	ds_write_b64 v105, v[107:108]
	buffer_store_dword v106, off, s[0:3], 0 offset:248
	buffer_store_dword v106, off, s[0:3], 0 offset:252
.LBB51_257:
	s_or_b64 exec, exec, s[4:5]
	s_waitcnt lgkmcnt(0)
	; wave barrier
	buffer_load_dword v115, off, s[0:3], 0 offset:256
	buffer_load_dword v116, off, s[0:3], 0 offset:260
	;; [unrolled: 1-line block ×22, first 2 shown]
	ds_read_b128 v[107:110], v106 offset:672
	ds_read_b128 v[111:114], v106 offset:688
	v_cmp_lt_u32_e32 vcc, 30, v0
	s_waitcnt vmcnt(20) lgkmcnt(1)
	v_fma_f64 v[107:108], v[115:116], v[107:108], 0
	s_waitcnt vmcnt(18)
	v_fma_f64 v[107:108], v[117:118], v[109:110], v[107:108]
	buffer_load_dword v116, off, s[0:3], 0 offset:348
	buffer_load_dword v117, off, s[0:3], 0 offset:368
	;; [unrolled: 1-line block ×7, first 2 shown]
	s_waitcnt vmcnt(23) lgkmcnt(0)
	v_fma_f64 v[107:108], v[119:120], v[111:112], v[107:108]
	s_waitcnt vmcnt(21)
	v_fma_f64 v[118:119], v[121:122], v[113:114], v[107:108]
	ds_read_b128 v[107:110], v106 offset:704
	ds_read_b128 v[111:114], v106 offset:720
	s_waitcnt vmcnt(19) lgkmcnt(1)
	v_fma_f64 v[107:108], v[123:124], v[107:108], v[118:119]
	buffer_load_dword v118, off, s[0:3], 0 offset:372
	s_waitcnt vmcnt(18)
	v_fma_f64 v[107:108], v[125:126], v[109:110], v[107:108]
	buffer_load_dword v120, off, s[0:3], 0 offset:380
	buffer_load_dword v121, off, s[0:3], 0 offset:400
	;; [unrolled: 1-line block ×8, first 2 shown]
	s_waitcnt vmcnt(24) lgkmcnt(0)
	v_fma_f64 v[107:108], v[127:128], v[111:112], v[107:108]
	s_waitcnt vmcnt(19)
	v_fma_f64 v[127:128], v[129:130], v[113:114], v[107:108]
	ds_read_b128 v[107:110], v106 offset:736
	ds_read_b128 v[111:114], v106 offset:752
	s_waitcnt vmcnt(18) lgkmcnt(1)
	v_fma_f64 v[107:108], v[135:136], v[107:108], v[127:128]
	buffer_load_dword v128, off, s[0:3], 0 offset:412
	buffer_load_dword v127, off, s[0:3], 0 offset:408
	;; [unrolled: 1-line block ×4, first 2 shown]
	s_waitcnt vmcnt(21)
	v_fma_f64 v[107:108], v[133:134], v[109:110], v[107:108]
	s_waitcnt vmcnt(20) lgkmcnt(0)
	v_fma_f64 v[107:108], v[131:132], v[111:112], v[107:108]
	s_waitcnt vmcnt(15)
	v_fma_f64 v[115:116], v[115:116], v[113:114], v[107:108]
	ds_read_b128 v[107:110], v106 offset:768
	ds_read_b128 v[111:114], v106 offset:784
	s_waitcnt vmcnt(14) lgkmcnt(1)
	v_fma_f64 v[107:108], v[139:140], v[107:108], v[115:116]
	s_waitcnt vmcnt(13)
	v_fma_f64 v[107:108], v[137:138], v[109:110], v[107:108]
	s_waitcnt vmcnt(12) lgkmcnt(0)
	v_fma_f64 v[107:108], v[117:118], v[111:112], v[107:108]
	s_waitcnt vmcnt(7)
	v_fma_f64 v[115:116], v[119:120], v[113:114], v[107:108]
	ds_read_b128 v[107:110], v106 offset:800
	ds_read_b128 v[111:114], v106 offset:816
	s_waitcnt vmcnt(6) lgkmcnt(1)
	v_fma_f64 v[106:107], v[125:126], v[107:108], v[115:116]
	s_waitcnt vmcnt(5)
	v_fma_f64 v[106:107], v[123:124], v[109:110], v[106:107]
	s_waitcnt vmcnt(4) lgkmcnt(0)
	v_fma_f64 v[106:107], v[121:122], v[111:112], v[106:107]
	s_waitcnt vmcnt(2)
	v_fma_f64 v[106:107], v[127:128], v[113:114], v[106:107]
	s_waitcnt vmcnt(0)
	v_add_f64 v[106:107], v[129:130], -v[106:107]
	buffer_store_dword v107, off, s[0:3], 0 offset:252
	buffer_store_dword v106, off, s[0:3], 0 offset:248
	s_and_saveexec_b64 s[4:5], vcc
	s_cbranch_execz .LBB51_259
; %bb.258:
	buffer_load_dword v106, off, s[0:3], 0 offset:240
	buffer_load_dword v107, off, s[0:3], 0 offset:244
	v_mov_b32_e32 v108, 0
	buffer_store_dword v108, off, s[0:3], 0 offset:240
	buffer_store_dword v108, off, s[0:3], 0 offset:244
	s_waitcnt vmcnt(2)
	ds_write_b64 v105, v[106:107]
.LBB51_259:
	s_or_b64 exec, exec, s[4:5]
	s_waitcnt lgkmcnt(0)
	; wave barrier
	buffer_load_dword v115, off, s[0:3], 0 offset:248
	buffer_load_dword v116, off, s[0:3], 0 offset:252
	;; [unrolled: 1-line block ×21, first 2 shown]
	v_mov_b32_e32 v106, 0
	ds_read2_b64 v[107:110], v106 offset0:83 offset1:84
	ds_read2_b64 v[111:114], v106 offset0:85 offset1:86
	buffer_load_dword v132, off, s[0:3], 0 offset:332
	v_cmp_lt_u32_e32 vcc, 29, v0
	s_waitcnt vmcnt(20) lgkmcnt(1)
	v_fma_f64 v[107:108], v[115:116], v[107:108], 0
	s_waitcnt vmcnt(18)
	v_fma_f64 v[107:108], v[117:118], v[109:110], v[107:108]
	buffer_load_dword v116, off, s[0:3], 0 offset:340
	buffer_load_dword v117, off, s[0:3], 0 offset:360
	;; [unrolled: 1-line block ×7, first 2 shown]
	s_waitcnt vmcnt(23) lgkmcnt(0)
	v_fma_f64 v[107:108], v[119:120], v[111:112], v[107:108]
	s_waitcnt vmcnt(21)
	v_fma_f64 v[118:119], v[121:122], v[113:114], v[107:108]
	ds_read2_b64 v[107:110], v106 offset0:87 offset1:88
	ds_read2_b64 v[111:114], v106 offset0:89 offset1:90
	s_waitcnt vmcnt(19) lgkmcnt(1)
	v_fma_f64 v[107:108], v[123:124], v[107:108], v[118:119]
	buffer_load_dword v118, off, s[0:3], 0 offset:364
	s_waitcnt vmcnt(18)
	v_fma_f64 v[107:108], v[125:126], v[109:110], v[107:108]
	buffer_load_dword v120, off, s[0:3], 0 offset:372
	buffer_load_dword v121, off, s[0:3], 0 offset:392
	;; [unrolled: 1-line block ×7, first 2 shown]
	s_waitcnt vmcnt(23) lgkmcnt(0)
	v_fma_f64 v[107:108], v[127:128], v[111:112], v[107:108]
	s_waitcnt vmcnt(18)
	v_fma_f64 v[127:128], v[129:130], v[113:114], v[107:108]
	ds_read2_b64 v[107:110], v106 offset0:91 offset1:92
	ds_read2_b64 v[111:114], v106 offset0:93 offset1:94
	buffer_load_dword v122, off, s[0:3], 0 offset:396
	s_waitcnt vmcnt(18) lgkmcnt(1)
	v_fma_f64 v[107:108], v[135:136], v[107:108], v[127:128]
	buffer_load_dword v128, off, s[0:3], 0 offset:404
	buffer_load_dword v129, off, s[0:3], 0 offset:408
	;; [unrolled: 1-line block ×4, first 2 shown]
	s_waitcnt vmcnt(21)
	v_fma_f64 v[107:108], v[133:134], v[109:110], v[107:108]
	s_waitcnt vmcnt(20) lgkmcnt(0)
	v_fma_f64 v[107:108], v[131:132], v[111:112], v[107:108]
	buffer_load_dword v131, off, s[0:3], 0 offset:240
	buffer_load_dword v132, off, s[0:3], 0 offset:244
	s_waitcnt vmcnt(17)
	v_fma_f64 v[115:116], v[115:116], v[113:114], v[107:108]
	ds_read2_b64 v[107:110], v106 offset0:95 offset1:96
	ds_read2_b64 v[111:114], v106 offset0:97 offset1:98
	s_waitcnt vmcnt(16) lgkmcnt(1)
	v_fma_f64 v[107:108], v[139:140], v[107:108], v[115:116]
	s_waitcnt vmcnt(15)
	v_fma_f64 v[107:108], v[137:138], v[109:110], v[107:108]
	s_waitcnt vmcnt(14) lgkmcnt(0)
	v_fma_f64 v[107:108], v[117:118], v[111:112], v[107:108]
	s_waitcnt vmcnt(9)
	v_fma_f64 v[115:116], v[119:120], v[113:114], v[107:108]
	ds_read2_b64 v[107:110], v106 offset0:99 offset1:100
	ds_read2_b64 v[111:114], v106 offset0:101 offset1:102
	s_waitcnt vmcnt(8) lgkmcnt(1)
	v_fma_f64 v[107:108], v[125:126], v[107:108], v[115:116]
	s_waitcnt vmcnt(7)
	v_fma_f64 v[107:108], v[123:124], v[109:110], v[107:108]
	ds_read_b64 v[109:110], v106 offset:824
	s_waitcnt vmcnt(6) lgkmcnt(1)
	v_fma_f64 v[107:108], v[121:122], v[111:112], v[107:108]
	s_waitcnt vmcnt(3)
	v_fma_f64 v[107:108], v[127:128], v[113:114], v[107:108]
	s_waitcnt vmcnt(2) lgkmcnt(0)
	v_fma_f64 v[107:108], v[129:130], v[109:110], v[107:108]
	s_waitcnt vmcnt(0)
	v_add_f64 v[107:108], v[131:132], -v[107:108]
	buffer_store_dword v108, off, s[0:3], 0 offset:244
	buffer_store_dword v107, off, s[0:3], 0 offset:240
	s_and_saveexec_b64 s[4:5], vcc
	s_cbranch_execz .LBB51_261
; %bb.260:
	buffer_load_dword v107, off, s[0:3], 0 offset:232
	buffer_load_dword v108, off, s[0:3], 0 offset:236
	s_waitcnt vmcnt(0)
	ds_write_b64 v105, v[107:108]
	buffer_store_dword v106, off, s[0:3], 0 offset:232
	buffer_store_dword v106, off, s[0:3], 0 offset:236
.LBB51_261:
	s_or_b64 exec, exec, s[4:5]
	s_waitcnt lgkmcnt(0)
	; wave barrier
	buffer_load_dword v115, off, s[0:3], 0 offset:240
	buffer_load_dword v116, off, s[0:3], 0 offset:244
	;; [unrolled: 1-line block ×21, first 2 shown]
	ds_read_b128 v[107:110], v106 offset:656
	ds_read_b128 v[111:114], v106 offset:672
	buffer_load_dword v132, off, s[0:3], 0 offset:324
	v_cmp_lt_u32_e32 vcc, 28, v0
	s_waitcnt vmcnt(20) lgkmcnt(1)
	v_fma_f64 v[107:108], v[115:116], v[107:108], 0
	s_waitcnt vmcnt(18)
	v_fma_f64 v[107:108], v[117:118], v[109:110], v[107:108]
	buffer_load_dword v116, off, s[0:3], 0 offset:332
	buffer_load_dword v117, off, s[0:3], 0 offset:352
	;; [unrolled: 1-line block ×7, first 2 shown]
	s_waitcnt vmcnt(23) lgkmcnt(0)
	v_fma_f64 v[107:108], v[119:120], v[111:112], v[107:108]
	s_waitcnt vmcnt(21)
	v_fma_f64 v[118:119], v[121:122], v[113:114], v[107:108]
	ds_read_b128 v[107:110], v106 offset:688
	ds_read_b128 v[111:114], v106 offset:704
	s_waitcnt vmcnt(19) lgkmcnt(1)
	v_fma_f64 v[107:108], v[123:124], v[107:108], v[118:119]
	buffer_load_dword v118, off, s[0:3], 0 offset:356
	s_waitcnt vmcnt(18)
	v_fma_f64 v[107:108], v[125:126], v[109:110], v[107:108]
	buffer_load_dword v120, off, s[0:3], 0 offset:364
	buffer_load_dword v121, off, s[0:3], 0 offset:384
	;; [unrolled: 1-line block ×8, first 2 shown]
	s_waitcnt vmcnt(24) lgkmcnt(0)
	v_fma_f64 v[107:108], v[127:128], v[111:112], v[107:108]
	s_waitcnt vmcnt(19)
	v_fma_f64 v[127:128], v[129:130], v[113:114], v[107:108]
	ds_read_b128 v[107:110], v106 offset:720
	ds_read_b128 v[111:114], v106 offset:736
	s_waitcnt vmcnt(18) lgkmcnt(1)
	v_fma_f64 v[107:108], v[135:136], v[107:108], v[127:128]
	s_waitcnt vmcnt(17)
	v_fma_f64 v[107:108], v[133:134], v[109:110], v[107:108]
	buffer_load_dword v128, off, s[0:3], 0 offset:396
	buffer_load_dword v129, off, s[0:3], 0 offset:408
	;; [unrolled: 1-line block ×6, first 2 shown]
	s_waitcnt vmcnt(22) lgkmcnt(0)
	v_fma_f64 v[107:108], v[131:132], v[111:112], v[107:108]
	s_waitcnt vmcnt(17)
	v_fma_f64 v[115:116], v[115:116], v[113:114], v[107:108]
	ds_read_b128 v[107:110], v106 offset:752
	buffer_load_dword v131, off, s[0:3], 0 offset:232
	buffer_load_dword v132, off, s[0:3], 0 offset:236
	ds_read_b128 v[111:114], v106 offset:768
	s_waitcnt vmcnt(18) lgkmcnt(1)
	v_fma_f64 v[107:108], v[139:140], v[107:108], v[115:116]
	s_waitcnt vmcnt(17)
	v_fma_f64 v[107:108], v[137:138], v[109:110], v[107:108]
	s_waitcnt vmcnt(16) lgkmcnt(0)
	v_fma_f64 v[107:108], v[117:118], v[111:112], v[107:108]
	s_waitcnt vmcnt(11)
	v_fma_f64 v[115:116], v[119:120], v[113:114], v[107:108]
	ds_read_b128 v[107:110], v106 offset:784
	ds_read_b128 v[111:114], v106 offset:800
	s_waitcnt vmcnt(10) lgkmcnt(1)
	v_fma_f64 v[107:108], v[125:126], v[107:108], v[115:116]
	s_waitcnt vmcnt(9)
	v_fma_f64 v[107:108], v[123:124], v[109:110], v[107:108]
	s_waitcnt vmcnt(8) lgkmcnt(0)
	v_fma_f64 v[107:108], v[121:122], v[111:112], v[107:108]
	s_waitcnt vmcnt(4)
	v_fma_f64 v[110:111], v[127:128], v[113:114], v[107:108]
	ds_read_b128 v[106:109], v106 offset:816
	s_waitcnt vmcnt(3) lgkmcnt(0)
	v_fma_f64 v[106:107], v[133:134], v[106:107], v[110:111]
	s_waitcnt vmcnt(2)
	v_fma_f64 v[106:107], v[129:130], v[108:109], v[106:107]
	s_waitcnt vmcnt(0)
	v_add_f64 v[106:107], v[131:132], -v[106:107]
	buffer_store_dword v107, off, s[0:3], 0 offset:236
	buffer_store_dword v106, off, s[0:3], 0 offset:232
	s_and_saveexec_b64 s[4:5], vcc
	s_cbranch_execz .LBB51_263
; %bb.262:
	buffer_load_dword v106, off, s[0:3], 0 offset:224
	buffer_load_dword v107, off, s[0:3], 0 offset:228
	v_mov_b32_e32 v108, 0
	buffer_store_dword v108, off, s[0:3], 0 offset:224
	buffer_store_dword v108, off, s[0:3], 0 offset:228
	s_waitcnt vmcnt(2)
	ds_write_b64 v105, v[106:107]
.LBB51_263:
	s_or_b64 exec, exec, s[4:5]
	s_waitcnt lgkmcnt(0)
	; wave barrier
	buffer_load_dword v115, off, s[0:3], 0 offset:232
	buffer_load_dword v116, off, s[0:3], 0 offset:236
	;; [unrolled: 1-line block ×21, first 2 shown]
	v_mov_b32_e32 v106, 0
	ds_read2_b64 v[107:110], v106 offset0:81 offset1:82
	ds_read2_b64 v[111:114], v106 offset0:83 offset1:84
	buffer_load_dword v132, off, s[0:3], 0 offset:316
	v_cmp_lt_u32_e32 vcc, 27, v0
	s_waitcnt vmcnt(20) lgkmcnt(1)
	v_fma_f64 v[107:108], v[115:116], v[107:108], 0
	s_waitcnt vmcnt(18)
	v_fma_f64 v[107:108], v[117:118], v[109:110], v[107:108]
	buffer_load_dword v116, off, s[0:3], 0 offset:324
	buffer_load_dword v117, off, s[0:3], 0 offset:344
	;; [unrolled: 1-line block ×7, first 2 shown]
	s_waitcnt vmcnt(23) lgkmcnt(0)
	v_fma_f64 v[107:108], v[119:120], v[111:112], v[107:108]
	s_waitcnt vmcnt(21)
	v_fma_f64 v[118:119], v[121:122], v[113:114], v[107:108]
	ds_read2_b64 v[107:110], v106 offset0:85 offset1:86
	ds_read2_b64 v[111:114], v106 offset0:87 offset1:88
	s_waitcnt vmcnt(19) lgkmcnt(1)
	v_fma_f64 v[107:108], v[123:124], v[107:108], v[118:119]
	buffer_load_dword v118, off, s[0:3], 0 offset:348
	s_waitcnt vmcnt(18)
	v_fma_f64 v[107:108], v[125:126], v[109:110], v[107:108]
	buffer_load_dword v120, off, s[0:3], 0 offset:356
	buffer_load_dword v121, off, s[0:3], 0 offset:376
	buffer_load_dword v123, off, s[0:3], 0 offset:368
	buffer_load_dword v125, off, s[0:3], 0 offset:360
	buffer_load_dword v119, off, s[0:3], 0 offset:352
	buffer_load_dword v126, off, s[0:3], 0 offset:364
	buffer_load_dword v124, off, s[0:3], 0 offset:372
	buffer_load_dword v122, off, s[0:3], 0 offset:380
	s_waitcnt vmcnt(24) lgkmcnt(0)
	v_fma_f64 v[107:108], v[127:128], v[111:112], v[107:108]
	s_waitcnt vmcnt(19)
	v_fma_f64 v[127:128], v[129:130], v[113:114], v[107:108]
	ds_read2_b64 v[107:110], v106 offset0:89 offset1:90
	ds_read2_b64 v[111:114], v106 offset0:91 offset1:92
	s_waitcnt vmcnt(18) lgkmcnt(1)
	v_fma_f64 v[107:108], v[135:136], v[107:108], v[127:128]
	s_waitcnt vmcnt(17)
	v_fma_f64 v[107:108], v[133:134], v[109:110], v[107:108]
	buffer_load_dword v128, off, s[0:3], 0 offset:388
	buffer_load_dword v129, off, s[0:3], 0 offset:408
	;; [unrolled: 1-line block ×8, first 2 shown]
	s_waitcnt vmcnt(24) lgkmcnt(0)
	v_fma_f64 v[107:108], v[131:132], v[111:112], v[107:108]
	s_waitcnt vmcnt(19)
	v_fma_f64 v[115:116], v[115:116], v[113:114], v[107:108]
	ds_read2_b64 v[107:110], v106 offset0:93 offset1:94
	ds_read2_b64 v[111:114], v106 offset0:95 offset1:96
	s_waitcnt vmcnt(18) lgkmcnt(1)
	v_fma_f64 v[107:108], v[139:140], v[107:108], v[115:116]
	buffer_load_dword v115, off, s[0:3], 0 offset:224
	buffer_load_dword v116, off, s[0:3], 0 offset:228
	s_waitcnt vmcnt(19)
	v_fma_f64 v[107:108], v[137:138], v[109:110], v[107:108]
	s_waitcnt vmcnt(18) lgkmcnt(0)
	v_fma_f64 v[107:108], v[117:118], v[111:112], v[107:108]
	s_waitcnt vmcnt(13)
	v_fma_f64 v[117:118], v[119:120], v[113:114], v[107:108]
	ds_read2_b64 v[107:110], v106 offset0:97 offset1:98
	ds_read2_b64 v[111:114], v106 offset0:99 offset1:100
	s_waitcnt vmcnt(12) lgkmcnt(1)
	v_fma_f64 v[107:108], v[125:126], v[107:108], v[117:118]
	s_waitcnt vmcnt(11)
	v_fma_f64 v[107:108], v[123:124], v[109:110], v[107:108]
	s_waitcnt vmcnt(10) lgkmcnt(0)
	v_fma_f64 v[107:108], v[121:122], v[111:112], v[107:108]
	s_waitcnt vmcnt(5)
	v_fma_f64 v[111:112], v[127:128], v[113:114], v[107:108]
	ds_read2_b64 v[107:110], v106 offset0:101 offset1:102
	ds_read_b64 v[113:114], v106 offset:824
	s_waitcnt vmcnt(4) lgkmcnt(1)
	v_fma_f64 v[107:108], v[135:136], v[107:108], v[111:112]
	s_waitcnt vmcnt(3)
	v_fma_f64 v[107:108], v[133:134], v[109:110], v[107:108]
	s_waitcnt vmcnt(2) lgkmcnt(0)
	v_fma_f64 v[107:108], v[129:130], v[113:114], v[107:108]
	s_waitcnt vmcnt(0)
	v_add_f64 v[107:108], v[115:116], -v[107:108]
	buffer_store_dword v108, off, s[0:3], 0 offset:228
	buffer_store_dword v107, off, s[0:3], 0 offset:224
	s_and_saveexec_b64 s[4:5], vcc
	s_cbranch_execz .LBB51_265
; %bb.264:
	buffer_load_dword v107, off, s[0:3], 0 offset:216
	buffer_load_dword v108, off, s[0:3], 0 offset:220
	s_waitcnt vmcnt(0)
	ds_write_b64 v105, v[107:108]
	buffer_store_dword v106, off, s[0:3], 0 offset:216
	buffer_store_dword v106, off, s[0:3], 0 offset:220
.LBB51_265:
	s_or_b64 exec, exec, s[4:5]
	s_waitcnt lgkmcnt(0)
	; wave barrier
	buffer_load_dword v115, off, s[0:3], 0 offset:224
	buffer_load_dword v116, off, s[0:3], 0 offset:228
	;; [unrolled: 1-line block ×21, first 2 shown]
	ds_read_b128 v[107:110], v106 offset:640
	ds_read_b128 v[111:114], v106 offset:656
	buffer_load_dword v132, off, s[0:3], 0 offset:308
	v_cmp_lt_u32_e32 vcc, 26, v0
	s_waitcnt vmcnt(20) lgkmcnt(1)
	v_fma_f64 v[107:108], v[115:116], v[107:108], 0
	s_waitcnt vmcnt(18)
	v_fma_f64 v[107:108], v[117:118], v[109:110], v[107:108]
	buffer_load_dword v116, off, s[0:3], 0 offset:316
	buffer_load_dword v117, off, s[0:3], 0 offset:336
	buffer_load_dword v137, off, s[0:3], 0 offset:328
	buffer_load_dword v139, off, s[0:3], 0 offset:320
	buffer_load_dword v115, off, s[0:3], 0 offset:312
	buffer_load_dword v140, off, s[0:3], 0 offset:324
	buffer_load_dword v138, off, s[0:3], 0 offset:332
	s_waitcnt vmcnt(23) lgkmcnt(0)
	v_fma_f64 v[107:108], v[119:120], v[111:112], v[107:108]
	s_waitcnt vmcnt(21)
	v_fma_f64 v[118:119], v[121:122], v[113:114], v[107:108]
	ds_read_b128 v[107:110], v106 offset:672
	ds_read_b128 v[111:114], v106 offset:688
	s_waitcnt vmcnt(19) lgkmcnt(1)
	v_fma_f64 v[107:108], v[123:124], v[107:108], v[118:119]
	buffer_load_dword v118, off, s[0:3], 0 offset:340
	s_waitcnt vmcnt(18)
	v_fma_f64 v[107:108], v[125:126], v[109:110], v[107:108]
	buffer_load_dword v120, off, s[0:3], 0 offset:348
	buffer_load_dword v121, off, s[0:3], 0 offset:368
	buffer_load_dword v123, off, s[0:3], 0 offset:360
	buffer_load_dword v125, off, s[0:3], 0 offset:352
	buffer_load_dword v119, off, s[0:3], 0 offset:344
	buffer_load_dword v126, off, s[0:3], 0 offset:356
	buffer_load_dword v124, off, s[0:3], 0 offset:364
	buffer_load_dword v122, off, s[0:3], 0 offset:372
	s_waitcnt vmcnt(24) lgkmcnt(0)
	v_fma_f64 v[107:108], v[127:128], v[111:112], v[107:108]
	s_waitcnt vmcnt(19)
	v_fma_f64 v[127:128], v[129:130], v[113:114], v[107:108]
	ds_read_b128 v[107:110], v106 offset:704
	ds_read_b128 v[111:114], v106 offset:720
	s_waitcnt vmcnt(18) lgkmcnt(1)
	v_fma_f64 v[107:108], v[135:136], v[107:108], v[127:128]
	s_waitcnt vmcnt(17)
	v_fma_f64 v[107:108], v[133:134], v[109:110], v[107:108]
	buffer_load_dword v128, off, s[0:3], 0 offset:380
	buffer_load_dword v129, off, s[0:3], 0 offset:400
	;; [unrolled: 1-line block ×8, first 2 shown]
	s_waitcnt vmcnt(24) lgkmcnt(0)
	v_fma_f64 v[107:108], v[131:132], v[111:112], v[107:108]
	s_waitcnt vmcnt(19)
	v_fma_f64 v[115:116], v[115:116], v[113:114], v[107:108]
	ds_read_b128 v[107:110], v106 offset:736
	ds_read_b128 v[111:114], v106 offset:752
	s_waitcnt vmcnt(18) lgkmcnt(1)
	v_fma_f64 v[107:108], v[139:140], v[107:108], v[115:116]
	buffer_load_dword v116, off, s[0:3], 0 offset:412
	buffer_load_dword v115, off, s[0:3], 0 offset:408
	buffer_load_dword v131, off, s[0:3], 0 offset:216
	buffer_load_dword v132, off, s[0:3], 0 offset:220
	s_waitcnt vmcnt(21)
	v_fma_f64 v[107:108], v[137:138], v[109:110], v[107:108]
	s_waitcnt vmcnt(20) lgkmcnt(0)
	v_fma_f64 v[107:108], v[117:118], v[111:112], v[107:108]
	s_waitcnt vmcnt(15)
	v_fma_f64 v[117:118], v[119:120], v[113:114], v[107:108]
	ds_read_b128 v[107:110], v106 offset:768
	ds_read_b128 v[111:114], v106 offset:784
	s_waitcnt vmcnt(14) lgkmcnt(1)
	v_fma_f64 v[107:108], v[125:126], v[107:108], v[117:118]
	s_waitcnt vmcnt(13)
	v_fma_f64 v[107:108], v[123:124], v[109:110], v[107:108]
	s_waitcnt vmcnt(12) lgkmcnt(0)
	v_fma_f64 v[107:108], v[121:122], v[111:112], v[107:108]
	s_waitcnt vmcnt(7)
	v_fma_f64 v[117:118], v[127:128], v[113:114], v[107:108]
	ds_read_b128 v[107:110], v106 offset:800
	ds_read_b128 v[111:114], v106 offset:816
	s_waitcnt vmcnt(6) lgkmcnt(1)
	v_fma_f64 v[106:107], v[135:136], v[107:108], v[117:118]
	s_waitcnt vmcnt(5)
	v_fma_f64 v[106:107], v[133:134], v[109:110], v[106:107]
	s_waitcnt vmcnt(4) lgkmcnt(0)
	v_fma_f64 v[106:107], v[129:130], v[111:112], v[106:107]
	s_waitcnt vmcnt(2)
	v_fma_f64 v[106:107], v[115:116], v[113:114], v[106:107]
	s_waitcnt vmcnt(0)
	v_add_f64 v[106:107], v[131:132], -v[106:107]
	buffer_store_dword v107, off, s[0:3], 0 offset:220
	buffer_store_dword v106, off, s[0:3], 0 offset:216
	s_and_saveexec_b64 s[4:5], vcc
	s_cbranch_execz .LBB51_267
; %bb.266:
	buffer_load_dword v106, off, s[0:3], 0 offset:208
	buffer_load_dword v107, off, s[0:3], 0 offset:212
	v_mov_b32_e32 v108, 0
	buffer_store_dword v108, off, s[0:3], 0 offset:208
	buffer_store_dword v108, off, s[0:3], 0 offset:212
	s_waitcnt vmcnt(2)
	ds_write_b64 v105, v[106:107]
.LBB51_267:
	s_or_b64 exec, exec, s[4:5]
	s_waitcnt lgkmcnt(0)
	; wave barrier
	buffer_load_dword v115, off, s[0:3], 0 offset:216
	buffer_load_dword v116, off, s[0:3], 0 offset:220
	;; [unrolled: 1-line block ×21, first 2 shown]
	v_mov_b32_e32 v106, 0
	ds_read2_b64 v[107:110], v106 offset0:79 offset1:80
	ds_read2_b64 v[111:114], v106 offset0:81 offset1:82
	buffer_load_dword v132, off, s[0:3], 0 offset:300
	v_cmp_lt_u32_e32 vcc, 25, v0
	s_waitcnt vmcnt(20) lgkmcnt(1)
	v_fma_f64 v[107:108], v[115:116], v[107:108], 0
	s_waitcnt vmcnt(18)
	v_fma_f64 v[107:108], v[117:118], v[109:110], v[107:108]
	buffer_load_dword v116, off, s[0:3], 0 offset:308
	buffer_load_dword v117, off, s[0:3], 0 offset:328
	;; [unrolled: 1-line block ×7, first 2 shown]
	s_waitcnt vmcnt(23) lgkmcnt(0)
	v_fma_f64 v[107:108], v[119:120], v[111:112], v[107:108]
	s_waitcnt vmcnt(21)
	v_fma_f64 v[118:119], v[121:122], v[113:114], v[107:108]
	ds_read2_b64 v[107:110], v106 offset0:83 offset1:84
	ds_read2_b64 v[111:114], v106 offset0:85 offset1:86
	s_waitcnt vmcnt(19) lgkmcnt(1)
	v_fma_f64 v[107:108], v[123:124], v[107:108], v[118:119]
	buffer_load_dword v118, off, s[0:3], 0 offset:332
	s_waitcnt vmcnt(18)
	v_fma_f64 v[107:108], v[125:126], v[109:110], v[107:108]
	buffer_load_dword v120, off, s[0:3], 0 offset:340
	buffer_load_dword v121, off, s[0:3], 0 offset:360
	;; [unrolled: 1-line block ×8, first 2 shown]
	s_waitcnt vmcnt(24) lgkmcnt(0)
	v_fma_f64 v[107:108], v[127:128], v[111:112], v[107:108]
	s_waitcnt vmcnt(19)
	v_fma_f64 v[127:128], v[129:130], v[113:114], v[107:108]
	ds_read2_b64 v[107:110], v106 offset0:87 offset1:88
	ds_read2_b64 v[111:114], v106 offset0:89 offset1:90
	s_waitcnt vmcnt(18) lgkmcnt(1)
	v_fma_f64 v[107:108], v[135:136], v[107:108], v[127:128]
	s_waitcnt vmcnt(17)
	v_fma_f64 v[107:108], v[133:134], v[109:110], v[107:108]
	buffer_load_dword v128, off, s[0:3], 0 offset:372
	buffer_load_dword v129, off, s[0:3], 0 offset:392
	buffer_load_dword v133, off, s[0:3], 0 offset:384
	buffer_load_dword v135, off, s[0:3], 0 offset:376
	buffer_load_dword v127, off, s[0:3], 0 offset:368
	buffer_load_dword v136, off, s[0:3], 0 offset:380
	buffer_load_dword v134, off, s[0:3], 0 offset:388
	s_waitcnt vmcnt(23) lgkmcnt(0)
	v_fma_f64 v[107:108], v[131:132], v[111:112], v[107:108]
	s_waitcnt vmcnt(18)
	v_fma_f64 v[115:116], v[115:116], v[113:114], v[107:108]
	ds_read2_b64 v[107:110], v106 offset0:91 offset1:92
	ds_read2_b64 v[111:114], v106 offset0:93 offset1:94
	buffer_load_dword v130, off, s[0:3], 0 offset:396
	s_waitcnt vmcnt(18) lgkmcnt(1)
	v_fma_f64 v[107:108], v[139:140], v[107:108], v[115:116]
	buffer_load_dword v116, off, s[0:3], 0 offset:404
	buffer_load_dword v131, off, s[0:3], 0 offset:408
	buffer_load_dword v115, off, s[0:3], 0 offset:400
	buffer_load_dword v132, off, s[0:3], 0 offset:412
	s_waitcnt vmcnt(21)
	v_fma_f64 v[107:108], v[137:138], v[109:110], v[107:108]
	s_waitcnt vmcnt(20) lgkmcnt(0)
	v_fma_f64 v[107:108], v[117:118], v[111:112], v[107:108]
	buffer_load_dword v117, off, s[0:3], 0 offset:208
	buffer_load_dword v118, off, s[0:3], 0 offset:212
	s_waitcnt vmcnt(17)
	v_fma_f64 v[119:120], v[119:120], v[113:114], v[107:108]
	ds_read2_b64 v[107:110], v106 offset0:95 offset1:96
	ds_read2_b64 v[111:114], v106 offset0:97 offset1:98
	s_waitcnt vmcnt(16) lgkmcnt(1)
	v_fma_f64 v[107:108], v[125:126], v[107:108], v[119:120]
	s_waitcnt vmcnt(15)
	v_fma_f64 v[107:108], v[123:124], v[109:110], v[107:108]
	s_waitcnt vmcnt(14) lgkmcnt(0)
	v_fma_f64 v[107:108], v[121:122], v[111:112], v[107:108]
	s_waitcnt vmcnt(9)
	v_fma_f64 v[119:120], v[127:128], v[113:114], v[107:108]
	ds_read2_b64 v[107:110], v106 offset0:99 offset1:100
	ds_read2_b64 v[111:114], v106 offset0:101 offset1:102
	s_waitcnt vmcnt(8) lgkmcnt(1)
	v_fma_f64 v[107:108], v[135:136], v[107:108], v[119:120]
	s_waitcnt vmcnt(7)
	v_fma_f64 v[107:108], v[133:134], v[109:110], v[107:108]
	ds_read_b64 v[109:110], v106 offset:824
	s_waitcnt vmcnt(6) lgkmcnt(1)
	v_fma_f64 v[107:108], v[129:130], v[111:112], v[107:108]
	s_waitcnt vmcnt(3)
	v_fma_f64 v[107:108], v[115:116], v[113:114], v[107:108]
	s_waitcnt vmcnt(2) lgkmcnt(0)
	v_fma_f64 v[107:108], v[131:132], v[109:110], v[107:108]
	s_waitcnt vmcnt(0)
	v_add_f64 v[107:108], v[117:118], -v[107:108]
	buffer_store_dword v108, off, s[0:3], 0 offset:212
	buffer_store_dword v107, off, s[0:3], 0 offset:208
	s_and_saveexec_b64 s[4:5], vcc
	s_cbranch_execz .LBB51_269
; %bb.268:
	buffer_load_dword v107, off, s[0:3], 0 offset:200
	buffer_load_dword v108, off, s[0:3], 0 offset:204
	s_waitcnt vmcnt(0)
	ds_write_b64 v105, v[107:108]
	buffer_store_dword v106, off, s[0:3], 0 offset:200
	buffer_store_dword v106, off, s[0:3], 0 offset:204
.LBB51_269:
	s_or_b64 exec, exec, s[4:5]
	s_waitcnt lgkmcnt(0)
	; wave barrier
	buffer_load_dword v115, off, s[0:3], 0 offset:208
	buffer_load_dword v116, off, s[0:3], 0 offset:212
	;; [unrolled: 1-line block ×22, first 2 shown]
	ds_read_b128 v[107:110], v106 offset:624
	ds_read_b128 v[111:114], v106 offset:640
	v_cmp_lt_u32_e32 vcc, 24, v0
	s_waitcnt vmcnt(20) lgkmcnt(1)
	v_fma_f64 v[107:108], v[115:116], v[107:108], 0
	s_waitcnt vmcnt(18)
	v_fma_f64 v[107:108], v[117:118], v[109:110], v[107:108]
	buffer_load_dword v116, off, s[0:3], 0 offset:300
	buffer_load_dword v117, off, s[0:3], 0 offset:320
	;; [unrolled: 1-line block ×7, first 2 shown]
	s_waitcnt vmcnt(23) lgkmcnt(0)
	v_fma_f64 v[107:108], v[119:120], v[111:112], v[107:108]
	s_waitcnt vmcnt(21)
	v_fma_f64 v[118:119], v[121:122], v[113:114], v[107:108]
	ds_read_b128 v[107:110], v106 offset:656
	ds_read_b128 v[111:114], v106 offset:672
	s_waitcnt vmcnt(19) lgkmcnt(1)
	v_fma_f64 v[107:108], v[123:124], v[107:108], v[118:119]
	buffer_load_dword v118, off, s[0:3], 0 offset:324
	s_waitcnt vmcnt(18)
	v_fma_f64 v[107:108], v[125:126], v[109:110], v[107:108]
	buffer_load_dword v120, off, s[0:3], 0 offset:332
	buffer_load_dword v121, off, s[0:3], 0 offset:352
	buffer_load_dword v123, off, s[0:3], 0 offset:344
	buffer_load_dword v125, off, s[0:3], 0 offset:336
	buffer_load_dword v119, off, s[0:3], 0 offset:328
	buffer_load_dword v126, off, s[0:3], 0 offset:340
	buffer_load_dword v124, off, s[0:3], 0 offset:348
	buffer_load_dword v122, off, s[0:3], 0 offset:356
	s_waitcnt vmcnt(24) lgkmcnt(0)
	v_fma_f64 v[107:108], v[127:128], v[111:112], v[107:108]
	s_waitcnt vmcnt(19)
	v_fma_f64 v[127:128], v[129:130], v[113:114], v[107:108]
	ds_read_b128 v[107:110], v106 offset:688
	ds_read_b128 v[111:114], v106 offset:704
	s_waitcnt vmcnt(18) lgkmcnt(1)
	v_fma_f64 v[107:108], v[135:136], v[107:108], v[127:128]
	s_waitcnt vmcnt(17)
	v_fma_f64 v[107:108], v[133:134], v[109:110], v[107:108]
	buffer_load_dword v128, off, s[0:3], 0 offset:364
	buffer_load_dword v129, off, s[0:3], 0 offset:384
	;; [unrolled: 1-line block ×8, first 2 shown]
	s_waitcnt vmcnt(24) lgkmcnt(0)
	v_fma_f64 v[107:108], v[131:132], v[111:112], v[107:108]
	s_waitcnt vmcnt(19)
	v_fma_f64 v[115:116], v[115:116], v[113:114], v[107:108]
	ds_read_b128 v[107:110], v106 offset:720
	ds_read_b128 v[111:114], v106 offset:736
	s_waitcnt vmcnt(18) lgkmcnt(1)
	v_fma_f64 v[107:108], v[139:140], v[107:108], v[115:116]
	s_waitcnt vmcnt(17)
	v_fma_f64 v[107:108], v[137:138], v[109:110], v[107:108]
	buffer_load_dword v116, off, s[0:3], 0 offset:396
	buffer_load_dword v131, off, s[0:3], 0 offset:408
	;; [unrolled: 1-line block ×6, first 2 shown]
	s_waitcnt vmcnt(22) lgkmcnt(0)
	v_fma_f64 v[107:108], v[117:118], v[111:112], v[107:108]
	s_waitcnt vmcnt(17)
	v_fma_f64 v[117:118], v[119:120], v[113:114], v[107:108]
	ds_read_b128 v[107:110], v106 offset:752
	buffer_load_dword v119, off, s[0:3], 0 offset:200
	buffer_load_dword v120, off, s[0:3], 0 offset:204
	ds_read_b128 v[111:114], v106 offset:768
	s_waitcnt vmcnt(18) lgkmcnt(1)
	v_fma_f64 v[107:108], v[125:126], v[107:108], v[117:118]
	s_waitcnt vmcnt(17)
	v_fma_f64 v[107:108], v[123:124], v[109:110], v[107:108]
	s_waitcnt vmcnt(16) lgkmcnt(0)
	v_fma_f64 v[107:108], v[121:122], v[111:112], v[107:108]
	s_waitcnt vmcnt(11)
	v_fma_f64 v[117:118], v[127:128], v[113:114], v[107:108]
	ds_read_b128 v[107:110], v106 offset:784
	ds_read_b128 v[111:114], v106 offset:800
	s_waitcnt vmcnt(10) lgkmcnt(1)
	v_fma_f64 v[107:108], v[135:136], v[107:108], v[117:118]
	s_waitcnt vmcnt(9)
	v_fma_f64 v[107:108], v[133:134], v[109:110], v[107:108]
	s_waitcnt vmcnt(8) lgkmcnt(0)
	v_fma_f64 v[107:108], v[129:130], v[111:112], v[107:108]
	s_waitcnt vmcnt(4)
	v_fma_f64 v[110:111], v[115:116], v[113:114], v[107:108]
	ds_read_b128 v[106:109], v106 offset:816
	s_waitcnt vmcnt(3) lgkmcnt(0)
	v_fma_f64 v[106:107], v[137:138], v[106:107], v[110:111]
	s_waitcnt vmcnt(2)
	v_fma_f64 v[106:107], v[131:132], v[108:109], v[106:107]
	s_waitcnt vmcnt(0)
	v_add_f64 v[106:107], v[119:120], -v[106:107]
	buffer_store_dword v107, off, s[0:3], 0 offset:204
	buffer_store_dword v106, off, s[0:3], 0 offset:200
	s_and_saveexec_b64 s[4:5], vcc
	s_cbranch_execz .LBB51_271
; %bb.270:
	buffer_load_dword v106, off, s[0:3], 0 offset:192
	buffer_load_dword v107, off, s[0:3], 0 offset:196
	v_mov_b32_e32 v108, 0
	buffer_store_dword v108, off, s[0:3], 0 offset:192
	buffer_store_dword v108, off, s[0:3], 0 offset:196
	s_waitcnt vmcnt(2)
	ds_write_b64 v105, v[106:107]
.LBB51_271:
	s_or_b64 exec, exec, s[4:5]
	s_waitcnt lgkmcnt(0)
	; wave barrier
	buffer_load_dword v115, off, s[0:3], 0 offset:200
	buffer_load_dword v116, off, s[0:3], 0 offset:204
	;; [unrolled: 1-line block ×22, first 2 shown]
	v_mov_b32_e32 v106, 0
	ds_read2_b64 v[107:110], v106 offset0:77 offset1:78
	ds_read2_b64 v[111:114], v106 offset0:79 offset1:80
	v_cmp_lt_u32_e32 vcc, 23, v0
	s_waitcnt vmcnt(20) lgkmcnt(1)
	v_fma_f64 v[107:108], v[115:116], v[107:108], 0
	s_waitcnt vmcnt(18)
	v_fma_f64 v[107:108], v[117:118], v[109:110], v[107:108]
	buffer_load_dword v116, off, s[0:3], 0 offset:292
	buffer_load_dword v117, off, s[0:3], 0 offset:312
	;; [unrolled: 1-line block ×7, first 2 shown]
	s_waitcnt vmcnt(23) lgkmcnt(0)
	v_fma_f64 v[107:108], v[119:120], v[111:112], v[107:108]
	s_waitcnt vmcnt(21)
	v_fma_f64 v[118:119], v[121:122], v[113:114], v[107:108]
	ds_read2_b64 v[107:110], v106 offset0:81 offset1:82
	ds_read2_b64 v[111:114], v106 offset0:83 offset1:84
	s_waitcnt vmcnt(19) lgkmcnt(1)
	v_fma_f64 v[107:108], v[123:124], v[107:108], v[118:119]
	buffer_load_dword v118, off, s[0:3], 0 offset:316
	s_waitcnt vmcnt(18)
	v_fma_f64 v[107:108], v[125:126], v[109:110], v[107:108]
	buffer_load_dword v120, off, s[0:3], 0 offset:324
	buffer_load_dword v121, off, s[0:3], 0 offset:344
	buffer_load_dword v123, off, s[0:3], 0 offset:336
	buffer_load_dword v125, off, s[0:3], 0 offset:328
	buffer_load_dword v119, off, s[0:3], 0 offset:320
	buffer_load_dword v126, off, s[0:3], 0 offset:332
	buffer_load_dword v124, off, s[0:3], 0 offset:340
	buffer_load_dword v122, off, s[0:3], 0 offset:348
	s_waitcnt vmcnt(24) lgkmcnt(0)
	v_fma_f64 v[107:108], v[127:128], v[111:112], v[107:108]
	s_waitcnt vmcnt(19)
	v_fma_f64 v[127:128], v[129:130], v[113:114], v[107:108]
	ds_read2_b64 v[107:110], v106 offset0:85 offset1:86
	ds_read2_b64 v[111:114], v106 offset0:87 offset1:88
	s_waitcnt vmcnt(18) lgkmcnt(1)
	v_fma_f64 v[107:108], v[135:136], v[107:108], v[127:128]
	s_waitcnt vmcnt(17)
	v_fma_f64 v[107:108], v[133:134], v[109:110], v[107:108]
	buffer_load_dword v128, off, s[0:3], 0 offset:356
	buffer_load_dword v129, off, s[0:3], 0 offset:376
	buffer_load_dword v133, off, s[0:3], 0 offset:368
	buffer_load_dword v135, off, s[0:3], 0 offset:360
	buffer_load_dword v127, off, s[0:3], 0 offset:352
	buffer_load_dword v136, off, s[0:3], 0 offset:364
	buffer_load_dword v134, off, s[0:3], 0 offset:372
	buffer_load_dword v130, off, s[0:3], 0 offset:380
	s_waitcnt vmcnt(24) lgkmcnt(0)
	v_fma_f64 v[107:108], v[131:132], v[111:112], v[107:108]
	s_waitcnt vmcnt(19)
	v_fma_f64 v[115:116], v[115:116], v[113:114], v[107:108]
	ds_read2_b64 v[107:110], v106 offset0:89 offset1:90
	ds_read2_b64 v[111:114], v106 offset0:91 offset1:92
	s_waitcnt vmcnt(18) lgkmcnt(1)
	v_fma_f64 v[107:108], v[139:140], v[107:108], v[115:116]
	;; [unrolled: 18-line block ×3, first 2 shown]
	buffer_load_dword v117, off, s[0:3], 0 offset:192
	buffer_load_dword v118, off, s[0:3], 0 offset:196
	s_waitcnt vmcnt(19)
	v_fma_f64 v[107:108], v[123:124], v[109:110], v[107:108]
	s_waitcnt vmcnt(18) lgkmcnt(0)
	v_fma_f64 v[107:108], v[121:122], v[111:112], v[107:108]
	s_waitcnt vmcnt(13)
	v_fma_f64 v[119:120], v[127:128], v[113:114], v[107:108]
	ds_read2_b64 v[107:110], v106 offset0:97 offset1:98
	ds_read2_b64 v[111:114], v106 offset0:99 offset1:100
	s_waitcnt vmcnt(12) lgkmcnt(1)
	v_fma_f64 v[107:108], v[135:136], v[107:108], v[119:120]
	s_waitcnt vmcnt(11)
	v_fma_f64 v[107:108], v[133:134], v[109:110], v[107:108]
	s_waitcnt vmcnt(10) lgkmcnt(0)
	v_fma_f64 v[107:108], v[129:130], v[111:112], v[107:108]
	s_waitcnt vmcnt(5)
	v_fma_f64 v[111:112], v[115:116], v[113:114], v[107:108]
	ds_read2_b64 v[107:110], v106 offset0:101 offset1:102
	ds_read_b64 v[113:114], v106 offset:824
	s_waitcnt vmcnt(4) lgkmcnt(1)
	v_fma_f64 v[107:108], v[139:140], v[107:108], v[111:112]
	s_waitcnt vmcnt(3)
	v_fma_f64 v[107:108], v[137:138], v[109:110], v[107:108]
	s_waitcnt vmcnt(2) lgkmcnt(0)
	v_fma_f64 v[107:108], v[131:132], v[113:114], v[107:108]
	s_waitcnt vmcnt(0)
	v_add_f64 v[107:108], v[117:118], -v[107:108]
	buffer_store_dword v108, off, s[0:3], 0 offset:196
	buffer_store_dword v107, off, s[0:3], 0 offset:192
	s_and_saveexec_b64 s[4:5], vcc
	s_cbranch_execz .LBB51_273
; %bb.272:
	buffer_load_dword v107, off, s[0:3], 0 offset:184
	buffer_load_dword v108, off, s[0:3], 0 offset:188
	s_waitcnt vmcnt(0)
	ds_write_b64 v105, v[107:108]
	buffer_store_dword v106, off, s[0:3], 0 offset:184
	buffer_store_dword v106, off, s[0:3], 0 offset:188
.LBB51_273:
	s_or_b64 exec, exec, s[4:5]
	s_waitcnt lgkmcnt(0)
	; wave barrier
	buffer_load_dword v115, off, s[0:3], 0 offset:192
	buffer_load_dword v116, off, s[0:3], 0 offset:196
	;; [unrolled: 1-line block ×22, first 2 shown]
	ds_read_b128 v[107:110], v106 offset:608
	ds_read_b128 v[111:114], v106 offset:624
	v_cmp_lt_u32_e32 vcc, 22, v0
	s_waitcnt vmcnt(20) lgkmcnt(1)
	v_fma_f64 v[107:108], v[115:116], v[107:108], 0
	s_waitcnt vmcnt(18)
	v_fma_f64 v[107:108], v[117:118], v[109:110], v[107:108]
	buffer_load_dword v116, off, s[0:3], 0 offset:284
	buffer_load_dword v117, off, s[0:3], 0 offset:304
	;; [unrolled: 1-line block ×7, first 2 shown]
	s_waitcnt vmcnt(23) lgkmcnt(0)
	v_fma_f64 v[107:108], v[119:120], v[111:112], v[107:108]
	s_waitcnt vmcnt(21)
	v_fma_f64 v[118:119], v[121:122], v[113:114], v[107:108]
	ds_read_b128 v[107:110], v106 offset:640
	ds_read_b128 v[111:114], v106 offset:656
	s_waitcnt vmcnt(19) lgkmcnt(1)
	v_fma_f64 v[107:108], v[123:124], v[107:108], v[118:119]
	buffer_load_dword v118, off, s[0:3], 0 offset:308
	s_waitcnt vmcnt(18)
	v_fma_f64 v[107:108], v[125:126], v[109:110], v[107:108]
	buffer_load_dword v120, off, s[0:3], 0 offset:316
	buffer_load_dword v121, off, s[0:3], 0 offset:336
	buffer_load_dword v123, off, s[0:3], 0 offset:328
	buffer_load_dword v125, off, s[0:3], 0 offset:320
	buffer_load_dword v119, off, s[0:3], 0 offset:312
	buffer_load_dword v126, off, s[0:3], 0 offset:324
	buffer_load_dword v124, off, s[0:3], 0 offset:332
	buffer_load_dword v122, off, s[0:3], 0 offset:340
	s_waitcnt vmcnt(24) lgkmcnt(0)
	v_fma_f64 v[107:108], v[127:128], v[111:112], v[107:108]
	s_waitcnt vmcnt(19)
	v_fma_f64 v[127:128], v[129:130], v[113:114], v[107:108]
	ds_read_b128 v[107:110], v106 offset:672
	ds_read_b128 v[111:114], v106 offset:688
	s_waitcnt vmcnt(18) lgkmcnt(1)
	v_fma_f64 v[107:108], v[135:136], v[107:108], v[127:128]
	s_waitcnt vmcnt(17)
	v_fma_f64 v[107:108], v[133:134], v[109:110], v[107:108]
	buffer_load_dword v128, off, s[0:3], 0 offset:348
	buffer_load_dword v129, off, s[0:3], 0 offset:368
	buffer_load_dword v133, off, s[0:3], 0 offset:360
	buffer_load_dword v135, off, s[0:3], 0 offset:352
	buffer_load_dword v127, off, s[0:3], 0 offset:344
	buffer_load_dword v136, off, s[0:3], 0 offset:356
	buffer_load_dword v134, off, s[0:3], 0 offset:364
	buffer_load_dword v130, off, s[0:3], 0 offset:372
	s_waitcnt vmcnt(24) lgkmcnt(0)
	v_fma_f64 v[107:108], v[131:132], v[111:112], v[107:108]
	s_waitcnt vmcnt(19)
	v_fma_f64 v[115:116], v[115:116], v[113:114], v[107:108]
	ds_read_b128 v[107:110], v106 offset:704
	ds_read_b128 v[111:114], v106 offset:720
	s_waitcnt vmcnt(18) lgkmcnt(1)
	v_fma_f64 v[107:108], v[139:140], v[107:108], v[115:116]
	;; [unrolled: 18-line block ×3, first 2 shown]
	buffer_load_dword v118, off, s[0:3], 0 offset:412
	buffer_load_dword v117, off, s[0:3], 0 offset:408
	;; [unrolled: 1-line block ×4, first 2 shown]
	s_waitcnt vmcnt(21)
	v_fma_f64 v[107:108], v[123:124], v[109:110], v[107:108]
	s_waitcnt vmcnt(20) lgkmcnt(0)
	v_fma_f64 v[107:108], v[121:122], v[111:112], v[107:108]
	s_waitcnt vmcnt(15)
	v_fma_f64 v[121:122], v[127:128], v[113:114], v[107:108]
	ds_read_b128 v[107:110], v106 offset:768
	ds_read_b128 v[111:114], v106 offset:784
	s_waitcnt vmcnt(14) lgkmcnt(1)
	v_fma_f64 v[107:108], v[135:136], v[107:108], v[121:122]
	s_waitcnt vmcnt(13)
	v_fma_f64 v[107:108], v[133:134], v[109:110], v[107:108]
	s_waitcnt vmcnt(12) lgkmcnt(0)
	v_fma_f64 v[107:108], v[129:130], v[111:112], v[107:108]
	s_waitcnt vmcnt(7)
	v_fma_f64 v[115:116], v[115:116], v[113:114], v[107:108]
	ds_read_b128 v[107:110], v106 offset:800
	ds_read_b128 v[111:114], v106 offset:816
	s_waitcnt vmcnt(6) lgkmcnt(1)
	v_fma_f64 v[106:107], v[139:140], v[107:108], v[115:116]
	s_waitcnt vmcnt(5)
	v_fma_f64 v[106:107], v[137:138], v[109:110], v[106:107]
	s_waitcnt vmcnt(4) lgkmcnt(0)
	v_fma_f64 v[106:107], v[131:132], v[111:112], v[106:107]
	s_waitcnt vmcnt(2)
	v_fma_f64 v[106:107], v[117:118], v[113:114], v[106:107]
	s_waitcnt vmcnt(0)
	v_add_f64 v[106:107], v[119:120], -v[106:107]
	buffer_store_dword v107, off, s[0:3], 0 offset:188
	buffer_store_dword v106, off, s[0:3], 0 offset:184
	s_and_saveexec_b64 s[4:5], vcc
	s_cbranch_execz .LBB51_275
; %bb.274:
	buffer_load_dword v106, off, s[0:3], 0 offset:176
	buffer_load_dword v107, off, s[0:3], 0 offset:180
	v_mov_b32_e32 v108, 0
	buffer_store_dword v108, off, s[0:3], 0 offset:176
	buffer_store_dword v108, off, s[0:3], 0 offset:180
	s_waitcnt vmcnt(2)
	ds_write_b64 v105, v[106:107]
.LBB51_275:
	s_or_b64 exec, exec, s[4:5]
	s_waitcnt lgkmcnt(0)
	; wave barrier
	buffer_load_dword v115, off, s[0:3], 0 offset:184
	buffer_load_dword v116, off, s[0:3], 0 offset:188
	;; [unrolled: 1-line block ×22, first 2 shown]
	v_mov_b32_e32 v106, 0
	ds_read2_b64 v[107:110], v106 offset0:75 offset1:76
	ds_read2_b64 v[111:114], v106 offset0:77 offset1:78
	v_cmp_lt_u32_e32 vcc, 21, v0
	s_waitcnt vmcnt(20) lgkmcnt(1)
	v_fma_f64 v[107:108], v[115:116], v[107:108], 0
	s_waitcnt vmcnt(18)
	v_fma_f64 v[107:108], v[117:118], v[109:110], v[107:108]
	buffer_load_dword v116, off, s[0:3], 0 offset:276
	buffer_load_dword v117, off, s[0:3], 0 offset:296
	;; [unrolled: 1-line block ×7, first 2 shown]
	s_waitcnt vmcnt(23) lgkmcnt(0)
	v_fma_f64 v[107:108], v[119:120], v[111:112], v[107:108]
	s_waitcnt vmcnt(21)
	v_fma_f64 v[118:119], v[121:122], v[113:114], v[107:108]
	ds_read2_b64 v[107:110], v106 offset0:79 offset1:80
	ds_read2_b64 v[111:114], v106 offset0:81 offset1:82
	s_waitcnt vmcnt(19) lgkmcnt(1)
	v_fma_f64 v[107:108], v[123:124], v[107:108], v[118:119]
	buffer_load_dword v118, off, s[0:3], 0 offset:300
	s_waitcnt vmcnt(18)
	v_fma_f64 v[107:108], v[125:126], v[109:110], v[107:108]
	buffer_load_dword v120, off, s[0:3], 0 offset:308
	buffer_load_dword v121, off, s[0:3], 0 offset:328
	;; [unrolled: 1-line block ×7, first 2 shown]
	s_waitcnt vmcnt(23) lgkmcnt(0)
	v_fma_f64 v[107:108], v[127:128], v[111:112], v[107:108]
	s_waitcnt vmcnt(18)
	v_fma_f64 v[127:128], v[129:130], v[113:114], v[107:108]
	ds_read2_b64 v[107:110], v106 offset0:83 offset1:84
	ds_read2_b64 v[111:114], v106 offset0:85 offset1:86
	buffer_load_dword v122, off, s[0:3], 0 offset:332
	s_waitcnt vmcnt(18) lgkmcnt(1)
	v_fma_f64 v[107:108], v[135:136], v[107:108], v[127:128]
	s_waitcnt vmcnt(17)
	v_fma_f64 v[107:108], v[133:134], v[109:110], v[107:108]
	buffer_load_dword v128, off, s[0:3], 0 offset:340
	buffer_load_dword v129, off, s[0:3], 0 offset:360
	buffer_load_dword v133, off, s[0:3], 0 offset:352
	buffer_load_dword v135, off, s[0:3], 0 offset:344
	buffer_load_dword v127, off, s[0:3], 0 offset:336
	buffer_load_dword v136, off, s[0:3], 0 offset:348
	buffer_load_dword v134, off, s[0:3], 0 offset:356
	buffer_load_dword v130, off, s[0:3], 0 offset:364
	s_waitcnt vmcnt(24) lgkmcnt(0)
	v_fma_f64 v[107:108], v[131:132], v[111:112], v[107:108]
	s_waitcnt vmcnt(19)
	v_fma_f64 v[115:116], v[115:116], v[113:114], v[107:108]
	ds_read2_b64 v[107:110], v106 offset0:87 offset1:88
	ds_read2_b64 v[111:114], v106 offset0:89 offset1:90
	s_waitcnt vmcnt(18) lgkmcnt(1)
	v_fma_f64 v[107:108], v[139:140], v[107:108], v[115:116]
	s_waitcnt vmcnt(17)
	v_fma_f64 v[107:108], v[137:138], v[109:110], v[107:108]
	buffer_load_dword v116, off, s[0:3], 0 offset:372
	buffer_load_dword v131, off, s[0:3], 0 offset:392
	;; [unrolled: 1-line block ×7, first 2 shown]
	s_waitcnt vmcnt(23) lgkmcnt(0)
	v_fma_f64 v[107:108], v[117:118], v[111:112], v[107:108]
	s_waitcnt vmcnt(18)
	v_fma_f64 v[117:118], v[119:120], v[113:114], v[107:108]
	ds_read2_b64 v[107:110], v106 offset0:91 offset1:92
	ds_read2_b64 v[111:114], v106 offset0:93 offset1:94
	buffer_load_dword v132, off, s[0:3], 0 offset:396
	s_waitcnt vmcnt(18) lgkmcnt(1)
	v_fma_f64 v[107:108], v[125:126], v[107:108], v[117:118]
	buffer_load_dword v118, off, s[0:3], 0 offset:404
	buffer_load_dword v119, off, s[0:3], 0 offset:408
	;; [unrolled: 1-line block ×4, first 2 shown]
	s_waitcnt vmcnt(21)
	v_fma_f64 v[107:108], v[123:124], v[109:110], v[107:108]
	s_waitcnt vmcnt(20) lgkmcnt(0)
	v_fma_f64 v[107:108], v[121:122], v[111:112], v[107:108]
	buffer_load_dword v121, off, s[0:3], 0 offset:176
	buffer_load_dword v122, off, s[0:3], 0 offset:180
	s_waitcnt vmcnt(17)
	v_fma_f64 v[123:124], v[127:128], v[113:114], v[107:108]
	ds_read2_b64 v[107:110], v106 offset0:95 offset1:96
	ds_read2_b64 v[111:114], v106 offset0:97 offset1:98
	s_waitcnt vmcnt(16) lgkmcnt(1)
	v_fma_f64 v[107:108], v[135:136], v[107:108], v[123:124]
	s_waitcnt vmcnt(15)
	v_fma_f64 v[107:108], v[133:134], v[109:110], v[107:108]
	s_waitcnt vmcnt(14) lgkmcnt(0)
	v_fma_f64 v[107:108], v[129:130], v[111:112], v[107:108]
	s_waitcnt vmcnt(9)
	v_fma_f64 v[115:116], v[115:116], v[113:114], v[107:108]
	ds_read2_b64 v[107:110], v106 offset0:99 offset1:100
	ds_read2_b64 v[111:114], v106 offset0:101 offset1:102
	s_waitcnt vmcnt(8) lgkmcnt(1)
	v_fma_f64 v[107:108], v[139:140], v[107:108], v[115:116]
	s_waitcnt vmcnt(7)
	v_fma_f64 v[107:108], v[137:138], v[109:110], v[107:108]
	ds_read_b64 v[109:110], v106 offset:824
	s_waitcnt vmcnt(6) lgkmcnt(1)
	v_fma_f64 v[107:108], v[131:132], v[111:112], v[107:108]
	s_waitcnt vmcnt(3)
	v_fma_f64 v[107:108], v[117:118], v[113:114], v[107:108]
	s_waitcnt vmcnt(2) lgkmcnt(0)
	v_fma_f64 v[107:108], v[119:120], v[109:110], v[107:108]
	s_waitcnt vmcnt(0)
	v_add_f64 v[107:108], v[121:122], -v[107:108]
	buffer_store_dword v108, off, s[0:3], 0 offset:180
	buffer_store_dword v107, off, s[0:3], 0 offset:176
	s_and_saveexec_b64 s[4:5], vcc
	s_cbranch_execz .LBB51_277
; %bb.276:
	buffer_load_dword v107, off, s[0:3], 0 offset:168
	buffer_load_dword v108, off, s[0:3], 0 offset:172
	s_waitcnt vmcnt(0)
	ds_write_b64 v105, v[107:108]
	buffer_store_dword v106, off, s[0:3], 0 offset:168
	buffer_store_dword v106, off, s[0:3], 0 offset:172
.LBB51_277:
	s_or_b64 exec, exec, s[4:5]
	s_waitcnt lgkmcnt(0)
	; wave barrier
	buffer_load_dword v115, off, s[0:3], 0 offset:176
	buffer_load_dword v116, off, s[0:3], 0 offset:180
	;; [unrolled: 1-line block ×22, first 2 shown]
	ds_read_b128 v[107:110], v106 offset:592
	ds_read_b128 v[111:114], v106 offset:608
	v_cmp_lt_u32_e32 vcc, 20, v0
	s_waitcnt vmcnt(20) lgkmcnt(1)
	v_fma_f64 v[107:108], v[115:116], v[107:108], 0
	s_waitcnt vmcnt(18)
	v_fma_f64 v[107:108], v[117:118], v[109:110], v[107:108]
	buffer_load_dword v116, off, s[0:3], 0 offset:268
	buffer_load_dword v117, off, s[0:3], 0 offset:288
	;; [unrolled: 1-line block ×7, first 2 shown]
	s_waitcnt vmcnt(23) lgkmcnt(0)
	v_fma_f64 v[107:108], v[119:120], v[111:112], v[107:108]
	s_waitcnt vmcnt(21)
	v_fma_f64 v[118:119], v[121:122], v[113:114], v[107:108]
	ds_read_b128 v[107:110], v106 offset:624
	ds_read_b128 v[111:114], v106 offset:640
	s_waitcnt vmcnt(19) lgkmcnt(1)
	v_fma_f64 v[107:108], v[123:124], v[107:108], v[118:119]
	buffer_load_dword v118, off, s[0:3], 0 offset:292
	s_waitcnt vmcnt(18)
	v_fma_f64 v[107:108], v[125:126], v[109:110], v[107:108]
	buffer_load_dword v120, off, s[0:3], 0 offset:300
	buffer_load_dword v121, off, s[0:3], 0 offset:320
	;; [unrolled: 1-line block ×7, first 2 shown]
	s_waitcnt vmcnt(23) lgkmcnt(0)
	v_fma_f64 v[107:108], v[127:128], v[111:112], v[107:108]
	s_waitcnt vmcnt(18)
	v_fma_f64 v[127:128], v[129:130], v[113:114], v[107:108]
	ds_read_b128 v[107:110], v106 offset:656
	ds_read_b128 v[111:114], v106 offset:672
	buffer_load_dword v122, off, s[0:3], 0 offset:324
	s_waitcnt vmcnt(18) lgkmcnt(1)
	v_fma_f64 v[107:108], v[135:136], v[107:108], v[127:128]
	s_waitcnt vmcnt(17)
	v_fma_f64 v[107:108], v[133:134], v[109:110], v[107:108]
	buffer_load_dword v128, off, s[0:3], 0 offset:332
	buffer_load_dword v129, off, s[0:3], 0 offset:352
	;; [unrolled: 1-line block ×8, first 2 shown]
	s_waitcnt vmcnt(24) lgkmcnt(0)
	v_fma_f64 v[107:108], v[131:132], v[111:112], v[107:108]
	s_waitcnt vmcnt(19)
	v_fma_f64 v[115:116], v[115:116], v[113:114], v[107:108]
	ds_read_b128 v[107:110], v106 offset:688
	ds_read_b128 v[111:114], v106 offset:704
	s_waitcnt vmcnt(18) lgkmcnt(1)
	v_fma_f64 v[107:108], v[139:140], v[107:108], v[115:116]
	s_waitcnt vmcnt(17)
	v_fma_f64 v[107:108], v[137:138], v[109:110], v[107:108]
	buffer_load_dword v116, off, s[0:3], 0 offset:364
	buffer_load_dword v131, off, s[0:3], 0 offset:384
	buffer_load_dword v137, off, s[0:3], 0 offset:376
	buffer_load_dword v139, off, s[0:3], 0 offset:368
	buffer_load_dword v115, off, s[0:3], 0 offset:360
	buffer_load_dword v140, off, s[0:3], 0 offset:372
	buffer_load_dword v138, off, s[0:3], 0 offset:380
	buffer_load_dword v132, off, s[0:3], 0 offset:388
	s_waitcnt vmcnt(24) lgkmcnt(0)
	v_fma_f64 v[107:108], v[117:118], v[111:112], v[107:108]
	s_waitcnt vmcnt(19)
	v_fma_f64 v[117:118], v[119:120], v[113:114], v[107:108]
	ds_read_b128 v[107:110], v106 offset:720
	ds_read_b128 v[111:114], v106 offset:736
	s_waitcnt vmcnt(18) lgkmcnt(1)
	v_fma_f64 v[107:108], v[125:126], v[107:108], v[117:118]
	s_waitcnt vmcnt(17)
	v_fma_f64 v[107:108], v[123:124], v[109:110], v[107:108]
	buffer_load_dword v118, off, s[0:3], 0 offset:396
	buffer_load_dword v119, off, s[0:3], 0 offset:408
	;; [unrolled: 1-line block ×6, first 2 shown]
	s_waitcnt vmcnt(22) lgkmcnt(0)
	v_fma_f64 v[107:108], v[121:122], v[111:112], v[107:108]
	s_waitcnt vmcnt(17)
	v_fma_f64 v[121:122], v[127:128], v[113:114], v[107:108]
	ds_read_b128 v[107:110], v106 offset:752
	buffer_load_dword v125, off, s[0:3], 0 offset:168
	buffer_load_dword v126, off, s[0:3], 0 offset:172
	ds_read_b128 v[111:114], v106 offset:768
	s_waitcnt vmcnt(18) lgkmcnt(1)
	v_fma_f64 v[107:108], v[135:136], v[107:108], v[121:122]
	s_waitcnt vmcnt(17)
	v_fma_f64 v[107:108], v[133:134], v[109:110], v[107:108]
	s_waitcnt vmcnt(16) lgkmcnt(0)
	v_fma_f64 v[107:108], v[129:130], v[111:112], v[107:108]
	s_waitcnt vmcnt(11)
	v_fma_f64 v[115:116], v[115:116], v[113:114], v[107:108]
	ds_read_b128 v[107:110], v106 offset:784
	ds_read_b128 v[111:114], v106 offset:800
	s_waitcnt vmcnt(10) lgkmcnt(1)
	v_fma_f64 v[107:108], v[139:140], v[107:108], v[115:116]
	s_waitcnt vmcnt(9)
	v_fma_f64 v[107:108], v[137:138], v[109:110], v[107:108]
	s_waitcnt vmcnt(8) lgkmcnt(0)
	v_fma_f64 v[107:108], v[131:132], v[111:112], v[107:108]
	s_waitcnt vmcnt(4)
	v_fma_f64 v[110:111], v[117:118], v[113:114], v[107:108]
	ds_read_b128 v[106:109], v106 offset:816
	s_waitcnt vmcnt(3) lgkmcnt(0)
	v_fma_f64 v[106:107], v[123:124], v[106:107], v[110:111]
	s_waitcnt vmcnt(2)
	v_fma_f64 v[106:107], v[119:120], v[108:109], v[106:107]
	s_waitcnt vmcnt(0)
	v_add_f64 v[106:107], v[125:126], -v[106:107]
	buffer_store_dword v107, off, s[0:3], 0 offset:172
	buffer_store_dword v106, off, s[0:3], 0 offset:168
	s_and_saveexec_b64 s[4:5], vcc
	s_cbranch_execz .LBB51_279
; %bb.278:
	buffer_load_dword v106, off, s[0:3], 0 offset:160
	buffer_load_dword v107, off, s[0:3], 0 offset:164
	v_mov_b32_e32 v108, 0
	buffer_store_dword v108, off, s[0:3], 0 offset:160
	buffer_store_dword v108, off, s[0:3], 0 offset:164
	s_waitcnt vmcnt(2)
	ds_write_b64 v105, v[106:107]
.LBB51_279:
	s_or_b64 exec, exec, s[4:5]
	s_waitcnt lgkmcnt(0)
	; wave barrier
	buffer_load_dword v115, off, s[0:3], 0 offset:168
	buffer_load_dword v116, off, s[0:3], 0 offset:172
	;; [unrolled: 1-line block ×22, first 2 shown]
	v_mov_b32_e32 v106, 0
	ds_read2_b64 v[107:110], v106 offset0:73 offset1:74
	ds_read2_b64 v[111:114], v106 offset0:75 offset1:76
	v_cmp_lt_u32_e32 vcc, 19, v0
	s_waitcnt vmcnt(20) lgkmcnt(1)
	v_fma_f64 v[107:108], v[115:116], v[107:108], 0
	s_waitcnt vmcnt(18)
	v_fma_f64 v[107:108], v[117:118], v[109:110], v[107:108]
	buffer_load_dword v116, off, s[0:3], 0 offset:260
	buffer_load_dword v117, off, s[0:3], 0 offset:280
	;; [unrolled: 1-line block ×7, first 2 shown]
	s_waitcnt vmcnt(23) lgkmcnt(0)
	v_fma_f64 v[107:108], v[119:120], v[111:112], v[107:108]
	s_waitcnt vmcnt(21)
	v_fma_f64 v[118:119], v[121:122], v[113:114], v[107:108]
	ds_read2_b64 v[107:110], v106 offset0:77 offset1:78
	ds_read2_b64 v[111:114], v106 offset0:79 offset1:80
	s_waitcnt vmcnt(19) lgkmcnt(1)
	v_fma_f64 v[107:108], v[123:124], v[107:108], v[118:119]
	buffer_load_dword v118, off, s[0:3], 0 offset:284
	s_waitcnt vmcnt(18)
	v_fma_f64 v[107:108], v[125:126], v[109:110], v[107:108]
	buffer_load_dword v120, off, s[0:3], 0 offset:292
	buffer_load_dword v121, off, s[0:3], 0 offset:312
	buffer_load_dword v123, off, s[0:3], 0 offset:304
	buffer_load_dword v125, off, s[0:3], 0 offset:296
	buffer_load_dword v119, off, s[0:3], 0 offset:288
	buffer_load_dword v126, off, s[0:3], 0 offset:300
	buffer_load_dword v124, off, s[0:3], 0 offset:308
	s_waitcnt vmcnt(23) lgkmcnt(0)
	v_fma_f64 v[107:108], v[127:128], v[111:112], v[107:108]
	s_waitcnt vmcnt(18)
	v_fma_f64 v[127:128], v[129:130], v[113:114], v[107:108]
	ds_read2_b64 v[107:110], v106 offset0:81 offset1:82
	ds_read2_b64 v[111:114], v106 offset0:83 offset1:84
	buffer_load_dword v122, off, s[0:3], 0 offset:316
	s_waitcnt vmcnt(18) lgkmcnt(1)
	v_fma_f64 v[107:108], v[135:136], v[107:108], v[127:128]
	s_waitcnt vmcnt(17)
	v_fma_f64 v[107:108], v[133:134], v[109:110], v[107:108]
	buffer_load_dword v128, off, s[0:3], 0 offset:324
	buffer_load_dword v129, off, s[0:3], 0 offset:344
	buffer_load_dword v133, off, s[0:3], 0 offset:336
	buffer_load_dword v135, off, s[0:3], 0 offset:328
	buffer_load_dword v127, off, s[0:3], 0 offset:320
	buffer_load_dword v136, off, s[0:3], 0 offset:332
	buffer_load_dword v134, off, s[0:3], 0 offset:340
	buffer_load_dword v130, off, s[0:3], 0 offset:348
	s_waitcnt vmcnt(24) lgkmcnt(0)
	v_fma_f64 v[107:108], v[131:132], v[111:112], v[107:108]
	s_waitcnt vmcnt(19)
	v_fma_f64 v[115:116], v[115:116], v[113:114], v[107:108]
	ds_read2_b64 v[107:110], v106 offset0:85 offset1:86
	ds_read2_b64 v[111:114], v106 offset0:87 offset1:88
	s_waitcnt vmcnt(18) lgkmcnt(1)
	v_fma_f64 v[107:108], v[139:140], v[107:108], v[115:116]
	s_waitcnt vmcnt(17)
	v_fma_f64 v[107:108], v[137:138], v[109:110], v[107:108]
	buffer_load_dword v116, off, s[0:3], 0 offset:356
	buffer_load_dword v131, off, s[0:3], 0 offset:376
	buffer_load_dword v137, off, s[0:3], 0 offset:368
	buffer_load_dword v139, off, s[0:3], 0 offset:360
	buffer_load_dword v115, off, s[0:3], 0 offset:352
	buffer_load_dword v140, off, s[0:3], 0 offset:364
	buffer_load_dword v138, off, s[0:3], 0 offset:372
	buffer_load_dword v132, off, s[0:3], 0 offset:380
	s_waitcnt vmcnt(24) lgkmcnt(0)
	v_fma_f64 v[107:108], v[117:118], v[111:112], v[107:108]
	s_waitcnt vmcnt(19)
	v_fma_f64 v[117:118], v[119:120], v[113:114], v[107:108]
	ds_read2_b64 v[107:110], v106 offset0:89 offset1:90
	ds_read2_b64 v[111:114], v106 offset0:91 offset1:92
	;; [unrolled: 18-line block ×3, first 2 shown]
	s_waitcnt vmcnt(18) lgkmcnt(1)
	v_fma_f64 v[107:108], v[135:136], v[107:108], v[121:122]
	buffer_load_dword v121, off, s[0:3], 0 offset:160
	buffer_load_dword v122, off, s[0:3], 0 offset:164
	s_waitcnt vmcnt(19)
	v_fma_f64 v[107:108], v[133:134], v[109:110], v[107:108]
	s_waitcnt vmcnt(18) lgkmcnt(0)
	v_fma_f64 v[107:108], v[129:130], v[111:112], v[107:108]
	s_waitcnt vmcnt(13)
	v_fma_f64 v[115:116], v[115:116], v[113:114], v[107:108]
	ds_read2_b64 v[107:110], v106 offset0:97 offset1:98
	ds_read2_b64 v[111:114], v106 offset0:99 offset1:100
	s_waitcnt vmcnt(12) lgkmcnt(1)
	v_fma_f64 v[107:108], v[139:140], v[107:108], v[115:116]
	s_waitcnt vmcnt(11)
	v_fma_f64 v[107:108], v[137:138], v[109:110], v[107:108]
	s_waitcnt vmcnt(10) lgkmcnt(0)
	v_fma_f64 v[107:108], v[131:132], v[111:112], v[107:108]
	s_waitcnt vmcnt(5)
	v_fma_f64 v[111:112], v[117:118], v[113:114], v[107:108]
	ds_read2_b64 v[107:110], v106 offset0:101 offset1:102
	ds_read_b64 v[113:114], v106 offset:824
	s_waitcnt vmcnt(4) lgkmcnt(1)
	v_fma_f64 v[107:108], v[125:126], v[107:108], v[111:112]
	s_waitcnt vmcnt(3)
	v_fma_f64 v[107:108], v[123:124], v[109:110], v[107:108]
	s_waitcnt vmcnt(2) lgkmcnt(0)
	v_fma_f64 v[107:108], v[119:120], v[113:114], v[107:108]
	s_waitcnt vmcnt(0)
	v_add_f64 v[107:108], v[121:122], -v[107:108]
	buffer_store_dword v108, off, s[0:3], 0 offset:164
	buffer_store_dword v107, off, s[0:3], 0 offset:160
	s_and_saveexec_b64 s[4:5], vcc
	s_cbranch_execz .LBB51_281
; %bb.280:
	buffer_load_dword v107, off, s[0:3], 0 offset:152
	buffer_load_dword v108, off, s[0:3], 0 offset:156
	s_waitcnt vmcnt(0)
	ds_write_b64 v105, v[107:108]
	buffer_store_dword v106, off, s[0:3], 0 offset:152
	buffer_store_dword v106, off, s[0:3], 0 offset:156
.LBB51_281:
	s_or_b64 exec, exec, s[4:5]
	s_waitcnt lgkmcnt(0)
	; wave barrier
	buffer_load_dword v115, off, s[0:3], 0 offset:160
	buffer_load_dword v116, off, s[0:3], 0 offset:164
	;; [unrolled: 1-line block ×22, first 2 shown]
	ds_read_b128 v[107:110], v106 offset:576
	ds_read_b128 v[111:114], v106 offset:592
	v_cmp_lt_u32_e32 vcc, 18, v0
	s_waitcnt vmcnt(20) lgkmcnt(1)
	v_fma_f64 v[107:108], v[115:116], v[107:108], 0
	s_waitcnt vmcnt(18)
	v_fma_f64 v[107:108], v[117:118], v[109:110], v[107:108]
	buffer_load_dword v116, off, s[0:3], 0 offset:252
	buffer_load_dword v117, off, s[0:3], 0 offset:272
	buffer_load_dword v137, off, s[0:3], 0 offset:264
	buffer_load_dword v139, off, s[0:3], 0 offset:256
	buffer_load_dword v115, off, s[0:3], 0 offset:248
	buffer_load_dword v140, off, s[0:3], 0 offset:260
	buffer_load_dword v138, off, s[0:3], 0 offset:268
	s_waitcnt vmcnt(23) lgkmcnt(0)
	v_fma_f64 v[107:108], v[119:120], v[111:112], v[107:108]
	s_waitcnt vmcnt(21)
	v_fma_f64 v[118:119], v[121:122], v[113:114], v[107:108]
	ds_read_b128 v[107:110], v106 offset:608
	ds_read_b128 v[111:114], v106 offset:624
	s_waitcnt vmcnt(19) lgkmcnt(1)
	v_fma_f64 v[107:108], v[123:124], v[107:108], v[118:119]
	buffer_load_dword v118, off, s[0:3], 0 offset:276
	s_waitcnt vmcnt(18)
	v_fma_f64 v[107:108], v[125:126], v[109:110], v[107:108]
	buffer_load_dword v120, off, s[0:3], 0 offset:284
	buffer_load_dword v121, off, s[0:3], 0 offset:304
	;; [unrolled: 1-line block ×7, first 2 shown]
	s_waitcnt vmcnt(23) lgkmcnt(0)
	v_fma_f64 v[107:108], v[127:128], v[111:112], v[107:108]
	s_waitcnt vmcnt(18)
	v_fma_f64 v[127:128], v[129:130], v[113:114], v[107:108]
	ds_read_b128 v[107:110], v106 offset:640
	ds_read_b128 v[111:114], v106 offset:656
	buffer_load_dword v122, off, s[0:3], 0 offset:308
	s_waitcnt vmcnt(18) lgkmcnt(1)
	v_fma_f64 v[107:108], v[135:136], v[107:108], v[127:128]
	s_waitcnt vmcnt(17)
	v_fma_f64 v[107:108], v[133:134], v[109:110], v[107:108]
	buffer_load_dword v128, off, s[0:3], 0 offset:316
	buffer_load_dword v129, off, s[0:3], 0 offset:336
	buffer_load_dword v133, off, s[0:3], 0 offset:328
	buffer_load_dword v135, off, s[0:3], 0 offset:320
	buffer_load_dword v127, off, s[0:3], 0 offset:312
	buffer_load_dword v136, off, s[0:3], 0 offset:324
	buffer_load_dword v134, off, s[0:3], 0 offset:332
	buffer_load_dword v130, off, s[0:3], 0 offset:340
	s_waitcnt vmcnt(24) lgkmcnt(0)
	v_fma_f64 v[107:108], v[131:132], v[111:112], v[107:108]
	s_waitcnt vmcnt(19)
	v_fma_f64 v[115:116], v[115:116], v[113:114], v[107:108]
	ds_read_b128 v[107:110], v106 offset:672
	ds_read_b128 v[111:114], v106 offset:688
	s_waitcnt vmcnt(18) lgkmcnt(1)
	v_fma_f64 v[107:108], v[139:140], v[107:108], v[115:116]
	s_waitcnt vmcnt(17)
	v_fma_f64 v[107:108], v[137:138], v[109:110], v[107:108]
	buffer_load_dword v116, off, s[0:3], 0 offset:348
	buffer_load_dword v131, off, s[0:3], 0 offset:368
	buffer_load_dword v137, off, s[0:3], 0 offset:360
	buffer_load_dword v139, off, s[0:3], 0 offset:352
	buffer_load_dword v115, off, s[0:3], 0 offset:344
	buffer_load_dword v140, off, s[0:3], 0 offset:356
	buffer_load_dword v138, off, s[0:3], 0 offset:364
	buffer_load_dword v132, off, s[0:3], 0 offset:372
	s_waitcnt vmcnt(24) lgkmcnt(0)
	v_fma_f64 v[107:108], v[117:118], v[111:112], v[107:108]
	s_waitcnt vmcnt(19)
	v_fma_f64 v[117:118], v[119:120], v[113:114], v[107:108]
	ds_read_b128 v[107:110], v106 offset:704
	ds_read_b128 v[111:114], v106 offset:720
	;; [unrolled: 18-line block ×3, first 2 shown]
	s_waitcnt vmcnt(18) lgkmcnt(1)
	v_fma_f64 v[107:108], v[135:136], v[107:108], v[121:122]
	buffer_load_dword v122, off, s[0:3], 0 offset:412
	buffer_load_dword v121, off, s[0:3], 0 offset:408
	buffer_load_dword v127, off, s[0:3], 0 offset:152
	buffer_load_dword v128, off, s[0:3], 0 offset:156
	s_waitcnt vmcnt(21)
	v_fma_f64 v[107:108], v[133:134], v[109:110], v[107:108]
	s_waitcnt vmcnt(20) lgkmcnt(0)
	v_fma_f64 v[107:108], v[129:130], v[111:112], v[107:108]
	s_waitcnt vmcnt(15)
	v_fma_f64 v[115:116], v[115:116], v[113:114], v[107:108]
	ds_read_b128 v[107:110], v106 offset:768
	ds_read_b128 v[111:114], v106 offset:784
	s_waitcnt vmcnt(14) lgkmcnt(1)
	v_fma_f64 v[107:108], v[139:140], v[107:108], v[115:116]
	s_waitcnt vmcnt(13)
	v_fma_f64 v[107:108], v[137:138], v[109:110], v[107:108]
	s_waitcnt vmcnt(12) lgkmcnt(0)
	v_fma_f64 v[107:108], v[131:132], v[111:112], v[107:108]
	s_waitcnt vmcnt(7)
	v_fma_f64 v[115:116], v[117:118], v[113:114], v[107:108]
	ds_read_b128 v[107:110], v106 offset:800
	ds_read_b128 v[111:114], v106 offset:816
	s_waitcnt vmcnt(6) lgkmcnt(1)
	v_fma_f64 v[106:107], v[125:126], v[107:108], v[115:116]
	s_waitcnt vmcnt(5)
	v_fma_f64 v[106:107], v[123:124], v[109:110], v[106:107]
	s_waitcnt vmcnt(4) lgkmcnt(0)
	v_fma_f64 v[106:107], v[119:120], v[111:112], v[106:107]
	s_waitcnt vmcnt(2)
	v_fma_f64 v[106:107], v[121:122], v[113:114], v[106:107]
	s_waitcnt vmcnt(0)
	v_add_f64 v[106:107], v[127:128], -v[106:107]
	buffer_store_dword v107, off, s[0:3], 0 offset:156
	buffer_store_dword v106, off, s[0:3], 0 offset:152
	s_and_saveexec_b64 s[4:5], vcc
	s_cbranch_execz .LBB51_283
; %bb.282:
	buffer_load_dword v106, off, s[0:3], 0 offset:144
	buffer_load_dword v107, off, s[0:3], 0 offset:148
	v_mov_b32_e32 v108, 0
	buffer_store_dword v108, off, s[0:3], 0 offset:144
	buffer_store_dword v108, off, s[0:3], 0 offset:148
	s_waitcnt vmcnt(2)
	ds_write_b64 v105, v[106:107]
.LBB51_283:
	s_or_b64 exec, exec, s[4:5]
	s_waitcnt lgkmcnt(0)
	; wave barrier
	buffer_load_dword v115, off, s[0:3], 0 offset:152
	buffer_load_dword v116, off, s[0:3], 0 offset:156
	;; [unrolled: 1-line block ×21, first 2 shown]
	v_mov_b32_e32 v106, 0
	ds_read2_b64 v[107:110], v106 offset0:71 offset1:72
	ds_read2_b64 v[111:114], v106 offset0:73 offset1:74
	buffer_load_dword v132, off, s[0:3], 0 offset:236
	v_cmp_lt_u32_e32 vcc, 17, v0
	s_waitcnt vmcnt(20) lgkmcnt(1)
	v_fma_f64 v[107:108], v[115:116], v[107:108], 0
	s_waitcnt vmcnt(18)
	v_fma_f64 v[107:108], v[117:118], v[109:110], v[107:108]
	buffer_load_dword v116, off, s[0:3], 0 offset:244
	buffer_load_dword v117, off, s[0:3], 0 offset:264
	;; [unrolled: 1-line block ×7, first 2 shown]
	s_waitcnt vmcnt(23) lgkmcnt(0)
	v_fma_f64 v[107:108], v[119:120], v[111:112], v[107:108]
	s_waitcnt vmcnt(21)
	v_fma_f64 v[118:119], v[121:122], v[113:114], v[107:108]
	ds_read2_b64 v[107:110], v106 offset0:75 offset1:76
	ds_read2_b64 v[111:114], v106 offset0:77 offset1:78
	s_waitcnt vmcnt(19) lgkmcnt(1)
	v_fma_f64 v[107:108], v[123:124], v[107:108], v[118:119]
	buffer_load_dword v118, off, s[0:3], 0 offset:268
	s_waitcnt vmcnt(18)
	v_fma_f64 v[107:108], v[125:126], v[109:110], v[107:108]
	buffer_load_dword v120, off, s[0:3], 0 offset:276
	buffer_load_dword v121, off, s[0:3], 0 offset:296
	;; [unrolled: 1-line block ×7, first 2 shown]
	s_waitcnt vmcnt(23) lgkmcnt(0)
	v_fma_f64 v[107:108], v[127:128], v[111:112], v[107:108]
	s_waitcnt vmcnt(18)
	v_fma_f64 v[127:128], v[129:130], v[113:114], v[107:108]
	ds_read2_b64 v[107:110], v106 offset0:79 offset1:80
	ds_read2_b64 v[111:114], v106 offset0:81 offset1:82
	buffer_load_dword v122, off, s[0:3], 0 offset:300
	s_waitcnt vmcnt(18) lgkmcnt(1)
	v_fma_f64 v[107:108], v[135:136], v[107:108], v[127:128]
	s_waitcnt vmcnt(17)
	v_fma_f64 v[107:108], v[133:134], v[109:110], v[107:108]
	buffer_load_dword v128, off, s[0:3], 0 offset:308
	buffer_load_dword v129, off, s[0:3], 0 offset:328
	;; [unrolled: 1-line block ×7, first 2 shown]
	s_waitcnt vmcnt(23) lgkmcnt(0)
	v_fma_f64 v[107:108], v[131:132], v[111:112], v[107:108]
	s_waitcnt vmcnt(18)
	v_fma_f64 v[115:116], v[115:116], v[113:114], v[107:108]
	ds_read2_b64 v[107:110], v106 offset0:83 offset1:84
	ds_read2_b64 v[111:114], v106 offset0:85 offset1:86
	buffer_load_dword v130, off, s[0:3], 0 offset:332
	s_waitcnt vmcnt(18) lgkmcnt(1)
	v_fma_f64 v[107:108], v[139:140], v[107:108], v[115:116]
	s_waitcnt vmcnt(17)
	v_fma_f64 v[107:108], v[137:138], v[109:110], v[107:108]
	buffer_load_dword v116, off, s[0:3], 0 offset:340
	buffer_load_dword v131, off, s[0:3], 0 offset:360
	;; [unrolled: 1-line block ×8, first 2 shown]
	s_waitcnt vmcnt(24) lgkmcnt(0)
	v_fma_f64 v[107:108], v[117:118], v[111:112], v[107:108]
	s_waitcnt vmcnt(19)
	v_fma_f64 v[117:118], v[119:120], v[113:114], v[107:108]
	ds_read2_b64 v[107:110], v106 offset0:87 offset1:88
	ds_read2_b64 v[111:114], v106 offset0:89 offset1:90
	s_waitcnt vmcnt(18) lgkmcnt(1)
	v_fma_f64 v[107:108], v[125:126], v[107:108], v[117:118]
	s_waitcnt vmcnt(17)
	v_fma_f64 v[107:108], v[123:124], v[109:110], v[107:108]
	buffer_load_dword v118, off, s[0:3], 0 offset:372
	buffer_load_dword v119, off, s[0:3], 0 offset:392
	buffer_load_dword v123, off, s[0:3], 0 offset:384
	buffer_load_dword v125, off, s[0:3], 0 offset:376
	buffer_load_dword v117, off, s[0:3], 0 offset:368
	buffer_load_dword v126, off, s[0:3], 0 offset:380
	buffer_load_dword v124, off, s[0:3], 0 offset:388
	s_waitcnt vmcnt(23) lgkmcnt(0)
	v_fma_f64 v[107:108], v[121:122], v[111:112], v[107:108]
	s_waitcnt vmcnt(18)
	v_fma_f64 v[120:121], v[127:128], v[113:114], v[107:108]
	ds_read2_b64 v[107:110], v106 offset0:91 offset1:92
	ds_read2_b64 v[111:114], v106 offset0:93 offset1:94
	s_waitcnt vmcnt(17) lgkmcnt(1)
	v_fma_f64 v[107:108], v[135:136], v[107:108], v[120:121]
	buffer_load_dword v120, off, s[0:3], 0 offset:396
	buffer_load_dword v122, off, s[0:3], 0 offset:404
	;; [unrolled: 1-line block ×5, first 2 shown]
	s_waitcnt vmcnt(21)
	v_fma_f64 v[107:108], v[133:134], v[109:110], v[107:108]
	s_waitcnt vmcnt(20) lgkmcnt(0)
	v_fma_f64 v[107:108], v[129:130], v[111:112], v[107:108]
	buffer_load_dword v129, off, s[0:3], 0 offset:144
	buffer_load_dword v130, off, s[0:3], 0 offset:148
	s_waitcnt vmcnt(17)
	v_fma_f64 v[115:116], v[115:116], v[113:114], v[107:108]
	ds_read2_b64 v[107:110], v106 offset0:95 offset1:96
	ds_read2_b64 v[111:114], v106 offset0:97 offset1:98
	s_waitcnt vmcnt(16) lgkmcnt(1)
	v_fma_f64 v[107:108], v[139:140], v[107:108], v[115:116]
	s_waitcnt vmcnt(15)
	v_fma_f64 v[107:108], v[137:138], v[109:110], v[107:108]
	s_waitcnt vmcnt(14) lgkmcnt(0)
	v_fma_f64 v[107:108], v[131:132], v[111:112], v[107:108]
	s_waitcnt vmcnt(9)
	v_fma_f64 v[115:116], v[117:118], v[113:114], v[107:108]
	ds_read2_b64 v[107:110], v106 offset0:99 offset1:100
	ds_read2_b64 v[111:114], v106 offset0:101 offset1:102
	s_waitcnt vmcnt(8) lgkmcnt(1)
	v_fma_f64 v[107:108], v[125:126], v[107:108], v[115:116]
	s_waitcnt vmcnt(7)
	v_fma_f64 v[107:108], v[123:124], v[109:110], v[107:108]
	ds_read_b64 v[109:110], v106 offset:824
	s_waitcnt vmcnt(6) lgkmcnt(1)
	v_fma_f64 v[107:108], v[119:120], v[111:112], v[107:108]
	s_waitcnt vmcnt(3)
	v_fma_f64 v[107:108], v[121:122], v[113:114], v[107:108]
	s_waitcnt vmcnt(2) lgkmcnt(0)
	v_fma_f64 v[107:108], v[127:128], v[109:110], v[107:108]
	s_waitcnt vmcnt(0)
	v_add_f64 v[107:108], v[129:130], -v[107:108]
	buffer_store_dword v108, off, s[0:3], 0 offset:148
	buffer_store_dword v107, off, s[0:3], 0 offset:144
	s_and_saveexec_b64 s[4:5], vcc
	s_cbranch_execz .LBB51_285
; %bb.284:
	buffer_load_dword v107, off, s[0:3], 0 offset:136
	buffer_load_dword v108, off, s[0:3], 0 offset:140
	s_waitcnt vmcnt(0)
	ds_write_b64 v105, v[107:108]
	buffer_store_dword v106, off, s[0:3], 0 offset:136
	buffer_store_dword v106, off, s[0:3], 0 offset:140
.LBB51_285:
	s_or_b64 exec, exec, s[4:5]
	s_waitcnt lgkmcnt(0)
	; wave barrier
	buffer_load_dword v115, off, s[0:3], 0 offset:144
	buffer_load_dword v116, off, s[0:3], 0 offset:148
	;; [unrolled: 1-line block ×21, first 2 shown]
	ds_read_b128 v[107:110], v106 offset:560
	ds_read_b128 v[111:114], v106 offset:576
	buffer_load_dword v132, off, s[0:3], 0 offset:228
	v_cmp_lt_u32_e32 vcc, 16, v0
	s_waitcnt vmcnt(20) lgkmcnt(1)
	v_fma_f64 v[107:108], v[115:116], v[107:108], 0
	s_waitcnt vmcnt(18)
	v_fma_f64 v[107:108], v[117:118], v[109:110], v[107:108]
	buffer_load_dword v116, off, s[0:3], 0 offset:236
	buffer_load_dword v117, off, s[0:3], 0 offset:256
	;; [unrolled: 1-line block ×7, first 2 shown]
	s_waitcnt vmcnt(23) lgkmcnt(0)
	v_fma_f64 v[107:108], v[119:120], v[111:112], v[107:108]
	s_waitcnt vmcnt(21)
	v_fma_f64 v[118:119], v[121:122], v[113:114], v[107:108]
	ds_read_b128 v[107:110], v106 offset:592
	ds_read_b128 v[111:114], v106 offset:608
	s_waitcnt vmcnt(19) lgkmcnt(1)
	v_fma_f64 v[107:108], v[123:124], v[107:108], v[118:119]
	buffer_load_dword v118, off, s[0:3], 0 offset:260
	s_waitcnt vmcnt(18)
	v_fma_f64 v[107:108], v[125:126], v[109:110], v[107:108]
	buffer_load_dword v120, off, s[0:3], 0 offset:268
	buffer_load_dword v121, off, s[0:3], 0 offset:288
	;; [unrolled: 1-line block ×8, first 2 shown]
	s_waitcnt vmcnt(24) lgkmcnt(0)
	v_fma_f64 v[107:108], v[127:128], v[111:112], v[107:108]
	s_waitcnt vmcnt(19)
	v_fma_f64 v[127:128], v[129:130], v[113:114], v[107:108]
	ds_read_b128 v[107:110], v106 offset:624
	ds_read_b128 v[111:114], v106 offset:640
	s_waitcnt vmcnt(18) lgkmcnt(1)
	v_fma_f64 v[107:108], v[135:136], v[107:108], v[127:128]
	s_waitcnt vmcnt(17)
	v_fma_f64 v[107:108], v[133:134], v[109:110], v[107:108]
	buffer_load_dword v128, off, s[0:3], 0 offset:300
	buffer_load_dword v129, off, s[0:3], 0 offset:320
	;; [unrolled: 1-line block ×7, first 2 shown]
	s_waitcnt vmcnt(23) lgkmcnt(0)
	v_fma_f64 v[107:108], v[131:132], v[111:112], v[107:108]
	s_waitcnt vmcnt(18)
	v_fma_f64 v[115:116], v[115:116], v[113:114], v[107:108]
	ds_read_b128 v[107:110], v106 offset:656
	ds_read_b128 v[111:114], v106 offset:672
	buffer_load_dword v130, off, s[0:3], 0 offset:324
	s_waitcnt vmcnt(18) lgkmcnt(1)
	v_fma_f64 v[107:108], v[139:140], v[107:108], v[115:116]
	s_waitcnt vmcnt(17)
	v_fma_f64 v[107:108], v[137:138], v[109:110], v[107:108]
	buffer_load_dword v116, off, s[0:3], 0 offset:332
	buffer_load_dword v131, off, s[0:3], 0 offset:352
	;; [unrolled: 1-line block ×8, first 2 shown]
	s_waitcnt vmcnt(24) lgkmcnt(0)
	v_fma_f64 v[107:108], v[117:118], v[111:112], v[107:108]
	s_waitcnt vmcnt(19)
	v_fma_f64 v[117:118], v[119:120], v[113:114], v[107:108]
	ds_read_b128 v[107:110], v106 offset:688
	ds_read_b128 v[111:114], v106 offset:704
	s_waitcnt vmcnt(18) lgkmcnt(1)
	v_fma_f64 v[107:108], v[125:126], v[107:108], v[117:118]
	s_waitcnt vmcnt(17)
	v_fma_f64 v[107:108], v[123:124], v[109:110], v[107:108]
	buffer_load_dword v118, off, s[0:3], 0 offset:364
	buffer_load_dword v119, off, s[0:3], 0 offset:384
	;; [unrolled: 1-line block ×7, first 2 shown]
	s_waitcnt vmcnt(23) lgkmcnt(0)
	v_fma_f64 v[107:108], v[121:122], v[111:112], v[107:108]
	s_waitcnt vmcnt(18)
	v_fma_f64 v[120:121], v[127:128], v[113:114], v[107:108]
	ds_read_b128 v[107:110], v106 offset:720
	ds_read_b128 v[111:114], v106 offset:736
	s_waitcnt vmcnt(17) lgkmcnt(1)
	v_fma_f64 v[107:108], v[135:136], v[107:108], v[120:121]
	buffer_load_dword v120, off, s[0:3], 0 offset:388
	s_waitcnt vmcnt(17)
	v_fma_f64 v[107:108], v[133:134], v[109:110], v[107:108]
	buffer_load_dword v122, off, s[0:3], 0 offset:396
	buffer_load_dword v127, off, s[0:3], 0 offset:408
	;; [unrolled: 1-line block ×6, first 2 shown]
	s_waitcnt vmcnt(22) lgkmcnt(0)
	v_fma_f64 v[107:108], v[129:130], v[111:112], v[107:108]
	s_waitcnt vmcnt(17)
	v_fma_f64 v[115:116], v[115:116], v[113:114], v[107:108]
	ds_read_b128 v[107:110], v106 offset:752
	buffer_load_dword v129, off, s[0:3], 0 offset:136
	buffer_load_dword v130, off, s[0:3], 0 offset:140
	ds_read_b128 v[111:114], v106 offset:768
	s_waitcnt vmcnt(18) lgkmcnt(1)
	v_fma_f64 v[107:108], v[139:140], v[107:108], v[115:116]
	s_waitcnt vmcnt(17)
	v_fma_f64 v[107:108], v[137:138], v[109:110], v[107:108]
	s_waitcnt vmcnt(16) lgkmcnt(0)
	v_fma_f64 v[107:108], v[131:132], v[111:112], v[107:108]
	s_waitcnt vmcnt(11)
	v_fma_f64 v[115:116], v[117:118], v[113:114], v[107:108]
	ds_read_b128 v[107:110], v106 offset:784
	ds_read_b128 v[111:114], v106 offset:800
	s_waitcnt vmcnt(10) lgkmcnt(1)
	v_fma_f64 v[107:108], v[125:126], v[107:108], v[115:116]
	s_waitcnt vmcnt(9)
	v_fma_f64 v[107:108], v[123:124], v[109:110], v[107:108]
	s_waitcnt vmcnt(8) lgkmcnt(0)
	v_fma_f64 v[107:108], v[119:120], v[111:112], v[107:108]
	s_waitcnt vmcnt(4)
	v_fma_f64 v[110:111], v[121:122], v[113:114], v[107:108]
	ds_read_b128 v[106:109], v106 offset:816
	s_waitcnt vmcnt(3) lgkmcnt(0)
	v_fma_f64 v[106:107], v[133:134], v[106:107], v[110:111]
	s_waitcnt vmcnt(2)
	v_fma_f64 v[106:107], v[127:128], v[108:109], v[106:107]
	s_waitcnt vmcnt(0)
	v_add_f64 v[106:107], v[129:130], -v[106:107]
	buffer_store_dword v107, off, s[0:3], 0 offset:140
	buffer_store_dword v106, off, s[0:3], 0 offset:136
	s_and_saveexec_b64 s[4:5], vcc
	s_cbranch_execz .LBB51_287
; %bb.286:
	buffer_load_dword v106, off, s[0:3], 0 offset:128
	buffer_load_dword v107, off, s[0:3], 0 offset:132
	v_mov_b32_e32 v108, 0
	buffer_store_dword v108, off, s[0:3], 0 offset:128
	buffer_store_dword v108, off, s[0:3], 0 offset:132
	s_waitcnt vmcnt(2)
	ds_write_b64 v105, v[106:107]
.LBB51_287:
	s_or_b64 exec, exec, s[4:5]
	s_waitcnt lgkmcnt(0)
	; wave barrier
	buffer_load_dword v115, off, s[0:3], 0 offset:136
	buffer_load_dword v116, off, s[0:3], 0 offset:140
	buffer_load_dword v117, off, s[0:3], 0 offset:144
	buffer_load_dword v118, off, s[0:3], 0 offset:148
	buffer_load_dword v119, off, s[0:3], 0 offset:152
	buffer_load_dword v120, off, s[0:3], 0 offset:156
	buffer_load_dword v121, off, s[0:3], 0 offset:160
	buffer_load_dword v122, off, s[0:3], 0 offset:164
	buffer_load_dword v123, off, s[0:3], 0 offset:168
	buffer_load_dword v124, off, s[0:3], 0 offset:172
	buffer_load_dword v125, off, s[0:3], 0 offset:176
	buffer_load_dword v126, off, s[0:3], 0 offset:180
	buffer_load_dword v127, off, s[0:3], 0 offset:184
	buffer_load_dword v128, off, s[0:3], 0 offset:188
	buffer_load_dword v130, off, s[0:3], 0 offset:196
	buffer_load_dword v131, off, s[0:3], 0 offset:216
	buffer_load_dword v133, off, s[0:3], 0 offset:208
	buffer_load_dword v135, off, s[0:3], 0 offset:200
	buffer_load_dword v129, off, s[0:3], 0 offset:192
	buffer_load_dword v136, off, s[0:3], 0 offset:204
	buffer_load_dword v134, off, s[0:3], 0 offset:212
	v_mov_b32_e32 v106, 0
	ds_read2_b64 v[107:110], v106 offset0:69 offset1:70
	ds_read2_b64 v[111:114], v106 offset0:71 offset1:72
	buffer_load_dword v132, off, s[0:3], 0 offset:220
	v_cmp_lt_u32_e32 vcc, 15, v0
	s_waitcnt vmcnt(20) lgkmcnt(1)
	v_fma_f64 v[107:108], v[115:116], v[107:108], 0
	s_waitcnt vmcnt(18)
	v_fma_f64 v[107:108], v[117:118], v[109:110], v[107:108]
	buffer_load_dword v116, off, s[0:3], 0 offset:228
	buffer_load_dword v117, off, s[0:3], 0 offset:248
	;; [unrolled: 1-line block ×7, first 2 shown]
	s_waitcnt vmcnt(23) lgkmcnt(0)
	v_fma_f64 v[107:108], v[119:120], v[111:112], v[107:108]
	s_waitcnt vmcnt(21)
	v_fma_f64 v[118:119], v[121:122], v[113:114], v[107:108]
	ds_read2_b64 v[107:110], v106 offset0:73 offset1:74
	ds_read2_b64 v[111:114], v106 offset0:75 offset1:76
	s_waitcnt vmcnt(19) lgkmcnt(1)
	v_fma_f64 v[107:108], v[123:124], v[107:108], v[118:119]
	buffer_load_dword v118, off, s[0:3], 0 offset:252
	s_waitcnt vmcnt(18)
	v_fma_f64 v[107:108], v[125:126], v[109:110], v[107:108]
	buffer_load_dword v120, off, s[0:3], 0 offset:260
	buffer_load_dword v121, off, s[0:3], 0 offset:280
	;; [unrolled: 1-line block ×8, first 2 shown]
	s_waitcnt vmcnt(24) lgkmcnt(0)
	v_fma_f64 v[107:108], v[127:128], v[111:112], v[107:108]
	s_waitcnt vmcnt(19)
	v_fma_f64 v[127:128], v[129:130], v[113:114], v[107:108]
	ds_read2_b64 v[107:110], v106 offset0:77 offset1:78
	ds_read2_b64 v[111:114], v106 offset0:79 offset1:80
	s_waitcnt vmcnt(18) lgkmcnt(1)
	v_fma_f64 v[107:108], v[135:136], v[107:108], v[127:128]
	s_waitcnt vmcnt(17)
	v_fma_f64 v[107:108], v[133:134], v[109:110], v[107:108]
	buffer_load_dword v128, off, s[0:3], 0 offset:292
	buffer_load_dword v129, off, s[0:3], 0 offset:312
	;; [unrolled: 1-line block ×7, first 2 shown]
	s_waitcnt vmcnt(23) lgkmcnt(0)
	v_fma_f64 v[107:108], v[131:132], v[111:112], v[107:108]
	s_waitcnt vmcnt(18)
	v_fma_f64 v[115:116], v[115:116], v[113:114], v[107:108]
	ds_read2_b64 v[107:110], v106 offset0:81 offset1:82
	ds_read2_b64 v[111:114], v106 offset0:83 offset1:84
	buffer_load_dword v130, off, s[0:3], 0 offset:316
	s_waitcnt vmcnt(18) lgkmcnt(1)
	v_fma_f64 v[107:108], v[139:140], v[107:108], v[115:116]
	s_waitcnt vmcnt(17)
	v_fma_f64 v[107:108], v[137:138], v[109:110], v[107:108]
	buffer_load_dword v116, off, s[0:3], 0 offset:324
	buffer_load_dword v131, off, s[0:3], 0 offset:344
	;; [unrolled: 1-line block ×8, first 2 shown]
	s_waitcnt vmcnt(24) lgkmcnt(0)
	v_fma_f64 v[107:108], v[117:118], v[111:112], v[107:108]
	s_waitcnt vmcnt(19)
	v_fma_f64 v[117:118], v[119:120], v[113:114], v[107:108]
	ds_read2_b64 v[107:110], v106 offset0:85 offset1:86
	ds_read2_b64 v[111:114], v106 offset0:87 offset1:88
	s_waitcnt vmcnt(18) lgkmcnt(1)
	v_fma_f64 v[107:108], v[125:126], v[107:108], v[117:118]
	s_waitcnt vmcnt(17)
	v_fma_f64 v[107:108], v[123:124], v[109:110], v[107:108]
	buffer_load_dword v118, off, s[0:3], 0 offset:356
	buffer_load_dword v119, off, s[0:3], 0 offset:376
	;; [unrolled: 1-line block ×7, first 2 shown]
	s_waitcnt vmcnt(23) lgkmcnt(0)
	v_fma_f64 v[107:108], v[121:122], v[111:112], v[107:108]
	s_waitcnt vmcnt(18)
	v_fma_f64 v[120:121], v[127:128], v[113:114], v[107:108]
	ds_read2_b64 v[107:110], v106 offset0:89 offset1:90
	ds_read2_b64 v[111:114], v106 offset0:91 offset1:92
	s_waitcnt vmcnt(17) lgkmcnt(1)
	v_fma_f64 v[107:108], v[135:136], v[107:108], v[120:121]
	buffer_load_dword v120, off, s[0:3], 0 offset:380
	s_waitcnt vmcnt(17)
	v_fma_f64 v[107:108], v[133:134], v[109:110], v[107:108]
	buffer_load_dword v122, off, s[0:3], 0 offset:388
	buffer_load_dword v127, off, s[0:3], 0 offset:408
	;; [unrolled: 1-line block ×8, first 2 shown]
	s_waitcnt vmcnt(24) lgkmcnt(0)
	v_fma_f64 v[107:108], v[129:130], v[111:112], v[107:108]
	s_waitcnt vmcnt(19)
	v_fma_f64 v[115:116], v[115:116], v[113:114], v[107:108]
	ds_read2_b64 v[107:110], v106 offset0:93 offset1:94
	ds_read2_b64 v[111:114], v106 offset0:95 offset1:96
	s_waitcnt vmcnt(18) lgkmcnt(1)
	v_fma_f64 v[107:108], v[139:140], v[107:108], v[115:116]
	buffer_load_dword v115, off, s[0:3], 0 offset:128
	buffer_load_dword v116, off, s[0:3], 0 offset:132
	s_waitcnt vmcnt(19)
	v_fma_f64 v[107:108], v[137:138], v[109:110], v[107:108]
	s_waitcnt vmcnt(18) lgkmcnt(0)
	v_fma_f64 v[107:108], v[131:132], v[111:112], v[107:108]
	s_waitcnt vmcnt(13)
	v_fma_f64 v[117:118], v[117:118], v[113:114], v[107:108]
	ds_read2_b64 v[107:110], v106 offset0:97 offset1:98
	ds_read2_b64 v[111:114], v106 offset0:99 offset1:100
	s_waitcnt vmcnt(12) lgkmcnt(1)
	v_fma_f64 v[107:108], v[125:126], v[107:108], v[117:118]
	s_waitcnt vmcnt(11)
	v_fma_f64 v[107:108], v[123:124], v[109:110], v[107:108]
	s_waitcnt vmcnt(10) lgkmcnt(0)
	v_fma_f64 v[107:108], v[119:120], v[111:112], v[107:108]
	s_waitcnt vmcnt(5)
	v_fma_f64 v[111:112], v[121:122], v[113:114], v[107:108]
	ds_read2_b64 v[107:110], v106 offset0:101 offset1:102
	ds_read_b64 v[113:114], v106 offset:824
	s_waitcnt vmcnt(4) lgkmcnt(1)
	v_fma_f64 v[107:108], v[135:136], v[107:108], v[111:112]
	s_waitcnt vmcnt(3)
	v_fma_f64 v[107:108], v[133:134], v[109:110], v[107:108]
	s_waitcnt vmcnt(2) lgkmcnt(0)
	v_fma_f64 v[107:108], v[127:128], v[113:114], v[107:108]
	s_waitcnt vmcnt(0)
	v_add_f64 v[107:108], v[115:116], -v[107:108]
	buffer_store_dword v108, off, s[0:3], 0 offset:132
	buffer_store_dword v107, off, s[0:3], 0 offset:128
	s_and_saveexec_b64 s[4:5], vcc
	s_cbranch_execz .LBB51_289
; %bb.288:
	buffer_load_dword v107, off, s[0:3], 0 offset:120
	buffer_load_dword v108, off, s[0:3], 0 offset:124
	s_waitcnt vmcnt(0)
	ds_write_b64 v105, v[107:108]
	buffer_store_dword v106, off, s[0:3], 0 offset:120
	buffer_store_dword v106, off, s[0:3], 0 offset:124
.LBB51_289:
	s_or_b64 exec, exec, s[4:5]
	s_waitcnt lgkmcnt(0)
	; wave barrier
	buffer_load_dword v115, off, s[0:3], 0 offset:128
	buffer_load_dword v116, off, s[0:3], 0 offset:132
	;; [unrolled: 1-line block ×21, first 2 shown]
	ds_read_b128 v[107:110], v106 offset:544
	ds_read_b128 v[111:114], v106 offset:560
	buffer_load_dword v132, off, s[0:3], 0 offset:212
	v_cmp_lt_u32_e32 vcc, 14, v0
	s_waitcnt vmcnt(20) lgkmcnt(1)
	v_fma_f64 v[107:108], v[115:116], v[107:108], 0
	s_waitcnt vmcnt(18)
	v_fma_f64 v[107:108], v[117:118], v[109:110], v[107:108]
	buffer_load_dword v116, off, s[0:3], 0 offset:220
	buffer_load_dword v117, off, s[0:3], 0 offset:240
	buffer_load_dword v137, off, s[0:3], 0 offset:232
	buffer_load_dword v139, off, s[0:3], 0 offset:224
	buffer_load_dword v115, off, s[0:3], 0 offset:216
	buffer_load_dword v140, off, s[0:3], 0 offset:228
	buffer_load_dword v138, off, s[0:3], 0 offset:236
	s_waitcnt vmcnt(23) lgkmcnt(0)
	v_fma_f64 v[107:108], v[119:120], v[111:112], v[107:108]
	s_waitcnt vmcnt(21)
	v_fma_f64 v[118:119], v[121:122], v[113:114], v[107:108]
	ds_read_b128 v[107:110], v106 offset:576
	ds_read_b128 v[111:114], v106 offset:592
	s_waitcnt vmcnt(19) lgkmcnt(1)
	v_fma_f64 v[107:108], v[123:124], v[107:108], v[118:119]
	buffer_load_dword v118, off, s[0:3], 0 offset:244
	s_waitcnt vmcnt(18)
	v_fma_f64 v[107:108], v[125:126], v[109:110], v[107:108]
	buffer_load_dword v120, off, s[0:3], 0 offset:252
	buffer_load_dword v121, off, s[0:3], 0 offset:272
	;; [unrolled: 1-line block ×8, first 2 shown]
	s_waitcnt vmcnt(24) lgkmcnt(0)
	v_fma_f64 v[107:108], v[127:128], v[111:112], v[107:108]
	s_waitcnt vmcnt(19)
	v_fma_f64 v[127:128], v[129:130], v[113:114], v[107:108]
	ds_read_b128 v[107:110], v106 offset:608
	ds_read_b128 v[111:114], v106 offset:624
	s_waitcnt vmcnt(18) lgkmcnt(1)
	v_fma_f64 v[107:108], v[135:136], v[107:108], v[127:128]
	s_waitcnt vmcnt(17)
	v_fma_f64 v[107:108], v[133:134], v[109:110], v[107:108]
	buffer_load_dword v128, off, s[0:3], 0 offset:284
	buffer_load_dword v129, off, s[0:3], 0 offset:304
	;; [unrolled: 1-line block ×7, first 2 shown]
	s_waitcnt vmcnt(23) lgkmcnt(0)
	v_fma_f64 v[107:108], v[131:132], v[111:112], v[107:108]
	s_waitcnt vmcnt(18)
	v_fma_f64 v[115:116], v[115:116], v[113:114], v[107:108]
	ds_read_b128 v[107:110], v106 offset:640
	ds_read_b128 v[111:114], v106 offset:656
	buffer_load_dword v130, off, s[0:3], 0 offset:308
	s_waitcnt vmcnt(18) lgkmcnt(1)
	v_fma_f64 v[107:108], v[139:140], v[107:108], v[115:116]
	s_waitcnt vmcnt(17)
	v_fma_f64 v[107:108], v[137:138], v[109:110], v[107:108]
	buffer_load_dword v116, off, s[0:3], 0 offset:316
	buffer_load_dword v131, off, s[0:3], 0 offset:336
	;; [unrolled: 1-line block ×8, first 2 shown]
	s_waitcnt vmcnt(24) lgkmcnt(0)
	v_fma_f64 v[107:108], v[117:118], v[111:112], v[107:108]
	s_waitcnt vmcnt(19)
	v_fma_f64 v[117:118], v[119:120], v[113:114], v[107:108]
	ds_read_b128 v[107:110], v106 offset:672
	ds_read_b128 v[111:114], v106 offset:688
	s_waitcnt vmcnt(18) lgkmcnt(1)
	v_fma_f64 v[107:108], v[125:126], v[107:108], v[117:118]
	s_waitcnt vmcnt(17)
	v_fma_f64 v[107:108], v[123:124], v[109:110], v[107:108]
	buffer_load_dword v118, off, s[0:3], 0 offset:348
	buffer_load_dword v119, off, s[0:3], 0 offset:368
	;; [unrolled: 1-line block ×7, first 2 shown]
	s_waitcnt vmcnt(23) lgkmcnt(0)
	v_fma_f64 v[107:108], v[121:122], v[111:112], v[107:108]
	s_waitcnt vmcnt(18)
	v_fma_f64 v[120:121], v[127:128], v[113:114], v[107:108]
	ds_read_b128 v[107:110], v106 offset:704
	ds_read_b128 v[111:114], v106 offset:720
	s_waitcnt vmcnt(17) lgkmcnt(1)
	v_fma_f64 v[107:108], v[135:136], v[107:108], v[120:121]
	buffer_load_dword v120, off, s[0:3], 0 offset:372
	s_waitcnt vmcnt(17)
	v_fma_f64 v[107:108], v[133:134], v[109:110], v[107:108]
	buffer_load_dword v122, off, s[0:3], 0 offset:380
	buffer_load_dword v127, off, s[0:3], 0 offset:400
	buffer_load_dword v133, off, s[0:3], 0 offset:392
	buffer_load_dword v135, off, s[0:3], 0 offset:384
	buffer_load_dword v121, off, s[0:3], 0 offset:376
	buffer_load_dword v136, off, s[0:3], 0 offset:388
	buffer_load_dword v134, off, s[0:3], 0 offset:396
	buffer_load_dword v128, off, s[0:3], 0 offset:404
	s_waitcnt vmcnt(24) lgkmcnt(0)
	v_fma_f64 v[107:108], v[129:130], v[111:112], v[107:108]
	s_waitcnt vmcnt(19)
	v_fma_f64 v[115:116], v[115:116], v[113:114], v[107:108]
	ds_read_b128 v[107:110], v106 offset:736
	ds_read_b128 v[111:114], v106 offset:752
	s_waitcnt vmcnt(18) lgkmcnt(1)
	v_fma_f64 v[107:108], v[139:140], v[107:108], v[115:116]
	buffer_load_dword v116, off, s[0:3], 0 offset:412
	buffer_load_dword v115, off, s[0:3], 0 offset:408
	;; [unrolled: 1-line block ×4, first 2 shown]
	s_waitcnt vmcnt(21)
	v_fma_f64 v[107:108], v[137:138], v[109:110], v[107:108]
	s_waitcnt vmcnt(20) lgkmcnt(0)
	v_fma_f64 v[107:108], v[131:132], v[111:112], v[107:108]
	s_waitcnt vmcnt(15)
	v_fma_f64 v[117:118], v[117:118], v[113:114], v[107:108]
	ds_read_b128 v[107:110], v106 offset:768
	ds_read_b128 v[111:114], v106 offset:784
	s_waitcnt vmcnt(14) lgkmcnt(1)
	v_fma_f64 v[107:108], v[125:126], v[107:108], v[117:118]
	s_waitcnt vmcnt(13)
	v_fma_f64 v[107:108], v[123:124], v[109:110], v[107:108]
	s_waitcnt vmcnt(12) lgkmcnt(0)
	v_fma_f64 v[107:108], v[119:120], v[111:112], v[107:108]
	s_waitcnt vmcnt(7)
	v_fma_f64 v[117:118], v[121:122], v[113:114], v[107:108]
	ds_read_b128 v[107:110], v106 offset:800
	ds_read_b128 v[111:114], v106 offset:816
	s_waitcnt vmcnt(6) lgkmcnt(1)
	v_fma_f64 v[106:107], v[135:136], v[107:108], v[117:118]
	s_waitcnt vmcnt(5)
	v_fma_f64 v[106:107], v[133:134], v[109:110], v[106:107]
	s_waitcnt vmcnt(4) lgkmcnt(0)
	v_fma_f64 v[106:107], v[127:128], v[111:112], v[106:107]
	s_waitcnt vmcnt(2)
	v_fma_f64 v[106:107], v[115:116], v[113:114], v[106:107]
	s_waitcnt vmcnt(0)
	v_add_f64 v[106:107], v[129:130], -v[106:107]
	buffer_store_dword v107, off, s[0:3], 0 offset:124
	buffer_store_dword v106, off, s[0:3], 0 offset:120
	s_and_saveexec_b64 s[4:5], vcc
	s_cbranch_execz .LBB51_291
; %bb.290:
	buffer_load_dword v106, off, s[0:3], 0 offset:112
	buffer_load_dword v107, off, s[0:3], 0 offset:116
	v_mov_b32_e32 v108, 0
	buffer_store_dword v108, off, s[0:3], 0 offset:112
	buffer_store_dword v108, off, s[0:3], 0 offset:116
	s_waitcnt vmcnt(2)
	ds_write_b64 v105, v[106:107]
.LBB51_291:
	s_or_b64 exec, exec, s[4:5]
	s_waitcnt lgkmcnt(0)
	; wave barrier
	buffer_load_dword v115, off, s[0:3], 0 offset:120
	buffer_load_dword v116, off, s[0:3], 0 offset:124
	;; [unrolled: 1-line block ×21, first 2 shown]
	v_mov_b32_e32 v106, 0
	ds_read2_b64 v[107:110], v106 offset0:67 offset1:68
	ds_read2_b64 v[111:114], v106 offset0:69 offset1:70
	buffer_load_dword v132, off, s[0:3], 0 offset:204
	v_cmp_lt_u32_e32 vcc, 13, v0
	s_waitcnt vmcnt(20) lgkmcnt(1)
	v_fma_f64 v[107:108], v[115:116], v[107:108], 0
	s_waitcnt vmcnt(18)
	v_fma_f64 v[107:108], v[117:118], v[109:110], v[107:108]
	buffer_load_dword v116, off, s[0:3], 0 offset:212
	buffer_load_dword v117, off, s[0:3], 0 offset:232
	;; [unrolled: 1-line block ×7, first 2 shown]
	s_waitcnt vmcnt(23) lgkmcnt(0)
	v_fma_f64 v[107:108], v[119:120], v[111:112], v[107:108]
	s_waitcnt vmcnt(21)
	v_fma_f64 v[118:119], v[121:122], v[113:114], v[107:108]
	ds_read2_b64 v[107:110], v106 offset0:71 offset1:72
	ds_read2_b64 v[111:114], v106 offset0:73 offset1:74
	s_waitcnt vmcnt(19) lgkmcnt(1)
	v_fma_f64 v[107:108], v[123:124], v[107:108], v[118:119]
	buffer_load_dword v118, off, s[0:3], 0 offset:236
	s_waitcnt vmcnt(18)
	v_fma_f64 v[107:108], v[125:126], v[109:110], v[107:108]
	buffer_load_dword v120, off, s[0:3], 0 offset:244
	buffer_load_dword v121, off, s[0:3], 0 offset:264
	;; [unrolled: 1-line block ×8, first 2 shown]
	s_waitcnt vmcnt(24) lgkmcnt(0)
	v_fma_f64 v[107:108], v[127:128], v[111:112], v[107:108]
	s_waitcnt vmcnt(19)
	v_fma_f64 v[127:128], v[129:130], v[113:114], v[107:108]
	ds_read2_b64 v[107:110], v106 offset0:75 offset1:76
	ds_read2_b64 v[111:114], v106 offset0:77 offset1:78
	s_waitcnt vmcnt(18) lgkmcnt(1)
	v_fma_f64 v[107:108], v[135:136], v[107:108], v[127:128]
	s_waitcnt vmcnt(17)
	v_fma_f64 v[107:108], v[133:134], v[109:110], v[107:108]
	buffer_load_dword v128, off, s[0:3], 0 offset:276
	buffer_load_dword v129, off, s[0:3], 0 offset:296
	;; [unrolled: 1-line block ×7, first 2 shown]
	s_waitcnt vmcnt(23) lgkmcnt(0)
	v_fma_f64 v[107:108], v[131:132], v[111:112], v[107:108]
	s_waitcnt vmcnt(18)
	v_fma_f64 v[115:116], v[115:116], v[113:114], v[107:108]
	ds_read2_b64 v[107:110], v106 offset0:79 offset1:80
	ds_read2_b64 v[111:114], v106 offset0:81 offset1:82
	buffer_load_dword v130, off, s[0:3], 0 offset:300
	s_waitcnt vmcnt(18) lgkmcnt(1)
	v_fma_f64 v[107:108], v[139:140], v[107:108], v[115:116]
	s_waitcnt vmcnt(17)
	v_fma_f64 v[107:108], v[137:138], v[109:110], v[107:108]
	buffer_load_dword v116, off, s[0:3], 0 offset:308
	buffer_load_dword v131, off, s[0:3], 0 offset:328
	;; [unrolled: 1-line block ×7, first 2 shown]
	s_waitcnt vmcnt(23) lgkmcnt(0)
	v_fma_f64 v[107:108], v[117:118], v[111:112], v[107:108]
	s_waitcnt vmcnt(18)
	v_fma_f64 v[117:118], v[119:120], v[113:114], v[107:108]
	ds_read2_b64 v[107:110], v106 offset0:83 offset1:84
	ds_read2_b64 v[111:114], v106 offset0:85 offset1:86
	buffer_load_dword v132, off, s[0:3], 0 offset:332
	s_waitcnt vmcnt(18) lgkmcnt(1)
	v_fma_f64 v[107:108], v[125:126], v[107:108], v[117:118]
	s_waitcnt vmcnt(17)
	v_fma_f64 v[107:108], v[123:124], v[109:110], v[107:108]
	buffer_load_dword v118, off, s[0:3], 0 offset:340
	buffer_load_dword v119, off, s[0:3], 0 offset:360
	;; [unrolled: 1-line block ×7, first 2 shown]
	s_waitcnt vmcnt(23) lgkmcnt(0)
	v_fma_f64 v[107:108], v[121:122], v[111:112], v[107:108]
	s_waitcnt vmcnt(18)
	v_fma_f64 v[120:121], v[127:128], v[113:114], v[107:108]
	ds_read2_b64 v[107:110], v106 offset0:87 offset1:88
	ds_read2_b64 v[111:114], v106 offset0:89 offset1:90
	s_waitcnt vmcnt(17) lgkmcnt(1)
	v_fma_f64 v[107:108], v[135:136], v[107:108], v[120:121]
	buffer_load_dword v120, off, s[0:3], 0 offset:364
	s_waitcnt vmcnt(17)
	v_fma_f64 v[107:108], v[133:134], v[109:110], v[107:108]
	buffer_load_dword v122, off, s[0:3], 0 offset:372
	buffer_load_dword v127, off, s[0:3], 0 offset:392
	buffer_load_dword v133, off, s[0:3], 0 offset:384
	buffer_load_dword v135, off, s[0:3], 0 offset:376
	buffer_load_dword v121, off, s[0:3], 0 offset:368
	buffer_load_dword v136, off, s[0:3], 0 offset:380
	buffer_load_dword v134, off, s[0:3], 0 offset:388
	s_waitcnt vmcnt(23) lgkmcnt(0)
	v_fma_f64 v[107:108], v[129:130], v[111:112], v[107:108]
	s_waitcnt vmcnt(18)
	v_fma_f64 v[115:116], v[115:116], v[113:114], v[107:108]
	ds_read2_b64 v[107:110], v106 offset0:91 offset1:92
	ds_read2_b64 v[111:114], v106 offset0:93 offset1:94
	buffer_load_dword v128, off, s[0:3], 0 offset:396
	s_waitcnt vmcnt(18) lgkmcnt(1)
	v_fma_f64 v[107:108], v[139:140], v[107:108], v[115:116]
	buffer_load_dword v116, off, s[0:3], 0 offset:404
	buffer_load_dword v129, off, s[0:3], 0 offset:408
	;; [unrolled: 1-line block ×4, first 2 shown]
	s_waitcnt vmcnt(21)
	v_fma_f64 v[107:108], v[137:138], v[109:110], v[107:108]
	s_waitcnt vmcnt(20) lgkmcnt(0)
	v_fma_f64 v[107:108], v[131:132], v[111:112], v[107:108]
	buffer_load_dword v131, off, s[0:3], 0 offset:112
	buffer_load_dword v132, off, s[0:3], 0 offset:116
	s_waitcnt vmcnt(17)
	v_fma_f64 v[117:118], v[117:118], v[113:114], v[107:108]
	ds_read2_b64 v[107:110], v106 offset0:95 offset1:96
	ds_read2_b64 v[111:114], v106 offset0:97 offset1:98
	s_waitcnt vmcnt(16) lgkmcnt(1)
	v_fma_f64 v[107:108], v[125:126], v[107:108], v[117:118]
	s_waitcnt vmcnt(15)
	v_fma_f64 v[107:108], v[123:124], v[109:110], v[107:108]
	s_waitcnt vmcnt(14) lgkmcnt(0)
	v_fma_f64 v[107:108], v[119:120], v[111:112], v[107:108]
	s_waitcnt vmcnt(9)
	v_fma_f64 v[117:118], v[121:122], v[113:114], v[107:108]
	ds_read2_b64 v[107:110], v106 offset0:99 offset1:100
	ds_read2_b64 v[111:114], v106 offset0:101 offset1:102
	s_waitcnt vmcnt(8) lgkmcnt(1)
	v_fma_f64 v[107:108], v[135:136], v[107:108], v[117:118]
	s_waitcnt vmcnt(7)
	v_fma_f64 v[107:108], v[133:134], v[109:110], v[107:108]
	ds_read_b64 v[109:110], v106 offset:824
	s_waitcnt vmcnt(6) lgkmcnt(1)
	v_fma_f64 v[107:108], v[127:128], v[111:112], v[107:108]
	s_waitcnt vmcnt(3)
	v_fma_f64 v[107:108], v[115:116], v[113:114], v[107:108]
	s_waitcnt vmcnt(2) lgkmcnt(0)
	v_fma_f64 v[107:108], v[129:130], v[109:110], v[107:108]
	s_waitcnt vmcnt(0)
	v_add_f64 v[107:108], v[131:132], -v[107:108]
	buffer_store_dword v108, off, s[0:3], 0 offset:116
	buffer_store_dword v107, off, s[0:3], 0 offset:112
	s_and_saveexec_b64 s[4:5], vcc
	s_cbranch_execz .LBB51_293
; %bb.292:
	buffer_load_dword v107, off, s[0:3], 0 offset:104
	buffer_load_dword v108, off, s[0:3], 0 offset:108
	s_waitcnt vmcnt(0)
	ds_write_b64 v105, v[107:108]
	buffer_store_dword v106, off, s[0:3], 0 offset:104
	buffer_store_dword v106, off, s[0:3], 0 offset:108
.LBB51_293:
	s_or_b64 exec, exec, s[4:5]
	s_waitcnt lgkmcnt(0)
	; wave barrier
	buffer_load_dword v115, off, s[0:3], 0 offset:112
	buffer_load_dword v116, off, s[0:3], 0 offset:116
	;; [unrolled: 1-line block ×22, first 2 shown]
	ds_read_b128 v[107:110], v106 offset:528
	ds_read_b128 v[111:114], v106 offset:544
	v_cmp_lt_u32_e32 vcc, 12, v0
	s_waitcnt vmcnt(20) lgkmcnt(1)
	v_fma_f64 v[107:108], v[115:116], v[107:108], 0
	s_waitcnt vmcnt(18)
	v_fma_f64 v[107:108], v[117:118], v[109:110], v[107:108]
	buffer_load_dword v116, off, s[0:3], 0 offset:204
	buffer_load_dword v117, off, s[0:3], 0 offset:224
	;; [unrolled: 1-line block ×7, first 2 shown]
	s_waitcnt vmcnt(23) lgkmcnt(0)
	v_fma_f64 v[107:108], v[119:120], v[111:112], v[107:108]
	s_waitcnt vmcnt(21)
	v_fma_f64 v[118:119], v[121:122], v[113:114], v[107:108]
	ds_read_b128 v[107:110], v106 offset:560
	ds_read_b128 v[111:114], v106 offset:576
	s_waitcnt vmcnt(19) lgkmcnt(1)
	v_fma_f64 v[107:108], v[123:124], v[107:108], v[118:119]
	buffer_load_dword v118, off, s[0:3], 0 offset:228
	s_waitcnt vmcnt(18)
	v_fma_f64 v[107:108], v[125:126], v[109:110], v[107:108]
	buffer_load_dword v120, off, s[0:3], 0 offset:236
	buffer_load_dword v121, off, s[0:3], 0 offset:256
	;; [unrolled: 1-line block ×8, first 2 shown]
	s_waitcnt vmcnt(24) lgkmcnt(0)
	v_fma_f64 v[107:108], v[127:128], v[111:112], v[107:108]
	s_waitcnt vmcnt(19)
	v_fma_f64 v[127:128], v[129:130], v[113:114], v[107:108]
	ds_read_b128 v[107:110], v106 offset:592
	ds_read_b128 v[111:114], v106 offset:608
	s_waitcnt vmcnt(18) lgkmcnt(1)
	v_fma_f64 v[107:108], v[135:136], v[107:108], v[127:128]
	s_waitcnt vmcnt(17)
	v_fma_f64 v[107:108], v[133:134], v[109:110], v[107:108]
	buffer_load_dword v128, off, s[0:3], 0 offset:268
	buffer_load_dword v129, off, s[0:3], 0 offset:288
	buffer_load_dword v133, off, s[0:3], 0 offset:280
	buffer_load_dword v135, off, s[0:3], 0 offset:272
	buffer_load_dword v127, off, s[0:3], 0 offset:264
	buffer_load_dword v136, off, s[0:3], 0 offset:276
	buffer_load_dword v134, off, s[0:3], 0 offset:284
	buffer_load_dword v130, off, s[0:3], 0 offset:292
	s_waitcnt vmcnt(24) lgkmcnt(0)
	v_fma_f64 v[107:108], v[131:132], v[111:112], v[107:108]
	s_waitcnt vmcnt(19)
	v_fma_f64 v[115:116], v[115:116], v[113:114], v[107:108]
	ds_read_b128 v[107:110], v106 offset:624
	ds_read_b128 v[111:114], v106 offset:640
	s_waitcnt vmcnt(18) lgkmcnt(1)
	v_fma_f64 v[107:108], v[139:140], v[107:108], v[115:116]
	s_waitcnt vmcnt(17)
	v_fma_f64 v[107:108], v[137:138], v[109:110], v[107:108]
	buffer_load_dword v116, off, s[0:3], 0 offset:300
	buffer_load_dword v131, off, s[0:3], 0 offset:320
	;; [unrolled: 1-line block ×7, first 2 shown]
	s_waitcnt vmcnt(23) lgkmcnt(0)
	v_fma_f64 v[107:108], v[117:118], v[111:112], v[107:108]
	s_waitcnt vmcnt(18)
	v_fma_f64 v[117:118], v[119:120], v[113:114], v[107:108]
	ds_read_b128 v[107:110], v106 offset:656
	ds_read_b128 v[111:114], v106 offset:672
	buffer_load_dword v132, off, s[0:3], 0 offset:324
	s_waitcnt vmcnt(18) lgkmcnt(1)
	v_fma_f64 v[107:108], v[125:126], v[107:108], v[117:118]
	s_waitcnt vmcnt(17)
	v_fma_f64 v[107:108], v[123:124], v[109:110], v[107:108]
	buffer_load_dword v118, off, s[0:3], 0 offset:332
	buffer_load_dword v119, off, s[0:3], 0 offset:352
	;; [unrolled: 1-line block ×7, first 2 shown]
	s_waitcnt vmcnt(23) lgkmcnt(0)
	v_fma_f64 v[107:108], v[121:122], v[111:112], v[107:108]
	s_waitcnt vmcnt(18)
	v_fma_f64 v[120:121], v[127:128], v[113:114], v[107:108]
	ds_read_b128 v[107:110], v106 offset:688
	ds_read_b128 v[111:114], v106 offset:704
	s_waitcnt vmcnt(17) lgkmcnt(1)
	v_fma_f64 v[107:108], v[135:136], v[107:108], v[120:121]
	buffer_load_dword v120, off, s[0:3], 0 offset:356
	s_waitcnt vmcnt(17)
	v_fma_f64 v[107:108], v[133:134], v[109:110], v[107:108]
	buffer_load_dword v122, off, s[0:3], 0 offset:364
	buffer_load_dword v127, off, s[0:3], 0 offset:384
	buffer_load_dword v133, off, s[0:3], 0 offset:376
	buffer_load_dword v135, off, s[0:3], 0 offset:368
	buffer_load_dword v121, off, s[0:3], 0 offset:360
	buffer_load_dword v136, off, s[0:3], 0 offset:372
	buffer_load_dword v134, off, s[0:3], 0 offset:380
	buffer_load_dword v128, off, s[0:3], 0 offset:388
	s_waitcnt vmcnt(24) lgkmcnt(0)
	v_fma_f64 v[107:108], v[129:130], v[111:112], v[107:108]
	s_waitcnt vmcnt(19)
	v_fma_f64 v[115:116], v[115:116], v[113:114], v[107:108]
	ds_read_b128 v[107:110], v106 offset:720
	ds_read_b128 v[111:114], v106 offset:736
	s_waitcnt vmcnt(18) lgkmcnt(1)
	v_fma_f64 v[107:108], v[139:140], v[107:108], v[115:116]
	s_waitcnt vmcnt(17)
	v_fma_f64 v[107:108], v[137:138], v[109:110], v[107:108]
	buffer_load_dword v116, off, s[0:3], 0 offset:396
	buffer_load_dword v129, off, s[0:3], 0 offset:408
	;; [unrolled: 1-line block ×6, first 2 shown]
	s_waitcnt vmcnt(22) lgkmcnt(0)
	v_fma_f64 v[107:108], v[131:132], v[111:112], v[107:108]
	s_waitcnt vmcnt(17)
	v_fma_f64 v[117:118], v[117:118], v[113:114], v[107:108]
	ds_read_b128 v[107:110], v106 offset:752
	buffer_load_dword v131, off, s[0:3], 0 offset:104
	buffer_load_dword v132, off, s[0:3], 0 offset:108
	ds_read_b128 v[111:114], v106 offset:768
	s_waitcnt vmcnt(18) lgkmcnt(1)
	v_fma_f64 v[107:108], v[125:126], v[107:108], v[117:118]
	s_waitcnt vmcnt(17)
	v_fma_f64 v[107:108], v[123:124], v[109:110], v[107:108]
	s_waitcnt vmcnt(16) lgkmcnt(0)
	v_fma_f64 v[107:108], v[119:120], v[111:112], v[107:108]
	s_waitcnt vmcnt(11)
	v_fma_f64 v[117:118], v[121:122], v[113:114], v[107:108]
	ds_read_b128 v[107:110], v106 offset:784
	ds_read_b128 v[111:114], v106 offset:800
	s_waitcnt vmcnt(10) lgkmcnt(1)
	v_fma_f64 v[107:108], v[135:136], v[107:108], v[117:118]
	s_waitcnt vmcnt(9)
	v_fma_f64 v[107:108], v[133:134], v[109:110], v[107:108]
	s_waitcnt vmcnt(8) lgkmcnt(0)
	v_fma_f64 v[107:108], v[127:128], v[111:112], v[107:108]
	s_waitcnt vmcnt(4)
	v_fma_f64 v[110:111], v[115:116], v[113:114], v[107:108]
	ds_read_b128 v[106:109], v106 offset:816
	s_waitcnt vmcnt(3) lgkmcnt(0)
	v_fma_f64 v[106:107], v[137:138], v[106:107], v[110:111]
	s_waitcnt vmcnt(2)
	v_fma_f64 v[106:107], v[129:130], v[108:109], v[106:107]
	s_waitcnt vmcnt(0)
	v_add_f64 v[106:107], v[131:132], -v[106:107]
	buffer_store_dword v107, off, s[0:3], 0 offset:108
	buffer_store_dword v106, off, s[0:3], 0 offset:104
	s_and_saveexec_b64 s[4:5], vcc
	s_cbranch_execz .LBB51_295
; %bb.294:
	buffer_load_dword v106, off, s[0:3], 0 offset:96
	buffer_load_dword v107, off, s[0:3], 0 offset:100
	v_mov_b32_e32 v108, 0
	buffer_store_dword v108, off, s[0:3], 0 offset:96
	buffer_store_dword v108, off, s[0:3], 0 offset:100
	s_waitcnt vmcnt(2)
	ds_write_b64 v105, v[106:107]
.LBB51_295:
	s_or_b64 exec, exec, s[4:5]
	s_waitcnt lgkmcnt(0)
	; wave barrier
	buffer_load_dword v115, off, s[0:3], 0 offset:104
	buffer_load_dword v116, off, s[0:3], 0 offset:108
	;; [unrolled: 1-line block ×22, first 2 shown]
	v_mov_b32_e32 v106, 0
	ds_read2_b64 v[107:110], v106 offset0:65 offset1:66
	ds_read2_b64 v[111:114], v106 offset0:67 offset1:68
	v_cmp_lt_u32_e32 vcc, 11, v0
	s_waitcnt vmcnt(20) lgkmcnt(1)
	v_fma_f64 v[107:108], v[115:116], v[107:108], 0
	s_waitcnt vmcnt(18)
	v_fma_f64 v[107:108], v[117:118], v[109:110], v[107:108]
	buffer_load_dword v116, off, s[0:3], 0 offset:196
	buffer_load_dword v117, off, s[0:3], 0 offset:216
	;; [unrolled: 1-line block ×7, first 2 shown]
	s_waitcnt vmcnt(23) lgkmcnt(0)
	v_fma_f64 v[107:108], v[119:120], v[111:112], v[107:108]
	s_waitcnt vmcnt(21)
	v_fma_f64 v[118:119], v[121:122], v[113:114], v[107:108]
	ds_read2_b64 v[107:110], v106 offset0:69 offset1:70
	ds_read2_b64 v[111:114], v106 offset0:71 offset1:72
	s_waitcnt vmcnt(19) lgkmcnt(1)
	v_fma_f64 v[107:108], v[123:124], v[107:108], v[118:119]
	buffer_load_dword v118, off, s[0:3], 0 offset:220
	s_waitcnt vmcnt(18)
	v_fma_f64 v[107:108], v[125:126], v[109:110], v[107:108]
	buffer_load_dword v120, off, s[0:3], 0 offset:228
	buffer_load_dword v121, off, s[0:3], 0 offset:248
	;; [unrolled: 1-line block ×8, first 2 shown]
	s_waitcnt vmcnt(24) lgkmcnt(0)
	v_fma_f64 v[107:108], v[127:128], v[111:112], v[107:108]
	s_waitcnt vmcnt(19)
	v_fma_f64 v[127:128], v[129:130], v[113:114], v[107:108]
	ds_read2_b64 v[107:110], v106 offset0:73 offset1:74
	ds_read2_b64 v[111:114], v106 offset0:75 offset1:76
	s_waitcnt vmcnt(18) lgkmcnt(1)
	v_fma_f64 v[107:108], v[135:136], v[107:108], v[127:128]
	s_waitcnt vmcnt(17)
	v_fma_f64 v[107:108], v[133:134], v[109:110], v[107:108]
	buffer_load_dword v128, off, s[0:3], 0 offset:260
	buffer_load_dword v129, off, s[0:3], 0 offset:280
	buffer_load_dword v133, off, s[0:3], 0 offset:272
	buffer_load_dword v135, off, s[0:3], 0 offset:264
	buffer_load_dword v127, off, s[0:3], 0 offset:256
	buffer_load_dword v136, off, s[0:3], 0 offset:268
	buffer_load_dword v134, off, s[0:3], 0 offset:276
	buffer_load_dword v130, off, s[0:3], 0 offset:284
	s_waitcnt vmcnt(24) lgkmcnt(0)
	v_fma_f64 v[107:108], v[131:132], v[111:112], v[107:108]
	s_waitcnt vmcnt(19)
	v_fma_f64 v[115:116], v[115:116], v[113:114], v[107:108]
	ds_read2_b64 v[107:110], v106 offset0:77 offset1:78
	ds_read2_b64 v[111:114], v106 offset0:79 offset1:80
	s_waitcnt vmcnt(18) lgkmcnt(1)
	v_fma_f64 v[107:108], v[139:140], v[107:108], v[115:116]
	s_waitcnt vmcnt(17)
	v_fma_f64 v[107:108], v[137:138], v[109:110], v[107:108]
	buffer_load_dword v116, off, s[0:3], 0 offset:292
	buffer_load_dword v131, off, s[0:3], 0 offset:312
	;; [unrolled: 1-line block ×7, first 2 shown]
	s_waitcnt vmcnt(23) lgkmcnt(0)
	v_fma_f64 v[107:108], v[117:118], v[111:112], v[107:108]
	s_waitcnt vmcnt(18)
	v_fma_f64 v[117:118], v[119:120], v[113:114], v[107:108]
	ds_read2_b64 v[107:110], v106 offset0:81 offset1:82
	ds_read2_b64 v[111:114], v106 offset0:83 offset1:84
	buffer_load_dword v132, off, s[0:3], 0 offset:316
	s_waitcnt vmcnt(18) lgkmcnt(1)
	v_fma_f64 v[107:108], v[125:126], v[107:108], v[117:118]
	s_waitcnt vmcnt(17)
	v_fma_f64 v[107:108], v[123:124], v[109:110], v[107:108]
	buffer_load_dword v118, off, s[0:3], 0 offset:324
	buffer_load_dword v119, off, s[0:3], 0 offset:344
	;; [unrolled: 1-line block ×7, first 2 shown]
	s_waitcnt vmcnt(23) lgkmcnt(0)
	v_fma_f64 v[107:108], v[121:122], v[111:112], v[107:108]
	s_waitcnt vmcnt(18)
	v_fma_f64 v[120:121], v[127:128], v[113:114], v[107:108]
	ds_read2_b64 v[107:110], v106 offset0:85 offset1:86
	ds_read2_b64 v[111:114], v106 offset0:87 offset1:88
	s_waitcnt vmcnt(17) lgkmcnt(1)
	v_fma_f64 v[107:108], v[135:136], v[107:108], v[120:121]
	buffer_load_dword v120, off, s[0:3], 0 offset:348
	s_waitcnt vmcnt(17)
	v_fma_f64 v[107:108], v[133:134], v[109:110], v[107:108]
	buffer_load_dword v122, off, s[0:3], 0 offset:356
	buffer_load_dword v127, off, s[0:3], 0 offset:376
	;; [unrolled: 1-line block ×8, first 2 shown]
	s_waitcnt vmcnt(24) lgkmcnt(0)
	v_fma_f64 v[107:108], v[129:130], v[111:112], v[107:108]
	s_waitcnt vmcnt(19)
	v_fma_f64 v[115:116], v[115:116], v[113:114], v[107:108]
	ds_read2_b64 v[107:110], v106 offset0:89 offset1:90
	ds_read2_b64 v[111:114], v106 offset0:91 offset1:92
	s_waitcnt vmcnt(18) lgkmcnt(1)
	v_fma_f64 v[107:108], v[139:140], v[107:108], v[115:116]
	s_waitcnt vmcnt(17)
	v_fma_f64 v[107:108], v[137:138], v[109:110], v[107:108]
	buffer_load_dword v116, off, s[0:3], 0 offset:388
	buffer_load_dword v129, off, s[0:3], 0 offset:408
	;; [unrolled: 1-line block ×8, first 2 shown]
	s_waitcnt vmcnt(24) lgkmcnt(0)
	v_fma_f64 v[107:108], v[131:132], v[111:112], v[107:108]
	s_waitcnt vmcnt(19)
	v_fma_f64 v[117:118], v[117:118], v[113:114], v[107:108]
	ds_read2_b64 v[107:110], v106 offset0:93 offset1:94
	ds_read2_b64 v[111:114], v106 offset0:95 offset1:96
	s_waitcnt vmcnt(18) lgkmcnt(1)
	v_fma_f64 v[107:108], v[125:126], v[107:108], v[117:118]
	buffer_load_dword v117, off, s[0:3], 0 offset:96
	buffer_load_dword v118, off, s[0:3], 0 offset:100
	s_waitcnt vmcnt(19)
	v_fma_f64 v[107:108], v[123:124], v[109:110], v[107:108]
	s_waitcnt vmcnt(18) lgkmcnt(0)
	v_fma_f64 v[107:108], v[119:120], v[111:112], v[107:108]
	s_waitcnt vmcnt(13)
	v_fma_f64 v[119:120], v[121:122], v[113:114], v[107:108]
	ds_read2_b64 v[107:110], v106 offset0:97 offset1:98
	ds_read2_b64 v[111:114], v106 offset0:99 offset1:100
	s_waitcnt vmcnt(12) lgkmcnt(1)
	v_fma_f64 v[107:108], v[135:136], v[107:108], v[119:120]
	s_waitcnt vmcnt(11)
	v_fma_f64 v[107:108], v[133:134], v[109:110], v[107:108]
	s_waitcnt vmcnt(10) lgkmcnt(0)
	v_fma_f64 v[107:108], v[127:128], v[111:112], v[107:108]
	s_waitcnt vmcnt(5)
	v_fma_f64 v[111:112], v[115:116], v[113:114], v[107:108]
	ds_read2_b64 v[107:110], v106 offset0:101 offset1:102
	ds_read_b64 v[113:114], v106 offset:824
	s_waitcnt vmcnt(4) lgkmcnt(1)
	v_fma_f64 v[107:108], v[139:140], v[107:108], v[111:112]
	s_waitcnt vmcnt(3)
	v_fma_f64 v[107:108], v[137:138], v[109:110], v[107:108]
	s_waitcnt vmcnt(2) lgkmcnt(0)
	v_fma_f64 v[107:108], v[129:130], v[113:114], v[107:108]
	s_waitcnt vmcnt(0)
	v_add_f64 v[107:108], v[117:118], -v[107:108]
	buffer_store_dword v108, off, s[0:3], 0 offset:100
	buffer_store_dword v107, off, s[0:3], 0 offset:96
	s_and_saveexec_b64 s[4:5], vcc
	s_cbranch_execz .LBB51_297
; %bb.296:
	buffer_load_dword v107, off, s[0:3], 0 offset:88
	buffer_load_dword v108, off, s[0:3], 0 offset:92
	s_waitcnt vmcnt(0)
	ds_write_b64 v105, v[107:108]
	buffer_store_dword v106, off, s[0:3], 0 offset:88
	buffer_store_dword v106, off, s[0:3], 0 offset:92
.LBB51_297:
	s_or_b64 exec, exec, s[4:5]
	s_waitcnt lgkmcnt(0)
	; wave barrier
	buffer_load_dword v115, off, s[0:3], 0 offset:96
	buffer_load_dword v116, off, s[0:3], 0 offset:100
	;; [unrolled: 1-line block ×22, first 2 shown]
	ds_read_b128 v[107:110], v106 offset:512
	ds_read_b128 v[111:114], v106 offset:528
	v_cmp_lt_u32_e32 vcc, 10, v0
	s_waitcnt vmcnt(20) lgkmcnt(1)
	v_fma_f64 v[107:108], v[115:116], v[107:108], 0
	s_waitcnt vmcnt(18)
	v_fma_f64 v[107:108], v[117:118], v[109:110], v[107:108]
	buffer_load_dword v116, off, s[0:3], 0 offset:188
	buffer_load_dword v117, off, s[0:3], 0 offset:208
	buffer_load_dword v137, off, s[0:3], 0 offset:200
	buffer_load_dword v139, off, s[0:3], 0 offset:192
	buffer_load_dword v115, off, s[0:3], 0 offset:184
	buffer_load_dword v140, off, s[0:3], 0 offset:196
	buffer_load_dword v138, off, s[0:3], 0 offset:204
	s_waitcnt vmcnt(23) lgkmcnt(0)
	v_fma_f64 v[107:108], v[119:120], v[111:112], v[107:108]
	s_waitcnt vmcnt(21)
	v_fma_f64 v[118:119], v[121:122], v[113:114], v[107:108]
	ds_read_b128 v[107:110], v106 offset:544
	ds_read_b128 v[111:114], v106 offset:560
	s_waitcnt vmcnt(19) lgkmcnt(1)
	v_fma_f64 v[107:108], v[123:124], v[107:108], v[118:119]
	buffer_load_dword v118, off, s[0:3], 0 offset:212
	s_waitcnt vmcnt(18)
	v_fma_f64 v[107:108], v[125:126], v[109:110], v[107:108]
	buffer_load_dword v120, off, s[0:3], 0 offset:220
	buffer_load_dword v121, off, s[0:3], 0 offset:240
	buffer_load_dword v123, off, s[0:3], 0 offset:232
	buffer_load_dword v125, off, s[0:3], 0 offset:224
	buffer_load_dword v119, off, s[0:3], 0 offset:216
	buffer_load_dword v126, off, s[0:3], 0 offset:228
	buffer_load_dword v124, off, s[0:3], 0 offset:236
	buffer_load_dword v122, off, s[0:3], 0 offset:244
	s_waitcnt vmcnt(24) lgkmcnt(0)
	v_fma_f64 v[107:108], v[127:128], v[111:112], v[107:108]
	s_waitcnt vmcnt(19)
	v_fma_f64 v[127:128], v[129:130], v[113:114], v[107:108]
	ds_read_b128 v[107:110], v106 offset:576
	ds_read_b128 v[111:114], v106 offset:592
	s_waitcnt vmcnt(18) lgkmcnt(1)
	v_fma_f64 v[107:108], v[135:136], v[107:108], v[127:128]
	s_waitcnt vmcnt(17)
	v_fma_f64 v[107:108], v[133:134], v[109:110], v[107:108]
	buffer_load_dword v128, off, s[0:3], 0 offset:252
	buffer_load_dword v129, off, s[0:3], 0 offset:272
	;; [unrolled: 1-line block ×8, first 2 shown]
	s_waitcnt vmcnt(24) lgkmcnt(0)
	v_fma_f64 v[107:108], v[131:132], v[111:112], v[107:108]
	s_waitcnt vmcnt(19)
	v_fma_f64 v[115:116], v[115:116], v[113:114], v[107:108]
	ds_read_b128 v[107:110], v106 offset:608
	ds_read_b128 v[111:114], v106 offset:624
	s_waitcnt vmcnt(18) lgkmcnt(1)
	v_fma_f64 v[107:108], v[139:140], v[107:108], v[115:116]
	s_waitcnt vmcnt(17)
	v_fma_f64 v[107:108], v[137:138], v[109:110], v[107:108]
	buffer_load_dword v116, off, s[0:3], 0 offset:284
	buffer_load_dword v131, off, s[0:3], 0 offset:304
	;; [unrolled: 1-line block ×7, first 2 shown]
	s_waitcnt vmcnt(23) lgkmcnt(0)
	v_fma_f64 v[107:108], v[117:118], v[111:112], v[107:108]
	s_waitcnt vmcnt(18)
	v_fma_f64 v[117:118], v[119:120], v[113:114], v[107:108]
	ds_read_b128 v[107:110], v106 offset:640
	ds_read_b128 v[111:114], v106 offset:656
	buffer_load_dword v132, off, s[0:3], 0 offset:308
	s_waitcnt vmcnt(18) lgkmcnt(1)
	v_fma_f64 v[107:108], v[125:126], v[107:108], v[117:118]
	s_waitcnt vmcnt(17)
	v_fma_f64 v[107:108], v[123:124], v[109:110], v[107:108]
	buffer_load_dword v118, off, s[0:3], 0 offset:316
	buffer_load_dword v119, off, s[0:3], 0 offset:336
	;; [unrolled: 1-line block ×7, first 2 shown]
	s_waitcnt vmcnt(23) lgkmcnt(0)
	v_fma_f64 v[107:108], v[121:122], v[111:112], v[107:108]
	s_waitcnt vmcnt(18)
	v_fma_f64 v[120:121], v[127:128], v[113:114], v[107:108]
	ds_read_b128 v[107:110], v106 offset:672
	ds_read_b128 v[111:114], v106 offset:688
	s_waitcnt vmcnt(17) lgkmcnt(1)
	v_fma_f64 v[107:108], v[135:136], v[107:108], v[120:121]
	buffer_load_dword v120, off, s[0:3], 0 offset:340
	s_waitcnt vmcnt(17)
	v_fma_f64 v[107:108], v[133:134], v[109:110], v[107:108]
	buffer_load_dword v122, off, s[0:3], 0 offset:348
	buffer_load_dword v127, off, s[0:3], 0 offset:368
	;; [unrolled: 1-line block ×8, first 2 shown]
	s_waitcnt vmcnt(24) lgkmcnt(0)
	v_fma_f64 v[107:108], v[129:130], v[111:112], v[107:108]
	s_waitcnt vmcnt(19)
	v_fma_f64 v[115:116], v[115:116], v[113:114], v[107:108]
	ds_read_b128 v[107:110], v106 offset:704
	ds_read_b128 v[111:114], v106 offset:720
	s_waitcnt vmcnt(18) lgkmcnt(1)
	v_fma_f64 v[107:108], v[139:140], v[107:108], v[115:116]
	s_waitcnt vmcnt(17)
	v_fma_f64 v[107:108], v[137:138], v[109:110], v[107:108]
	buffer_load_dword v116, off, s[0:3], 0 offset:380
	buffer_load_dword v129, off, s[0:3], 0 offset:400
	;; [unrolled: 1-line block ×8, first 2 shown]
	s_waitcnt vmcnt(24) lgkmcnt(0)
	v_fma_f64 v[107:108], v[131:132], v[111:112], v[107:108]
	s_waitcnt vmcnt(19)
	v_fma_f64 v[117:118], v[117:118], v[113:114], v[107:108]
	ds_read_b128 v[107:110], v106 offset:736
	ds_read_b128 v[111:114], v106 offset:752
	s_waitcnt vmcnt(18) lgkmcnt(1)
	v_fma_f64 v[107:108], v[125:126], v[107:108], v[117:118]
	buffer_load_dword v118, off, s[0:3], 0 offset:412
	buffer_load_dword v117, off, s[0:3], 0 offset:408
	s_waitcnt vmcnt(19)
	v_fma_f64 v[107:108], v[123:124], v[109:110], v[107:108]
	buffer_load_dword v123, off, s[0:3], 0 offset:88
	buffer_load_dword v124, off, s[0:3], 0 offset:92
	s_waitcnt vmcnt(20) lgkmcnt(0)
	v_fma_f64 v[107:108], v[119:120], v[111:112], v[107:108]
	s_waitcnt vmcnt(15)
	v_fma_f64 v[119:120], v[121:122], v[113:114], v[107:108]
	ds_read_b128 v[107:110], v106 offset:768
	ds_read_b128 v[111:114], v106 offset:784
	s_waitcnt vmcnt(14) lgkmcnt(1)
	v_fma_f64 v[107:108], v[135:136], v[107:108], v[119:120]
	s_waitcnt vmcnt(13)
	v_fma_f64 v[107:108], v[133:134], v[109:110], v[107:108]
	s_waitcnt vmcnt(12) lgkmcnt(0)
	v_fma_f64 v[107:108], v[127:128], v[111:112], v[107:108]
	s_waitcnt vmcnt(7)
	v_fma_f64 v[115:116], v[115:116], v[113:114], v[107:108]
	ds_read_b128 v[107:110], v106 offset:800
	ds_read_b128 v[111:114], v106 offset:816
	s_waitcnt vmcnt(6) lgkmcnt(1)
	v_fma_f64 v[106:107], v[139:140], v[107:108], v[115:116]
	s_waitcnt vmcnt(5)
	v_fma_f64 v[106:107], v[137:138], v[109:110], v[106:107]
	s_waitcnt vmcnt(4) lgkmcnt(0)
	v_fma_f64 v[106:107], v[129:130], v[111:112], v[106:107]
	s_waitcnt vmcnt(2)
	v_fma_f64 v[106:107], v[117:118], v[113:114], v[106:107]
	s_waitcnt vmcnt(0)
	v_add_f64 v[106:107], v[123:124], -v[106:107]
	buffer_store_dword v107, off, s[0:3], 0 offset:92
	buffer_store_dword v106, off, s[0:3], 0 offset:88
	s_and_saveexec_b64 s[4:5], vcc
	s_cbranch_execz .LBB51_299
; %bb.298:
	buffer_load_dword v106, off, s[0:3], 0 offset:80
	buffer_load_dword v107, off, s[0:3], 0 offset:84
	v_mov_b32_e32 v108, 0
	buffer_store_dword v108, off, s[0:3], 0 offset:80
	buffer_store_dword v108, off, s[0:3], 0 offset:84
	s_waitcnt vmcnt(2)
	ds_write_b64 v105, v[106:107]
.LBB51_299:
	s_or_b64 exec, exec, s[4:5]
	s_waitcnt lgkmcnt(0)
	; wave barrier
	buffer_load_dword v115, off, s[0:3], 0 offset:88
	buffer_load_dword v116, off, s[0:3], 0 offset:92
	buffer_load_dword v117, off, s[0:3], 0 offset:96
	buffer_load_dword v118, off, s[0:3], 0 offset:100
	buffer_load_dword v119, off, s[0:3], 0 offset:104
	buffer_load_dword v120, off, s[0:3], 0 offset:108
	buffer_load_dword v121, off, s[0:3], 0 offset:112
	buffer_load_dword v122, off, s[0:3], 0 offset:116
	buffer_load_dword v123, off, s[0:3], 0 offset:120
	buffer_load_dword v124, off, s[0:3], 0 offset:124
	buffer_load_dword v125, off, s[0:3], 0 offset:128
	buffer_load_dword v126, off, s[0:3], 0 offset:132
	buffer_load_dword v127, off, s[0:3], 0 offset:136
	buffer_load_dword v128, off, s[0:3], 0 offset:140
	buffer_load_dword v130, off, s[0:3], 0 offset:148
	buffer_load_dword v131, off, s[0:3], 0 offset:168
	buffer_load_dword v133, off, s[0:3], 0 offset:160
	buffer_load_dword v135, off, s[0:3], 0 offset:152
	buffer_load_dword v129, off, s[0:3], 0 offset:144
	buffer_load_dword v136, off, s[0:3], 0 offset:156
	buffer_load_dword v134, off, s[0:3], 0 offset:164
	buffer_load_dword v132, off, s[0:3], 0 offset:172
	v_mov_b32_e32 v106, 0
	ds_read2_b64 v[107:110], v106 offset0:63 offset1:64
	ds_read2_b64 v[111:114], v106 offset0:65 offset1:66
	v_cmp_lt_u32_e32 vcc, 9, v0
	s_waitcnt vmcnt(20) lgkmcnt(1)
	v_fma_f64 v[107:108], v[115:116], v[107:108], 0
	s_waitcnt vmcnt(18)
	v_fma_f64 v[107:108], v[117:118], v[109:110], v[107:108]
	buffer_load_dword v116, off, s[0:3], 0 offset:180
	buffer_load_dword v117, off, s[0:3], 0 offset:200
	;; [unrolled: 1-line block ×7, first 2 shown]
	s_waitcnt vmcnt(23) lgkmcnt(0)
	v_fma_f64 v[107:108], v[119:120], v[111:112], v[107:108]
	s_waitcnt vmcnt(21)
	v_fma_f64 v[118:119], v[121:122], v[113:114], v[107:108]
	ds_read2_b64 v[107:110], v106 offset0:67 offset1:68
	ds_read2_b64 v[111:114], v106 offset0:69 offset1:70
	s_waitcnt vmcnt(19) lgkmcnt(1)
	v_fma_f64 v[107:108], v[123:124], v[107:108], v[118:119]
	buffer_load_dword v118, off, s[0:3], 0 offset:204
	s_waitcnt vmcnt(18)
	v_fma_f64 v[107:108], v[125:126], v[109:110], v[107:108]
	buffer_load_dword v120, off, s[0:3], 0 offset:212
	buffer_load_dword v121, off, s[0:3], 0 offset:232
	;; [unrolled: 1-line block ×7, first 2 shown]
	s_waitcnt vmcnt(23) lgkmcnt(0)
	v_fma_f64 v[107:108], v[127:128], v[111:112], v[107:108]
	s_waitcnt vmcnt(18)
	v_fma_f64 v[127:128], v[129:130], v[113:114], v[107:108]
	ds_read2_b64 v[107:110], v106 offset0:71 offset1:72
	ds_read2_b64 v[111:114], v106 offset0:73 offset1:74
	buffer_load_dword v122, off, s[0:3], 0 offset:236
	s_waitcnt vmcnt(18) lgkmcnt(1)
	v_fma_f64 v[107:108], v[135:136], v[107:108], v[127:128]
	s_waitcnt vmcnt(17)
	v_fma_f64 v[107:108], v[133:134], v[109:110], v[107:108]
	buffer_load_dword v128, off, s[0:3], 0 offset:244
	buffer_load_dword v129, off, s[0:3], 0 offset:264
	;; [unrolled: 1-line block ×8, first 2 shown]
	s_waitcnt vmcnt(24) lgkmcnt(0)
	v_fma_f64 v[107:108], v[131:132], v[111:112], v[107:108]
	s_waitcnt vmcnt(19)
	v_fma_f64 v[115:116], v[115:116], v[113:114], v[107:108]
	ds_read2_b64 v[107:110], v106 offset0:75 offset1:76
	ds_read2_b64 v[111:114], v106 offset0:77 offset1:78
	s_waitcnt vmcnt(18) lgkmcnt(1)
	v_fma_f64 v[107:108], v[139:140], v[107:108], v[115:116]
	s_waitcnt vmcnt(17)
	v_fma_f64 v[107:108], v[137:138], v[109:110], v[107:108]
	buffer_load_dword v116, off, s[0:3], 0 offset:276
	buffer_load_dword v131, off, s[0:3], 0 offset:296
	;; [unrolled: 1-line block ×7, first 2 shown]
	s_waitcnt vmcnt(23) lgkmcnt(0)
	v_fma_f64 v[107:108], v[117:118], v[111:112], v[107:108]
	s_waitcnt vmcnt(18)
	v_fma_f64 v[117:118], v[119:120], v[113:114], v[107:108]
	ds_read2_b64 v[107:110], v106 offset0:79 offset1:80
	ds_read2_b64 v[111:114], v106 offset0:81 offset1:82
	buffer_load_dword v132, off, s[0:3], 0 offset:300
	s_waitcnt vmcnt(18) lgkmcnt(1)
	v_fma_f64 v[107:108], v[125:126], v[107:108], v[117:118]
	s_waitcnt vmcnt(17)
	v_fma_f64 v[107:108], v[123:124], v[109:110], v[107:108]
	buffer_load_dword v118, off, s[0:3], 0 offset:308
	buffer_load_dword v119, off, s[0:3], 0 offset:328
	buffer_load_dword v123, off, s[0:3], 0 offset:320
	buffer_load_dword v125, off, s[0:3], 0 offset:312
	buffer_load_dword v117, off, s[0:3], 0 offset:304
	buffer_load_dword v126, off, s[0:3], 0 offset:316
	buffer_load_dword v124, off, s[0:3], 0 offset:324
	s_waitcnt vmcnt(23) lgkmcnt(0)
	v_fma_f64 v[107:108], v[121:122], v[111:112], v[107:108]
	s_waitcnt vmcnt(18)
	v_fma_f64 v[120:121], v[127:128], v[113:114], v[107:108]
	ds_read2_b64 v[107:110], v106 offset0:83 offset1:84
	ds_read2_b64 v[111:114], v106 offset0:85 offset1:86
	s_waitcnt vmcnt(17) lgkmcnt(1)
	v_fma_f64 v[107:108], v[135:136], v[107:108], v[120:121]
	buffer_load_dword v120, off, s[0:3], 0 offset:332
	s_waitcnt vmcnt(17)
	v_fma_f64 v[107:108], v[133:134], v[109:110], v[107:108]
	buffer_load_dword v122, off, s[0:3], 0 offset:340
	buffer_load_dword v127, off, s[0:3], 0 offset:360
	;; [unrolled: 1-line block ×8, first 2 shown]
	s_waitcnt vmcnt(24) lgkmcnt(0)
	v_fma_f64 v[107:108], v[129:130], v[111:112], v[107:108]
	s_waitcnt vmcnt(19)
	v_fma_f64 v[115:116], v[115:116], v[113:114], v[107:108]
	ds_read2_b64 v[107:110], v106 offset0:87 offset1:88
	ds_read2_b64 v[111:114], v106 offset0:89 offset1:90
	s_waitcnt vmcnt(18) lgkmcnt(1)
	v_fma_f64 v[107:108], v[139:140], v[107:108], v[115:116]
	s_waitcnt vmcnt(17)
	v_fma_f64 v[107:108], v[137:138], v[109:110], v[107:108]
	buffer_load_dword v116, off, s[0:3], 0 offset:372
	buffer_load_dword v129, off, s[0:3], 0 offset:392
	;; [unrolled: 1-line block ×7, first 2 shown]
	s_waitcnt vmcnt(23) lgkmcnt(0)
	v_fma_f64 v[107:108], v[131:132], v[111:112], v[107:108]
	s_waitcnt vmcnt(18)
	v_fma_f64 v[117:118], v[117:118], v[113:114], v[107:108]
	ds_read2_b64 v[107:110], v106 offset0:91 offset1:92
	ds_read2_b64 v[111:114], v106 offset0:93 offset1:94
	buffer_load_dword v130, off, s[0:3], 0 offset:396
	s_waitcnt vmcnt(18) lgkmcnt(1)
	v_fma_f64 v[107:108], v[125:126], v[107:108], v[117:118]
	s_waitcnt vmcnt(17)
	v_fma_f64 v[107:108], v[123:124], v[109:110], v[107:108]
	buffer_load_dword v118, off, s[0:3], 0 offset:404
	buffer_load_dword v123, off, s[0:3], 0 offset:408
	;; [unrolled: 1-line block ×4, first 2 shown]
	s_waitcnt vmcnt(20) lgkmcnt(0)
	v_fma_f64 v[107:108], v[119:120], v[111:112], v[107:108]
	buffer_load_dword v119, off, s[0:3], 0 offset:80
	buffer_load_dword v120, off, s[0:3], 0 offset:84
	s_waitcnt vmcnt(17)
	v_fma_f64 v[121:122], v[121:122], v[113:114], v[107:108]
	ds_read2_b64 v[107:110], v106 offset0:95 offset1:96
	ds_read2_b64 v[111:114], v106 offset0:97 offset1:98
	s_waitcnt vmcnt(16) lgkmcnt(1)
	v_fma_f64 v[107:108], v[135:136], v[107:108], v[121:122]
	s_waitcnt vmcnt(15)
	v_fma_f64 v[107:108], v[133:134], v[109:110], v[107:108]
	s_waitcnt vmcnt(14) lgkmcnt(0)
	v_fma_f64 v[107:108], v[127:128], v[111:112], v[107:108]
	s_waitcnt vmcnt(9)
	v_fma_f64 v[115:116], v[115:116], v[113:114], v[107:108]
	ds_read2_b64 v[107:110], v106 offset0:99 offset1:100
	ds_read2_b64 v[111:114], v106 offset0:101 offset1:102
	s_waitcnt vmcnt(8) lgkmcnt(1)
	v_fma_f64 v[107:108], v[139:140], v[107:108], v[115:116]
	s_waitcnt vmcnt(7)
	v_fma_f64 v[107:108], v[137:138], v[109:110], v[107:108]
	ds_read_b64 v[109:110], v106 offset:824
	s_waitcnt vmcnt(6) lgkmcnt(1)
	v_fma_f64 v[107:108], v[129:130], v[111:112], v[107:108]
	s_waitcnt vmcnt(3)
	v_fma_f64 v[107:108], v[117:118], v[113:114], v[107:108]
	s_waitcnt vmcnt(2) lgkmcnt(0)
	v_fma_f64 v[107:108], v[123:124], v[109:110], v[107:108]
	s_waitcnt vmcnt(0)
	v_add_f64 v[107:108], v[119:120], -v[107:108]
	buffer_store_dword v108, off, s[0:3], 0 offset:84
	buffer_store_dword v107, off, s[0:3], 0 offset:80
	s_and_saveexec_b64 s[4:5], vcc
	s_cbranch_execz .LBB51_301
; %bb.300:
	buffer_load_dword v107, off, s[0:3], 0 offset:72
	buffer_load_dword v108, off, s[0:3], 0 offset:76
	s_waitcnt vmcnt(0)
	ds_write_b64 v105, v[107:108]
	buffer_store_dword v106, off, s[0:3], 0 offset:72
	buffer_store_dword v106, off, s[0:3], 0 offset:76
.LBB51_301:
	s_or_b64 exec, exec, s[4:5]
	s_waitcnt lgkmcnt(0)
	; wave barrier
	buffer_load_dword v115, off, s[0:3], 0 offset:80
	buffer_load_dword v116, off, s[0:3], 0 offset:84
	;; [unrolled: 1-line block ×22, first 2 shown]
	ds_read_b128 v[107:110], v106 offset:496
	ds_read_b128 v[111:114], v106 offset:512
	v_cmp_lt_u32_e32 vcc, 8, v0
	s_waitcnt vmcnt(20) lgkmcnt(1)
	v_fma_f64 v[107:108], v[115:116], v[107:108], 0
	s_waitcnt vmcnt(18)
	v_fma_f64 v[107:108], v[117:118], v[109:110], v[107:108]
	buffer_load_dword v116, off, s[0:3], 0 offset:172
	buffer_load_dword v117, off, s[0:3], 0 offset:192
	;; [unrolled: 1-line block ×7, first 2 shown]
	s_waitcnt vmcnt(23) lgkmcnt(0)
	v_fma_f64 v[107:108], v[119:120], v[111:112], v[107:108]
	s_waitcnt vmcnt(21)
	v_fma_f64 v[118:119], v[121:122], v[113:114], v[107:108]
	ds_read_b128 v[107:110], v106 offset:528
	ds_read_b128 v[111:114], v106 offset:544
	s_waitcnt vmcnt(19) lgkmcnt(1)
	v_fma_f64 v[107:108], v[123:124], v[107:108], v[118:119]
	buffer_load_dword v118, off, s[0:3], 0 offset:196
	s_waitcnt vmcnt(18)
	v_fma_f64 v[107:108], v[125:126], v[109:110], v[107:108]
	buffer_load_dword v120, off, s[0:3], 0 offset:204
	buffer_load_dword v121, off, s[0:3], 0 offset:224
	;; [unrolled: 1-line block ×7, first 2 shown]
	s_waitcnt vmcnt(23) lgkmcnt(0)
	v_fma_f64 v[107:108], v[127:128], v[111:112], v[107:108]
	s_waitcnt vmcnt(18)
	v_fma_f64 v[127:128], v[129:130], v[113:114], v[107:108]
	ds_read_b128 v[107:110], v106 offset:560
	ds_read_b128 v[111:114], v106 offset:576
	buffer_load_dword v122, off, s[0:3], 0 offset:228
	s_waitcnt vmcnt(18) lgkmcnt(1)
	v_fma_f64 v[107:108], v[135:136], v[107:108], v[127:128]
	s_waitcnt vmcnt(17)
	v_fma_f64 v[107:108], v[133:134], v[109:110], v[107:108]
	buffer_load_dword v128, off, s[0:3], 0 offset:236
	buffer_load_dword v129, off, s[0:3], 0 offset:256
	;; [unrolled: 1-line block ×8, first 2 shown]
	s_waitcnt vmcnt(24) lgkmcnt(0)
	v_fma_f64 v[107:108], v[131:132], v[111:112], v[107:108]
	s_waitcnt vmcnt(19)
	v_fma_f64 v[115:116], v[115:116], v[113:114], v[107:108]
	ds_read_b128 v[107:110], v106 offset:592
	ds_read_b128 v[111:114], v106 offset:608
	s_waitcnt vmcnt(18) lgkmcnt(1)
	v_fma_f64 v[107:108], v[139:140], v[107:108], v[115:116]
	s_waitcnt vmcnt(17)
	v_fma_f64 v[107:108], v[137:138], v[109:110], v[107:108]
	buffer_load_dword v116, off, s[0:3], 0 offset:268
	buffer_load_dword v131, off, s[0:3], 0 offset:288
	;; [unrolled: 1-line block ×8, first 2 shown]
	s_waitcnt vmcnt(24) lgkmcnt(0)
	v_fma_f64 v[107:108], v[117:118], v[111:112], v[107:108]
	s_waitcnt vmcnt(19)
	v_fma_f64 v[117:118], v[119:120], v[113:114], v[107:108]
	ds_read_b128 v[107:110], v106 offset:624
	ds_read_b128 v[111:114], v106 offset:640
	s_waitcnt vmcnt(18) lgkmcnt(1)
	v_fma_f64 v[107:108], v[125:126], v[107:108], v[117:118]
	s_waitcnt vmcnt(17)
	v_fma_f64 v[107:108], v[123:124], v[109:110], v[107:108]
	buffer_load_dword v118, off, s[0:3], 0 offset:300
	buffer_load_dword v119, off, s[0:3], 0 offset:320
	;; [unrolled: 1-line block ×7, first 2 shown]
	s_waitcnt vmcnt(23) lgkmcnt(0)
	v_fma_f64 v[107:108], v[121:122], v[111:112], v[107:108]
	s_waitcnt vmcnt(18)
	v_fma_f64 v[120:121], v[127:128], v[113:114], v[107:108]
	ds_read_b128 v[107:110], v106 offset:656
	ds_read_b128 v[111:114], v106 offset:672
	s_waitcnt vmcnt(17) lgkmcnt(1)
	v_fma_f64 v[107:108], v[135:136], v[107:108], v[120:121]
	buffer_load_dword v120, off, s[0:3], 0 offset:324
	s_waitcnt vmcnt(17)
	v_fma_f64 v[107:108], v[133:134], v[109:110], v[107:108]
	buffer_load_dword v122, off, s[0:3], 0 offset:332
	buffer_load_dword v127, off, s[0:3], 0 offset:352
	buffer_load_dword v133, off, s[0:3], 0 offset:344
	buffer_load_dword v135, off, s[0:3], 0 offset:336
	buffer_load_dword v121, off, s[0:3], 0 offset:328
	buffer_load_dword v136, off, s[0:3], 0 offset:340
	buffer_load_dword v134, off, s[0:3], 0 offset:348
	buffer_load_dword v128, off, s[0:3], 0 offset:356
	s_waitcnt vmcnt(24) lgkmcnt(0)
	v_fma_f64 v[107:108], v[129:130], v[111:112], v[107:108]
	s_waitcnt vmcnt(19)
	v_fma_f64 v[115:116], v[115:116], v[113:114], v[107:108]
	ds_read_b128 v[107:110], v106 offset:688
	ds_read_b128 v[111:114], v106 offset:704
	s_waitcnt vmcnt(18) lgkmcnt(1)
	v_fma_f64 v[107:108], v[139:140], v[107:108], v[115:116]
	s_waitcnt vmcnt(17)
	v_fma_f64 v[107:108], v[137:138], v[109:110], v[107:108]
	buffer_load_dword v116, off, s[0:3], 0 offset:364
	buffer_load_dword v129, off, s[0:3], 0 offset:384
	;; [unrolled: 1-line block ×8, first 2 shown]
	s_waitcnt vmcnt(24) lgkmcnt(0)
	v_fma_f64 v[107:108], v[131:132], v[111:112], v[107:108]
	s_waitcnt vmcnt(19)
	v_fma_f64 v[117:118], v[117:118], v[113:114], v[107:108]
	ds_read_b128 v[107:110], v106 offset:720
	ds_read_b128 v[111:114], v106 offset:736
	s_waitcnt vmcnt(18) lgkmcnt(1)
	v_fma_f64 v[107:108], v[125:126], v[107:108], v[117:118]
	s_waitcnt vmcnt(17)
	v_fma_f64 v[107:108], v[123:124], v[109:110], v[107:108]
	buffer_load_dword v118, off, s[0:3], 0 offset:396
	buffer_load_dword v123, off, s[0:3], 0 offset:408
	;; [unrolled: 1-line block ×6, first 2 shown]
	s_waitcnt vmcnt(22) lgkmcnt(0)
	v_fma_f64 v[107:108], v[119:120], v[111:112], v[107:108]
	s_waitcnt vmcnt(17)
	v_fma_f64 v[119:120], v[121:122], v[113:114], v[107:108]
	ds_read_b128 v[107:110], v106 offset:752
	buffer_load_dword v121, off, s[0:3], 0 offset:72
	buffer_load_dword v122, off, s[0:3], 0 offset:76
	ds_read_b128 v[111:114], v106 offset:768
	s_waitcnt vmcnt(18) lgkmcnt(1)
	v_fma_f64 v[107:108], v[135:136], v[107:108], v[119:120]
	s_waitcnt vmcnt(17)
	v_fma_f64 v[107:108], v[133:134], v[109:110], v[107:108]
	s_waitcnt vmcnt(16) lgkmcnt(0)
	v_fma_f64 v[107:108], v[127:128], v[111:112], v[107:108]
	s_waitcnt vmcnt(11)
	v_fma_f64 v[115:116], v[115:116], v[113:114], v[107:108]
	ds_read_b128 v[107:110], v106 offset:784
	ds_read_b128 v[111:114], v106 offset:800
	s_waitcnt vmcnt(10) lgkmcnt(1)
	v_fma_f64 v[107:108], v[139:140], v[107:108], v[115:116]
	s_waitcnt vmcnt(9)
	v_fma_f64 v[107:108], v[137:138], v[109:110], v[107:108]
	s_waitcnt vmcnt(8) lgkmcnt(0)
	v_fma_f64 v[107:108], v[129:130], v[111:112], v[107:108]
	s_waitcnt vmcnt(4)
	v_fma_f64 v[110:111], v[117:118], v[113:114], v[107:108]
	ds_read_b128 v[106:109], v106 offset:816
	s_waitcnt vmcnt(3) lgkmcnt(0)
	v_fma_f64 v[106:107], v[125:126], v[106:107], v[110:111]
	s_waitcnt vmcnt(2)
	v_fma_f64 v[106:107], v[123:124], v[108:109], v[106:107]
	s_waitcnt vmcnt(0)
	v_add_f64 v[106:107], v[121:122], -v[106:107]
	buffer_store_dword v107, off, s[0:3], 0 offset:76
	buffer_store_dword v106, off, s[0:3], 0 offset:72
	s_and_saveexec_b64 s[4:5], vcc
	s_cbranch_execz .LBB51_303
; %bb.302:
	buffer_load_dword v106, off, s[0:3], 0 offset:64
	buffer_load_dword v107, off, s[0:3], 0 offset:68
	v_mov_b32_e32 v108, 0
	buffer_store_dword v108, off, s[0:3], 0 offset:64
	buffer_store_dword v108, off, s[0:3], 0 offset:68
	s_waitcnt vmcnt(2)
	ds_write_b64 v105, v[106:107]
.LBB51_303:
	s_or_b64 exec, exec, s[4:5]
	s_waitcnt lgkmcnt(0)
	; wave barrier
	buffer_load_dword v115, off, s[0:3], 0 offset:72
	buffer_load_dword v116, off, s[0:3], 0 offset:76
	;; [unrolled: 1-line block ×22, first 2 shown]
	v_mov_b32_e32 v106, 0
	ds_read2_b64 v[107:110], v106 offset0:61 offset1:62
	ds_read2_b64 v[111:114], v106 offset0:63 offset1:64
	v_cmp_lt_u32_e32 vcc, 7, v0
	s_waitcnt vmcnt(20) lgkmcnt(1)
	v_fma_f64 v[107:108], v[115:116], v[107:108], 0
	s_waitcnt vmcnt(18)
	v_fma_f64 v[107:108], v[117:118], v[109:110], v[107:108]
	buffer_load_dword v116, off, s[0:3], 0 offset:164
	buffer_load_dword v117, off, s[0:3], 0 offset:184
	;; [unrolled: 1-line block ×7, first 2 shown]
	s_waitcnt vmcnt(23) lgkmcnt(0)
	v_fma_f64 v[107:108], v[119:120], v[111:112], v[107:108]
	s_waitcnt vmcnt(21)
	v_fma_f64 v[118:119], v[121:122], v[113:114], v[107:108]
	ds_read2_b64 v[107:110], v106 offset0:65 offset1:66
	ds_read2_b64 v[111:114], v106 offset0:67 offset1:68
	s_waitcnt vmcnt(19) lgkmcnt(1)
	v_fma_f64 v[107:108], v[123:124], v[107:108], v[118:119]
	buffer_load_dword v118, off, s[0:3], 0 offset:188
	s_waitcnt vmcnt(18)
	v_fma_f64 v[107:108], v[125:126], v[109:110], v[107:108]
	buffer_load_dword v120, off, s[0:3], 0 offset:196
	buffer_load_dword v121, off, s[0:3], 0 offset:216
	;; [unrolled: 1-line block ×7, first 2 shown]
	s_waitcnt vmcnt(23) lgkmcnt(0)
	v_fma_f64 v[107:108], v[127:128], v[111:112], v[107:108]
	s_waitcnt vmcnt(18)
	v_fma_f64 v[127:128], v[129:130], v[113:114], v[107:108]
	ds_read2_b64 v[107:110], v106 offset0:69 offset1:70
	ds_read2_b64 v[111:114], v106 offset0:71 offset1:72
	buffer_load_dword v122, off, s[0:3], 0 offset:220
	s_waitcnt vmcnt(18) lgkmcnt(1)
	v_fma_f64 v[107:108], v[135:136], v[107:108], v[127:128]
	s_waitcnt vmcnt(17)
	v_fma_f64 v[107:108], v[133:134], v[109:110], v[107:108]
	buffer_load_dword v128, off, s[0:3], 0 offset:228
	buffer_load_dword v129, off, s[0:3], 0 offset:248
	;; [unrolled: 1-line block ×8, first 2 shown]
	s_waitcnt vmcnt(24) lgkmcnt(0)
	v_fma_f64 v[107:108], v[131:132], v[111:112], v[107:108]
	s_waitcnt vmcnt(19)
	v_fma_f64 v[115:116], v[115:116], v[113:114], v[107:108]
	ds_read2_b64 v[107:110], v106 offset0:73 offset1:74
	ds_read2_b64 v[111:114], v106 offset0:75 offset1:76
	s_waitcnt vmcnt(18) lgkmcnt(1)
	v_fma_f64 v[107:108], v[139:140], v[107:108], v[115:116]
	s_waitcnt vmcnt(17)
	v_fma_f64 v[107:108], v[137:138], v[109:110], v[107:108]
	buffer_load_dword v116, off, s[0:3], 0 offset:260
	buffer_load_dword v131, off, s[0:3], 0 offset:280
	;; [unrolled: 1-line block ×8, first 2 shown]
	s_waitcnt vmcnt(24) lgkmcnt(0)
	v_fma_f64 v[107:108], v[117:118], v[111:112], v[107:108]
	s_waitcnt vmcnt(19)
	v_fma_f64 v[117:118], v[119:120], v[113:114], v[107:108]
	ds_read2_b64 v[107:110], v106 offset0:77 offset1:78
	ds_read2_b64 v[111:114], v106 offset0:79 offset1:80
	s_waitcnt vmcnt(18) lgkmcnt(1)
	v_fma_f64 v[107:108], v[125:126], v[107:108], v[117:118]
	s_waitcnt vmcnt(17)
	v_fma_f64 v[107:108], v[123:124], v[109:110], v[107:108]
	buffer_load_dword v118, off, s[0:3], 0 offset:292
	buffer_load_dword v119, off, s[0:3], 0 offset:312
	;; [unrolled: 1-line block ×7, first 2 shown]
	s_waitcnt vmcnt(23) lgkmcnt(0)
	v_fma_f64 v[107:108], v[121:122], v[111:112], v[107:108]
	s_waitcnt vmcnt(18)
	v_fma_f64 v[120:121], v[127:128], v[113:114], v[107:108]
	ds_read2_b64 v[107:110], v106 offset0:81 offset1:82
	ds_read2_b64 v[111:114], v106 offset0:83 offset1:84
	s_waitcnt vmcnt(17) lgkmcnt(1)
	v_fma_f64 v[107:108], v[135:136], v[107:108], v[120:121]
	buffer_load_dword v120, off, s[0:3], 0 offset:316
	s_waitcnt vmcnt(17)
	v_fma_f64 v[107:108], v[133:134], v[109:110], v[107:108]
	buffer_load_dword v122, off, s[0:3], 0 offset:324
	buffer_load_dword v127, off, s[0:3], 0 offset:344
	buffer_load_dword v133, off, s[0:3], 0 offset:336
	buffer_load_dword v135, off, s[0:3], 0 offset:328
	buffer_load_dword v121, off, s[0:3], 0 offset:320
	buffer_load_dword v136, off, s[0:3], 0 offset:332
	buffer_load_dword v134, off, s[0:3], 0 offset:340
	buffer_load_dword v128, off, s[0:3], 0 offset:348
	s_waitcnt vmcnt(24) lgkmcnt(0)
	v_fma_f64 v[107:108], v[129:130], v[111:112], v[107:108]
	s_waitcnt vmcnt(19)
	v_fma_f64 v[115:116], v[115:116], v[113:114], v[107:108]
	ds_read2_b64 v[107:110], v106 offset0:85 offset1:86
	ds_read2_b64 v[111:114], v106 offset0:87 offset1:88
	s_waitcnt vmcnt(18) lgkmcnt(1)
	v_fma_f64 v[107:108], v[139:140], v[107:108], v[115:116]
	s_waitcnt vmcnt(17)
	v_fma_f64 v[107:108], v[137:138], v[109:110], v[107:108]
	buffer_load_dword v116, off, s[0:3], 0 offset:356
	buffer_load_dword v129, off, s[0:3], 0 offset:376
	buffer_load_dword v137, off, s[0:3], 0 offset:368
	buffer_load_dword v139, off, s[0:3], 0 offset:360
	buffer_load_dword v115, off, s[0:3], 0 offset:352
	buffer_load_dword v140, off, s[0:3], 0 offset:364
	buffer_load_dword v138, off, s[0:3], 0 offset:372
	buffer_load_dword v130, off, s[0:3], 0 offset:380
	s_waitcnt vmcnt(24) lgkmcnt(0)
	v_fma_f64 v[107:108], v[131:132], v[111:112], v[107:108]
	s_waitcnt vmcnt(19)
	v_fma_f64 v[117:118], v[117:118], v[113:114], v[107:108]
	ds_read2_b64 v[107:110], v106 offset0:89 offset1:90
	ds_read2_b64 v[111:114], v106 offset0:91 offset1:92
	s_waitcnt vmcnt(18) lgkmcnt(1)
	v_fma_f64 v[107:108], v[125:126], v[107:108], v[117:118]
	;; [unrolled: 18-line block ×3, first 2 shown]
	buffer_load_dword v119, off, s[0:3], 0 offset:64
	buffer_load_dword v120, off, s[0:3], 0 offset:68
	s_waitcnt vmcnt(19)
	v_fma_f64 v[107:108], v[133:134], v[109:110], v[107:108]
	s_waitcnt vmcnt(18) lgkmcnt(0)
	v_fma_f64 v[107:108], v[127:128], v[111:112], v[107:108]
	s_waitcnt vmcnt(13)
	v_fma_f64 v[115:116], v[115:116], v[113:114], v[107:108]
	ds_read2_b64 v[107:110], v106 offset0:97 offset1:98
	ds_read2_b64 v[111:114], v106 offset0:99 offset1:100
	s_waitcnt vmcnt(12) lgkmcnt(1)
	v_fma_f64 v[107:108], v[139:140], v[107:108], v[115:116]
	s_waitcnt vmcnt(11)
	v_fma_f64 v[107:108], v[137:138], v[109:110], v[107:108]
	s_waitcnt vmcnt(10) lgkmcnt(0)
	v_fma_f64 v[107:108], v[129:130], v[111:112], v[107:108]
	s_waitcnt vmcnt(5)
	v_fma_f64 v[111:112], v[117:118], v[113:114], v[107:108]
	ds_read2_b64 v[107:110], v106 offset0:101 offset1:102
	ds_read_b64 v[113:114], v106 offset:824
	s_waitcnt vmcnt(4) lgkmcnt(1)
	v_fma_f64 v[107:108], v[131:132], v[107:108], v[111:112]
	s_waitcnt vmcnt(3)
	v_fma_f64 v[107:108], v[125:126], v[109:110], v[107:108]
	s_waitcnt vmcnt(2) lgkmcnt(0)
	v_fma_f64 v[107:108], v[123:124], v[113:114], v[107:108]
	s_waitcnt vmcnt(0)
	v_add_f64 v[107:108], v[119:120], -v[107:108]
	buffer_store_dword v108, off, s[0:3], 0 offset:68
	buffer_store_dword v107, off, s[0:3], 0 offset:64
	s_and_saveexec_b64 s[4:5], vcc
	s_cbranch_execz .LBB51_305
; %bb.304:
	buffer_load_dword v107, off, s[0:3], 0 offset:56
	buffer_load_dword v108, off, s[0:3], 0 offset:60
	s_waitcnt vmcnt(0)
	ds_write_b64 v105, v[107:108]
	buffer_store_dword v106, off, s[0:3], 0 offset:56
	buffer_store_dword v106, off, s[0:3], 0 offset:60
.LBB51_305:
	s_or_b64 exec, exec, s[4:5]
	s_waitcnt lgkmcnt(0)
	; wave barrier
	buffer_load_dword v115, off, s[0:3], 0 offset:64
	buffer_load_dword v116, off, s[0:3], 0 offset:68
	;; [unrolled: 1-line block ×22, first 2 shown]
	ds_read_b128 v[107:110], v106 offset:480
	ds_read_b128 v[111:114], v106 offset:496
	v_cmp_lt_u32_e32 vcc, 6, v0
	s_waitcnt vmcnt(20) lgkmcnt(1)
	v_fma_f64 v[107:108], v[115:116], v[107:108], 0
	s_waitcnt vmcnt(18)
	v_fma_f64 v[107:108], v[117:118], v[109:110], v[107:108]
	buffer_load_dword v116, off, s[0:3], 0 offset:156
	buffer_load_dword v117, off, s[0:3], 0 offset:176
	;; [unrolled: 1-line block ×7, first 2 shown]
	s_waitcnt vmcnt(23) lgkmcnt(0)
	v_fma_f64 v[107:108], v[119:120], v[111:112], v[107:108]
	s_waitcnt vmcnt(21)
	v_fma_f64 v[118:119], v[121:122], v[113:114], v[107:108]
	ds_read_b128 v[107:110], v106 offset:512
	ds_read_b128 v[111:114], v106 offset:528
	s_waitcnt vmcnt(19) lgkmcnt(1)
	v_fma_f64 v[107:108], v[123:124], v[107:108], v[118:119]
	buffer_load_dword v118, off, s[0:3], 0 offset:180
	s_waitcnt vmcnt(18)
	v_fma_f64 v[107:108], v[125:126], v[109:110], v[107:108]
	buffer_load_dword v120, off, s[0:3], 0 offset:188
	buffer_load_dword v121, off, s[0:3], 0 offset:208
	;; [unrolled: 1-line block ×7, first 2 shown]
	s_waitcnt vmcnt(23) lgkmcnt(0)
	v_fma_f64 v[107:108], v[127:128], v[111:112], v[107:108]
	s_waitcnt vmcnt(18)
	v_fma_f64 v[127:128], v[129:130], v[113:114], v[107:108]
	ds_read_b128 v[107:110], v106 offset:544
	ds_read_b128 v[111:114], v106 offset:560
	buffer_load_dword v122, off, s[0:3], 0 offset:212
	s_waitcnt vmcnt(18) lgkmcnt(1)
	v_fma_f64 v[107:108], v[135:136], v[107:108], v[127:128]
	s_waitcnt vmcnt(17)
	v_fma_f64 v[107:108], v[133:134], v[109:110], v[107:108]
	buffer_load_dword v128, off, s[0:3], 0 offset:220
	buffer_load_dword v129, off, s[0:3], 0 offset:240
	;; [unrolled: 1-line block ×8, first 2 shown]
	s_waitcnt vmcnt(24) lgkmcnt(0)
	v_fma_f64 v[107:108], v[131:132], v[111:112], v[107:108]
	s_waitcnt vmcnt(19)
	v_fma_f64 v[115:116], v[115:116], v[113:114], v[107:108]
	ds_read_b128 v[107:110], v106 offset:576
	ds_read_b128 v[111:114], v106 offset:592
	s_waitcnt vmcnt(18) lgkmcnt(1)
	v_fma_f64 v[107:108], v[139:140], v[107:108], v[115:116]
	s_waitcnt vmcnt(17)
	v_fma_f64 v[107:108], v[137:138], v[109:110], v[107:108]
	buffer_load_dword v116, off, s[0:3], 0 offset:252
	buffer_load_dword v131, off, s[0:3], 0 offset:272
	;; [unrolled: 1-line block ×8, first 2 shown]
	s_waitcnt vmcnt(24) lgkmcnt(0)
	v_fma_f64 v[107:108], v[117:118], v[111:112], v[107:108]
	s_waitcnt vmcnt(19)
	v_fma_f64 v[117:118], v[119:120], v[113:114], v[107:108]
	ds_read_b128 v[107:110], v106 offset:608
	ds_read_b128 v[111:114], v106 offset:624
	s_waitcnt vmcnt(18) lgkmcnt(1)
	v_fma_f64 v[107:108], v[125:126], v[107:108], v[117:118]
	s_waitcnt vmcnt(17)
	v_fma_f64 v[107:108], v[123:124], v[109:110], v[107:108]
	buffer_load_dword v118, off, s[0:3], 0 offset:284
	buffer_load_dword v119, off, s[0:3], 0 offset:304
	;; [unrolled: 1-line block ×7, first 2 shown]
	s_waitcnt vmcnt(23) lgkmcnt(0)
	v_fma_f64 v[107:108], v[121:122], v[111:112], v[107:108]
	s_waitcnt vmcnt(18)
	v_fma_f64 v[120:121], v[127:128], v[113:114], v[107:108]
	ds_read_b128 v[107:110], v106 offset:640
	ds_read_b128 v[111:114], v106 offset:656
	s_waitcnt vmcnt(17) lgkmcnt(1)
	v_fma_f64 v[107:108], v[135:136], v[107:108], v[120:121]
	buffer_load_dword v120, off, s[0:3], 0 offset:308
	s_waitcnt vmcnt(17)
	v_fma_f64 v[107:108], v[133:134], v[109:110], v[107:108]
	buffer_load_dword v122, off, s[0:3], 0 offset:316
	buffer_load_dword v127, off, s[0:3], 0 offset:336
	buffer_load_dword v133, off, s[0:3], 0 offset:328
	buffer_load_dword v135, off, s[0:3], 0 offset:320
	buffer_load_dword v121, off, s[0:3], 0 offset:312
	buffer_load_dword v136, off, s[0:3], 0 offset:324
	buffer_load_dword v134, off, s[0:3], 0 offset:332
	buffer_load_dword v128, off, s[0:3], 0 offset:340
	s_waitcnt vmcnt(24) lgkmcnt(0)
	v_fma_f64 v[107:108], v[129:130], v[111:112], v[107:108]
	s_waitcnt vmcnt(19)
	v_fma_f64 v[115:116], v[115:116], v[113:114], v[107:108]
	ds_read_b128 v[107:110], v106 offset:672
	ds_read_b128 v[111:114], v106 offset:688
	s_waitcnt vmcnt(18) lgkmcnt(1)
	v_fma_f64 v[107:108], v[139:140], v[107:108], v[115:116]
	s_waitcnt vmcnt(17)
	v_fma_f64 v[107:108], v[137:138], v[109:110], v[107:108]
	buffer_load_dword v116, off, s[0:3], 0 offset:348
	buffer_load_dword v129, off, s[0:3], 0 offset:368
	buffer_load_dword v137, off, s[0:3], 0 offset:360
	buffer_load_dword v139, off, s[0:3], 0 offset:352
	buffer_load_dword v115, off, s[0:3], 0 offset:344
	buffer_load_dword v140, off, s[0:3], 0 offset:356
	buffer_load_dword v138, off, s[0:3], 0 offset:364
	buffer_load_dword v130, off, s[0:3], 0 offset:372
	s_waitcnt vmcnt(24) lgkmcnt(0)
	v_fma_f64 v[107:108], v[131:132], v[111:112], v[107:108]
	s_waitcnt vmcnt(19)
	v_fma_f64 v[117:118], v[117:118], v[113:114], v[107:108]
	ds_read_b128 v[107:110], v106 offset:704
	ds_read_b128 v[111:114], v106 offset:720
	s_waitcnt vmcnt(18) lgkmcnt(1)
	v_fma_f64 v[107:108], v[125:126], v[107:108], v[117:118]
	;; [unrolled: 18-line block ×3, first 2 shown]
	buffer_load_dword v120, off, s[0:3], 0 offset:412
	buffer_load_dword v119, off, s[0:3], 0 offset:408
	;; [unrolled: 1-line block ×4, first 2 shown]
	s_waitcnt vmcnt(21)
	v_fma_f64 v[107:108], v[133:134], v[109:110], v[107:108]
	s_waitcnt vmcnt(20) lgkmcnt(0)
	v_fma_f64 v[107:108], v[127:128], v[111:112], v[107:108]
	s_waitcnt vmcnt(15)
	v_fma_f64 v[115:116], v[115:116], v[113:114], v[107:108]
	ds_read_b128 v[107:110], v106 offset:768
	ds_read_b128 v[111:114], v106 offset:784
	s_waitcnt vmcnt(14) lgkmcnt(1)
	v_fma_f64 v[107:108], v[139:140], v[107:108], v[115:116]
	s_waitcnt vmcnt(13)
	v_fma_f64 v[107:108], v[137:138], v[109:110], v[107:108]
	s_waitcnt vmcnt(12) lgkmcnt(0)
	v_fma_f64 v[107:108], v[129:130], v[111:112], v[107:108]
	s_waitcnt vmcnt(7)
	v_fma_f64 v[115:116], v[117:118], v[113:114], v[107:108]
	ds_read_b128 v[107:110], v106 offset:800
	ds_read_b128 v[111:114], v106 offset:816
	s_waitcnt vmcnt(6) lgkmcnt(1)
	v_fma_f64 v[106:107], v[131:132], v[107:108], v[115:116]
	s_waitcnt vmcnt(5)
	v_fma_f64 v[106:107], v[125:126], v[109:110], v[106:107]
	s_waitcnt vmcnt(4) lgkmcnt(0)
	v_fma_f64 v[106:107], v[123:124], v[111:112], v[106:107]
	s_waitcnt vmcnt(2)
	v_fma_f64 v[106:107], v[119:120], v[113:114], v[106:107]
	s_waitcnt vmcnt(0)
	v_add_f64 v[106:107], v[121:122], -v[106:107]
	buffer_store_dword v107, off, s[0:3], 0 offset:60
	buffer_store_dword v106, off, s[0:3], 0 offset:56
	s_and_saveexec_b64 s[4:5], vcc
	s_cbranch_execz .LBB51_307
; %bb.306:
	buffer_load_dword v106, off, s[0:3], 0 offset:48
	buffer_load_dword v107, off, s[0:3], 0 offset:52
	v_mov_b32_e32 v108, 0
	buffer_store_dword v108, off, s[0:3], 0 offset:48
	buffer_store_dword v108, off, s[0:3], 0 offset:52
	s_waitcnt vmcnt(2)
	ds_write_b64 v105, v[106:107]
.LBB51_307:
	s_or_b64 exec, exec, s[4:5]
	s_waitcnt lgkmcnt(0)
	; wave barrier
	buffer_load_dword v115, off, s[0:3], 0 offset:56
	buffer_load_dword v116, off, s[0:3], 0 offset:60
	buffer_load_dword v117, off, s[0:3], 0 offset:64
	buffer_load_dword v118, off, s[0:3], 0 offset:68
	buffer_load_dword v119, off, s[0:3], 0 offset:72
	buffer_load_dword v120, off, s[0:3], 0 offset:76
	buffer_load_dword v121, off, s[0:3], 0 offset:80
	buffer_load_dword v122, off, s[0:3], 0 offset:84
	buffer_load_dword v123, off, s[0:3], 0 offset:88
	buffer_load_dword v124, off, s[0:3], 0 offset:92
	buffer_load_dword v125, off, s[0:3], 0 offset:96
	buffer_load_dword v126, off, s[0:3], 0 offset:100
	buffer_load_dword v127, off, s[0:3], 0 offset:104
	buffer_load_dword v128, off, s[0:3], 0 offset:108
	buffer_load_dword v130, off, s[0:3], 0 offset:116
	buffer_load_dword v131, off, s[0:3], 0 offset:136
	buffer_load_dword v133, off, s[0:3], 0 offset:128
	buffer_load_dword v135, off, s[0:3], 0 offset:120
	buffer_load_dword v129, off, s[0:3], 0 offset:112
	buffer_load_dword v136, off, s[0:3], 0 offset:124
	buffer_load_dword v134, off, s[0:3], 0 offset:132
	v_mov_b32_e32 v106, 0
	ds_read2_b64 v[107:110], v106 offset0:59 offset1:60
	ds_read2_b64 v[111:114], v106 offset0:61 offset1:62
	buffer_load_dword v132, off, s[0:3], 0 offset:140
	v_cmp_lt_u32_e32 vcc, 5, v0
	s_waitcnt vmcnt(20) lgkmcnt(1)
	v_fma_f64 v[107:108], v[115:116], v[107:108], 0
	s_waitcnt vmcnt(18)
	v_fma_f64 v[107:108], v[117:118], v[109:110], v[107:108]
	buffer_load_dword v116, off, s[0:3], 0 offset:148
	buffer_load_dword v117, off, s[0:3], 0 offset:168
	;; [unrolled: 1-line block ×7, first 2 shown]
	s_waitcnt vmcnt(23) lgkmcnt(0)
	v_fma_f64 v[107:108], v[119:120], v[111:112], v[107:108]
	s_waitcnt vmcnt(21)
	v_fma_f64 v[118:119], v[121:122], v[113:114], v[107:108]
	ds_read2_b64 v[107:110], v106 offset0:63 offset1:64
	ds_read2_b64 v[111:114], v106 offset0:65 offset1:66
	s_waitcnt vmcnt(19) lgkmcnt(1)
	v_fma_f64 v[107:108], v[123:124], v[107:108], v[118:119]
	buffer_load_dword v118, off, s[0:3], 0 offset:172
	s_waitcnt vmcnt(18)
	v_fma_f64 v[107:108], v[125:126], v[109:110], v[107:108]
	buffer_load_dword v120, off, s[0:3], 0 offset:180
	buffer_load_dword v121, off, s[0:3], 0 offset:200
	;; [unrolled: 1-line block ×7, first 2 shown]
	s_waitcnt vmcnt(23) lgkmcnt(0)
	v_fma_f64 v[107:108], v[127:128], v[111:112], v[107:108]
	s_waitcnt vmcnt(18)
	v_fma_f64 v[127:128], v[129:130], v[113:114], v[107:108]
	ds_read2_b64 v[107:110], v106 offset0:67 offset1:68
	ds_read2_b64 v[111:114], v106 offset0:69 offset1:70
	buffer_load_dword v122, off, s[0:3], 0 offset:204
	s_waitcnt vmcnt(18) lgkmcnt(1)
	v_fma_f64 v[107:108], v[135:136], v[107:108], v[127:128]
	s_waitcnt vmcnt(17)
	v_fma_f64 v[107:108], v[133:134], v[109:110], v[107:108]
	buffer_load_dword v128, off, s[0:3], 0 offset:212
	buffer_load_dword v129, off, s[0:3], 0 offset:232
	;; [unrolled: 1-line block ×7, first 2 shown]
	s_waitcnt vmcnt(23) lgkmcnt(0)
	v_fma_f64 v[107:108], v[131:132], v[111:112], v[107:108]
	s_waitcnt vmcnt(18)
	v_fma_f64 v[115:116], v[115:116], v[113:114], v[107:108]
	ds_read2_b64 v[107:110], v106 offset0:71 offset1:72
	ds_read2_b64 v[111:114], v106 offset0:73 offset1:74
	buffer_load_dword v130, off, s[0:3], 0 offset:236
	s_waitcnt vmcnt(18) lgkmcnt(1)
	v_fma_f64 v[107:108], v[139:140], v[107:108], v[115:116]
	s_waitcnt vmcnt(17)
	v_fma_f64 v[107:108], v[137:138], v[109:110], v[107:108]
	buffer_load_dword v116, off, s[0:3], 0 offset:244
	buffer_load_dword v131, off, s[0:3], 0 offset:264
	;; [unrolled: 1-line block ×8, first 2 shown]
	s_waitcnt vmcnt(24) lgkmcnt(0)
	v_fma_f64 v[107:108], v[117:118], v[111:112], v[107:108]
	s_waitcnt vmcnt(19)
	v_fma_f64 v[117:118], v[119:120], v[113:114], v[107:108]
	ds_read2_b64 v[107:110], v106 offset0:75 offset1:76
	ds_read2_b64 v[111:114], v106 offset0:77 offset1:78
	s_waitcnt vmcnt(18) lgkmcnt(1)
	v_fma_f64 v[107:108], v[125:126], v[107:108], v[117:118]
	s_waitcnt vmcnt(17)
	v_fma_f64 v[107:108], v[123:124], v[109:110], v[107:108]
	buffer_load_dword v118, off, s[0:3], 0 offset:276
	buffer_load_dword v119, off, s[0:3], 0 offset:296
	;; [unrolled: 1-line block ×7, first 2 shown]
	s_waitcnt vmcnt(23) lgkmcnt(0)
	v_fma_f64 v[107:108], v[121:122], v[111:112], v[107:108]
	s_waitcnt vmcnt(18)
	v_fma_f64 v[120:121], v[127:128], v[113:114], v[107:108]
	ds_read2_b64 v[107:110], v106 offset0:79 offset1:80
	ds_read2_b64 v[111:114], v106 offset0:81 offset1:82
	s_waitcnt vmcnt(17) lgkmcnt(1)
	v_fma_f64 v[107:108], v[135:136], v[107:108], v[120:121]
	buffer_load_dword v120, off, s[0:3], 0 offset:300
	s_waitcnt vmcnt(17)
	v_fma_f64 v[107:108], v[133:134], v[109:110], v[107:108]
	buffer_load_dword v122, off, s[0:3], 0 offset:308
	buffer_load_dword v127, off, s[0:3], 0 offset:328
	;; [unrolled: 1-line block ×7, first 2 shown]
	s_waitcnt vmcnt(23) lgkmcnt(0)
	v_fma_f64 v[107:108], v[129:130], v[111:112], v[107:108]
	s_waitcnt vmcnt(18)
	v_fma_f64 v[115:116], v[115:116], v[113:114], v[107:108]
	ds_read2_b64 v[107:110], v106 offset0:83 offset1:84
	ds_read2_b64 v[111:114], v106 offset0:85 offset1:86
	buffer_load_dword v128, off, s[0:3], 0 offset:332
	s_waitcnt vmcnt(18) lgkmcnt(1)
	v_fma_f64 v[107:108], v[139:140], v[107:108], v[115:116]
	s_waitcnt vmcnt(17)
	v_fma_f64 v[107:108], v[137:138], v[109:110], v[107:108]
	buffer_load_dword v116, off, s[0:3], 0 offset:340
	buffer_load_dword v129, off, s[0:3], 0 offset:360
	;; [unrolled: 1-line block ×8, first 2 shown]
	s_waitcnt vmcnt(24) lgkmcnt(0)
	v_fma_f64 v[107:108], v[131:132], v[111:112], v[107:108]
	s_waitcnt vmcnt(19)
	v_fma_f64 v[117:118], v[117:118], v[113:114], v[107:108]
	ds_read2_b64 v[107:110], v106 offset0:87 offset1:88
	ds_read2_b64 v[111:114], v106 offset0:89 offset1:90
	s_waitcnt vmcnt(18) lgkmcnt(1)
	v_fma_f64 v[107:108], v[125:126], v[107:108], v[117:118]
	s_waitcnt vmcnt(17)
	v_fma_f64 v[107:108], v[123:124], v[109:110], v[107:108]
	buffer_load_dword v118, off, s[0:3], 0 offset:372
	buffer_load_dword v123, off, s[0:3], 0 offset:392
	;; [unrolled: 1-line block ×7, first 2 shown]
	s_waitcnt vmcnt(23) lgkmcnt(0)
	v_fma_f64 v[107:108], v[119:120], v[111:112], v[107:108]
	s_waitcnt vmcnt(18)
	v_fma_f64 v[119:120], v[121:122], v[113:114], v[107:108]
	ds_read2_b64 v[107:110], v106 offset0:91 offset1:92
	ds_read2_b64 v[111:114], v106 offset0:93 offset1:94
	buffer_load_dword v124, off, s[0:3], 0 offset:396
	s_waitcnt vmcnt(18) lgkmcnt(1)
	v_fma_f64 v[107:108], v[135:136], v[107:108], v[119:120]
	buffer_load_dword v120, off, s[0:3], 0 offset:404
	buffer_load_dword v121, off, s[0:3], 0 offset:408
	;; [unrolled: 1-line block ×4, first 2 shown]
	s_waitcnt vmcnt(21)
	v_fma_f64 v[107:108], v[133:134], v[109:110], v[107:108]
	s_waitcnt vmcnt(20) lgkmcnt(0)
	v_fma_f64 v[107:108], v[127:128], v[111:112], v[107:108]
	buffer_load_dword v127, off, s[0:3], 0 offset:48
	buffer_load_dword v128, off, s[0:3], 0 offset:52
	s_waitcnt vmcnt(17)
	v_fma_f64 v[115:116], v[115:116], v[113:114], v[107:108]
	ds_read2_b64 v[107:110], v106 offset0:95 offset1:96
	ds_read2_b64 v[111:114], v106 offset0:97 offset1:98
	s_waitcnt vmcnt(16) lgkmcnt(1)
	v_fma_f64 v[107:108], v[139:140], v[107:108], v[115:116]
	s_waitcnt vmcnt(15)
	v_fma_f64 v[107:108], v[137:138], v[109:110], v[107:108]
	s_waitcnt vmcnt(14) lgkmcnt(0)
	v_fma_f64 v[107:108], v[129:130], v[111:112], v[107:108]
	s_waitcnt vmcnt(9)
	v_fma_f64 v[115:116], v[117:118], v[113:114], v[107:108]
	ds_read2_b64 v[107:110], v106 offset0:99 offset1:100
	ds_read2_b64 v[111:114], v106 offset0:101 offset1:102
	s_waitcnt vmcnt(8) lgkmcnt(1)
	v_fma_f64 v[107:108], v[131:132], v[107:108], v[115:116]
	s_waitcnt vmcnt(7)
	v_fma_f64 v[107:108], v[125:126], v[109:110], v[107:108]
	ds_read_b64 v[109:110], v106 offset:824
	s_waitcnt vmcnt(6) lgkmcnt(1)
	v_fma_f64 v[107:108], v[123:124], v[111:112], v[107:108]
	s_waitcnt vmcnt(3)
	v_fma_f64 v[107:108], v[119:120], v[113:114], v[107:108]
	s_waitcnt vmcnt(2) lgkmcnt(0)
	v_fma_f64 v[107:108], v[121:122], v[109:110], v[107:108]
	s_waitcnt vmcnt(0)
	v_add_f64 v[107:108], v[127:128], -v[107:108]
	buffer_store_dword v108, off, s[0:3], 0 offset:52
	buffer_store_dword v107, off, s[0:3], 0 offset:48
	s_and_saveexec_b64 s[4:5], vcc
	s_cbranch_execz .LBB51_309
; %bb.308:
	buffer_load_dword v107, off, s[0:3], 0 offset:40
	buffer_load_dword v108, off, s[0:3], 0 offset:44
	s_waitcnt vmcnt(0)
	ds_write_b64 v105, v[107:108]
	buffer_store_dword v106, off, s[0:3], 0 offset:40
	buffer_store_dword v106, off, s[0:3], 0 offset:44
.LBB51_309:
	s_or_b64 exec, exec, s[4:5]
	s_waitcnt lgkmcnt(0)
	; wave barrier
	buffer_load_dword v115, off, s[0:3], 0 offset:48
	buffer_load_dword v116, off, s[0:3], 0 offset:52
	;; [unrolled: 1-line block ×21, first 2 shown]
	ds_read_b128 v[107:110], v106 offset:464
	ds_read_b128 v[111:114], v106 offset:480
	buffer_load_dword v132, off, s[0:3], 0 offset:132
	v_cmp_lt_u32_e32 vcc, 4, v0
	s_waitcnt vmcnt(20) lgkmcnt(1)
	v_fma_f64 v[107:108], v[115:116], v[107:108], 0
	s_waitcnt vmcnt(18)
	v_fma_f64 v[107:108], v[117:118], v[109:110], v[107:108]
	buffer_load_dword v116, off, s[0:3], 0 offset:140
	buffer_load_dword v117, off, s[0:3], 0 offset:160
	;; [unrolled: 1-line block ×7, first 2 shown]
	s_waitcnt vmcnt(23) lgkmcnt(0)
	v_fma_f64 v[107:108], v[119:120], v[111:112], v[107:108]
	s_waitcnt vmcnt(21)
	v_fma_f64 v[118:119], v[121:122], v[113:114], v[107:108]
	ds_read_b128 v[107:110], v106 offset:496
	ds_read_b128 v[111:114], v106 offset:512
	s_waitcnt vmcnt(19) lgkmcnt(1)
	v_fma_f64 v[107:108], v[123:124], v[107:108], v[118:119]
	buffer_load_dword v118, off, s[0:3], 0 offset:164
	s_waitcnt vmcnt(18)
	v_fma_f64 v[107:108], v[125:126], v[109:110], v[107:108]
	buffer_load_dword v120, off, s[0:3], 0 offset:172
	buffer_load_dword v121, off, s[0:3], 0 offset:192
	;; [unrolled: 1-line block ×8, first 2 shown]
	s_waitcnt vmcnt(24) lgkmcnt(0)
	v_fma_f64 v[107:108], v[127:128], v[111:112], v[107:108]
	s_waitcnt vmcnt(19)
	v_fma_f64 v[127:128], v[129:130], v[113:114], v[107:108]
	ds_read_b128 v[107:110], v106 offset:528
	ds_read_b128 v[111:114], v106 offset:544
	s_waitcnt vmcnt(18) lgkmcnt(1)
	v_fma_f64 v[107:108], v[135:136], v[107:108], v[127:128]
	s_waitcnt vmcnt(17)
	v_fma_f64 v[107:108], v[133:134], v[109:110], v[107:108]
	buffer_load_dword v128, off, s[0:3], 0 offset:204
	buffer_load_dword v129, off, s[0:3], 0 offset:224
	;; [unrolled: 1-line block ×7, first 2 shown]
	s_waitcnt vmcnt(23) lgkmcnt(0)
	v_fma_f64 v[107:108], v[131:132], v[111:112], v[107:108]
	s_waitcnt vmcnt(18)
	v_fma_f64 v[115:116], v[115:116], v[113:114], v[107:108]
	ds_read_b128 v[107:110], v106 offset:560
	ds_read_b128 v[111:114], v106 offset:576
	buffer_load_dword v130, off, s[0:3], 0 offset:228
	s_waitcnt vmcnt(18) lgkmcnt(1)
	v_fma_f64 v[107:108], v[139:140], v[107:108], v[115:116]
	s_waitcnt vmcnt(17)
	v_fma_f64 v[107:108], v[137:138], v[109:110], v[107:108]
	buffer_load_dword v116, off, s[0:3], 0 offset:236
	buffer_load_dword v131, off, s[0:3], 0 offset:256
	;; [unrolled: 1-line block ×8, first 2 shown]
	s_waitcnt vmcnt(24) lgkmcnt(0)
	v_fma_f64 v[107:108], v[117:118], v[111:112], v[107:108]
	s_waitcnt vmcnt(19)
	v_fma_f64 v[117:118], v[119:120], v[113:114], v[107:108]
	ds_read_b128 v[107:110], v106 offset:592
	ds_read_b128 v[111:114], v106 offset:608
	s_waitcnt vmcnt(18) lgkmcnt(1)
	v_fma_f64 v[107:108], v[125:126], v[107:108], v[117:118]
	s_waitcnt vmcnt(17)
	v_fma_f64 v[107:108], v[123:124], v[109:110], v[107:108]
	buffer_load_dword v118, off, s[0:3], 0 offset:268
	buffer_load_dword v119, off, s[0:3], 0 offset:288
	;; [unrolled: 1-line block ×7, first 2 shown]
	s_waitcnt vmcnt(23) lgkmcnt(0)
	v_fma_f64 v[107:108], v[121:122], v[111:112], v[107:108]
	s_waitcnt vmcnt(18)
	v_fma_f64 v[120:121], v[127:128], v[113:114], v[107:108]
	ds_read_b128 v[107:110], v106 offset:624
	ds_read_b128 v[111:114], v106 offset:640
	s_waitcnt vmcnt(17) lgkmcnt(1)
	v_fma_f64 v[107:108], v[135:136], v[107:108], v[120:121]
	buffer_load_dword v120, off, s[0:3], 0 offset:292
	s_waitcnt vmcnt(17)
	v_fma_f64 v[107:108], v[133:134], v[109:110], v[107:108]
	buffer_load_dword v122, off, s[0:3], 0 offset:300
	buffer_load_dword v127, off, s[0:3], 0 offset:320
	;; [unrolled: 1-line block ×7, first 2 shown]
	s_waitcnt vmcnt(23) lgkmcnt(0)
	v_fma_f64 v[107:108], v[129:130], v[111:112], v[107:108]
	s_waitcnt vmcnt(18)
	v_fma_f64 v[115:116], v[115:116], v[113:114], v[107:108]
	ds_read_b128 v[107:110], v106 offset:656
	ds_read_b128 v[111:114], v106 offset:672
	buffer_load_dword v128, off, s[0:3], 0 offset:324
	s_waitcnt vmcnt(18) lgkmcnt(1)
	v_fma_f64 v[107:108], v[139:140], v[107:108], v[115:116]
	s_waitcnt vmcnt(17)
	v_fma_f64 v[107:108], v[137:138], v[109:110], v[107:108]
	buffer_load_dword v116, off, s[0:3], 0 offset:332
	buffer_load_dword v129, off, s[0:3], 0 offset:352
	;; [unrolled: 1-line block ×8, first 2 shown]
	s_waitcnt vmcnt(24) lgkmcnt(0)
	v_fma_f64 v[107:108], v[131:132], v[111:112], v[107:108]
	s_waitcnt vmcnt(19)
	v_fma_f64 v[117:118], v[117:118], v[113:114], v[107:108]
	ds_read_b128 v[107:110], v106 offset:688
	ds_read_b128 v[111:114], v106 offset:704
	s_waitcnt vmcnt(18) lgkmcnt(1)
	v_fma_f64 v[107:108], v[125:126], v[107:108], v[117:118]
	s_waitcnt vmcnt(17)
	v_fma_f64 v[107:108], v[123:124], v[109:110], v[107:108]
	buffer_load_dword v118, off, s[0:3], 0 offset:364
	buffer_load_dword v123, off, s[0:3], 0 offset:384
	;; [unrolled: 1-line block ×8, first 2 shown]
	s_waitcnt vmcnt(24) lgkmcnt(0)
	v_fma_f64 v[107:108], v[119:120], v[111:112], v[107:108]
	s_waitcnt vmcnt(19)
	v_fma_f64 v[119:120], v[121:122], v[113:114], v[107:108]
	ds_read_b128 v[107:110], v106 offset:720
	ds_read_b128 v[111:114], v106 offset:736
	s_waitcnt vmcnt(18) lgkmcnt(1)
	v_fma_f64 v[107:108], v[135:136], v[107:108], v[119:120]
	s_waitcnt vmcnt(17)
	v_fma_f64 v[107:108], v[133:134], v[109:110], v[107:108]
	buffer_load_dword v120, off, s[0:3], 0 offset:396
	buffer_load_dword v121, off, s[0:3], 0 offset:408
	;; [unrolled: 1-line block ×6, first 2 shown]
	s_waitcnt vmcnt(22) lgkmcnt(0)
	v_fma_f64 v[107:108], v[127:128], v[111:112], v[107:108]
	s_waitcnt vmcnt(17)
	v_fma_f64 v[115:116], v[115:116], v[113:114], v[107:108]
	ds_read_b128 v[107:110], v106 offset:752
	buffer_load_dword v127, off, s[0:3], 0 offset:40
	buffer_load_dword v128, off, s[0:3], 0 offset:44
	ds_read_b128 v[111:114], v106 offset:768
	s_waitcnt vmcnt(18) lgkmcnt(1)
	v_fma_f64 v[107:108], v[139:140], v[107:108], v[115:116]
	s_waitcnt vmcnt(17)
	v_fma_f64 v[107:108], v[137:138], v[109:110], v[107:108]
	s_waitcnt vmcnt(16) lgkmcnt(0)
	v_fma_f64 v[107:108], v[129:130], v[111:112], v[107:108]
	s_waitcnt vmcnt(11)
	v_fma_f64 v[115:116], v[117:118], v[113:114], v[107:108]
	ds_read_b128 v[107:110], v106 offset:784
	ds_read_b128 v[111:114], v106 offset:800
	s_waitcnt vmcnt(10) lgkmcnt(1)
	v_fma_f64 v[107:108], v[131:132], v[107:108], v[115:116]
	s_waitcnt vmcnt(9)
	v_fma_f64 v[107:108], v[125:126], v[109:110], v[107:108]
	s_waitcnt vmcnt(8) lgkmcnt(0)
	v_fma_f64 v[107:108], v[123:124], v[111:112], v[107:108]
	s_waitcnt vmcnt(4)
	v_fma_f64 v[110:111], v[119:120], v[113:114], v[107:108]
	ds_read_b128 v[106:109], v106 offset:816
	s_waitcnt vmcnt(3) lgkmcnt(0)
	v_fma_f64 v[106:107], v[133:134], v[106:107], v[110:111]
	s_waitcnt vmcnt(2)
	v_fma_f64 v[106:107], v[121:122], v[108:109], v[106:107]
	s_waitcnt vmcnt(0)
	v_add_f64 v[106:107], v[127:128], -v[106:107]
	buffer_store_dword v107, off, s[0:3], 0 offset:44
	buffer_store_dword v106, off, s[0:3], 0 offset:40
	s_and_saveexec_b64 s[4:5], vcc
	s_cbranch_execz .LBB51_311
; %bb.310:
	buffer_load_dword v106, off, s[0:3], 0 offset:32
	buffer_load_dword v107, off, s[0:3], 0 offset:36
	v_mov_b32_e32 v108, 0
	buffer_store_dword v108, off, s[0:3], 0 offset:32
	buffer_store_dword v108, off, s[0:3], 0 offset:36
	s_waitcnt vmcnt(2)
	ds_write_b64 v105, v[106:107]
.LBB51_311:
	s_or_b64 exec, exec, s[4:5]
	s_waitcnt lgkmcnt(0)
	; wave barrier
	buffer_load_dword v115, off, s[0:3], 0 offset:40
	buffer_load_dword v116, off, s[0:3], 0 offset:44
	;; [unrolled: 1-line block ×21, first 2 shown]
	v_mov_b32_e32 v106, 0
	ds_read2_b64 v[107:110], v106 offset0:57 offset1:58
	ds_read2_b64 v[111:114], v106 offset0:59 offset1:60
	buffer_load_dword v132, off, s[0:3], 0 offset:124
	v_cmp_lt_u32_e32 vcc, 3, v0
	s_waitcnt vmcnt(20) lgkmcnt(1)
	v_fma_f64 v[107:108], v[115:116], v[107:108], 0
	s_waitcnt vmcnt(18)
	v_fma_f64 v[107:108], v[117:118], v[109:110], v[107:108]
	buffer_load_dword v116, off, s[0:3], 0 offset:132
	buffer_load_dword v117, off, s[0:3], 0 offset:152
	;; [unrolled: 1-line block ×7, first 2 shown]
	s_waitcnt vmcnt(23) lgkmcnt(0)
	v_fma_f64 v[107:108], v[119:120], v[111:112], v[107:108]
	s_waitcnt vmcnt(21)
	v_fma_f64 v[118:119], v[121:122], v[113:114], v[107:108]
	ds_read2_b64 v[107:110], v106 offset0:61 offset1:62
	ds_read2_b64 v[111:114], v106 offset0:63 offset1:64
	s_waitcnt vmcnt(19) lgkmcnt(1)
	v_fma_f64 v[107:108], v[123:124], v[107:108], v[118:119]
	buffer_load_dword v118, off, s[0:3], 0 offset:156
	s_waitcnt vmcnt(18)
	v_fma_f64 v[107:108], v[125:126], v[109:110], v[107:108]
	buffer_load_dword v120, off, s[0:3], 0 offset:164
	buffer_load_dword v121, off, s[0:3], 0 offset:184
	buffer_load_dword v123, off, s[0:3], 0 offset:176
	buffer_load_dword v125, off, s[0:3], 0 offset:168
	buffer_load_dword v119, off, s[0:3], 0 offset:160
	buffer_load_dword v126, off, s[0:3], 0 offset:172
	buffer_load_dword v124, off, s[0:3], 0 offset:180
	buffer_load_dword v122, off, s[0:3], 0 offset:188
	s_waitcnt vmcnt(24) lgkmcnt(0)
	v_fma_f64 v[107:108], v[127:128], v[111:112], v[107:108]
	s_waitcnt vmcnt(19)
	v_fma_f64 v[127:128], v[129:130], v[113:114], v[107:108]
	ds_read2_b64 v[107:110], v106 offset0:65 offset1:66
	ds_read2_b64 v[111:114], v106 offset0:67 offset1:68
	s_waitcnt vmcnt(18) lgkmcnt(1)
	v_fma_f64 v[107:108], v[135:136], v[107:108], v[127:128]
	s_waitcnt vmcnt(17)
	v_fma_f64 v[107:108], v[133:134], v[109:110], v[107:108]
	buffer_load_dword v128, off, s[0:3], 0 offset:196
	buffer_load_dword v129, off, s[0:3], 0 offset:216
	;; [unrolled: 1-line block ×7, first 2 shown]
	s_waitcnt vmcnt(23) lgkmcnt(0)
	v_fma_f64 v[107:108], v[131:132], v[111:112], v[107:108]
	s_waitcnt vmcnt(18)
	v_fma_f64 v[115:116], v[115:116], v[113:114], v[107:108]
	ds_read2_b64 v[107:110], v106 offset0:69 offset1:70
	ds_read2_b64 v[111:114], v106 offset0:71 offset1:72
	buffer_load_dword v130, off, s[0:3], 0 offset:220
	s_waitcnt vmcnt(18) lgkmcnt(1)
	v_fma_f64 v[107:108], v[139:140], v[107:108], v[115:116]
	s_waitcnt vmcnt(17)
	v_fma_f64 v[107:108], v[137:138], v[109:110], v[107:108]
	buffer_load_dword v116, off, s[0:3], 0 offset:228
	buffer_load_dword v131, off, s[0:3], 0 offset:248
	buffer_load_dword v137, off, s[0:3], 0 offset:240
	buffer_load_dword v139, off, s[0:3], 0 offset:232
	buffer_load_dword v115, off, s[0:3], 0 offset:224
	buffer_load_dword v140, off, s[0:3], 0 offset:236
	buffer_load_dword v138, off, s[0:3], 0 offset:244
	buffer_load_dword v132, off, s[0:3], 0 offset:252
	s_waitcnt vmcnt(24) lgkmcnt(0)
	v_fma_f64 v[107:108], v[117:118], v[111:112], v[107:108]
	s_waitcnt vmcnt(19)
	v_fma_f64 v[117:118], v[119:120], v[113:114], v[107:108]
	ds_read2_b64 v[107:110], v106 offset0:73 offset1:74
	ds_read2_b64 v[111:114], v106 offset0:75 offset1:76
	s_waitcnt vmcnt(18) lgkmcnt(1)
	v_fma_f64 v[107:108], v[125:126], v[107:108], v[117:118]
	s_waitcnt vmcnt(17)
	v_fma_f64 v[107:108], v[123:124], v[109:110], v[107:108]
	buffer_load_dword v118, off, s[0:3], 0 offset:260
	buffer_load_dword v119, off, s[0:3], 0 offset:280
	;; [unrolled: 1-line block ×7, first 2 shown]
	s_waitcnt vmcnt(23) lgkmcnt(0)
	v_fma_f64 v[107:108], v[121:122], v[111:112], v[107:108]
	s_waitcnt vmcnt(18)
	v_fma_f64 v[120:121], v[127:128], v[113:114], v[107:108]
	ds_read2_b64 v[107:110], v106 offset0:77 offset1:78
	ds_read2_b64 v[111:114], v106 offset0:79 offset1:80
	s_waitcnt vmcnt(17) lgkmcnt(1)
	v_fma_f64 v[107:108], v[135:136], v[107:108], v[120:121]
	buffer_load_dword v120, off, s[0:3], 0 offset:284
	s_waitcnt vmcnt(17)
	v_fma_f64 v[107:108], v[133:134], v[109:110], v[107:108]
	buffer_load_dword v122, off, s[0:3], 0 offset:292
	buffer_load_dword v127, off, s[0:3], 0 offset:312
	;; [unrolled: 1-line block ×7, first 2 shown]
	s_waitcnt vmcnt(23) lgkmcnt(0)
	v_fma_f64 v[107:108], v[129:130], v[111:112], v[107:108]
	s_waitcnt vmcnt(18)
	v_fma_f64 v[115:116], v[115:116], v[113:114], v[107:108]
	ds_read2_b64 v[107:110], v106 offset0:81 offset1:82
	ds_read2_b64 v[111:114], v106 offset0:83 offset1:84
	buffer_load_dword v128, off, s[0:3], 0 offset:316
	s_waitcnt vmcnt(18) lgkmcnt(1)
	v_fma_f64 v[107:108], v[139:140], v[107:108], v[115:116]
	s_waitcnt vmcnt(17)
	v_fma_f64 v[107:108], v[137:138], v[109:110], v[107:108]
	buffer_load_dword v116, off, s[0:3], 0 offset:324
	buffer_load_dword v129, off, s[0:3], 0 offset:344
	buffer_load_dword v137, off, s[0:3], 0 offset:336
	buffer_load_dword v139, off, s[0:3], 0 offset:328
	buffer_load_dword v115, off, s[0:3], 0 offset:320
	buffer_load_dword v140, off, s[0:3], 0 offset:332
	buffer_load_dword v138, off, s[0:3], 0 offset:340
	buffer_load_dword v130, off, s[0:3], 0 offset:348
	s_waitcnt vmcnt(24) lgkmcnt(0)
	v_fma_f64 v[107:108], v[131:132], v[111:112], v[107:108]
	s_waitcnt vmcnt(19)
	v_fma_f64 v[117:118], v[117:118], v[113:114], v[107:108]
	ds_read2_b64 v[107:110], v106 offset0:85 offset1:86
	ds_read2_b64 v[111:114], v106 offset0:87 offset1:88
	s_waitcnt vmcnt(18) lgkmcnt(1)
	v_fma_f64 v[107:108], v[125:126], v[107:108], v[117:118]
	s_waitcnt vmcnt(17)
	v_fma_f64 v[107:108], v[123:124], v[109:110], v[107:108]
	buffer_load_dword v118, off, s[0:3], 0 offset:356
	buffer_load_dword v123, off, s[0:3], 0 offset:376
	buffer_load_dword v125, off, s[0:3], 0 offset:368
	buffer_load_dword v131, off, s[0:3], 0 offset:360
	buffer_load_dword v117, off, s[0:3], 0 offset:352
	buffer_load_dword v132, off, s[0:3], 0 offset:364
	buffer_load_dword v126, off, s[0:3], 0 offset:372
	buffer_load_dword v124, off, s[0:3], 0 offset:380
	s_waitcnt vmcnt(24) lgkmcnt(0)
	v_fma_f64 v[107:108], v[119:120], v[111:112], v[107:108]
	s_waitcnt vmcnt(19)
	v_fma_f64 v[119:120], v[121:122], v[113:114], v[107:108]
	ds_read2_b64 v[107:110], v106 offset0:89 offset1:90
	ds_read2_b64 v[111:114], v106 offset0:91 offset1:92
	;; [unrolled: 18-line block ×3, first 2 shown]
	s_waitcnt vmcnt(18) lgkmcnt(1)
	v_fma_f64 v[107:108], v[139:140], v[107:108], v[115:116]
	buffer_load_dword v115, off, s[0:3], 0 offset:32
	buffer_load_dword v116, off, s[0:3], 0 offset:36
	s_waitcnt vmcnt(19)
	v_fma_f64 v[107:108], v[137:138], v[109:110], v[107:108]
	s_waitcnt vmcnt(18) lgkmcnt(0)
	v_fma_f64 v[107:108], v[129:130], v[111:112], v[107:108]
	s_waitcnt vmcnt(13)
	v_fma_f64 v[117:118], v[117:118], v[113:114], v[107:108]
	ds_read2_b64 v[107:110], v106 offset0:97 offset1:98
	ds_read2_b64 v[111:114], v106 offset0:99 offset1:100
	s_waitcnt vmcnt(12) lgkmcnt(1)
	v_fma_f64 v[107:108], v[131:132], v[107:108], v[117:118]
	s_waitcnt vmcnt(11)
	v_fma_f64 v[107:108], v[125:126], v[109:110], v[107:108]
	s_waitcnt vmcnt(10) lgkmcnt(0)
	v_fma_f64 v[107:108], v[123:124], v[111:112], v[107:108]
	s_waitcnt vmcnt(5)
	v_fma_f64 v[111:112], v[119:120], v[113:114], v[107:108]
	ds_read2_b64 v[107:110], v106 offset0:101 offset1:102
	ds_read_b64 v[113:114], v106 offset:824
	s_waitcnt vmcnt(4) lgkmcnt(1)
	v_fma_f64 v[107:108], v[135:136], v[107:108], v[111:112]
	s_waitcnt vmcnt(3)
	v_fma_f64 v[107:108], v[133:134], v[109:110], v[107:108]
	s_waitcnt vmcnt(2) lgkmcnt(0)
	v_fma_f64 v[107:108], v[121:122], v[113:114], v[107:108]
	s_waitcnt vmcnt(0)
	v_add_f64 v[107:108], v[115:116], -v[107:108]
	buffer_store_dword v108, off, s[0:3], 0 offset:36
	buffer_store_dword v107, off, s[0:3], 0 offset:32
	s_and_saveexec_b64 s[4:5], vcc
	s_cbranch_execz .LBB51_313
; %bb.312:
	buffer_load_dword v107, off, s[0:3], 0 offset:24
	buffer_load_dword v108, off, s[0:3], 0 offset:28
	s_waitcnt vmcnt(0)
	ds_write_b64 v105, v[107:108]
	buffer_store_dword v106, off, s[0:3], 0 offset:24
	buffer_store_dword v106, off, s[0:3], 0 offset:28
.LBB51_313:
	s_or_b64 exec, exec, s[4:5]
	s_waitcnt lgkmcnt(0)
	; wave barrier
	buffer_load_dword v115, off, s[0:3], 0 offset:32
	buffer_load_dword v116, off, s[0:3], 0 offset:36
	;; [unrolled: 1-line block ×21, first 2 shown]
	ds_read_b128 v[107:110], v106 offset:448
	ds_read_b128 v[111:114], v106 offset:464
	buffer_load_dword v132, off, s[0:3], 0 offset:116
	v_cmp_lt_u32_e32 vcc, 2, v0
	s_waitcnt vmcnt(20) lgkmcnt(1)
	v_fma_f64 v[107:108], v[115:116], v[107:108], 0
	s_waitcnt vmcnt(18)
	v_fma_f64 v[107:108], v[117:118], v[109:110], v[107:108]
	buffer_load_dword v116, off, s[0:3], 0 offset:124
	buffer_load_dword v117, off, s[0:3], 0 offset:144
	;; [unrolled: 1-line block ×7, first 2 shown]
	s_waitcnt vmcnt(23) lgkmcnt(0)
	v_fma_f64 v[107:108], v[119:120], v[111:112], v[107:108]
	s_waitcnt vmcnt(21)
	v_fma_f64 v[118:119], v[121:122], v[113:114], v[107:108]
	ds_read_b128 v[107:110], v106 offset:480
	ds_read_b128 v[111:114], v106 offset:496
	s_waitcnt vmcnt(19) lgkmcnt(1)
	v_fma_f64 v[107:108], v[123:124], v[107:108], v[118:119]
	buffer_load_dword v118, off, s[0:3], 0 offset:148
	s_waitcnt vmcnt(18)
	v_fma_f64 v[107:108], v[125:126], v[109:110], v[107:108]
	buffer_load_dword v120, off, s[0:3], 0 offset:156
	buffer_load_dword v121, off, s[0:3], 0 offset:176
	buffer_load_dword v123, off, s[0:3], 0 offset:168
	buffer_load_dword v125, off, s[0:3], 0 offset:160
	buffer_load_dword v119, off, s[0:3], 0 offset:152
	buffer_load_dword v126, off, s[0:3], 0 offset:164
	buffer_load_dword v124, off, s[0:3], 0 offset:172
	buffer_load_dword v122, off, s[0:3], 0 offset:180
	s_waitcnt vmcnt(24) lgkmcnt(0)
	v_fma_f64 v[107:108], v[127:128], v[111:112], v[107:108]
	s_waitcnt vmcnt(19)
	v_fma_f64 v[127:128], v[129:130], v[113:114], v[107:108]
	ds_read_b128 v[107:110], v106 offset:512
	ds_read_b128 v[111:114], v106 offset:528
	s_waitcnt vmcnt(18) lgkmcnt(1)
	v_fma_f64 v[107:108], v[135:136], v[107:108], v[127:128]
	s_waitcnt vmcnt(17)
	v_fma_f64 v[107:108], v[133:134], v[109:110], v[107:108]
	buffer_load_dword v128, off, s[0:3], 0 offset:188
	buffer_load_dword v129, off, s[0:3], 0 offset:208
	;; [unrolled: 1-line block ×7, first 2 shown]
	s_waitcnt vmcnt(23) lgkmcnt(0)
	v_fma_f64 v[107:108], v[131:132], v[111:112], v[107:108]
	s_waitcnt vmcnt(18)
	v_fma_f64 v[115:116], v[115:116], v[113:114], v[107:108]
	ds_read_b128 v[107:110], v106 offset:544
	ds_read_b128 v[111:114], v106 offset:560
	buffer_load_dword v130, off, s[0:3], 0 offset:212
	s_waitcnt vmcnt(18) lgkmcnt(1)
	v_fma_f64 v[107:108], v[139:140], v[107:108], v[115:116]
	s_waitcnt vmcnt(17)
	v_fma_f64 v[107:108], v[137:138], v[109:110], v[107:108]
	buffer_load_dword v116, off, s[0:3], 0 offset:220
	buffer_load_dword v131, off, s[0:3], 0 offset:240
	;; [unrolled: 1-line block ×8, first 2 shown]
	s_waitcnt vmcnt(24) lgkmcnt(0)
	v_fma_f64 v[107:108], v[117:118], v[111:112], v[107:108]
	s_waitcnt vmcnt(19)
	v_fma_f64 v[117:118], v[119:120], v[113:114], v[107:108]
	ds_read_b128 v[107:110], v106 offset:576
	ds_read_b128 v[111:114], v106 offset:592
	s_waitcnt vmcnt(18) lgkmcnt(1)
	v_fma_f64 v[107:108], v[125:126], v[107:108], v[117:118]
	s_waitcnt vmcnt(17)
	v_fma_f64 v[107:108], v[123:124], v[109:110], v[107:108]
	buffer_load_dword v118, off, s[0:3], 0 offset:252
	buffer_load_dword v119, off, s[0:3], 0 offset:272
	;; [unrolled: 1-line block ×7, first 2 shown]
	s_waitcnt vmcnt(23) lgkmcnt(0)
	v_fma_f64 v[107:108], v[121:122], v[111:112], v[107:108]
	s_waitcnt vmcnt(18)
	v_fma_f64 v[120:121], v[127:128], v[113:114], v[107:108]
	ds_read_b128 v[107:110], v106 offset:608
	ds_read_b128 v[111:114], v106 offset:624
	s_waitcnt vmcnt(17) lgkmcnt(1)
	v_fma_f64 v[107:108], v[135:136], v[107:108], v[120:121]
	buffer_load_dword v120, off, s[0:3], 0 offset:276
	s_waitcnt vmcnt(17)
	v_fma_f64 v[107:108], v[133:134], v[109:110], v[107:108]
	buffer_load_dword v122, off, s[0:3], 0 offset:284
	buffer_load_dword v127, off, s[0:3], 0 offset:304
	;; [unrolled: 1-line block ×7, first 2 shown]
	s_waitcnt vmcnt(23) lgkmcnt(0)
	v_fma_f64 v[107:108], v[129:130], v[111:112], v[107:108]
	s_waitcnt vmcnt(18)
	v_fma_f64 v[115:116], v[115:116], v[113:114], v[107:108]
	ds_read_b128 v[107:110], v106 offset:640
	ds_read_b128 v[111:114], v106 offset:656
	buffer_load_dword v128, off, s[0:3], 0 offset:308
	s_waitcnt vmcnt(18) lgkmcnt(1)
	v_fma_f64 v[107:108], v[139:140], v[107:108], v[115:116]
	s_waitcnt vmcnt(17)
	v_fma_f64 v[107:108], v[137:138], v[109:110], v[107:108]
	buffer_load_dword v116, off, s[0:3], 0 offset:316
	buffer_load_dword v129, off, s[0:3], 0 offset:336
	buffer_load_dword v137, off, s[0:3], 0 offset:328
	buffer_load_dword v139, off, s[0:3], 0 offset:320
	buffer_load_dword v115, off, s[0:3], 0 offset:312
	buffer_load_dword v140, off, s[0:3], 0 offset:324
	buffer_load_dword v138, off, s[0:3], 0 offset:332
	buffer_load_dword v130, off, s[0:3], 0 offset:340
	s_waitcnt vmcnt(24) lgkmcnt(0)
	v_fma_f64 v[107:108], v[131:132], v[111:112], v[107:108]
	s_waitcnt vmcnt(19)
	v_fma_f64 v[117:118], v[117:118], v[113:114], v[107:108]
	ds_read_b128 v[107:110], v106 offset:672
	ds_read_b128 v[111:114], v106 offset:688
	s_waitcnt vmcnt(18) lgkmcnt(1)
	v_fma_f64 v[107:108], v[125:126], v[107:108], v[117:118]
	s_waitcnt vmcnt(17)
	v_fma_f64 v[107:108], v[123:124], v[109:110], v[107:108]
	buffer_load_dword v118, off, s[0:3], 0 offset:348
	buffer_load_dword v123, off, s[0:3], 0 offset:368
	buffer_load_dword v125, off, s[0:3], 0 offset:360
	buffer_load_dword v131, off, s[0:3], 0 offset:352
	buffer_load_dword v117, off, s[0:3], 0 offset:344
	buffer_load_dword v132, off, s[0:3], 0 offset:356
	buffer_load_dword v126, off, s[0:3], 0 offset:364
	buffer_load_dword v124, off, s[0:3], 0 offset:372
	s_waitcnt vmcnt(24) lgkmcnt(0)
	v_fma_f64 v[107:108], v[119:120], v[111:112], v[107:108]
	s_waitcnt vmcnt(19)
	v_fma_f64 v[119:120], v[121:122], v[113:114], v[107:108]
	ds_read_b128 v[107:110], v106 offset:704
	ds_read_b128 v[111:114], v106 offset:720
	;; [unrolled: 18-line block ×3, first 2 shown]
	s_waitcnt vmcnt(18) lgkmcnt(1)
	v_fma_f64 v[107:108], v[139:140], v[107:108], v[115:116]
	buffer_load_dword v116, off, s[0:3], 0 offset:412
	buffer_load_dword v115, off, s[0:3], 0 offset:408
	;; [unrolled: 1-line block ×4, first 2 shown]
	s_waitcnt vmcnt(21)
	v_fma_f64 v[107:108], v[137:138], v[109:110], v[107:108]
	s_waitcnt vmcnt(20) lgkmcnt(0)
	v_fma_f64 v[107:108], v[129:130], v[111:112], v[107:108]
	s_waitcnt vmcnt(15)
	v_fma_f64 v[117:118], v[117:118], v[113:114], v[107:108]
	ds_read_b128 v[107:110], v106 offset:768
	ds_read_b128 v[111:114], v106 offset:784
	s_waitcnt vmcnt(14) lgkmcnt(1)
	v_fma_f64 v[107:108], v[131:132], v[107:108], v[117:118]
	s_waitcnt vmcnt(13)
	v_fma_f64 v[107:108], v[125:126], v[109:110], v[107:108]
	s_waitcnt vmcnt(12) lgkmcnt(0)
	v_fma_f64 v[107:108], v[123:124], v[111:112], v[107:108]
	s_waitcnt vmcnt(7)
	v_fma_f64 v[117:118], v[119:120], v[113:114], v[107:108]
	ds_read_b128 v[107:110], v106 offset:800
	ds_read_b128 v[111:114], v106 offset:816
	s_waitcnt vmcnt(6) lgkmcnt(1)
	v_fma_f64 v[106:107], v[135:136], v[107:108], v[117:118]
	s_waitcnt vmcnt(5)
	v_fma_f64 v[106:107], v[133:134], v[109:110], v[106:107]
	s_waitcnt vmcnt(4) lgkmcnt(0)
	v_fma_f64 v[106:107], v[121:122], v[111:112], v[106:107]
	s_waitcnt vmcnt(2)
	v_fma_f64 v[106:107], v[115:116], v[113:114], v[106:107]
	s_waitcnt vmcnt(0)
	v_add_f64 v[106:107], v[127:128], -v[106:107]
	buffer_store_dword v107, off, s[0:3], 0 offset:28
	buffer_store_dword v106, off, s[0:3], 0 offset:24
	s_and_saveexec_b64 s[4:5], vcc
	s_cbranch_execz .LBB51_315
; %bb.314:
	buffer_load_dword v106, off, s[0:3], 0 offset:16
	buffer_load_dword v107, off, s[0:3], 0 offset:20
	v_mov_b32_e32 v108, 0
	buffer_store_dword v108, off, s[0:3], 0 offset:16
	buffer_store_dword v108, off, s[0:3], 0 offset:20
	s_waitcnt vmcnt(2)
	ds_write_b64 v105, v[106:107]
.LBB51_315:
	s_or_b64 exec, exec, s[4:5]
	s_waitcnt lgkmcnt(0)
	; wave barrier
	buffer_load_dword v115, off, s[0:3], 0 offset:24
	buffer_load_dword v116, off, s[0:3], 0 offset:28
	;; [unrolled: 1-line block ×21, first 2 shown]
	v_mov_b32_e32 v106, 0
	ds_read2_b64 v[107:110], v106 offset0:55 offset1:56
	ds_read2_b64 v[111:114], v106 offset0:57 offset1:58
	buffer_load_dword v132, off, s[0:3], 0 offset:108
	v_cmp_lt_u32_e32 vcc, 1, v0
	s_waitcnt vmcnt(20) lgkmcnt(1)
	v_fma_f64 v[107:108], v[115:116], v[107:108], 0
	s_waitcnt vmcnt(18)
	v_fma_f64 v[107:108], v[117:118], v[109:110], v[107:108]
	buffer_load_dword v116, off, s[0:3], 0 offset:116
	buffer_load_dword v117, off, s[0:3], 0 offset:136
	buffer_load_dword v137, off, s[0:3], 0 offset:128
	buffer_load_dword v139, off, s[0:3], 0 offset:120
	buffer_load_dword v115, off, s[0:3], 0 offset:112
	buffer_load_dword v140, off, s[0:3], 0 offset:124
	buffer_load_dword v138, off, s[0:3], 0 offset:132
	s_waitcnt vmcnt(23) lgkmcnt(0)
	v_fma_f64 v[107:108], v[119:120], v[111:112], v[107:108]
	s_waitcnt vmcnt(21)
	v_fma_f64 v[118:119], v[121:122], v[113:114], v[107:108]
	ds_read2_b64 v[107:110], v106 offset0:59 offset1:60
	ds_read2_b64 v[111:114], v106 offset0:61 offset1:62
	s_waitcnt vmcnt(19) lgkmcnt(1)
	v_fma_f64 v[107:108], v[123:124], v[107:108], v[118:119]
	buffer_load_dword v118, off, s[0:3], 0 offset:140
	s_waitcnt vmcnt(18)
	v_fma_f64 v[107:108], v[125:126], v[109:110], v[107:108]
	buffer_load_dword v120, off, s[0:3], 0 offset:148
	buffer_load_dword v121, off, s[0:3], 0 offset:168
	;; [unrolled: 1-line block ×8, first 2 shown]
	s_waitcnt vmcnt(24) lgkmcnt(0)
	v_fma_f64 v[107:108], v[127:128], v[111:112], v[107:108]
	s_waitcnt vmcnt(19)
	v_fma_f64 v[127:128], v[129:130], v[113:114], v[107:108]
	ds_read2_b64 v[107:110], v106 offset0:63 offset1:64
	ds_read2_b64 v[111:114], v106 offset0:65 offset1:66
	s_waitcnt vmcnt(18) lgkmcnt(1)
	v_fma_f64 v[107:108], v[135:136], v[107:108], v[127:128]
	s_waitcnt vmcnt(17)
	v_fma_f64 v[107:108], v[133:134], v[109:110], v[107:108]
	buffer_load_dword v128, off, s[0:3], 0 offset:180
	buffer_load_dword v129, off, s[0:3], 0 offset:200
	;; [unrolled: 1-line block ×7, first 2 shown]
	s_waitcnt vmcnt(23) lgkmcnt(0)
	v_fma_f64 v[107:108], v[131:132], v[111:112], v[107:108]
	s_waitcnt vmcnt(18)
	v_fma_f64 v[115:116], v[115:116], v[113:114], v[107:108]
	ds_read2_b64 v[107:110], v106 offset0:67 offset1:68
	ds_read2_b64 v[111:114], v106 offset0:69 offset1:70
	buffer_load_dword v130, off, s[0:3], 0 offset:204
	s_waitcnt vmcnt(18) lgkmcnt(1)
	v_fma_f64 v[107:108], v[139:140], v[107:108], v[115:116]
	s_waitcnt vmcnt(17)
	v_fma_f64 v[107:108], v[137:138], v[109:110], v[107:108]
	buffer_load_dword v116, off, s[0:3], 0 offset:212
	buffer_load_dword v131, off, s[0:3], 0 offset:232
	buffer_load_dword v137, off, s[0:3], 0 offset:224
	buffer_load_dword v139, off, s[0:3], 0 offset:216
	buffer_load_dword v115, off, s[0:3], 0 offset:208
	buffer_load_dword v140, off, s[0:3], 0 offset:220
	buffer_load_dword v138, off, s[0:3], 0 offset:228
	s_waitcnt vmcnt(23) lgkmcnt(0)
	v_fma_f64 v[107:108], v[117:118], v[111:112], v[107:108]
	s_waitcnt vmcnt(18)
	v_fma_f64 v[117:118], v[119:120], v[113:114], v[107:108]
	ds_read2_b64 v[107:110], v106 offset0:71 offset1:72
	ds_read2_b64 v[111:114], v106 offset0:73 offset1:74
	buffer_load_dword v132, off, s[0:3], 0 offset:236
	s_waitcnt vmcnt(18) lgkmcnt(1)
	v_fma_f64 v[107:108], v[125:126], v[107:108], v[117:118]
	s_waitcnt vmcnt(17)
	v_fma_f64 v[107:108], v[123:124], v[109:110], v[107:108]
	buffer_load_dword v118, off, s[0:3], 0 offset:244
	buffer_load_dword v119, off, s[0:3], 0 offset:264
	;; [unrolled: 1-line block ×7, first 2 shown]
	s_waitcnt vmcnt(23) lgkmcnt(0)
	v_fma_f64 v[107:108], v[121:122], v[111:112], v[107:108]
	s_waitcnt vmcnt(18)
	v_fma_f64 v[120:121], v[127:128], v[113:114], v[107:108]
	ds_read2_b64 v[107:110], v106 offset0:75 offset1:76
	ds_read2_b64 v[111:114], v106 offset0:77 offset1:78
	s_waitcnt vmcnt(17) lgkmcnt(1)
	v_fma_f64 v[107:108], v[135:136], v[107:108], v[120:121]
	buffer_load_dword v120, off, s[0:3], 0 offset:268
	s_waitcnt vmcnt(17)
	v_fma_f64 v[107:108], v[133:134], v[109:110], v[107:108]
	buffer_load_dword v122, off, s[0:3], 0 offset:276
	buffer_load_dword v127, off, s[0:3], 0 offset:296
	;; [unrolled: 1-line block ×7, first 2 shown]
	s_waitcnt vmcnt(23) lgkmcnt(0)
	v_fma_f64 v[107:108], v[129:130], v[111:112], v[107:108]
	s_waitcnt vmcnt(18)
	v_fma_f64 v[115:116], v[115:116], v[113:114], v[107:108]
	ds_read2_b64 v[107:110], v106 offset0:79 offset1:80
	ds_read2_b64 v[111:114], v106 offset0:81 offset1:82
	buffer_load_dword v128, off, s[0:3], 0 offset:300
	s_waitcnt vmcnt(18) lgkmcnt(1)
	v_fma_f64 v[107:108], v[139:140], v[107:108], v[115:116]
	s_waitcnt vmcnt(17)
	v_fma_f64 v[107:108], v[137:138], v[109:110], v[107:108]
	buffer_load_dword v116, off, s[0:3], 0 offset:308
	buffer_load_dword v129, off, s[0:3], 0 offset:328
	;; [unrolled: 1-line block ×7, first 2 shown]
	s_waitcnt vmcnt(23) lgkmcnt(0)
	v_fma_f64 v[107:108], v[131:132], v[111:112], v[107:108]
	s_waitcnt vmcnt(18)
	v_fma_f64 v[117:118], v[117:118], v[113:114], v[107:108]
	ds_read2_b64 v[107:110], v106 offset0:83 offset1:84
	ds_read2_b64 v[111:114], v106 offset0:85 offset1:86
	buffer_load_dword v130, off, s[0:3], 0 offset:332
	s_waitcnt vmcnt(18) lgkmcnt(1)
	v_fma_f64 v[107:108], v[125:126], v[107:108], v[117:118]
	s_waitcnt vmcnt(17)
	v_fma_f64 v[107:108], v[123:124], v[109:110], v[107:108]
	buffer_load_dword v118, off, s[0:3], 0 offset:340
	buffer_load_dword v123, off, s[0:3], 0 offset:360
	;; [unrolled: 1-line block ×8, first 2 shown]
	s_waitcnt vmcnt(24) lgkmcnt(0)
	v_fma_f64 v[107:108], v[119:120], v[111:112], v[107:108]
	s_waitcnt vmcnt(19)
	v_fma_f64 v[119:120], v[121:122], v[113:114], v[107:108]
	ds_read2_b64 v[107:110], v106 offset0:87 offset1:88
	ds_read2_b64 v[111:114], v106 offset0:89 offset1:90
	s_waitcnt vmcnt(18) lgkmcnt(1)
	v_fma_f64 v[107:108], v[135:136], v[107:108], v[119:120]
	s_waitcnt vmcnt(17)
	v_fma_f64 v[107:108], v[133:134], v[109:110], v[107:108]
	buffer_load_dword v120, off, s[0:3], 0 offset:372
	buffer_load_dword v121, off, s[0:3], 0 offset:392
	buffer_load_dword v133, off, s[0:3], 0 offset:384
	buffer_load_dword v135, off, s[0:3], 0 offset:376
	buffer_load_dword v119, off, s[0:3], 0 offset:368
	buffer_load_dword v136, off, s[0:3], 0 offset:380
	buffer_load_dword v134, off, s[0:3], 0 offset:388
	s_waitcnt vmcnt(23) lgkmcnt(0)
	v_fma_f64 v[107:108], v[127:128], v[111:112], v[107:108]
	s_waitcnt vmcnt(18)
	v_fma_f64 v[115:116], v[115:116], v[113:114], v[107:108]
	ds_read2_b64 v[107:110], v106 offset0:91 offset1:92
	ds_read2_b64 v[111:114], v106 offset0:93 offset1:94
	buffer_load_dword v122, off, s[0:3], 0 offset:396
	s_waitcnt vmcnt(18) lgkmcnt(1)
	v_fma_f64 v[107:108], v[139:140], v[107:108], v[115:116]
	buffer_load_dword v116, off, s[0:3], 0 offset:404
	buffer_load_dword v127, off, s[0:3], 0 offset:408
	;; [unrolled: 1-line block ×4, first 2 shown]
	s_waitcnt vmcnt(21)
	v_fma_f64 v[107:108], v[137:138], v[109:110], v[107:108]
	s_waitcnt vmcnt(20) lgkmcnt(0)
	v_fma_f64 v[107:108], v[129:130], v[111:112], v[107:108]
	buffer_load_dword v129, off, s[0:3], 0 offset:16
	buffer_load_dword v130, off, s[0:3], 0 offset:20
	s_waitcnt vmcnt(17)
	v_fma_f64 v[117:118], v[117:118], v[113:114], v[107:108]
	ds_read2_b64 v[107:110], v106 offset0:95 offset1:96
	ds_read2_b64 v[111:114], v106 offset0:97 offset1:98
	s_waitcnt vmcnt(16) lgkmcnt(1)
	v_fma_f64 v[107:108], v[131:132], v[107:108], v[117:118]
	s_waitcnt vmcnt(15)
	v_fma_f64 v[107:108], v[125:126], v[109:110], v[107:108]
	s_waitcnt vmcnt(14) lgkmcnt(0)
	v_fma_f64 v[107:108], v[123:124], v[111:112], v[107:108]
	s_waitcnt vmcnt(9)
	v_fma_f64 v[117:118], v[119:120], v[113:114], v[107:108]
	ds_read2_b64 v[107:110], v106 offset0:99 offset1:100
	ds_read2_b64 v[111:114], v106 offset0:101 offset1:102
	s_waitcnt vmcnt(8) lgkmcnt(1)
	v_fma_f64 v[107:108], v[135:136], v[107:108], v[117:118]
	s_waitcnt vmcnt(7)
	v_fma_f64 v[107:108], v[133:134], v[109:110], v[107:108]
	ds_read_b64 v[109:110], v106 offset:824
	s_waitcnt vmcnt(6) lgkmcnt(1)
	v_fma_f64 v[107:108], v[121:122], v[111:112], v[107:108]
	s_waitcnt vmcnt(3)
	v_fma_f64 v[107:108], v[115:116], v[113:114], v[107:108]
	s_waitcnt vmcnt(2) lgkmcnt(0)
	v_fma_f64 v[107:108], v[127:128], v[109:110], v[107:108]
	s_waitcnt vmcnt(0)
	v_add_f64 v[107:108], v[129:130], -v[107:108]
	buffer_store_dword v108, off, s[0:3], 0 offset:20
	buffer_store_dword v107, off, s[0:3], 0 offset:16
	s_and_saveexec_b64 s[4:5], vcc
	s_cbranch_execz .LBB51_317
; %bb.316:
	buffer_load_dword v107, off, s[0:3], 0 offset:8
	buffer_load_dword v108, off, s[0:3], 0 offset:12
	s_waitcnt vmcnt(0)
	ds_write_b64 v105, v[107:108]
	buffer_store_dword v106, off, s[0:3], 0 offset:8
	buffer_store_dword v106, off, s[0:3], 0 offset:12
.LBB51_317:
	s_or_b64 exec, exec, s[4:5]
	s_waitcnt lgkmcnt(0)
	; wave barrier
	buffer_load_dword v115, off, s[0:3], 0 offset:16
	buffer_load_dword v116, off, s[0:3], 0 offset:20
	;; [unrolled: 1-line block ×22, first 2 shown]
	ds_read_b128 v[107:110], v106 offset:432
	ds_read_b128 v[111:114], v106 offset:448
	v_cmp_ne_u32_e32 vcc, 0, v0
	s_waitcnt vmcnt(20) lgkmcnt(1)
	v_fma_f64 v[107:108], v[115:116], v[107:108], 0
	s_waitcnt vmcnt(18)
	v_fma_f64 v[107:108], v[117:118], v[109:110], v[107:108]
	buffer_load_dword v116, off, s[0:3], 0 offset:108
	buffer_load_dword v117, off, s[0:3], 0 offset:128
	;; [unrolled: 1-line block ×7, first 2 shown]
	s_waitcnt vmcnt(23) lgkmcnt(0)
	v_fma_f64 v[107:108], v[119:120], v[111:112], v[107:108]
	s_waitcnt vmcnt(21)
	v_fma_f64 v[118:119], v[121:122], v[113:114], v[107:108]
	ds_read_b128 v[107:110], v106 offset:464
	ds_read_b128 v[111:114], v106 offset:480
	s_waitcnt vmcnt(19) lgkmcnt(1)
	v_fma_f64 v[107:108], v[123:124], v[107:108], v[118:119]
	buffer_load_dword v118, off, s[0:3], 0 offset:132
	s_waitcnt vmcnt(18)
	v_fma_f64 v[107:108], v[125:126], v[109:110], v[107:108]
	buffer_load_dword v120, off, s[0:3], 0 offset:140
	buffer_load_dword v121, off, s[0:3], 0 offset:160
	;; [unrolled: 1-line block ×8, first 2 shown]
	s_waitcnt vmcnt(24) lgkmcnt(0)
	v_fma_f64 v[107:108], v[127:128], v[111:112], v[107:108]
	s_waitcnt vmcnt(19)
	v_fma_f64 v[127:128], v[129:130], v[113:114], v[107:108]
	ds_read_b128 v[107:110], v106 offset:496
	ds_read_b128 v[111:114], v106 offset:512
	s_waitcnt vmcnt(18) lgkmcnt(1)
	v_fma_f64 v[107:108], v[135:136], v[107:108], v[127:128]
	s_waitcnt vmcnt(17)
	v_fma_f64 v[107:108], v[133:134], v[109:110], v[107:108]
	buffer_load_dword v128, off, s[0:3], 0 offset:172
	buffer_load_dword v129, off, s[0:3], 0 offset:192
	;; [unrolled: 1-line block ×8, first 2 shown]
	s_waitcnt vmcnt(24) lgkmcnt(0)
	v_fma_f64 v[107:108], v[131:132], v[111:112], v[107:108]
	s_waitcnt vmcnt(19)
	v_fma_f64 v[115:116], v[115:116], v[113:114], v[107:108]
	ds_read_b128 v[107:110], v106 offset:528
	ds_read_b128 v[111:114], v106 offset:544
	s_waitcnt vmcnt(18) lgkmcnt(1)
	v_fma_f64 v[107:108], v[139:140], v[107:108], v[115:116]
	s_waitcnt vmcnt(17)
	v_fma_f64 v[107:108], v[137:138], v[109:110], v[107:108]
	buffer_load_dword v116, off, s[0:3], 0 offset:204
	buffer_load_dword v131, off, s[0:3], 0 offset:224
	;; [unrolled: 1-line block ×7, first 2 shown]
	s_waitcnt vmcnt(23) lgkmcnt(0)
	v_fma_f64 v[107:108], v[117:118], v[111:112], v[107:108]
	s_waitcnt vmcnt(18)
	v_fma_f64 v[117:118], v[119:120], v[113:114], v[107:108]
	ds_read_b128 v[107:110], v106 offset:560
	ds_read_b128 v[111:114], v106 offset:576
	buffer_load_dword v132, off, s[0:3], 0 offset:228
	s_waitcnt vmcnt(18) lgkmcnt(1)
	v_fma_f64 v[107:108], v[125:126], v[107:108], v[117:118]
	s_waitcnt vmcnt(17)
	v_fma_f64 v[107:108], v[123:124], v[109:110], v[107:108]
	buffer_load_dword v118, off, s[0:3], 0 offset:236
	buffer_load_dword v119, off, s[0:3], 0 offset:256
	;; [unrolled: 1-line block ×7, first 2 shown]
	s_waitcnt vmcnt(23) lgkmcnt(0)
	v_fma_f64 v[107:108], v[121:122], v[111:112], v[107:108]
	s_waitcnt vmcnt(18)
	v_fma_f64 v[120:121], v[127:128], v[113:114], v[107:108]
	ds_read_b128 v[107:110], v106 offset:592
	ds_read_b128 v[111:114], v106 offset:608
	s_waitcnt vmcnt(17) lgkmcnt(1)
	v_fma_f64 v[107:108], v[135:136], v[107:108], v[120:121]
	buffer_load_dword v120, off, s[0:3], 0 offset:260
	s_waitcnt vmcnt(17)
	v_fma_f64 v[107:108], v[133:134], v[109:110], v[107:108]
	buffer_load_dword v122, off, s[0:3], 0 offset:268
	buffer_load_dword v127, off, s[0:3], 0 offset:288
	;; [unrolled: 1-line block ×8, first 2 shown]
	s_waitcnt vmcnt(24) lgkmcnt(0)
	v_fma_f64 v[107:108], v[129:130], v[111:112], v[107:108]
	s_waitcnt vmcnt(19)
	v_fma_f64 v[115:116], v[115:116], v[113:114], v[107:108]
	ds_read_b128 v[107:110], v106 offset:624
	ds_read_b128 v[111:114], v106 offset:640
	s_waitcnt vmcnt(18) lgkmcnt(1)
	v_fma_f64 v[107:108], v[139:140], v[107:108], v[115:116]
	s_waitcnt vmcnt(17)
	v_fma_f64 v[107:108], v[137:138], v[109:110], v[107:108]
	buffer_load_dword v116, off, s[0:3], 0 offset:300
	buffer_load_dword v129, off, s[0:3], 0 offset:320
	;; [unrolled: 1-line block ×7, first 2 shown]
	s_waitcnt vmcnt(23) lgkmcnt(0)
	v_fma_f64 v[107:108], v[131:132], v[111:112], v[107:108]
	s_waitcnt vmcnt(18)
	v_fma_f64 v[117:118], v[117:118], v[113:114], v[107:108]
	ds_read_b128 v[107:110], v106 offset:656
	ds_read_b128 v[111:114], v106 offset:672
	buffer_load_dword v130, off, s[0:3], 0 offset:324
	s_waitcnt vmcnt(18) lgkmcnt(1)
	v_fma_f64 v[107:108], v[125:126], v[107:108], v[117:118]
	s_waitcnt vmcnt(17)
	v_fma_f64 v[107:108], v[123:124], v[109:110], v[107:108]
	buffer_load_dword v118, off, s[0:3], 0 offset:332
	buffer_load_dword v123, off, s[0:3], 0 offset:352
	buffer_load_dword v125, off, s[0:3], 0 offset:344
	buffer_load_dword v131, off, s[0:3], 0 offset:336
	buffer_load_dword v117, off, s[0:3], 0 offset:328
	buffer_load_dword v132, off, s[0:3], 0 offset:340
	buffer_load_dword v126, off, s[0:3], 0 offset:348
	buffer_load_dword v124, off, s[0:3], 0 offset:356
	s_waitcnt vmcnt(24) lgkmcnt(0)
	v_fma_f64 v[107:108], v[119:120], v[111:112], v[107:108]
	s_waitcnt vmcnt(19)
	v_fma_f64 v[119:120], v[121:122], v[113:114], v[107:108]
	ds_read_b128 v[107:110], v106 offset:688
	ds_read_b128 v[111:114], v106 offset:704
	s_waitcnt vmcnt(18) lgkmcnt(1)
	v_fma_f64 v[107:108], v[135:136], v[107:108], v[119:120]
	s_waitcnt vmcnt(17)
	v_fma_f64 v[107:108], v[133:134], v[109:110], v[107:108]
	buffer_load_dword v120, off, s[0:3], 0 offset:364
	buffer_load_dword v121, off, s[0:3], 0 offset:384
	;; [unrolled: 1-line block ×8, first 2 shown]
	s_waitcnt vmcnt(24) lgkmcnt(0)
	v_fma_f64 v[107:108], v[127:128], v[111:112], v[107:108]
	s_waitcnt vmcnt(19)
	v_fma_f64 v[115:116], v[115:116], v[113:114], v[107:108]
	ds_read_b128 v[107:110], v106 offset:720
	ds_read_b128 v[111:114], v106 offset:736
	s_waitcnt vmcnt(18) lgkmcnt(1)
	v_fma_f64 v[107:108], v[139:140], v[107:108], v[115:116]
	s_waitcnt vmcnt(17)
	v_fma_f64 v[107:108], v[137:138], v[109:110], v[107:108]
	buffer_load_dword v116, off, s[0:3], 0 offset:396
	buffer_load_dword v127, off, s[0:3], 0 offset:408
	;; [unrolled: 1-line block ×6, first 2 shown]
	s_waitcnt vmcnt(22) lgkmcnt(0)
	v_fma_f64 v[107:108], v[129:130], v[111:112], v[107:108]
	s_waitcnt vmcnt(17)
	v_fma_f64 v[117:118], v[117:118], v[113:114], v[107:108]
	ds_read_b128 v[107:110], v106 offset:752
	buffer_load_dword v129, off, s[0:3], 0 offset:8
	buffer_load_dword v130, off, s[0:3], 0 offset:12
	ds_read_b128 v[111:114], v106 offset:768
	s_waitcnt vmcnt(18) lgkmcnt(1)
	v_fma_f64 v[107:108], v[131:132], v[107:108], v[117:118]
	s_waitcnt vmcnt(17)
	v_fma_f64 v[107:108], v[125:126], v[109:110], v[107:108]
	s_waitcnt vmcnt(16) lgkmcnt(0)
	v_fma_f64 v[107:108], v[123:124], v[111:112], v[107:108]
	s_waitcnt vmcnt(11)
	v_fma_f64 v[117:118], v[119:120], v[113:114], v[107:108]
	ds_read_b128 v[107:110], v106 offset:784
	ds_read_b128 v[111:114], v106 offset:800
	s_waitcnt vmcnt(10) lgkmcnt(1)
	v_fma_f64 v[107:108], v[135:136], v[107:108], v[117:118]
	s_waitcnt vmcnt(9)
	v_fma_f64 v[107:108], v[133:134], v[109:110], v[107:108]
	s_waitcnt vmcnt(8) lgkmcnt(0)
	v_fma_f64 v[107:108], v[121:122], v[111:112], v[107:108]
	s_waitcnt vmcnt(4)
	v_fma_f64 v[110:111], v[115:116], v[113:114], v[107:108]
	ds_read_b128 v[106:109], v106 offset:816
	s_waitcnt vmcnt(3) lgkmcnt(0)
	v_fma_f64 v[106:107], v[137:138], v[106:107], v[110:111]
	s_waitcnt vmcnt(2)
	v_fma_f64 v[106:107], v[127:128], v[108:109], v[106:107]
	s_waitcnt vmcnt(0)
	v_add_f64 v[106:107], v[129:130], -v[106:107]
	buffer_store_dword v107, off, s[0:3], 0 offset:12
	buffer_store_dword v106, off, s[0:3], 0 offset:8
	s_and_saveexec_b64 s[4:5], vcc
	s_cbranch_execz .LBB51_319
; %bb.318:
	buffer_load_dword v106, off, s[0:3], 0
	buffer_load_dword v107, off, s[0:3], 0 offset:4
	v_mov_b32_e32 v0, 0
	buffer_store_dword v0, off, s[0:3], 0
	buffer_store_dword v0, off, s[0:3], 0 offset:4
	s_waitcnt vmcnt(2)
	ds_write_b64 v105, v[106:107]
.LBB51_319:
	s_or_b64 exec, exec, s[4:5]
	s_waitcnt lgkmcnt(0)
	; wave barrier
	buffer_load_dword v113, off, s[0:3], 0 offset:8
	buffer_load_dword v114, off, s[0:3], 0 offset:12
	;; [unrolled: 1-line block ×22, first 2 shown]
	v_mov_b32_e32 v0, 0
	ds_read2_b64 v[105:108], v0 offset0:53 offset1:54
	ds_read2_b64 v[109:112], v0 offset0:55 offset1:56
	s_and_b64 vcc, exec, s[22:23]
	s_waitcnt vmcnt(20) lgkmcnt(1)
	v_fma_f64 v[105:106], v[113:114], v[105:106], 0
	s_waitcnt vmcnt(18)
	v_fma_f64 v[105:106], v[115:116], v[107:108], v[105:106]
	buffer_load_dword v114, off, s[0:3], 0 offset:100
	buffer_load_dword v115, off, s[0:3], 0 offset:120
	;; [unrolled: 1-line block ×7, first 2 shown]
	s_waitcnt vmcnt(23) lgkmcnt(0)
	v_fma_f64 v[105:106], v[117:118], v[109:110], v[105:106]
	s_waitcnt vmcnt(21)
	v_fma_f64 v[116:117], v[119:120], v[111:112], v[105:106]
	ds_read2_b64 v[105:108], v0 offset0:57 offset1:58
	ds_read2_b64 v[109:112], v0 offset0:59 offset1:60
	s_waitcnt vmcnt(19) lgkmcnt(1)
	v_fma_f64 v[105:106], v[121:122], v[105:106], v[116:117]
	buffer_load_dword v116, off, s[0:3], 0 offset:124
	s_waitcnt vmcnt(18)
	v_fma_f64 v[105:106], v[123:124], v[107:108], v[105:106]
	buffer_load_dword v118, off, s[0:3], 0 offset:132
	buffer_load_dword v119, off, s[0:3], 0 offset:152
	;; [unrolled: 1-line block ×8, first 2 shown]
	s_waitcnt vmcnt(24) lgkmcnt(0)
	v_fma_f64 v[105:106], v[125:126], v[109:110], v[105:106]
	s_waitcnt vmcnt(19)
	v_fma_f64 v[125:126], v[127:128], v[111:112], v[105:106]
	ds_read2_b64 v[105:108], v0 offset0:61 offset1:62
	ds_read2_b64 v[109:112], v0 offset0:63 offset1:64
	s_waitcnt vmcnt(18) lgkmcnt(1)
	v_fma_f64 v[105:106], v[133:134], v[105:106], v[125:126]
	s_waitcnt vmcnt(17)
	v_fma_f64 v[105:106], v[131:132], v[107:108], v[105:106]
	buffer_load_dword v126, off, s[0:3], 0 offset:164
	buffer_load_dword v127, off, s[0:3], 0 offset:184
	buffer_load_dword v131, off, s[0:3], 0 offset:176
	buffer_load_dword v133, off, s[0:3], 0 offset:168
	buffer_load_dword v125, off, s[0:3], 0 offset:160
	buffer_load_dword v134, off, s[0:3], 0 offset:172
	buffer_load_dword v132, off, s[0:3], 0 offset:180
	buffer_load_dword v128, off, s[0:3], 0 offset:188
	s_waitcnt vmcnt(24) lgkmcnt(0)
	v_fma_f64 v[105:106], v[129:130], v[109:110], v[105:106]
	s_waitcnt vmcnt(19)
	v_fma_f64 v[113:114], v[113:114], v[111:112], v[105:106]
	ds_read2_b64 v[105:108], v0 offset0:65 offset1:66
	ds_read2_b64 v[109:112], v0 offset0:67 offset1:68
	s_waitcnt vmcnt(18) lgkmcnt(1)
	v_fma_f64 v[105:106], v[137:138], v[105:106], v[113:114]
	s_waitcnt vmcnt(17)
	v_fma_f64 v[105:106], v[135:136], v[107:108], v[105:106]
	buffer_load_dword v114, off, s[0:3], 0 offset:196
	buffer_load_dword v129, off, s[0:3], 0 offset:216
	;; [unrolled: 1-line block ×7, first 2 shown]
	s_waitcnt vmcnt(23) lgkmcnt(0)
	v_fma_f64 v[105:106], v[115:116], v[109:110], v[105:106]
	s_waitcnt vmcnt(18)
	v_fma_f64 v[115:116], v[117:118], v[111:112], v[105:106]
	ds_read2_b64 v[105:108], v0 offset0:69 offset1:70
	ds_read2_b64 v[109:112], v0 offset0:71 offset1:72
	buffer_load_dword v130, off, s[0:3], 0 offset:220
	s_waitcnt vmcnt(18) lgkmcnt(1)
	v_fma_f64 v[105:106], v[123:124], v[105:106], v[115:116]
	s_waitcnt vmcnt(17)
	v_fma_f64 v[105:106], v[121:122], v[107:108], v[105:106]
	buffer_load_dword v116, off, s[0:3], 0 offset:228
	buffer_load_dword v117, off, s[0:3], 0 offset:248
	;; [unrolled: 1-line block ×7, first 2 shown]
	s_waitcnt vmcnt(23) lgkmcnt(0)
	v_fma_f64 v[105:106], v[119:120], v[109:110], v[105:106]
	s_waitcnt vmcnt(18)
	v_fma_f64 v[118:119], v[125:126], v[111:112], v[105:106]
	ds_read2_b64 v[105:108], v0 offset0:73 offset1:74
	ds_read2_b64 v[109:112], v0 offset0:75 offset1:76
	s_waitcnt vmcnt(17) lgkmcnt(1)
	v_fma_f64 v[105:106], v[133:134], v[105:106], v[118:119]
	buffer_load_dword v118, off, s[0:3], 0 offset:252
	s_waitcnt vmcnt(17)
	v_fma_f64 v[105:106], v[131:132], v[107:108], v[105:106]
	buffer_load_dword v120, off, s[0:3], 0 offset:260
	buffer_load_dword v125, off, s[0:3], 0 offset:280
	;; [unrolled: 1-line block ×8, first 2 shown]
	s_waitcnt vmcnt(24) lgkmcnt(0)
	v_fma_f64 v[105:106], v[127:128], v[109:110], v[105:106]
	s_waitcnt vmcnt(19)
	v_fma_f64 v[113:114], v[113:114], v[111:112], v[105:106]
	ds_read2_b64 v[105:108], v0 offset0:77 offset1:78
	ds_read2_b64 v[109:112], v0 offset0:79 offset1:80
	s_waitcnt vmcnt(18) lgkmcnt(1)
	v_fma_f64 v[105:106], v[137:138], v[105:106], v[113:114]
	s_waitcnt vmcnt(17)
	v_fma_f64 v[105:106], v[135:136], v[107:108], v[105:106]
	buffer_load_dword v114, off, s[0:3], 0 offset:292
	buffer_load_dword v127, off, s[0:3], 0 offset:312
	;; [unrolled: 1-line block ×7, first 2 shown]
	s_waitcnt vmcnt(23) lgkmcnt(0)
	v_fma_f64 v[105:106], v[129:130], v[109:110], v[105:106]
	s_waitcnt vmcnt(18)
	v_fma_f64 v[115:116], v[115:116], v[111:112], v[105:106]
	ds_read2_b64 v[105:108], v0 offset0:81 offset1:82
	ds_read2_b64 v[109:112], v0 offset0:83 offset1:84
	buffer_load_dword v128, off, s[0:3], 0 offset:316
	s_waitcnt vmcnt(18) lgkmcnt(1)
	v_fma_f64 v[105:106], v[123:124], v[105:106], v[115:116]
	s_waitcnt vmcnt(17)
	v_fma_f64 v[105:106], v[121:122], v[107:108], v[105:106]
	buffer_load_dword v116, off, s[0:3], 0 offset:324
	buffer_load_dword v121, off, s[0:3], 0 offset:344
	buffer_load_dword v123, off, s[0:3], 0 offset:336
	buffer_load_dword v129, off, s[0:3], 0 offset:328
	buffer_load_dword v115, off, s[0:3], 0 offset:320
	buffer_load_dword v130, off, s[0:3], 0 offset:332
	buffer_load_dword v124, off, s[0:3], 0 offset:340
	buffer_load_dword v122, off, s[0:3], 0 offset:348
	s_waitcnt vmcnt(24) lgkmcnt(0)
	v_fma_f64 v[105:106], v[117:118], v[109:110], v[105:106]
	s_waitcnt vmcnt(19)
	v_fma_f64 v[117:118], v[119:120], v[111:112], v[105:106]
	ds_read2_b64 v[105:108], v0 offset0:85 offset1:86
	ds_read2_b64 v[109:112], v0 offset0:87 offset1:88
	s_waitcnt vmcnt(18) lgkmcnt(1)
	v_fma_f64 v[105:106], v[133:134], v[105:106], v[117:118]
	s_waitcnt vmcnt(17)
	v_fma_f64 v[105:106], v[131:132], v[107:108], v[105:106]
	buffer_load_dword v118, off, s[0:3], 0 offset:356
	buffer_load_dword v119, off, s[0:3], 0 offset:376
	buffer_load_dword v131, off, s[0:3], 0 offset:368
	buffer_load_dword v133, off, s[0:3], 0 offset:360
	buffer_load_dword v117, off, s[0:3], 0 offset:352
	buffer_load_dword v134, off, s[0:3], 0 offset:364
	buffer_load_dword v132, off, s[0:3], 0 offset:372
	buffer_load_dword v120, off, s[0:3], 0 offset:380
	s_waitcnt vmcnt(24) lgkmcnt(0)
	v_fma_f64 v[105:106], v[125:126], v[109:110], v[105:106]
	s_waitcnt vmcnt(19)
	v_fma_f64 v[113:114], v[113:114], v[111:112], v[105:106]
	ds_read2_b64 v[105:108], v0 offset0:89 offset1:90
	ds_read2_b64 v[109:112], v0 offset0:91 offset1:92
	s_waitcnt vmcnt(18) lgkmcnt(1)
	v_fma_f64 v[105:106], v[137:138], v[105:106], v[113:114]
	s_waitcnt vmcnt(17)
	v_fma_f64 v[105:106], v[135:136], v[107:108], v[105:106]
	buffer_load_dword v126, off, s[0:3], 0 offset:388
	buffer_load_dword v135, off, s[0:3], 0 offset:408
	buffer_load_dword v107, off, s[0:3], 0 offset:400
	buffer_load_dword v137, off, s[0:3], 0 offset:392
	buffer_load_dword v125, off, s[0:3], 0 offset:384
	buffer_load_dword v138, off, s[0:3], 0 offset:396
	buffer_load_dword v108, off, s[0:3], 0 offset:404
	buffer_load_dword v136, off, s[0:3], 0 offset:412
	s_waitcnt vmcnt(24) lgkmcnt(0)
	v_fma_f64 v[105:106], v[127:128], v[109:110], v[105:106]
	s_waitcnt vmcnt(19)
	v_fma_f64 v[105:106], v[115:116], v[111:112], v[105:106]
	ds_read2_b64 v[109:112], v0 offset0:93 offset1:94
	ds_read2_b64 v[113:116], v0 offset0:95 offset1:96
	buffer_load_dword v127, off, s[0:3], 0
	buffer_load_dword v128, off, s[0:3], 0 offset:4
	s_waitcnt vmcnt(20) lgkmcnt(1)
	v_fma_f64 v[105:106], v[129:130], v[109:110], v[105:106]
	s_waitcnt vmcnt(19)
	v_fma_f64 v[105:106], v[123:124], v[111:112], v[105:106]
	s_waitcnt vmcnt(18) lgkmcnt(0)
	v_fma_f64 v[105:106], v[121:122], v[113:114], v[105:106]
	s_waitcnt vmcnt(13)
	v_fma_f64 v[105:106], v[117:118], v[115:116], v[105:106]
	ds_read2_b64 v[109:112], v0 offset0:97 offset1:98
	ds_read2_b64 v[113:116], v0 offset0:99 offset1:100
	s_waitcnt vmcnt(12) lgkmcnt(1)
	v_fma_f64 v[105:106], v[133:134], v[109:110], v[105:106]
	s_waitcnt vmcnt(11)
	v_fma_f64 v[105:106], v[131:132], v[111:112], v[105:106]
	s_waitcnt vmcnt(10) lgkmcnt(0)
	v_fma_f64 v[105:106], v[119:120], v[113:114], v[105:106]
	ds_read2_b64 v[109:112], v0 offset0:101 offset1:102
	ds_read_b64 v[113:114], v0 offset:824
	s_waitcnt vmcnt(5)
	v_fma_f64 v[105:106], v[125:126], v[115:116], v[105:106]
	s_waitcnt vmcnt(4) lgkmcnt(1)
	v_fma_f64 v[105:106], v[137:138], v[109:110], v[105:106]
	s_waitcnt vmcnt(3)
	v_fma_f64 v[105:106], v[107:108], v[111:112], v[105:106]
	s_waitcnt vmcnt(2) lgkmcnt(0)
	v_fma_f64 v[105:106], v[135:136], v[113:114], v[105:106]
	s_waitcnt vmcnt(0)
	v_add_f64 v[105:106], v[127:128], -v[105:106]
	buffer_store_dword v106, off, s[0:3], 0 offset:4
	buffer_store_dword v105, off, s[0:3], 0
	s_cbranch_vccz .LBB51_422
; %bb.320:
	global_load_dword v0, v0, s[20:21] offset:200
	s_waitcnt vmcnt(0)
	v_add_u32_e32 v0, -1, v0
	v_cmp_ne_u32_e32 vcc, 50, v0
	s_cbranch_vccz .LBB51_322
; %bb.321:
	v_lshlrev_b32_e32 v0, 3, v0
	buffer_load_dword v105, v0, s[0:3], 0 offen offset:4
	buffer_load_dword v106, v0, s[0:3], 0 offen
	s_waitcnt vmcnt(1)
	buffer_store_dword v105, off, s[0:3], 0 offset:404
	s_waitcnt vmcnt(1)
	buffer_store_dword v106, off, s[0:3], 0 offset:400
	buffer_store_dword v108, v0, s[0:3], 0 offen offset:4
	buffer_store_dword v107, v0, s[0:3], 0 offen
.LBB51_322:
	v_mov_b32_e32 v0, 0
	global_load_dword v105, v0, s[20:21] offset:196
	s_waitcnt vmcnt(0)
	v_add_u32_e32 v105, -1, v105
	v_cmp_eq_u32_e32 vcc, 49, v105
	s_cbranch_vccnz .LBB51_324
; %bb.323:
	v_lshlrev_b32_e32 v105, 3, v105
	buffer_load_dword v106, v105, s[0:3], 0 offen
	buffer_load_dword v107, v105, s[0:3], 0 offen offset:4
	buffer_load_dword v108, off, s[0:3], 0 offset:392
	buffer_load_dword v109, off, s[0:3], 0 offset:396
	s_waitcnt vmcnt(3)
	buffer_store_dword v106, off, s[0:3], 0 offset:392
	s_waitcnt vmcnt(3)
	buffer_store_dword v107, off, s[0:3], 0 offset:396
	s_waitcnt vmcnt(3)
	buffer_store_dword v108, v105, s[0:3], 0 offen
	s_waitcnt vmcnt(3)
	buffer_store_dword v109, v105, s[0:3], 0 offen offset:4
.LBB51_324:
	global_load_dword v0, v0, s[20:21] offset:192
	s_waitcnt vmcnt(0)
	v_add_u32_e32 v0, -1, v0
	v_cmp_eq_u32_e32 vcc, 48, v0
	s_cbranch_vccnz .LBB51_326
; %bb.325:
	v_lshlrev_b32_e32 v0, 3, v0
	buffer_load_dword v105, v0, s[0:3], 0 offen
	buffer_load_dword v106, v0, s[0:3], 0 offen offset:4
	buffer_load_dword v107, off, s[0:3], 0 offset:388
	buffer_load_dword v108, off, s[0:3], 0 offset:384
	s_waitcnt vmcnt(3)
	buffer_store_dword v105, off, s[0:3], 0 offset:384
	s_waitcnt vmcnt(3)
	buffer_store_dword v106, off, s[0:3], 0 offset:388
	s_waitcnt vmcnt(3)
	buffer_store_dword v107, v0, s[0:3], 0 offen offset:4
	s_waitcnt vmcnt(3)
	buffer_store_dword v108, v0, s[0:3], 0 offen
.LBB51_326:
	v_mov_b32_e32 v0, 0
	global_load_dword v105, v0, s[20:21] offset:188
	s_waitcnt vmcnt(0)
	v_add_u32_e32 v105, -1, v105
	v_cmp_eq_u32_e32 vcc, 47, v105
	s_cbranch_vccnz .LBB51_328
; %bb.327:
	v_lshlrev_b32_e32 v105, 3, v105
	buffer_load_dword v106, v105, s[0:3], 0 offen
	buffer_load_dword v107, v105, s[0:3], 0 offen offset:4
	buffer_load_dword v108, off, s[0:3], 0 offset:376
	buffer_load_dword v109, off, s[0:3], 0 offset:380
	s_waitcnt vmcnt(3)
	buffer_store_dword v106, off, s[0:3], 0 offset:376
	s_waitcnt vmcnt(3)
	buffer_store_dword v107, off, s[0:3], 0 offset:380
	s_waitcnt vmcnt(3)
	buffer_store_dword v108, v105, s[0:3], 0 offen
	s_waitcnt vmcnt(3)
	buffer_store_dword v109, v105, s[0:3], 0 offen offset:4
.LBB51_328:
	global_load_dword v0, v0, s[20:21] offset:184
	s_waitcnt vmcnt(0)
	v_add_u32_e32 v0, -1, v0
	v_cmp_eq_u32_e32 vcc, 46, v0
	s_cbranch_vccnz .LBB51_330
; %bb.329:
	v_lshlrev_b32_e32 v0, 3, v0
	buffer_load_dword v105, v0, s[0:3], 0 offen
	buffer_load_dword v106, v0, s[0:3], 0 offen offset:4
	buffer_load_dword v107, off, s[0:3], 0 offset:372
	buffer_load_dword v108, off, s[0:3], 0 offset:368
	s_waitcnt vmcnt(3)
	buffer_store_dword v105, off, s[0:3], 0 offset:368
	s_waitcnt vmcnt(3)
	buffer_store_dword v106, off, s[0:3], 0 offset:372
	s_waitcnt vmcnt(3)
	buffer_store_dword v107, v0, s[0:3], 0 offen offset:4
	s_waitcnt vmcnt(3)
	buffer_store_dword v108, v0, s[0:3], 0 offen
.LBB51_330:
	;; [unrolled: 41-line block ×24, first 2 shown]
	v_mov_b32_e32 v0, 0
	global_load_dword v105, v0, s[20:21] offset:4
	s_waitcnt vmcnt(0)
	v_add_u32_e32 v105, -1, v105
	v_cmp_eq_u32_e32 vcc, 1, v105
	s_cbranch_vccnz .LBB51_420
; %bb.419:
	v_lshlrev_b32_e32 v105, 3, v105
	buffer_load_dword v106, v105, s[0:3], 0 offen
	buffer_load_dword v107, v105, s[0:3], 0 offen offset:4
	buffer_load_dword v108, off, s[0:3], 0 offset:8
	buffer_load_dword v109, off, s[0:3], 0 offset:12
	s_waitcnt vmcnt(3)
	buffer_store_dword v106, off, s[0:3], 0 offset:8
	s_waitcnt vmcnt(3)
	buffer_store_dword v107, off, s[0:3], 0 offset:12
	s_waitcnt vmcnt(3)
	buffer_store_dword v108, v105, s[0:3], 0 offen
	s_waitcnt vmcnt(3)
	buffer_store_dword v109, v105, s[0:3], 0 offen offset:4
.LBB51_420:
	global_load_dword v0, v0, s[20:21]
	s_nop 0
	buffer_load_dword v105, off, s[0:3], 0
	buffer_load_dword v106, off, s[0:3], 0 offset:4
	s_waitcnt vmcnt(2)
	v_add_u32_e32 v0, -1, v0
	v_cmp_eq_u32_e32 vcc, 0, v0
	s_cbranch_vccnz .LBB51_422
; %bb.421:
	v_lshlrev_b32_e32 v0, 3, v0
	buffer_load_dword v107, v0, s[0:3], 0 offen offset:4
	buffer_load_dword v108, v0, s[0:3], 0 offen
	s_waitcnt vmcnt(1)
	buffer_store_dword v107, off, s[0:3], 0 offset:4
	s_waitcnt vmcnt(1)
	buffer_store_dword v108, off, s[0:3], 0
	buffer_store_dword v106, v0, s[0:3], 0 offen offset:4
	buffer_store_dword v105, v0, s[0:3], 0 offen
	buffer_load_dword v105, off, s[0:3], 0
	s_nop 0
	buffer_load_dword v106, off, s[0:3], 0 offset:4
.LBB51_422:
	buffer_load_dword v107, off, s[0:3], 0 offset:8
	buffer_load_dword v108, off, s[0:3], 0 offset:12
	;; [unrolled: 1-line block ×102, first 2 shown]
	s_waitcnt vmcnt(62)
	global_store_dwordx2 v[95:96], v[105:106], off
	global_store_dwordx2 v[97:98], v[107:108], off
	;; [unrolled: 1-line block ×21, first 2 shown]
	s_waitcnt vmcnt(62)
	global_store_dwordx2 v[39:40], v[147:148], off
	global_store_dwordx2 v[41:42], v[149:150], off
	global_store_dwordx2 v[43:44], v[151:152], off
	global_store_dwordx2 v[45:46], v[153:154], off
	global_store_dwordx2 v[47:48], v[155:156], off
	global_store_dwordx2 v[49:50], v[157:158], off
	global_store_dwordx2 v[51:52], v[159:160], off
	global_store_dwordx2 v[53:54], v[161:162], off
	global_store_dwordx2 v[55:56], v[163:164], off
	global_store_dwordx2 v[57:58], v[165:166], off
	s_waitcnt vmcnt(62)
	global_store_dwordx2 v[59:60], v[167:168], off
	global_store_dwordx2 v[61:62], v[169:170], off
	;; [unrolled: 1-line block ×5, first 2 shown]
	s_waitcnt vmcnt(62)
	global_store_dwordx2 v[69:70], v[177:178], off
	global_store_dwordx2 v[71:72], v[179:180], off
	;; [unrolled: 1-line block ×3, first 2 shown]
	s_waitcnt vmcnt(62)
	global_store_dwordx2 v[75:76], v[183:184], off
	s_waitcnt vmcnt(62)
	global_store_dwordx2 v[77:78], v[185:186], off
	;; [unrolled: 2-line block ×13, first 2 shown]
	s_endpgm
	.section	.rodata,"a",@progbits
	.p2align	6, 0x0
	.amdhsa_kernel _ZN9rocsolver6v33100L18getri_kernel_smallILi52EdPdEEvT1_iilPiilS4_bb
		.amdhsa_group_segment_fixed_size 840
		.amdhsa_private_segment_fixed_size 432
		.amdhsa_kernarg_size 60
		.amdhsa_user_sgpr_count 6
		.amdhsa_user_sgpr_private_segment_buffer 1
		.amdhsa_user_sgpr_dispatch_ptr 0
		.amdhsa_user_sgpr_queue_ptr 0
		.amdhsa_user_sgpr_kernarg_segment_ptr 1
		.amdhsa_user_sgpr_dispatch_id 0
		.amdhsa_user_sgpr_flat_scratch_init 0
		.amdhsa_user_sgpr_private_segment_size 0
		.amdhsa_uses_dynamic_stack 0
		.amdhsa_system_sgpr_private_segment_wavefront_offset 1
		.amdhsa_system_sgpr_workgroup_id_x 1
		.amdhsa_system_sgpr_workgroup_id_y 0
		.amdhsa_system_sgpr_workgroup_id_z 0
		.amdhsa_system_sgpr_workgroup_info 0
		.amdhsa_system_vgpr_workitem_id 0
		.amdhsa_next_free_vgpr 209
		.amdhsa_next_free_sgpr 24
		.amdhsa_reserve_vcc 1
		.amdhsa_reserve_flat_scratch 0
		.amdhsa_float_round_mode_32 0
		.amdhsa_float_round_mode_16_64 0
		.amdhsa_float_denorm_mode_32 3
		.amdhsa_float_denorm_mode_16_64 3
		.amdhsa_dx10_clamp 1
		.amdhsa_ieee_mode 1
		.amdhsa_fp16_overflow 0
		.amdhsa_exception_fp_ieee_invalid_op 0
		.amdhsa_exception_fp_denorm_src 0
		.amdhsa_exception_fp_ieee_div_zero 0
		.amdhsa_exception_fp_ieee_overflow 0
		.amdhsa_exception_fp_ieee_underflow 0
		.amdhsa_exception_fp_ieee_inexact 0
		.amdhsa_exception_int_div_zero 0
	.end_amdhsa_kernel
	.section	.text._ZN9rocsolver6v33100L18getri_kernel_smallILi52EdPdEEvT1_iilPiilS4_bb,"axG",@progbits,_ZN9rocsolver6v33100L18getri_kernel_smallILi52EdPdEEvT1_iilPiilS4_bb,comdat
.Lfunc_end51:
	.size	_ZN9rocsolver6v33100L18getri_kernel_smallILi52EdPdEEvT1_iilPiilS4_bb, .Lfunc_end51-_ZN9rocsolver6v33100L18getri_kernel_smallILi52EdPdEEvT1_iilPiilS4_bb
                                        ; -- End function
	.set _ZN9rocsolver6v33100L18getri_kernel_smallILi52EdPdEEvT1_iilPiilS4_bb.num_vgpr, 209
	.set _ZN9rocsolver6v33100L18getri_kernel_smallILi52EdPdEEvT1_iilPiilS4_bb.num_agpr, 0
	.set _ZN9rocsolver6v33100L18getri_kernel_smallILi52EdPdEEvT1_iilPiilS4_bb.numbered_sgpr, 24
	.set _ZN9rocsolver6v33100L18getri_kernel_smallILi52EdPdEEvT1_iilPiilS4_bb.num_named_barrier, 0
	.set _ZN9rocsolver6v33100L18getri_kernel_smallILi52EdPdEEvT1_iilPiilS4_bb.private_seg_size, 432
	.set _ZN9rocsolver6v33100L18getri_kernel_smallILi52EdPdEEvT1_iilPiilS4_bb.uses_vcc, 1
	.set _ZN9rocsolver6v33100L18getri_kernel_smallILi52EdPdEEvT1_iilPiilS4_bb.uses_flat_scratch, 0
	.set _ZN9rocsolver6v33100L18getri_kernel_smallILi52EdPdEEvT1_iilPiilS4_bb.has_dyn_sized_stack, 0
	.set _ZN9rocsolver6v33100L18getri_kernel_smallILi52EdPdEEvT1_iilPiilS4_bb.has_recursion, 0
	.set _ZN9rocsolver6v33100L18getri_kernel_smallILi52EdPdEEvT1_iilPiilS4_bb.has_indirect_call, 0
	.section	.AMDGPU.csdata,"",@progbits
; Kernel info:
; codeLenInByte = 67904
; TotalNumSgprs: 28
; NumVgprs: 209
; ScratchSize: 432
; MemoryBound: 1
; FloatMode: 240
; IeeeMode: 1
; LDSByteSize: 840 bytes/workgroup (compile time only)
; SGPRBlocks: 3
; VGPRBlocks: 52
; NumSGPRsForWavesPerEU: 28
; NumVGPRsForWavesPerEU: 209
; Occupancy: 1
; WaveLimiterHint : 1
; COMPUTE_PGM_RSRC2:SCRATCH_EN: 1
; COMPUTE_PGM_RSRC2:USER_SGPR: 6
; COMPUTE_PGM_RSRC2:TRAP_HANDLER: 0
; COMPUTE_PGM_RSRC2:TGID_X_EN: 1
; COMPUTE_PGM_RSRC2:TGID_Y_EN: 0
; COMPUTE_PGM_RSRC2:TGID_Z_EN: 0
; COMPUTE_PGM_RSRC2:TIDIG_COMP_CNT: 0
	.section	.text._ZN9rocsolver6v33100L18getri_kernel_smallILi53EdPdEEvT1_iilPiilS4_bb,"axG",@progbits,_ZN9rocsolver6v33100L18getri_kernel_smallILi53EdPdEEvT1_iilPiilS4_bb,comdat
	.globl	_ZN9rocsolver6v33100L18getri_kernel_smallILi53EdPdEEvT1_iilPiilS4_bb ; -- Begin function _ZN9rocsolver6v33100L18getri_kernel_smallILi53EdPdEEvT1_iilPiilS4_bb
	.p2align	8
	.type	_ZN9rocsolver6v33100L18getri_kernel_smallILi53EdPdEEvT1_iilPiilS4_bb,@function
_ZN9rocsolver6v33100L18getri_kernel_smallILi53EdPdEEvT1_iilPiilS4_bb: ; @_ZN9rocsolver6v33100L18getri_kernel_smallILi53EdPdEEvT1_iilPiilS4_bb
; %bb.0:
	s_add_u32 s0, s0, s7
	s_addc_u32 s1, s1, 0
	v_cmp_gt_u32_e32 vcc, 53, v0
	s_and_saveexec_b64 s[8:9], vcc
	s_cbranch_execz .LBB52_220
; %bb.1:
	s_load_dword s12, s[4:5], 0x38
	s_load_dwordx4 s[16:19], s[4:5], 0x10
	s_load_dwordx4 s[8:11], s[4:5], 0x28
                                        ; implicit-def: $sgpr20_sgpr21
	s_waitcnt lgkmcnt(0)
	s_bitcmp1_b32 s12, 8
	s_cselect_b64 s[22:23], -1, 0
	s_ashr_i32 s7, s6, 31
	s_bfe_u32 s12, s12, 0x10008
	s_cmp_eq_u32 s12, 0
	s_cbranch_scc1 .LBB52_3
; %bb.2:
	s_load_dword s12, s[4:5], 0x20
	s_mul_i32 s13, s8, s7
	s_mul_hi_u32 s14, s8, s6
	s_mul_i32 s9, s9, s6
	s_add_i32 s14, s14, s13
	s_add_i32 s9, s14, s9
	s_mul_i32 s8, s8, s6
	s_waitcnt lgkmcnt(0)
	s_ashr_i32 s13, s12, 31
	s_lshl_b64 s[8:9], s[8:9], 2
	s_add_u32 s14, s18, s8
	s_addc_u32 s15, s19, s9
	s_lshl_b64 s[8:9], s[12:13], 2
	s_add_u32 s20, s14, s8
	s_addc_u32 s21, s15, s9
.LBB52_3:
	s_load_dwordx4 s[12:15], s[4:5], 0x0
	s_load_dword s8, s[4:5], 0x38
	s_mul_i32 s9, s16, s7
	s_mul_hi_u32 s18, s16, s6
	s_add_i32 s9, s18, s9
	s_waitcnt lgkmcnt(0)
	s_ashr_i32 s5, s14, 31
	s_mov_b32 s4, s14
	s_mul_i32 s14, s17, s6
	s_add_i32 s17, s9, s14
	s_mul_i32 s16, s16, s6
	s_lshl_b64 s[16:17], s[16:17], 3
	s_add_u32 s9, s12, s16
	s_addc_u32 s12, s13, s17
	s_lshl_b64 s[4:5], s[4:5], 3
	s_add_u32 s4, s9, s4
	s_addc_u32 s5, s12, s5
	s_add_i32 s9, s15, s15
	v_add_u32_e32 v3, s9, v0
	v_ashrrev_i32_e32 v4, 31, v3
	v_lshlrev_b64 v[1:2], 3, v[3:4]
	v_add_u32_e32 v5, s15, v3
	v_mov_b32_e32 v4, s5
	v_add_co_u32_e32 v1, vcc, s4, v1
	v_ashrrev_i32_e32 v6, 31, v5
	v_addc_co_u32_e32 v2, vcc, v4, v2, vcc
	v_lshlrev_b64 v[3:4], 3, v[5:6]
	v_add_u32_e32 v7, s15, v5
	v_mov_b32_e32 v6, s5
	v_add_co_u32_e32 v3, vcc, s4, v3
	v_ashrrev_i32_e32 v8, 31, v7
	v_addc_co_u32_e32 v4, vcc, v6, v4, vcc
	v_lshlrev_b64 v[5:6], 3, v[7:8]
	v_add_u32_e32 v9, s15, v7
	v_mov_b32_e32 v8, s5
	v_add_co_u32_e32 v5, vcc, s4, v5
	v_ashrrev_i32_e32 v10, 31, v9
	v_addc_co_u32_e32 v6, vcc, v8, v6, vcc
	v_lshlrev_b64 v[7:8], 3, v[9:10]
	v_add_u32_e32 v11, s15, v9
	v_mov_b32_e32 v10, s5
	v_add_co_u32_e32 v7, vcc, s4, v7
	v_ashrrev_i32_e32 v12, 31, v11
	v_addc_co_u32_e32 v8, vcc, v10, v8, vcc
	v_lshlrev_b64 v[9:10], 3, v[11:12]
	v_add_u32_e32 v13, s15, v11
	v_mov_b32_e32 v12, s5
	v_add_co_u32_e32 v9, vcc, s4, v9
	v_ashrrev_i32_e32 v14, 31, v13
	v_addc_co_u32_e32 v10, vcc, v12, v10, vcc
	v_lshlrev_b64 v[11:12], 3, v[13:14]
	v_add_u32_e32 v15, s15, v13
	v_mov_b32_e32 v14, s5
	v_add_co_u32_e32 v11, vcc, s4, v11
	v_ashrrev_i32_e32 v16, 31, v15
	v_addc_co_u32_e32 v12, vcc, v14, v12, vcc
	v_lshlrev_b64 v[13:14], 3, v[15:16]
	v_add_u32_e32 v17, s15, v15
	v_mov_b32_e32 v16, s5
	v_add_co_u32_e32 v13, vcc, s4, v13
	v_ashrrev_i32_e32 v18, 31, v17
	v_addc_co_u32_e32 v14, vcc, v16, v14, vcc
	v_lshlrev_b64 v[15:16], 3, v[17:18]
	v_add_u32_e32 v19, s15, v17
	v_mov_b32_e32 v18, s5
	v_add_co_u32_e32 v15, vcc, s4, v15
	v_ashrrev_i32_e32 v20, 31, v19
	v_addc_co_u32_e32 v16, vcc, v18, v16, vcc
	v_lshlrev_b64 v[17:18], 3, v[19:20]
	v_mov_b32_e32 v21, s5
	v_add_co_u32_e32 v17, vcc, s4, v17
	v_addc_co_u32_e32 v18, vcc, v21, v18, vcc
	v_add_u32_e32 v21, s15, v19
	v_ashrrev_i32_e32 v22, 31, v21
	v_lshlrev_b64 v[19:20], 3, v[21:22]
	v_mov_b32_e32 v23, s5
	v_add_co_u32_e32 v19, vcc, s4, v19
	v_addc_co_u32_e32 v20, vcc, v23, v20, vcc
	v_add_u32_e32 v23, s15, v21
	v_ashrrev_i32_e32 v24, 31, v23
	;; [unrolled: 6-line block ×36, first 2 shown]
	v_lshlrev_b32_e32 v109, 3, v0
	v_lshlrev_b64 v[89:90], 3, v[91:92]
	global_load_dwordx2 v[107:108], v109, s[4:5]
	global_load_dwordx2 v[112:113], v[1:2], off
	global_load_dwordx2 v[114:115], v[3:4], off
	;; [unrolled: 1-line block ×3, first 2 shown]
	v_mov_b32_e32 v92, s5
	v_add_co_u32_e32 v95, vcc, s4, v109
	s_ashr_i32 s13, s15, 31
	s_mov_b32 s12, s15
	v_addc_co_u32_e32 v96, vcc, 0, v92, vcc
	s_lshl_b64 s[12:13], s[12:13], 3
	v_mov_b32_e32 v92, s13
	v_add_co_u32_e32 v99, vcc, s12, v95
	v_addc_co_u32_e32 v100, vcc, v96, v92, vcc
	global_load_dwordx2 v[110:111], v[99:100], off
	global_load_dwordx2 v[118:119], v[7:8], off
	;; [unrolled: 1-line block ×4, first 2 shown]
	v_mov_b32_e32 v93, s5
	v_add_co_u32_e32 v89, vcc, s4, v89
	v_addc_co_u32_e32 v90, vcc, v93, v90, vcc
	v_add_u32_e32 v93, s15, v91
	v_ashrrev_i32_e32 v94, 31, v93
	v_lshlrev_b64 v[91:92], 3, v[93:94]
	v_mov_b32_e32 v97, s5
	v_add_co_u32_e32 v91, vcc, s4, v91
	v_addc_co_u32_e32 v92, vcc, v97, v92, vcc
	v_add_u32_e32 v97, s15, v93
	v_ashrrev_i32_e32 v98, 31, v97
	v_lshlrev_b64 v[93:94], 3, v[97:98]
	v_mov_b32_e32 v101, s5
	v_add_co_u32_e32 v93, vcc, s4, v93
	v_addc_co_u32_e32 v94, vcc, v101, v94, vcc
	v_add_u32_e32 v101, s15, v97
	v_ashrrev_i32_e32 v102, 31, v101
	global_load_dwordx2 v[124:125], v[13:14], off
	global_load_dwordx2 v[126:127], v[15:16], off
	v_lshlrev_b64 v[97:98], 3, v[101:102]
	v_mov_b32_e32 v103, s5
	v_add_co_u32_e32 v97, vcc, s4, v97
	v_addc_co_u32_e32 v98, vcc, v103, v98, vcc
	v_add_u32_e32 v103, s15, v101
	v_ashrrev_i32_e32 v104, 31, v103
	v_lshlrev_b64 v[101:102], 3, v[103:104]
	global_load_dwordx2 v[128:129], v[17:18], off
	global_load_dwordx2 v[130:131], v[19:20], off
	;; [unrolled: 1-line block ×4, first 2 shown]
	v_mov_b32_e32 v105, s5
	v_add_co_u32_e32 v101, vcc, s4, v101
	v_addc_co_u32_e32 v102, vcc, v105, v102, vcc
	v_add_u32_e32 v105, s15, v103
	v_ashrrev_i32_e32 v106, 31, v105
	v_lshlrev_b64 v[103:104], 3, v[105:106]
	v_mov_b32_e32 v146, s5
	v_add_co_u32_e32 v103, vcc, s4, v103
	global_load_dwordx2 v[136:137], v[25:26], off
	global_load_dwordx2 v[138:139], v[27:28], off
	;; [unrolled: 1-line block ×5, first 2 shown]
	v_addc_co_u32_e32 v104, vcc, v146, v104, vcc
	global_load_dwordx2 v[146:147], v[35:36], off
	global_load_dwordx2 v[148:149], v[37:38], off
	;; [unrolled: 1-line block ×8, first 2 shown]
	v_add_u32_e32 v105, s15, v105
	v_ashrrev_i32_e32 v106, 31, v105
	v_lshlrev_b64 v[105:106], 3, v[105:106]
	v_mov_b32_e32 v162, s5
	v_add_co_u32_e32 v105, vcc, s4, v105
	v_addc_co_u32_e32 v106, vcc, v162, v106, vcc
	global_load_dwordx2 v[162:163], v[51:52], off
	global_load_dwordx2 v[164:165], v[53:54], off
	global_load_dwordx2 v[166:167], v[57:58], off
	global_load_dwordx2 v[168:169], v[61:62], off
	global_load_dwordx2 v[170:171], v[65:66], off
	global_load_dwordx2 v[172:173], v[69:70], off
	global_load_dwordx2 v[174:175], v[73:74], off
	global_load_dwordx2 v[176:177], v[77:78], off
	global_load_dwordx2 v[178:179], v[81:82], off
	global_load_dwordx2 v[180:181], v[85:86], off
	global_load_dwordx2 v[182:183], v[89:90], off
	global_load_dwordx2 v[184:185], v[93:94], off
	global_load_dwordx2 v[186:187], v[101:102], off
	global_load_dwordx2 v[188:189], v[105:106], off
	s_bitcmp0_b32 s8, 0
	s_waitcnt vmcnt(40)
	buffer_store_dword v108, off, s[0:3], 0 offset:4
	buffer_store_dword v107, off, s[0:3], 0
	global_load_dwordx2 v[107:108], v[55:56], off
	s_mov_b64 s[8:9], -1
	s_waitcnt vmcnt(39)
	buffer_store_dword v111, off, s[0:3], 0 offset:12
	buffer_store_dword v110, off, s[0:3], 0 offset:8
	global_load_dwordx2 v[110:111], v[59:60], off
	s_nop 0
	buffer_store_dword v113, off, s[0:3], 0 offset:20
	buffer_store_dword v112, off, s[0:3], 0 offset:16
	global_load_dwordx2 v[112:113], v[63:64], off
	s_nop 0
	;; [unrolled: 4-line block ×3, first 2 shown]
	buffer_store_dword v117, off, s[0:3], 0 offset:36
	buffer_store_dword v116, off, s[0:3], 0 offset:32
	global_load_dwordx2 v[116:117], v[71:72], off
	s_waitcnt vmcnt(50)
	buffer_store_dword v119, off, s[0:3], 0 offset:44
	buffer_store_dword v118, off, s[0:3], 0 offset:40
	global_load_dwordx2 v[118:119], v[75:76], off
	s_waitcnt vmcnt(52)
	;; [unrolled: 4-line block ×8, first 2 shown]
	buffer_store_dword v132, off, s[0:3], 0 offset:96
	buffer_store_dword v133, off, s[0:3], 0 offset:100
	;; [unrolled: 1-line block ×6, first 2 shown]
	s_waitcnt vmcnt(62)
	buffer_store_dword v138, off, s[0:3], 0 offset:120
	buffer_store_dword v139, off, s[0:3], 0 offset:124
	;; [unrolled: 1-line block ×12, first 2 shown]
	s_waitcnt vmcnt(62)
	buffer_store_dword v150, off, s[0:3], 0 offset:168
	buffer_store_dword v151, off, s[0:3], 0 offset:172
	;; [unrolled: 1-line block ×16, first 2 shown]
	s_waitcnt vmcnt(62)
	buffer_store_dword v107, off, s[0:3], 0 offset:232
	buffer_store_dword v108, off, s[0:3], 0 offset:236
	;; [unrolled: 1-line block ×8, first 2 shown]
	s_waitcnt vmcnt(62)
	buffer_store_dword v112, off, s[0:3], 0 offset:264
	buffer_store_dword v113, off, s[0:3], 0 offset:268
	;; [unrolled: 1-line block ×12, first 2 shown]
	s_waitcnt vmcnt(62)
	buffer_store_dword v118, off, s[0:3], 0 offset:312
	buffer_store_dword v119, off, s[0:3], 0 offset:316
	;; [unrolled: 1-line block ×16, first 2 shown]
	s_waitcnt vmcnt(62)
	buffer_store_dword v126, off, s[0:3], 0 offset:376
	buffer_store_dword v127, off, s[0:3], 0 offset:380
	;; [unrolled: 1-line block ×12, first 2 shown]
	s_cbranch_scc1 .LBB52_218
; %bb.4:
	v_cmp_eq_u32_e64 s[4:5], 0, v0
	s_and_saveexec_b64 s[8:9], s[4:5]
; %bb.5:
	v_mov_b32_e32 v107, 0
	ds_write_b32 v107, v107 offset:424
; %bb.6:
	s_or_b64 exec, exec, s[8:9]
	v_mov_b32_e32 v107, 0
	v_lshl_add_u32 v107, v0, 3, v107
	s_waitcnt lgkmcnt(0)
	; wave barrier
	buffer_load_dword v110, v107, s[0:3], 0 offen
	buffer_load_dword v111, v107, s[0:3], 0 offen offset:4
	s_waitcnt vmcnt(0)
	v_cmp_eq_f64_e32 vcc, 0, v[110:111]
	s_and_saveexec_b64 s[12:13], vcc
	s_cbranch_execz .LBB52_10
; %bb.7:
	v_mov_b32_e32 v108, 0
	ds_read_b32 v111, v108 offset:424
	v_add_u32_e32 v110, 1, v0
	s_waitcnt lgkmcnt(0)
	v_readfirstlane_b32 s8, v111
	s_cmp_eq_u32 s8, 0
	s_cselect_b64 s[14:15], -1, 0
	v_cmp_gt_i32_e32 vcc, s8, v110
	s_or_b64 s[14:15], s[14:15], vcc
	s_and_b64 exec, exec, s[14:15]
	s_cbranch_execz .LBB52_10
; %bb.8:
	s_mov_b64 s[14:15], 0
	v_mov_b32_e32 v111, s8
.LBB52_9:                               ; =>This Inner Loop Header: Depth=1
	ds_cmpst_rtn_b32 v111, v108, v111, v110 offset:424
	s_waitcnt lgkmcnt(0)
	v_cmp_ne_u32_e32 vcc, 0, v111
	v_cmp_le_i32_e64 s[8:9], v111, v110
	s_and_b64 s[8:9], vcc, s[8:9]
	s_and_b64 s[8:9], exec, s[8:9]
	s_or_b64 s[14:15], s[8:9], s[14:15]
	s_andn2_b64 exec, exec, s[14:15]
	s_cbranch_execnz .LBB52_9
.LBB52_10:
	s_or_b64 exec, exec, s[12:13]
	v_mov_b32_e32 v110, 0
	; wave barrier
	ds_read_b32 v108, v110 offset:424
	s_and_saveexec_b64 s[8:9], s[4:5]
	s_cbranch_execz .LBB52_12
; %bb.11:
	s_lshl_b64 s[12:13], s[6:7], 2
	s_add_u32 s12, s10, s12
	s_addc_u32 s13, s11, s13
	s_waitcnt lgkmcnt(0)
	global_store_dword v110, v108, s[12:13]
.LBB52_12:
	s_or_b64 exec, exec, s[8:9]
	s_waitcnt lgkmcnt(0)
	v_cmp_ne_u32_e32 vcc, 0, v108
	s_mov_b64 s[8:9], 0
	s_cbranch_vccnz .LBB52_218
; %bb.13:
	buffer_load_dword v110, v107, s[0:3], 0 offen
	buffer_load_dword v111, v107, s[0:3], 0 offen offset:4
	s_waitcnt vmcnt(0)
	v_div_scale_f64 v[112:113], s[8:9], v[110:111], v[110:111], 1.0
	v_rcp_f64_e32 v[114:115], v[112:113]
	v_fma_f64 v[116:117], -v[112:113], v[114:115], 1.0
	v_fma_f64 v[114:115], v[114:115], v[116:117], v[114:115]
	v_div_scale_f64 v[116:117], vcc, 1.0, v[110:111], 1.0
	v_fma_f64 v[118:119], -v[112:113], v[114:115], 1.0
	v_fma_f64 v[114:115], v[114:115], v[118:119], v[114:115]
	v_mul_f64 v[118:119], v[116:117], v[114:115]
	v_fma_f64 v[112:113], -v[112:113], v[118:119], v[116:117]
	v_div_fmas_f64 v[112:113], v[112:113], v[114:115], v[118:119]
	v_div_fixup_f64 v[111:112], v[112:113], v[110:111], 1.0
	v_add_u32_e32 v110, 0x1b0, v109
	buffer_store_dword v112, v107, s[0:3], 0 offen offset:4
	buffer_store_dword v111, v107, s[0:3], 0 offen
	buffer_load_dword v114, off, s[0:3], 0 offset:12
	buffer_load_dword v113, off, s[0:3], 0 offset:8
	v_xor_b32_e32 v112, 0x80000000, v112
	s_waitcnt vmcnt(0)
	ds_write2_b64 v109, v[111:112], v[113:114] offset1:54
	s_waitcnt lgkmcnt(0)
	; wave barrier
	s_and_saveexec_b64 s[8:9], s[4:5]
	s_cbranch_execz .LBB52_15
; %bb.14:
	buffer_load_dword v111, v107, s[0:3], 0 offen
	buffer_load_dword v112, v107, s[0:3], 0 offen offset:4
	ds_read_b64 v[113:114], v110
	v_mov_b32_e32 v108, 0
	ds_read_b64 v[115:116], v108 offset:8
	s_waitcnt vmcnt(0) lgkmcnt(1)
	v_fma_f64 v[111:112], v[111:112], v[113:114], 0
	s_waitcnt lgkmcnt(0)
	v_mul_f64 v[111:112], v[111:112], v[115:116]
	buffer_store_dword v111, off, s[0:3], 0 offset:8
	buffer_store_dword v112, off, s[0:3], 0 offset:12
.LBB52_15:
	s_or_b64 exec, exec, s[8:9]
	; wave barrier
	buffer_load_dword v111, off, s[0:3], 0 offset:16
	buffer_load_dword v112, off, s[0:3], 0 offset:20
	v_cmp_gt_u32_e32 vcc, 2, v0
	s_waitcnt vmcnt(0)
	ds_write_b64 v110, v[111:112]
	s_waitcnt lgkmcnt(0)
	; wave barrier
	s_and_saveexec_b64 s[8:9], vcc
	s_cbranch_execz .LBB52_17
; %bb.16:
	buffer_load_dword v111, v107, s[0:3], 0 offen
	buffer_load_dword v112, v107, s[0:3], 0 offen offset:4
                                        ; kill: killed $vgpr107
	s_nop 0
	buffer_load_dword v107, off, s[0:3], 0 offset:8
	buffer_load_dword v108, off, s[0:3], 0 offset:12
	ds_read_b64 v[113:114], v110
	s_waitcnt vmcnt(2) lgkmcnt(0)
	v_fma_f64 v[115:116], v[111:112], v[113:114], 0
	v_mov_b32_e32 v111, 0
	ds_read2_b64 v[111:114], v111 offset0:2 offset1:55
	s_waitcnt vmcnt(0) lgkmcnt(0)
	v_fma_f64 v[107:108], v[107:108], v[113:114], v[115:116]
	v_cndmask_b32_e64 v108, v116, v108, s[4:5]
	v_cndmask_b32_e64 v107, v115, v107, s[4:5]
	v_mul_f64 v[107:108], v[107:108], v[111:112]
	buffer_store_dword v108, off, s[0:3], 0 offset:20
	buffer_store_dword v107, off, s[0:3], 0 offset:16
.LBB52_17:
	s_or_b64 exec, exec, s[8:9]
	; wave barrier
	buffer_load_dword v107, off, s[0:3], 0 offset:24
	buffer_load_dword v108, off, s[0:3], 0 offset:28
	v_cmp_gt_u32_e32 vcc, 3, v0
	v_add_u32_e32 v111, -1, v0
	s_waitcnt vmcnt(0)
	ds_write_b64 v110, v[107:108]
	s_waitcnt lgkmcnt(0)
	; wave barrier
	s_and_saveexec_b64 s[4:5], vcc
	s_cbranch_execz .LBB52_21
; %bb.18:
	v_mov_b32_e32 v107, 0
	v_add_u32_e32 v112, -1, v0
	v_add_u32_e32 v113, 0x1b0, v109
	v_mov_b32_e32 v114, v109
	v_mov_b32_e32 v108, 0
	s_mov_b64 s[8:9], 0
.LBB52_19:                              ; =>This Inner Loop Header: Depth=1
	buffer_load_dword v115, v114, s[0:3], 0 offen
	buffer_load_dword v116, v114, s[0:3], 0 offen offset:4
	ds_read_b64 v[117:118], v113
	v_add_u32_e32 v112, 1, v112
	v_cmp_lt_u32_e32 vcc, 1, v112
	v_add_u32_e32 v113, 8, v113
	s_or_b64 s[8:9], vcc, s[8:9]
	v_add_u32_e32 v114, 8, v114
	s_waitcnt vmcnt(0) lgkmcnt(0)
	v_fma_f64 v[107:108], v[115:116], v[117:118], v[107:108]
	s_andn2_b64 exec, exec, s[8:9]
	s_cbranch_execnz .LBB52_19
; %bb.20:
	s_or_b64 exec, exec, s[8:9]
	v_mov_b32_e32 v112, 0
	ds_read_b64 v[112:113], v112 offset:24
	s_waitcnt lgkmcnt(0)
	v_mul_f64 v[107:108], v[107:108], v[112:113]
	buffer_store_dword v108, off, s[0:3], 0 offset:28
	buffer_store_dword v107, off, s[0:3], 0 offset:24
.LBB52_21:
	s_or_b64 exec, exec, s[4:5]
	; wave barrier
	buffer_load_dword v107, off, s[0:3], 0 offset:32
	buffer_load_dword v108, off, s[0:3], 0 offset:36
	v_cmp_gt_u32_e32 vcc, 4, v0
	s_waitcnt vmcnt(0)
	ds_write_b64 v110, v[107:108]
	s_waitcnt lgkmcnt(0)
	; wave barrier
	s_and_saveexec_b64 s[4:5], vcc
	s_cbranch_execz .LBB52_25
; %bb.22:
	v_mov_b32_e32 v107, 0
	v_add_u32_e32 v112, -1, v0
	v_add_u32_e32 v113, 0x1b0, v109
	v_mov_b32_e32 v114, v109
	v_mov_b32_e32 v108, 0
	s_mov_b64 s[8:9], 0
.LBB52_23:                              ; =>This Inner Loop Header: Depth=1
	buffer_load_dword v115, v114, s[0:3], 0 offen
	buffer_load_dword v116, v114, s[0:3], 0 offen offset:4
	ds_read_b64 v[117:118], v113
	v_add_u32_e32 v112, 1, v112
	v_cmp_lt_u32_e32 vcc, 2, v112
	v_add_u32_e32 v113, 8, v113
	s_or_b64 s[8:9], vcc, s[8:9]
	v_add_u32_e32 v114, 8, v114
	s_waitcnt vmcnt(0) lgkmcnt(0)
	v_fma_f64 v[107:108], v[115:116], v[117:118], v[107:108]
	s_andn2_b64 exec, exec, s[8:9]
	s_cbranch_execnz .LBB52_23
; %bb.24:
	s_or_b64 exec, exec, s[8:9]
	v_mov_b32_e32 v112, 0
	ds_read_b64 v[112:113], v112 offset:32
	s_waitcnt lgkmcnt(0)
	v_mul_f64 v[107:108], v[107:108], v[112:113]
	buffer_store_dword v108, off, s[0:3], 0 offset:36
	buffer_store_dword v107, off, s[0:3], 0 offset:32
.LBB52_25:
	s_or_b64 exec, exec, s[4:5]
	; wave barrier
	buffer_load_dword v107, off, s[0:3], 0 offset:40
	buffer_load_dword v108, off, s[0:3], 0 offset:44
	v_cmp_gt_u32_e32 vcc, 5, v0
	;; [unrolled: 40-line block ×21, first 2 shown]
	s_waitcnt vmcnt(0)
	ds_write_b64 v110, v[107:108]
	s_waitcnt lgkmcnt(0)
	; wave barrier
	s_and_saveexec_b64 s[4:5], vcc
	s_cbranch_execz .LBB52_105
; %bb.102:
	v_mov_b32_e32 v107, 0
	v_add_u32_e32 v112, -1, v0
	v_add_u32_e32 v113, 0x1b0, v109
	v_mov_b32_e32 v114, v109
	v_mov_b32_e32 v108, 0
	s_mov_b64 s[8:9], 0
.LBB52_103:                             ; =>This Inner Loop Header: Depth=1
	buffer_load_dword v115, v114, s[0:3], 0 offen
	buffer_load_dword v116, v114, s[0:3], 0 offen offset:4
	ds_read_b64 v[117:118], v113
	v_add_u32_e32 v112, 1, v112
	v_cmp_lt_u32_e32 vcc, 22, v112
	v_add_u32_e32 v113, 8, v113
	s_or_b64 s[8:9], vcc, s[8:9]
	v_add_u32_e32 v114, 8, v114
	s_waitcnt vmcnt(0) lgkmcnt(0)
	v_fma_f64 v[107:108], v[115:116], v[117:118], v[107:108]
	s_andn2_b64 exec, exec, s[8:9]
	s_cbranch_execnz .LBB52_103
; %bb.104:
	s_or_b64 exec, exec, s[8:9]
	v_mov_b32_e32 v112, 0
	ds_read_b64 v[112:113], v112 offset:192
	s_waitcnt lgkmcnt(0)
	v_mul_f64 v[107:108], v[107:108], v[112:113]
	buffer_store_dword v108, off, s[0:3], 0 offset:196
	buffer_store_dword v107, off, s[0:3], 0 offset:192
.LBB52_105:
	s_or_b64 exec, exec, s[4:5]
	; wave barrier
	buffer_load_dword v107, off, s[0:3], 0 offset:200
	buffer_load_dword v108, off, s[0:3], 0 offset:204
	v_cmp_gt_u32_e32 vcc, 25, v0
	s_waitcnt vmcnt(0)
	ds_write_b64 v110, v[107:108]
	s_waitcnt lgkmcnt(0)
	; wave barrier
	s_and_saveexec_b64 s[4:5], vcc
	s_cbranch_execz .LBB52_109
; %bb.106:
	v_mov_b32_e32 v107, 0
	v_add_u32_e32 v112, -1, v0
	v_add_u32_e32 v113, 0x1b0, v109
	v_mov_b32_e32 v114, v109
	v_mov_b32_e32 v108, 0
	s_mov_b64 s[8:9], 0
.LBB52_107:                             ; =>This Inner Loop Header: Depth=1
	buffer_load_dword v115, v114, s[0:3], 0 offen
	buffer_load_dword v116, v114, s[0:3], 0 offen offset:4
	ds_read_b64 v[117:118], v113
	v_add_u32_e32 v112, 1, v112
	v_cmp_lt_u32_e32 vcc, 23, v112
	v_add_u32_e32 v113, 8, v113
	s_or_b64 s[8:9], vcc, s[8:9]
	v_add_u32_e32 v114, 8, v114
	s_waitcnt vmcnt(0) lgkmcnt(0)
	v_fma_f64 v[107:108], v[115:116], v[117:118], v[107:108]
	s_andn2_b64 exec, exec, s[8:9]
	s_cbranch_execnz .LBB52_107
; %bb.108:
	s_or_b64 exec, exec, s[8:9]
	v_mov_b32_e32 v112, 0
	ds_read_b64 v[112:113], v112 offset:200
	s_waitcnt lgkmcnt(0)
	v_mul_f64 v[107:108], v[107:108], v[112:113]
	buffer_store_dword v108, off, s[0:3], 0 offset:204
	buffer_store_dword v107, off, s[0:3], 0 offset:200
.LBB52_109:
	s_or_b64 exec, exec, s[4:5]
	; wave barrier
	buffer_load_dword v107, off, s[0:3], 0 offset:208
	buffer_load_dword v108, off, s[0:3], 0 offset:212
	v_cmp_gt_u32_e32 vcc, 26, v0
	;; [unrolled: 40-line block ×27, first 2 shown]
	s_waitcnt vmcnt(0)
	ds_write_b64 v110, v[107:108]
	s_waitcnt lgkmcnt(0)
	; wave barrier
	s_and_saveexec_b64 s[4:5], vcc
	s_cbranch_execz .LBB52_213
; %bb.210:
	v_mov_b32_e32 v107, 0
	v_add_u32_e32 v112, -1, v0
	v_add_u32_e32 v113, 0x1b0, v109
	v_mov_b32_e32 v114, v109
	v_mov_b32_e32 v108, 0
	s_mov_b64 s[8:9], 0
.LBB52_211:                             ; =>This Inner Loop Header: Depth=1
	buffer_load_dword v115, v114, s[0:3], 0 offen
	buffer_load_dword v116, v114, s[0:3], 0 offen offset:4
	ds_read_b64 v[117:118], v113
	v_add_u32_e32 v112, 1, v112
	v_cmp_lt_u32_e32 vcc, 49, v112
	v_add_u32_e32 v113, 8, v113
	s_or_b64 s[8:9], vcc, s[8:9]
	v_add_u32_e32 v114, 8, v114
	s_waitcnt vmcnt(0) lgkmcnt(0)
	v_fma_f64 v[107:108], v[115:116], v[117:118], v[107:108]
	s_andn2_b64 exec, exec, s[8:9]
	s_cbranch_execnz .LBB52_211
; %bb.212:
	s_or_b64 exec, exec, s[8:9]
	v_mov_b32_e32 v112, 0
	ds_read_b64 v[112:113], v112 offset:408
	s_waitcnt lgkmcnt(0)
	v_mul_f64 v[107:108], v[107:108], v[112:113]
	buffer_store_dword v108, off, s[0:3], 0 offset:412
	buffer_store_dword v107, off, s[0:3], 0 offset:408
.LBB52_213:
	s_or_b64 exec, exec, s[4:5]
	; wave barrier
	buffer_load_dword v107, off, s[0:3], 0 offset:416
	buffer_load_dword v108, off, s[0:3], 0 offset:420
	v_cmp_ne_u32_e32 vcc, 52, v0
	s_waitcnt vmcnt(0)
	ds_write_b64 v110, v[107:108]
	s_waitcnt lgkmcnt(0)
	; wave barrier
	s_and_saveexec_b64 s[4:5], vcc
	s_cbranch_execz .LBB52_217
; %bb.214:
	v_mov_b32_e32 v107, 0
	v_add_u32_e32 v110, 0x1b0, v109
	v_mov_b32_e32 v108, 0
	s_mov_b64 s[8:9], 0
.LBB52_215:                             ; =>This Inner Loop Header: Depth=1
	buffer_load_dword v112, v109, s[0:3], 0 offen
	buffer_load_dword v113, v109, s[0:3], 0 offen offset:4
	ds_read_b64 v[114:115], v110
	v_add_u32_e32 v111, 1, v111
	v_cmp_lt_u32_e32 vcc, 50, v111
	v_add_u32_e32 v110, 8, v110
	s_or_b64 s[8:9], vcc, s[8:9]
	v_add_u32_e32 v109, 8, v109
	s_waitcnt vmcnt(0) lgkmcnt(0)
	v_fma_f64 v[107:108], v[112:113], v[114:115], v[107:108]
	s_andn2_b64 exec, exec, s[8:9]
	s_cbranch_execnz .LBB52_215
; %bb.216:
	s_or_b64 exec, exec, s[8:9]
	v_mov_b32_e32 v109, 0
	ds_read_b64 v[109:110], v109 offset:416
	s_waitcnt lgkmcnt(0)
	v_mul_f64 v[107:108], v[107:108], v[109:110]
	buffer_store_dword v108, off, s[0:3], 0 offset:420
	buffer_store_dword v107, off, s[0:3], 0 offset:416
.LBB52_217:
	s_or_b64 exec, exec, s[4:5]
	s_mov_b64 s[8:9], -1
	; wave barrier
.LBB52_218:
	s_and_b64 vcc, exec, s[8:9]
	s_cbranch_vccz .LBB52_220
; %bb.219:
	s_lshl_b64 s[4:5], s[6:7], 2
	s_add_u32 s4, s10, s4
	s_addc_u32 s5, s11, s5
	v_mov_b32_e32 v107, 0
	global_load_dword v107, v107, s[4:5]
	s_waitcnt vmcnt(0)
	v_cmp_ne_u32_e32 vcc, 0, v107
	s_cbranch_vccz .LBB52_221
.LBB52_220:
	s_endpgm
.LBB52_221:
	v_mov_b32_e32 v107, 0x1b0
	v_lshl_add_u32 v107, v0, 3, v107
	v_cmp_eq_u32_e32 vcc, 52, v0
	s_and_saveexec_b64 s[4:5], vcc
	s_cbranch_execz .LBB52_223
; %bb.222:
	buffer_load_dword v108, off, s[0:3], 0 offset:408
	buffer_load_dword v109, off, s[0:3], 0 offset:412
	v_mov_b32_e32 v110, 0
	buffer_store_dword v110, off, s[0:3], 0 offset:408
	buffer_store_dword v110, off, s[0:3], 0 offset:412
	s_waitcnt vmcnt(2)
	ds_write_b64 v107, v[108:109]
.LBB52_223:
	s_or_b64 exec, exec, s[4:5]
	s_waitcnt lgkmcnt(0)
	; wave barrier
	buffer_load_dword v109, off, s[0:3], 0 offset:416
	buffer_load_dword v110, off, s[0:3], 0 offset:420
	;; [unrolled: 1-line block ×4, first 2 shown]
	v_mov_b32_e32 v108, 0
	ds_read_b64 v[113:114], v108 offset:848
	v_cmp_lt_u32_e32 vcc, 50, v0
	s_waitcnt vmcnt(2) lgkmcnt(0)
	v_fma_f64 v[109:110], v[109:110], v[113:114], 0
	s_waitcnt vmcnt(0)
	v_add_f64 v[109:110], v[111:112], -v[109:110]
	buffer_store_dword v109, off, s[0:3], 0 offset:408
	buffer_store_dword v110, off, s[0:3], 0 offset:412
	s_and_saveexec_b64 s[4:5], vcc
	s_cbranch_execz .LBB52_225
; %bb.224:
	buffer_load_dword v109, off, s[0:3], 0 offset:400
	buffer_load_dword v110, off, s[0:3], 0 offset:404
	s_waitcnt vmcnt(0)
	ds_write_b64 v107, v[109:110]
	buffer_store_dword v108, off, s[0:3], 0 offset:400
	buffer_store_dword v108, off, s[0:3], 0 offset:404
.LBB52_225:
	s_or_b64 exec, exec, s[4:5]
	s_waitcnt lgkmcnt(0)
	; wave barrier
	buffer_load_dword v112, off, s[0:3], 0 offset:408
	buffer_load_dword v113, off, s[0:3], 0 offset:412
	;; [unrolled: 1-line block ×6, first 2 shown]
	ds_read2_b64 v[108:111], v108 offset0:105 offset1:106
	v_cmp_lt_u32_e32 vcc, 49, v0
	s_waitcnt vmcnt(4) lgkmcnt(0)
	v_fma_f64 v[108:109], v[112:113], v[108:109], 0
	s_waitcnt vmcnt(2)
	v_fma_f64 v[108:109], v[114:115], v[110:111], v[108:109]
	s_waitcnt vmcnt(0)
	v_add_f64 v[108:109], v[116:117], -v[108:109]
	buffer_store_dword v108, off, s[0:3], 0 offset:400
	buffer_store_dword v109, off, s[0:3], 0 offset:404
	s_and_saveexec_b64 s[4:5], vcc
	s_cbranch_execz .LBB52_227
; %bb.226:
	buffer_load_dword v108, off, s[0:3], 0 offset:392
	buffer_load_dword v109, off, s[0:3], 0 offset:396
	v_mov_b32_e32 v110, 0
	buffer_store_dword v110, off, s[0:3], 0 offset:392
	buffer_store_dword v110, off, s[0:3], 0 offset:396
	s_waitcnt vmcnt(2)
	ds_write_b64 v107, v[108:109]
.LBB52_227:
	s_or_b64 exec, exec, s[4:5]
	s_waitcnt lgkmcnt(0)
	; wave barrier
	buffer_load_dword v113, off, s[0:3], 0 offset:400
	buffer_load_dword v114, off, s[0:3], 0 offset:404
	;; [unrolled: 1-line block ×8, first 2 shown]
	v_mov_b32_e32 v108, 0
	ds_read_b128 v[109:112], v108 offset:832
	ds_read_b64 v[121:122], v108 offset:848
	v_cmp_lt_u32_e32 vcc, 48, v0
	s_waitcnt vmcnt(6) lgkmcnt(1)
	v_fma_f64 v[109:110], v[113:114], v[109:110], 0
	s_waitcnt vmcnt(4)
	v_fma_f64 v[109:110], v[115:116], v[111:112], v[109:110]
	s_waitcnt vmcnt(2) lgkmcnt(0)
	v_fma_f64 v[109:110], v[117:118], v[121:122], v[109:110]
	s_waitcnt vmcnt(0)
	v_add_f64 v[109:110], v[119:120], -v[109:110]
	buffer_store_dword v109, off, s[0:3], 0 offset:392
	buffer_store_dword v110, off, s[0:3], 0 offset:396
	s_and_saveexec_b64 s[4:5], vcc
	s_cbranch_execz .LBB52_229
; %bb.228:
	buffer_load_dword v109, off, s[0:3], 0 offset:384
	buffer_load_dword v110, off, s[0:3], 0 offset:388
	s_waitcnt vmcnt(0)
	ds_write_b64 v107, v[109:110]
	buffer_store_dword v108, off, s[0:3], 0 offset:384
	buffer_store_dword v108, off, s[0:3], 0 offset:388
.LBB52_229:
	s_or_b64 exec, exec, s[4:5]
	s_waitcnt lgkmcnt(0)
	; wave barrier
	buffer_load_dword v117, off, s[0:3], 0 offset:392
	buffer_load_dword v118, off, s[0:3], 0 offset:396
	;; [unrolled: 1-line block ×10, first 2 shown]
	ds_read2_b64 v[109:112], v108 offset0:103 offset1:104
	ds_read2_b64 v[113:116], v108 offset0:105 offset1:106
	v_cmp_lt_u32_e32 vcc, 47, v0
	s_waitcnt vmcnt(8) lgkmcnt(1)
	v_fma_f64 v[108:109], v[117:118], v[109:110], 0
	s_waitcnt vmcnt(6)
	v_fma_f64 v[108:109], v[119:120], v[111:112], v[108:109]
	s_waitcnt vmcnt(4) lgkmcnt(0)
	v_fma_f64 v[108:109], v[121:122], v[113:114], v[108:109]
	s_waitcnt vmcnt(2)
	v_fma_f64 v[108:109], v[123:124], v[115:116], v[108:109]
	s_waitcnt vmcnt(0)
	v_add_f64 v[108:109], v[125:126], -v[108:109]
	buffer_store_dword v108, off, s[0:3], 0 offset:384
	buffer_store_dword v109, off, s[0:3], 0 offset:388
	s_and_saveexec_b64 s[4:5], vcc
	s_cbranch_execz .LBB52_231
; %bb.230:
	buffer_load_dword v108, off, s[0:3], 0 offset:376
	buffer_load_dword v109, off, s[0:3], 0 offset:380
	v_mov_b32_e32 v110, 0
	buffer_store_dword v110, off, s[0:3], 0 offset:376
	buffer_store_dword v110, off, s[0:3], 0 offset:380
	s_waitcnt vmcnt(2)
	ds_write_b64 v107, v[108:109]
.LBB52_231:
	s_or_b64 exec, exec, s[4:5]
	s_waitcnt lgkmcnt(0)
	; wave barrier
	buffer_load_dword v113, off, s[0:3], 0 offset:384
	buffer_load_dword v114, off, s[0:3], 0 offset:388
	;; [unrolled: 1-line block ×12, first 2 shown]
	v_mov_b32_e32 v108, 0
	ds_read_b128 v[109:112], v108 offset:816
	v_cmp_lt_u32_e32 vcc, 46, v0
	s_waitcnt vmcnt(10) lgkmcnt(0)
	v_fma_f64 v[109:110], v[113:114], v[109:110], 0
	s_waitcnt vmcnt(8)
	v_fma_f64 v[113:114], v[115:116], v[111:112], v[109:110]
	ds_read_b128 v[109:112], v108 offset:832
	s_waitcnt vmcnt(6) lgkmcnt(0)
	v_fma_f64 v[109:110], v[117:118], v[109:110], v[113:114]
	s_waitcnt vmcnt(4)
	v_fma_f64 v[109:110], v[119:120], v[111:112], v[109:110]
	ds_read_b64 v[111:112], v108 offset:848
	s_waitcnt vmcnt(2) lgkmcnt(0)
	v_fma_f64 v[109:110], v[121:122], v[111:112], v[109:110]
	s_waitcnt vmcnt(0)
	v_add_f64 v[109:110], v[123:124], -v[109:110]
	buffer_store_dword v109, off, s[0:3], 0 offset:376
	buffer_store_dword v110, off, s[0:3], 0 offset:380
	s_and_saveexec_b64 s[4:5], vcc
	s_cbranch_execz .LBB52_233
; %bb.232:
	buffer_load_dword v109, off, s[0:3], 0 offset:368
	buffer_load_dword v110, off, s[0:3], 0 offset:372
	s_waitcnt vmcnt(0)
	ds_write_b64 v107, v[109:110]
	buffer_store_dword v108, off, s[0:3], 0 offset:368
	buffer_store_dword v108, off, s[0:3], 0 offset:372
.LBB52_233:
	s_or_b64 exec, exec, s[4:5]
	s_waitcnt lgkmcnt(0)
	; wave barrier
	buffer_load_dword v113, off, s[0:3], 0 offset:376
	buffer_load_dword v114, off, s[0:3], 0 offset:380
	buffer_load_dword v115, off, s[0:3], 0 offset:384
	buffer_load_dword v116, off, s[0:3], 0 offset:388
	buffer_load_dword v117, off, s[0:3], 0 offset:392
	buffer_load_dword v118, off, s[0:3], 0 offset:396
	buffer_load_dword v119, off, s[0:3], 0 offset:400
	buffer_load_dword v120, off, s[0:3], 0 offset:404
	buffer_load_dword v121, off, s[0:3], 0 offset:408
	buffer_load_dword v122, off, s[0:3], 0 offset:412
	buffer_load_dword v123, off, s[0:3], 0 offset:416
	buffer_load_dword v124, off, s[0:3], 0 offset:420
	buffer_load_dword v125, off, s[0:3], 0 offset:368
	buffer_load_dword v126, off, s[0:3], 0 offset:372
	ds_read2_b64 v[109:112], v108 offset0:101 offset1:102
	v_cmp_lt_u32_e32 vcc, 45, v0
	s_waitcnt vmcnt(12) lgkmcnt(0)
	v_fma_f64 v[109:110], v[113:114], v[109:110], 0
	s_waitcnt vmcnt(10)
	v_fma_f64 v[113:114], v[115:116], v[111:112], v[109:110]
	ds_read2_b64 v[109:112], v108 offset0:103 offset1:104
	s_waitcnt vmcnt(8) lgkmcnt(0)
	v_fma_f64 v[109:110], v[117:118], v[109:110], v[113:114]
	s_waitcnt vmcnt(6)
	v_fma_f64 v[112:113], v[119:120], v[111:112], v[109:110]
	ds_read2_b64 v[108:111], v108 offset0:105 offset1:106
	s_waitcnt vmcnt(4) lgkmcnt(0)
	v_fma_f64 v[108:109], v[121:122], v[108:109], v[112:113]
	s_waitcnt vmcnt(2)
	v_fma_f64 v[108:109], v[123:124], v[110:111], v[108:109]
	s_waitcnt vmcnt(0)
	v_add_f64 v[108:109], v[125:126], -v[108:109]
	buffer_store_dword v108, off, s[0:3], 0 offset:368
	buffer_store_dword v109, off, s[0:3], 0 offset:372
	s_and_saveexec_b64 s[4:5], vcc
	s_cbranch_execz .LBB52_235
; %bb.234:
	buffer_load_dword v108, off, s[0:3], 0 offset:360
	buffer_load_dword v109, off, s[0:3], 0 offset:364
	v_mov_b32_e32 v110, 0
	buffer_store_dword v110, off, s[0:3], 0 offset:360
	buffer_store_dword v110, off, s[0:3], 0 offset:364
	s_waitcnt vmcnt(2)
	ds_write_b64 v107, v[108:109]
.LBB52_235:
	s_or_b64 exec, exec, s[4:5]
	s_waitcnt lgkmcnt(0)
	; wave barrier
	buffer_load_dword v117, off, s[0:3], 0 offset:368
	buffer_load_dword v118, off, s[0:3], 0 offset:372
	;; [unrolled: 1-line block ×16, first 2 shown]
	v_mov_b32_e32 v108, 0
	ds_read_b128 v[109:112], v108 offset:800
	ds_read_b128 v[113:116], v108 offset:816
	v_cmp_lt_u32_e32 vcc, 44, v0
	s_waitcnt vmcnt(14) lgkmcnt(1)
	v_fma_f64 v[109:110], v[117:118], v[109:110], 0
	s_waitcnt vmcnt(12)
	v_fma_f64 v[109:110], v[119:120], v[111:112], v[109:110]
	s_waitcnt vmcnt(10) lgkmcnt(0)
	v_fma_f64 v[109:110], v[121:122], v[113:114], v[109:110]
	s_waitcnt vmcnt(8)
	v_fma_f64 v[113:114], v[123:124], v[115:116], v[109:110]
	ds_read_b128 v[109:112], v108 offset:832
	ds_read_b64 v[115:116], v108 offset:848
	s_waitcnt vmcnt(6) lgkmcnt(1)
	v_fma_f64 v[109:110], v[125:126], v[109:110], v[113:114]
	s_waitcnt vmcnt(4)
	v_fma_f64 v[109:110], v[127:128], v[111:112], v[109:110]
	s_waitcnt vmcnt(2) lgkmcnt(0)
	v_fma_f64 v[109:110], v[129:130], v[115:116], v[109:110]
	s_waitcnt vmcnt(0)
	v_add_f64 v[109:110], v[131:132], -v[109:110]
	buffer_store_dword v109, off, s[0:3], 0 offset:360
	buffer_store_dword v110, off, s[0:3], 0 offset:364
	s_and_saveexec_b64 s[4:5], vcc
	s_cbranch_execz .LBB52_237
; %bb.236:
	buffer_load_dword v109, off, s[0:3], 0 offset:352
	buffer_load_dword v110, off, s[0:3], 0 offset:356
	s_waitcnt vmcnt(0)
	ds_write_b64 v107, v[109:110]
	buffer_store_dword v108, off, s[0:3], 0 offset:352
	buffer_store_dword v108, off, s[0:3], 0 offset:356
.LBB52_237:
	s_or_b64 exec, exec, s[4:5]
	s_waitcnt lgkmcnt(0)
	; wave barrier
	buffer_load_dword v117, off, s[0:3], 0 offset:360
	buffer_load_dword v118, off, s[0:3], 0 offset:364
	;; [unrolled: 1-line block ×18, first 2 shown]
	ds_read2_b64 v[109:112], v108 offset0:99 offset1:100
	ds_read2_b64 v[113:116], v108 offset0:101 offset1:102
	v_cmp_lt_u32_e32 vcc, 43, v0
	s_waitcnt vmcnt(16) lgkmcnt(1)
	v_fma_f64 v[109:110], v[117:118], v[109:110], 0
	s_waitcnt vmcnt(14)
	v_fma_f64 v[109:110], v[119:120], v[111:112], v[109:110]
	s_waitcnt vmcnt(12) lgkmcnt(0)
	v_fma_f64 v[109:110], v[121:122], v[113:114], v[109:110]
	s_waitcnt vmcnt(10)
	v_fma_f64 v[117:118], v[123:124], v[115:116], v[109:110]
	ds_read2_b64 v[109:112], v108 offset0:103 offset1:104
	ds_read2_b64 v[113:116], v108 offset0:105 offset1:106
	s_waitcnt vmcnt(8) lgkmcnt(1)
	v_fma_f64 v[108:109], v[125:126], v[109:110], v[117:118]
	s_waitcnt vmcnt(6)
	v_fma_f64 v[108:109], v[127:128], v[111:112], v[108:109]
	s_waitcnt vmcnt(4) lgkmcnt(0)
	v_fma_f64 v[108:109], v[129:130], v[113:114], v[108:109]
	s_waitcnt vmcnt(2)
	v_fma_f64 v[108:109], v[131:132], v[115:116], v[108:109]
	s_waitcnt vmcnt(0)
	v_add_f64 v[108:109], v[133:134], -v[108:109]
	buffer_store_dword v108, off, s[0:3], 0 offset:352
	buffer_store_dword v109, off, s[0:3], 0 offset:356
	s_and_saveexec_b64 s[4:5], vcc
	s_cbranch_execz .LBB52_239
; %bb.238:
	buffer_load_dword v108, off, s[0:3], 0 offset:344
	buffer_load_dword v109, off, s[0:3], 0 offset:348
	v_mov_b32_e32 v110, 0
	buffer_store_dword v110, off, s[0:3], 0 offset:344
	buffer_store_dword v110, off, s[0:3], 0 offset:348
	s_waitcnt vmcnt(2)
	ds_write_b64 v107, v[108:109]
.LBB52_239:
	s_or_b64 exec, exec, s[4:5]
	s_waitcnt lgkmcnt(0)
	; wave barrier
	buffer_load_dword v117, off, s[0:3], 0 offset:352
	buffer_load_dword v118, off, s[0:3], 0 offset:356
	;; [unrolled: 1-line block ×20, first 2 shown]
	v_mov_b32_e32 v108, 0
	ds_read_b128 v[109:112], v108 offset:784
	ds_read_b128 v[113:116], v108 offset:800
	v_cmp_lt_u32_e32 vcc, 42, v0
	s_waitcnt vmcnt(18) lgkmcnt(1)
	v_fma_f64 v[109:110], v[117:118], v[109:110], 0
	s_waitcnt vmcnt(16)
	v_fma_f64 v[109:110], v[119:120], v[111:112], v[109:110]
	s_waitcnt vmcnt(14) lgkmcnt(0)
	v_fma_f64 v[109:110], v[121:122], v[113:114], v[109:110]
	s_waitcnt vmcnt(12)
	v_fma_f64 v[117:118], v[123:124], v[115:116], v[109:110]
	ds_read_b128 v[109:112], v108 offset:816
	ds_read_b128 v[113:116], v108 offset:832
	s_waitcnt vmcnt(10) lgkmcnt(1)
	v_fma_f64 v[109:110], v[125:126], v[109:110], v[117:118]
	s_waitcnt vmcnt(8)
	v_fma_f64 v[109:110], v[127:128], v[111:112], v[109:110]
	ds_read_b64 v[111:112], v108 offset:848
	s_waitcnt vmcnt(6) lgkmcnt(1)
	v_fma_f64 v[109:110], v[129:130], v[113:114], v[109:110]
	s_waitcnt vmcnt(3)
	v_fma_f64 v[109:110], v[131:132], v[115:116], v[109:110]
	s_waitcnt vmcnt(2) lgkmcnt(0)
	v_fma_f64 v[109:110], v[133:134], v[111:112], v[109:110]
	s_waitcnt vmcnt(0)
	v_add_f64 v[109:110], v[135:136], -v[109:110]
	buffer_store_dword v109, off, s[0:3], 0 offset:344
	buffer_store_dword v110, off, s[0:3], 0 offset:348
	s_and_saveexec_b64 s[4:5], vcc
	s_cbranch_execz .LBB52_241
; %bb.240:
	buffer_load_dword v109, off, s[0:3], 0 offset:336
	buffer_load_dword v110, off, s[0:3], 0 offset:340
	s_waitcnt vmcnt(0)
	ds_write_b64 v107, v[109:110]
	buffer_store_dword v108, off, s[0:3], 0 offset:336
	buffer_store_dword v108, off, s[0:3], 0 offset:340
.LBB52_241:
	s_or_b64 exec, exec, s[4:5]
	s_waitcnt lgkmcnt(0)
	; wave barrier
	buffer_load_dword v117, off, s[0:3], 0 offset:344
	buffer_load_dword v118, off, s[0:3], 0 offset:348
	;; [unrolled: 1-line block ×20, first 2 shown]
	ds_read2_b64 v[109:112], v108 offset0:97 offset1:98
	buffer_load_dword v137, off, s[0:3], 0 offset:336
	buffer_load_dword v138, off, s[0:3], 0 offset:340
	ds_read2_b64 v[113:116], v108 offset0:99 offset1:100
	v_cmp_lt_u32_e32 vcc, 41, v0
	s_waitcnt vmcnt(20) lgkmcnt(1)
	v_fma_f64 v[109:110], v[117:118], v[109:110], 0
	s_waitcnt vmcnt(18)
	v_fma_f64 v[109:110], v[119:120], v[111:112], v[109:110]
	s_waitcnt vmcnt(16) lgkmcnt(0)
	v_fma_f64 v[109:110], v[121:122], v[113:114], v[109:110]
	s_waitcnt vmcnt(14)
	v_fma_f64 v[117:118], v[123:124], v[115:116], v[109:110]
	ds_read2_b64 v[109:112], v108 offset0:101 offset1:102
	ds_read2_b64 v[113:116], v108 offset0:103 offset1:104
	s_waitcnt vmcnt(12) lgkmcnt(1)
	v_fma_f64 v[109:110], v[125:126], v[109:110], v[117:118]
	s_waitcnt vmcnt(10)
	v_fma_f64 v[109:110], v[127:128], v[111:112], v[109:110]
	s_waitcnt vmcnt(8) lgkmcnt(0)
	v_fma_f64 v[109:110], v[129:130], v[113:114], v[109:110]
	s_waitcnt vmcnt(4)
	v_fma_f64 v[112:113], v[131:132], v[115:116], v[109:110]
	ds_read2_b64 v[108:111], v108 offset0:105 offset1:106
	s_waitcnt vmcnt(3) lgkmcnt(0)
	v_fma_f64 v[108:109], v[135:136], v[108:109], v[112:113]
	s_waitcnt vmcnt(2)
	v_fma_f64 v[108:109], v[133:134], v[110:111], v[108:109]
	s_waitcnt vmcnt(0)
	v_add_f64 v[108:109], v[137:138], -v[108:109]
	buffer_store_dword v108, off, s[0:3], 0 offset:336
	buffer_store_dword v109, off, s[0:3], 0 offset:340
	s_and_saveexec_b64 s[4:5], vcc
	s_cbranch_execz .LBB52_243
; %bb.242:
	buffer_load_dword v108, off, s[0:3], 0 offset:328
	buffer_load_dword v109, off, s[0:3], 0 offset:332
	v_mov_b32_e32 v110, 0
	buffer_store_dword v110, off, s[0:3], 0 offset:328
	buffer_store_dword v110, off, s[0:3], 0 offset:332
	s_waitcnt vmcnt(2)
	ds_write_b64 v107, v[108:109]
.LBB52_243:
	s_or_b64 exec, exec, s[4:5]
	s_waitcnt lgkmcnt(0)
	; wave barrier
	buffer_load_dword v117, off, s[0:3], 0 offset:336
	buffer_load_dword v118, off, s[0:3], 0 offset:340
	;; [unrolled: 1-line block ×21, first 2 shown]
	v_mov_b32_e32 v108, 0
	ds_read_b128 v[109:112], v108 offset:768
	ds_read_b128 v[113:116], v108 offset:784
	buffer_load_dword v134, off, s[0:3], 0 offset:420
	v_cmp_lt_u32_e32 vcc, 40, v0
	s_waitcnt vmcnt(20) lgkmcnt(1)
	v_fma_f64 v[109:110], v[117:118], v[109:110], 0
	buffer_load_dword v117, off, s[0:3], 0 offset:328
	buffer_load_dword v118, off, s[0:3], 0 offset:332
	s_waitcnt vmcnt(20)
	v_fma_f64 v[109:110], v[119:120], v[111:112], v[109:110]
	s_waitcnt vmcnt(18) lgkmcnt(0)
	v_fma_f64 v[109:110], v[121:122], v[113:114], v[109:110]
	s_waitcnt vmcnt(16)
	v_fma_f64 v[119:120], v[123:124], v[115:116], v[109:110]
	ds_read_b128 v[109:112], v108 offset:800
	ds_read_b128 v[113:116], v108 offset:816
	s_waitcnt vmcnt(14) lgkmcnt(1)
	v_fma_f64 v[109:110], v[125:126], v[109:110], v[119:120]
	s_waitcnt vmcnt(12)
	v_fma_f64 v[109:110], v[127:128], v[111:112], v[109:110]
	s_waitcnt vmcnt(10) lgkmcnt(0)
	v_fma_f64 v[109:110], v[129:130], v[113:114], v[109:110]
	s_waitcnt vmcnt(5)
	v_fma_f64 v[113:114], v[131:132], v[115:116], v[109:110]
	ds_read_b128 v[109:112], v108 offset:832
	ds_read_b64 v[115:116], v108 offset:848
	s_waitcnt vmcnt(4) lgkmcnt(1)
	v_fma_f64 v[109:110], v[137:138], v[109:110], v[113:114]
	s_waitcnt vmcnt(3)
	v_fma_f64 v[109:110], v[135:136], v[111:112], v[109:110]
	s_waitcnt vmcnt(2) lgkmcnt(0)
	v_fma_f64 v[109:110], v[133:134], v[115:116], v[109:110]
	s_waitcnt vmcnt(0)
	v_add_f64 v[109:110], v[117:118], -v[109:110]
	buffer_store_dword v110, off, s[0:3], 0 offset:332
	buffer_store_dword v109, off, s[0:3], 0 offset:328
	s_and_saveexec_b64 s[4:5], vcc
	s_cbranch_execz .LBB52_245
; %bb.244:
	buffer_load_dword v109, off, s[0:3], 0 offset:320
	buffer_load_dword v110, off, s[0:3], 0 offset:324
	s_waitcnt vmcnt(0)
	ds_write_b64 v107, v[109:110]
	buffer_store_dword v108, off, s[0:3], 0 offset:320
	buffer_store_dword v108, off, s[0:3], 0 offset:324
.LBB52_245:
	s_or_b64 exec, exec, s[4:5]
	s_waitcnt lgkmcnt(0)
	; wave barrier
	buffer_load_dword v117, off, s[0:3], 0 offset:328
	buffer_load_dword v118, off, s[0:3], 0 offset:332
	;; [unrolled: 1-line block ×21, first 2 shown]
	ds_read2_b64 v[109:112], v108 offset0:95 offset1:96
	ds_read2_b64 v[113:116], v108 offset0:97 offset1:98
	buffer_load_dword v134, off, s[0:3], 0 offset:412
	v_cmp_lt_u32_e32 vcc, 39, v0
	s_waitcnt vmcnt(20) lgkmcnt(1)
	v_fma_f64 v[109:110], v[117:118], v[109:110], 0
	buffer_load_dword v118, off, s[0:3], 0 offset:420
	buffer_load_dword v117, off, s[0:3], 0 offset:416
	s_waitcnt vmcnt(20)
	v_fma_f64 v[109:110], v[119:120], v[111:112], v[109:110]
	buffer_load_dword v119, off, s[0:3], 0 offset:320
	buffer_load_dword v120, off, s[0:3], 0 offset:324
	s_waitcnt vmcnt(20) lgkmcnt(0)
	v_fma_f64 v[109:110], v[121:122], v[113:114], v[109:110]
	s_waitcnt vmcnt(18)
	v_fma_f64 v[121:122], v[123:124], v[115:116], v[109:110]
	ds_read2_b64 v[109:112], v108 offset0:99 offset1:100
	ds_read2_b64 v[113:116], v108 offset0:101 offset1:102
	s_waitcnt vmcnt(16) lgkmcnt(1)
	v_fma_f64 v[109:110], v[125:126], v[109:110], v[121:122]
	s_waitcnt vmcnt(14)
	v_fma_f64 v[109:110], v[127:128], v[111:112], v[109:110]
	s_waitcnt vmcnt(12) lgkmcnt(0)
	v_fma_f64 v[109:110], v[129:130], v[113:114], v[109:110]
	s_waitcnt vmcnt(7)
	v_fma_f64 v[121:122], v[131:132], v[115:116], v[109:110]
	ds_read2_b64 v[109:112], v108 offset0:103 offset1:104
	ds_read2_b64 v[113:116], v108 offset0:105 offset1:106
	s_waitcnt vmcnt(6) lgkmcnt(1)
	v_fma_f64 v[108:109], v[137:138], v[109:110], v[121:122]
	s_waitcnt vmcnt(5)
	v_fma_f64 v[108:109], v[135:136], v[111:112], v[108:109]
	s_waitcnt vmcnt(4) lgkmcnt(0)
	v_fma_f64 v[108:109], v[133:134], v[113:114], v[108:109]
	s_waitcnt vmcnt(2)
	v_fma_f64 v[108:109], v[117:118], v[115:116], v[108:109]
	s_waitcnt vmcnt(0)
	v_add_f64 v[108:109], v[119:120], -v[108:109]
	buffer_store_dword v109, off, s[0:3], 0 offset:324
	buffer_store_dword v108, off, s[0:3], 0 offset:320
	s_and_saveexec_b64 s[4:5], vcc
	s_cbranch_execz .LBB52_247
; %bb.246:
	buffer_load_dword v108, off, s[0:3], 0 offset:312
	buffer_load_dword v109, off, s[0:3], 0 offset:316
	v_mov_b32_e32 v110, 0
	buffer_store_dword v110, off, s[0:3], 0 offset:312
	buffer_store_dword v110, off, s[0:3], 0 offset:316
	s_waitcnt vmcnt(2)
	ds_write_b64 v107, v[108:109]
.LBB52_247:
	s_or_b64 exec, exec, s[4:5]
	s_waitcnt lgkmcnt(0)
	; wave barrier
	buffer_load_dword v117, off, s[0:3], 0 offset:320
	buffer_load_dword v118, off, s[0:3], 0 offset:324
	;; [unrolled: 1-line block ×21, first 2 shown]
	v_mov_b32_e32 v108, 0
	ds_read_b128 v[109:112], v108 offset:752
	ds_read_b128 v[113:116], v108 offset:768
	buffer_load_dword v134, off, s[0:3], 0 offset:404
	v_cmp_lt_u32_e32 vcc, 38, v0
	s_waitcnt vmcnt(20) lgkmcnt(1)
	v_fma_f64 v[109:110], v[117:118], v[109:110], 0
	s_waitcnt vmcnt(18)
	v_fma_f64 v[109:110], v[119:120], v[111:112], v[109:110]
	buffer_load_dword v118, off, s[0:3], 0 offset:412
	buffer_load_dword v119, off, s[0:3], 0 offset:416
	;; [unrolled: 1-line block ×4, first 2 shown]
	s_waitcnt vmcnt(20) lgkmcnt(0)
	v_fma_f64 v[109:110], v[121:122], v[113:114], v[109:110]
	buffer_load_dword v121, off, s[0:3], 0 offset:312
	buffer_load_dword v122, off, s[0:3], 0 offset:316
	s_waitcnt vmcnt(20)
	v_fma_f64 v[123:124], v[123:124], v[115:116], v[109:110]
	ds_read_b128 v[109:112], v108 offset:784
	ds_read_b128 v[113:116], v108 offset:800
	s_waitcnt vmcnt(18) lgkmcnt(1)
	v_fma_f64 v[109:110], v[125:126], v[109:110], v[123:124]
	s_waitcnt vmcnt(16)
	v_fma_f64 v[109:110], v[127:128], v[111:112], v[109:110]
	s_waitcnt vmcnt(14) lgkmcnt(0)
	v_fma_f64 v[109:110], v[129:130], v[113:114], v[109:110]
	s_waitcnt vmcnt(9)
	v_fma_f64 v[123:124], v[131:132], v[115:116], v[109:110]
	ds_read_b128 v[109:112], v108 offset:816
	ds_read_b128 v[113:116], v108 offset:832
	s_waitcnt vmcnt(8) lgkmcnt(1)
	v_fma_f64 v[109:110], v[137:138], v[109:110], v[123:124]
	s_waitcnt vmcnt(7)
	v_fma_f64 v[109:110], v[135:136], v[111:112], v[109:110]
	ds_read_b64 v[111:112], v108 offset:848
	s_waitcnt vmcnt(6) lgkmcnt(1)
	v_fma_f64 v[109:110], v[133:134], v[113:114], v[109:110]
	s_waitcnt vmcnt(3)
	v_fma_f64 v[109:110], v[117:118], v[115:116], v[109:110]
	s_waitcnt vmcnt(2) lgkmcnt(0)
	v_fma_f64 v[109:110], v[119:120], v[111:112], v[109:110]
	s_waitcnt vmcnt(0)
	v_add_f64 v[109:110], v[121:122], -v[109:110]
	buffer_store_dword v110, off, s[0:3], 0 offset:316
	buffer_store_dword v109, off, s[0:3], 0 offset:312
	s_and_saveexec_b64 s[4:5], vcc
	s_cbranch_execz .LBB52_249
; %bb.248:
	buffer_load_dword v109, off, s[0:3], 0 offset:304
	buffer_load_dword v110, off, s[0:3], 0 offset:308
	s_waitcnt vmcnt(0)
	ds_write_b64 v107, v[109:110]
	buffer_store_dword v108, off, s[0:3], 0 offset:304
	buffer_store_dword v108, off, s[0:3], 0 offset:308
.LBB52_249:
	s_or_b64 exec, exec, s[4:5]
	s_waitcnt lgkmcnt(0)
	; wave barrier
	buffer_load_dword v117, off, s[0:3], 0 offset:312
	buffer_load_dword v118, off, s[0:3], 0 offset:316
	;; [unrolled: 1-line block ×22, first 2 shown]
	ds_read2_b64 v[109:112], v108 offset0:93 offset1:94
	ds_read2_b64 v[113:116], v108 offset0:95 offset1:96
	v_cmp_lt_u32_e32 vcc, 37, v0
	s_waitcnt vmcnt(20) lgkmcnt(1)
	v_fma_f64 v[109:110], v[117:118], v[109:110], 0
	s_waitcnt vmcnt(18)
	v_fma_f64 v[109:110], v[119:120], v[111:112], v[109:110]
	buffer_load_dword v118, off, s[0:3], 0 offset:404
	buffer_load_dword v119, off, s[0:3], 0 offset:416
	;; [unrolled: 1-line block ×6, first 2 shown]
	s_waitcnt vmcnt(22) lgkmcnt(0)
	v_fma_f64 v[109:110], v[121:122], v[113:114], v[109:110]
	s_waitcnt vmcnt(20)
	v_fma_f64 v[121:122], v[123:124], v[115:116], v[109:110]
	ds_read2_b64 v[109:112], v108 offset0:97 offset1:98
	buffer_load_dword v123, off, s[0:3], 0 offset:304
	buffer_load_dword v124, off, s[0:3], 0 offset:308
	ds_read2_b64 v[113:116], v108 offset0:99 offset1:100
	s_waitcnt vmcnt(20) lgkmcnt(1)
	v_fma_f64 v[109:110], v[125:126], v[109:110], v[121:122]
	s_waitcnt vmcnt(18)
	v_fma_f64 v[109:110], v[127:128], v[111:112], v[109:110]
	s_waitcnt vmcnt(16) lgkmcnt(0)
	v_fma_f64 v[109:110], v[129:130], v[113:114], v[109:110]
	s_waitcnt vmcnt(11)
	v_fma_f64 v[121:122], v[131:132], v[115:116], v[109:110]
	ds_read2_b64 v[109:112], v108 offset0:101 offset1:102
	ds_read2_b64 v[113:116], v108 offset0:103 offset1:104
	s_waitcnt vmcnt(10) lgkmcnt(1)
	v_fma_f64 v[109:110], v[137:138], v[109:110], v[121:122]
	s_waitcnt vmcnt(9)
	v_fma_f64 v[109:110], v[135:136], v[111:112], v[109:110]
	s_waitcnt vmcnt(8) lgkmcnt(0)
	v_fma_f64 v[109:110], v[133:134], v[113:114], v[109:110]
	s_waitcnt vmcnt(4)
	v_fma_f64 v[112:113], v[117:118], v[115:116], v[109:110]
	ds_read2_b64 v[108:111], v108 offset0:105 offset1:106
	s_waitcnt vmcnt(3) lgkmcnt(0)
	v_fma_f64 v[108:109], v[139:140], v[108:109], v[112:113]
	s_waitcnt vmcnt(2)
	v_fma_f64 v[108:109], v[119:120], v[110:111], v[108:109]
	s_waitcnt vmcnt(0)
	v_add_f64 v[108:109], v[123:124], -v[108:109]
	buffer_store_dword v109, off, s[0:3], 0 offset:308
	buffer_store_dword v108, off, s[0:3], 0 offset:304
	s_and_saveexec_b64 s[4:5], vcc
	s_cbranch_execz .LBB52_251
; %bb.250:
	buffer_load_dword v108, off, s[0:3], 0 offset:296
	buffer_load_dword v109, off, s[0:3], 0 offset:300
	v_mov_b32_e32 v110, 0
	buffer_store_dword v110, off, s[0:3], 0 offset:296
	buffer_store_dword v110, off, s[0:3], 0 offset:300
	s_waitcnt vmcnt(2)
	ds_write_b64 v107, v[108:109]
.LBB52_251:
	s_or_b64 exec, exec, s[4:5]
	s_waitcnt lgkmcnt(0)
	; wave barrier
	buffer_load_dword v117, off, s[0:3], 0 offset:304
	buffer_load_dword v118, off, s[0:3], 0 offset:308
	;; [unrolled: 1-line block ×22, first 2 shown]
	v_mov_b32_e32 v108, 0
	ds_read_b128 v[109:112], v108 offset:736
	ds_read_b128 v[113:116], v108 offset:752
	v_cmp_lt_u32_e32 vcc, 36, v0
	s_waitcnt vmcnt(20) lgkmcnt(1)
	v_fma_f64 v[109:110], v[117:118], v[109:110], 0
	s_waitcnt vmcnt(18)
	v_fma_f64 v[109:110], v[119:120], v[111:112], v[109:110]
	buffer_load_dword v118, off, s[0:3], 0 offset:396
	buffer_load_dword v119, off, s[0:3], 0 offset:416
	buffer_load_dword v139, off, s[0:3], 0 offset:408
	buffer_load_dword v141, off, s[0:3], 0 offset:400
	buffer_load_dword v117, off, s[0:3], 0 offset:392
	buffer_load_dword v142, off, s[0:3], 0 offset:404
	buffer_load_dword v140, off, s[0:3], 0 offset:412
	buffer_load_dword v120, off, s[0:3], 0 offset:420
	s_waitcnt vmcnt(24) lgkmcnt(0)
	v_fma_f64 v[109:110], v[121:122], v[113:114], v[109:110]
	s_waitcnt vmcnt(22)
	v_fma_f64 v[121:122], v[123:124], v[115:116], v[109:110]
	ds_read_b128 v[109:112], v108 offset:768
	ds_read_b128 v[113:116], v108 offset:784
	s_waitcnt vmcnt(20) lgkmcnt(1)
	v_fma_f64 v[109:110], v[125:126], v[109:110], v[121:122]
	buffer_load_dword v121, off, s[0:3], 0 offset:296
	buffer_load_dword v122, off, s[0:3], 0 offset:300
	s_waitcnt vmcnt(20)
	v_fma_f64 v[109:110], v[127:128], v[111:112], v[109:110]
	s_waitcnt vmcnt(18) lgkmcnt(0)
	v_fma_f64 v[109:110], v[129:130], v[113:114], v[109:110]
	s_waitcnt vmcnt(13)
	v_fma_f64 v[123:124], v[131:132], v[115:116], v[109:110]
	ds_read_b128 v[109:112], v108 offset:800
	ds_read_b128 v[113:116], v108 offset:816
	s_waitcnt vmcnt(12) lgkmcnt(1)
	v_fma_f64 v[109:110], v[137:138], v[109:110], v[123:124]
	s_waitcnt vmcnt(11)
	v_fma_f64 v[109:110], v[135:136], v[111:112], v[109:110]
	s_waitcnt vmcnt(10) lgkmcnt(0)
	v_fma_f64 v[109:110], v[133:134], v[113:114], v[109:110]
	s_waitcnt vmcnt(5)
	v_fma_f64 v[113:114], v[117:118], v[115:116], v[109:110]
	ds_read_b128 v[109:112], v108 offset:832
	ds_read_b64 v[115:116], v108 offset:848
	s_waitcnt vmcnt(4) lgkmcnt(1)
	v_fma_f64 v[109:110], v[141:142], v[109:110], v[113:114]
	s_waitcnt vmcnt(3)
	v_fma_f64 v[109:110], v[139:140], v[111:112], v[109:110]
	s_waitcnt vmcnt(2) lgkmcnt(0)
	v_fma_f64 v[109:110], v[119:120], v[115:116], v[109:110]
	s_waitcnt vmcnt(0)
	v_add_f64 v[109:110], v[121:122], -v[109:110]
	buffer_store_dword v110, off, s[0:3], 0 offset:300
	buffer_store_dword v109, off, s[0:3], 0 offset:296
	s_and_saveexec_b64 s[4:5], vcc
	s_cbranch_execz .LBB52_253
; %bb.252:
	buffer_load_dword v109, off, s[0:3], 0 offset:288
	buffer_load_dword v110, off, s[0:3], 0 offset:292
	s_waitcnt vmcnt(0)
	ds_write_b64 v107, v[109:110]
	buffer_store_dword v108, off, s[0:3], 0 offset:288
	buffer_store_dword v108, off, s[0:3], 0 offset:292
.LBB52_253:
	s_or_b64 exec, exec, s[4:5]
	s_waitcnt lgkmcnt(0)
	; wave barrier
	buffer_load_dword v117, off, s[0:3], 0 offset:296
	buffer_load_dword v118, off, s[0:3], 0 offset:300
	;; [unrolled: 1-line block ×22, first 2 shown]
	ds_read2_b64 v[109:112], v108 offset0:91 offset1:92
	ds_read2_b64 v[113:116], v108 offset0:93 offset1:94
	v_cmp_lt_u32_e32 vcc, 35, v0
	s_waitcnt vmcnt(20) lgkmcnt(1)
	v_fma_f64 v[109:110], v[117:118], v[109:110], 0
	s_waitcnt vmcnt(18)
	v_fma_f64 v[109:110], v[119:120], v[111:112], v[109:110]
	buffer_load_dword v118, off, s[0:3], 0 offset:388
	buffer_load_dword v119, off, s[0:3], 0 offset:408
	;; [unrolled: 1-line block ×8, first 2 shown]
	s_waitcnt vmcnt(24) lgkmcnt(0)
	v_fma_f64 v[109:110], v[121:122], v[113:114], v[109:110]
	s_waitcnt vmcnt(22)
	v_fma_f64 v[121:122], v[123:124], v[115:116], v[109:110]
	ds_read2_b64 v[109:112], v108 offset0:95 offset1:96
	ds_read2_b64 v[113:116], v108 offset0:97 offset1:98
	s_waitcnt vmcnt(20) lgkmcnt(1)
	v_fma_f64 v[109:110], v[125:126], v[109:110], v[121:122]
	buffer_load_dword v122, off, s[0:3], 0 offset:420
	buffer_load_dword v121, off, s[0:3], 0 offset:416
	;; [unrolled: 1-line block ×4, first 2 shown]
	s_waitcnt vmcnt(22)
	v_fma_f64 v[109:110], v[127:128], v[111:112], v[109:110]
	s_waitcnt vmcnt(20) lgkmcnt(0)
	v_fma_f64 v[109:110], v[129:130], v[113:114], v[109:110]
	s_waitcnt vmcnt(15)
	v_fma_f64 v[125:126], v[131:132], v[115:116], v[109:110]
	ds_read2_b64 v[109:112], v108 offset0:99 offset1:100
	ds_read2_b64 v[113:116], v108 offset0:101 offset1:102
	s_waitcnt vmcnt(14) lgkmcnt(1)
	v_fma_f64 v[109:110], v[137:138], v[109:110], v[125:126]
	s_waitcnt vmcnt(13)
	v_fma_f64 v[109:110], v[135:136], v[111:112], v[109:110]
	s_waitcnt vmcnt(12) lgkmcnt(0)
	v_fma_f64 v[109:110], v[133:134], v[113:114], v[109:110]
	s_waitcnt vmcnt(7)
	v_fma_f64 v[117:118], v[117:118], v[115:116], v[109:110]
	ds_read2_b64 v[109:112], v108 offset0:103 offset1:104
	ds_read2_b64 v[113:116], v108 offset0:105 offset1:106
	s_waitcnt vmcnt(6) lgkmcnt(1)
	v_fma_f64 v[108:109], v[141:142], v[109:110], v[117:118]
	s_waitcnt vmcnt(5)
	v_fma_f64 v[108:109], v[139:140], v[111:112], v[108:109]
	s_waitcnt vmcnt(4) lgkmcnt(0)
	v_fma_f64 v[108:109], v[119:120], v[113:114], v[108:109]
	s_waitcnt vmcnt(2)
	v_fma_f64 v[108:109], v[121:122], v[115:116], v[108:109]
	s_waitcnt vmcnt(0)
	v_add_f64 v[108:109], v[123:124], -v[108:109]
	buffer_store_dword v109, off, s[0:3], 0 offset:292
	buffer_store_dword v108, off, s[0:3], 0 offset:288
	s_and_saveexec_b64 s[4:5], vcc
	s_cbranch_execz .LBB52_255
; %bb.254:
	buffer_load_dword v108, off, s[0:3], 0 offset:280
	buffer_load_dword v109, off, s[0:3], 0 offset:284
	v_mov_b32_e32 v110, 0
	buffer_store_dword v110, off, s[0:3], 0 offset:280
	buffer_store_dword v110, off, s[0:3], 0 offset:284
	s_waitcnt vmcnt(2)
	ds_write_b64 v107, v[108:109]
.LBB52_255:
	s_or_b64 exec, exec, s[4:5]
	s_waitcnt lgkmcnt(0)
	; wave barrier
	buffer_load_dword v117, off, s[0:3], 0 offset:288
	buffer_load_dword v118, off, s[0:3], 0 offset:292
	buffer_load_dword v119, off, s[0:3], 0 offset:296
	buffer_load_dword v120, off, s[0:3], 0 offset:300
	buffer_load_dword v121, off, s[0:3], 0 offset:304
	buffer_load_dword v122, off, s[0:3], 0 offset:308
	buffer_load_dword v123, off, s[0:3], 0 offset:312
	buffer_load_dword v124, off, s[0:3], 0 offset:316
	buffer_load_dword v125, off, s[0:3], 0 offset:320
	buffer_load_dword v126, off, s[0:3], 0 offset:324
	buffer_load_dword v127, off, s[0:3], 0 offset:328
	buffer_load_dword v128, off, s[0:3], 0 offset:332
	buffer_load_dword v129, off, s[0:3], 0 offset:336
	buffer_load_dword v130, off, s[0:3], 0 offset:340
	buffer_load_dword v132, off, s[0:3], 0 offset:348
	buffer_load_dword v133, off, s[0:3], 0 offset:368
	buffer_load_dword v135, off, s[0:3], 0 offset:360
	buffer_load_dword v137, off, s[0:3], 0 offset:352
	buffer_load_dword v131, off, s[0:3], 0 offset:344
	buffer_load_dword v138, off, s[0:3], 0 offset:356
	buffer_load_dword v136, off, s[0:3], 0 offset:364
	buffer_load_dword v134, off, s[0:3], 0 offset:372
	v_mov_b32_e32 v108, 0
	ds_read_b128 v[109:112], v108 offset:720
	ds_read_b128 v[113:116], v108 offset:736
	v_cmp_lt_u32_e32 vcc, 34, v0
	s_waitcnt vmcnt(20) lgkmcnt(1)
	v_fma_f64 v[109:110], v[117:118], v[109:110], 0
	s_waitcnt vmcnt(18)
	v_fma_f64 v[109:110], v[119:120], v[111:112], v[109:110]
	buffer_load_dword v118, off, s[0:3], 0 offset:380
	buffer_load_dword v119, off, s[0:3], 0 offset:400
	;; [unrolled: 1-line block ×7, first 2 shown]
	s_waitcnt vmcnt(23) lgkmcnt(0)
	v_fma_f64 v[109:110], v[121:122], v[113:114], v[109:110]
	s_waitcnt vmcnt(21)
	v_fma_f64 v[120:121], v[123:124], v[115:116], v[109:110]
	ds_read_b128 v[109:112], v108 offset:752
	ds_read_b128 v[113:116], v108 offset:768
	s_waitcnt vmcnt(19) lgkmcnt(1)
	v_fma_f64 v[109:110], v[125:126], v[109:110], v[120:121]
	buffer_load_dword v120, off, s[0:3], 0 offset:404
	buffer_load_dword v122, off, s[0:3], 0 offset:412
	;; [unrolled: 1-line block ×7, first 2 shown]
	s_waitcnt vmcnt(24)
	v_fma_f64 v[109:110], v[127:128], v[111:112], v[109:110]
	s_waitcnt vmcnt(22) lgkmcnt(0)
	v_fma_f64 v[109:110], v[129:130], v[113:114], v[109:110]
	s_waitcnt vmcnt(17)
	v_fma_f64 v[127:128], v[131:132], v[115:116], v[109:110]
	ds_read_b128 v[109:112], v108 offset:784
	ds_read_b128 v[113:116], v108 offset:800
	s_waitcnt vmcnt(16) lgkmcnt(1)
	v_fma_f64 v[109:110], v[137:138], v[109:110], v[127:128]
	s_waitcnt vmcnt(15)
	v_fma_f64 v[109:110], v[135:136], v[111:112], v[109:110]
	s_waitcnt vmcnt(14) lgkmcnt(0)
	v_fma_f64 v[109:110], v[133:134], v[113:114], v[109:110]
	s_waitcnt vmcnt(9)
	v_fma_f64 v[117:118], v[117:118], v[115:116], v[109:110]
	ds_read_b128 v[109:112], v108 offset:816
	ds_read_b128 v[113:116], v108 offset:832
	s_waitcnt vmcnt(8) lgkmcnt(1)
	v_fma_f64 v[109:110], v[141:142], v[109:110], v[117:118]
	s_waitcnt vmcnt(7)
	v_fma_f64 v[109:110], v[139:140], v[111:112], v[109:110]
	ds_read_b64 v[111:112], v108 offset:848
	s_waitcnt vmcnt(6) lgkmcnt(1)
	v_fma_f64 v[109:110], v[119:120], v[113:114], v[109:110]
	s_waitcnt vmcnt(3)
	v_fma_f64 v[109:110], v[121:122], v[115:116], v[109:110]
	s_waitcnt vmcnt(2) lgkmcnt(0)
	v_fma_f64 v[109:110], v[123:124], v[111:112], v[109:110]
	s_waitcnt vmcnt(0)
	v_add_f64 v[109:110], v[125:126], -v[109:110]
	buffer_store_dword v110, off, s[0:3], 0 offset:284
	buffer_store_dword v109, off, s[0:3], 0 offset:280
	s_and_saveexec_b64 s[4:5], vcc
	s_cbranch_execz .LBB52_257
; %bb.256:
	buffer_load_dword v109, off, s[0:3], 0 offset:272
	buffer_load_dword v110, off, s[0:3], 0 offset:276
	s_waitcnt vmcnt(0)
	ds_write_b64 v107, v[109:110]
	buffer_store_dword v108, off, s[0:3], 0 offset:272
	buffer_store_dword v108, off, s[0:3], 0 offset:276
.LBB52_257:
	s_or_b64 exec, exec, s[4:5]
	s_waitcnt lgkmcnt(0)
	; wave barrier
	buffer_load_dword v117, off, s[0:3], 0 offset:280
	buffer_load_dword v118, off, s[0:3], 0 offset:284
	;; [unrolled: 1-line block ×22, first 2 shown]
	ds_read2_b64 v[109:112], v108 offset0:89 offset1:90
	ds_read2_b64 v[113:116], v108 offset0:91 offset1:92
	v_cmp_lt_u32_e32 vcc, 33, v0
	s_waitcnt vmcnt(20) lgkmcnt(1)
	v_fma_f64 v[109:110], v[117:118], v[109:110], 0
	s_waitcnt vmcnt(18)
	v_fma_f64 v[109:110], v[119:120], v[111:112], v[109:110]
	buffer_load_dword v118, off, s[0:3], 0 offset:372
	buffer_load_dword v119, off, s[0:3], 0 offset:392
	;; [unrolled: 1-line block ×7, first 2 shown]
	s_waitcnt vmcnt(23) lgkmcnt(0)
	v_fma_f64 v[109:110], v[121:122], v[113:114], v[109:110]
	s_waitcnt vmcnt(21)
	v_fma_f64 v[120:121], v[123:124], v[115:116], v[109:110]
	ds_read2_b64 v[109:112], v108 offset0:93 offset1:94
	ds_read2_b64 v[113:116], v108 offset0:95 offset1:96
	s_waitcnt vmcnt(19) lgkmcnt(1)
	v_fma_f64 v[109:110], v[125:126], v[109:110], v[120:121]
	buffer_load_dword v120, off, s[0:3], 0 offset:396
	buffer_load_dword v122, off, s[0:3], 0 offset:404
	buffer_load_dword v123, off, s[0:3], 0 offset:416
	buffer_load_dword v125, off, s[0:3], 0 offset:408
	buffer_load_dword v121, off, s[0:3], 0 offset:400
	buffer_load_dword v126, off, s[0:3], 0 offset:412
	buffer_load_dword v124, off, s[0:3], 0 offset:420
	s_waitcnt vmcnt(24)
	v_fma_f64 v[109:110], v[127:128], v[111:112], v[109:110]
	s_waitcnt vmcnt(22) lgkmcnt(0)
	v_fma_f64 v[109:110], v[129:130], v[113:114], v[109:110]
	s_waitcnt vmcnt(17)
	v_fma_f64 v[127:128], v[131:132], v[115:116], v[109:110]
	ds_read2_b64 v[109:112], v108 offset0:97 offset1:98
	buffer_load_dword v129, off, s[0:3], 0 offset:272
	buffer_load_dword v130, off, s[0:3], 0 offset:276
	ds_read2_b64 v[113:116], v108 offset0:99 offset1:100
	s_waitcnt vmcnt(18) lgkmcnt(1)
	v_fma_f64 v[109:110], v[137:138], v[109:110], v[127:128]
	s_waitcnt vmcnt(17)
	v_fma_f64 v[109:110], v[135:136], v[111:112], v[109:110]
	s_waitcnt vmcnt(16) lgkmcnt(0)
	v_fma_f64 v[109:110], v[133:134], v[113:114], v[109:110]
	s_waitcnt vmcnt(11)
	v_fma_f64 v[117:118], v[117:118], v[115:116], v[109:110]
	ds_read2_b64 v[109:112], v108 offset0:101 offset1:102
	ds_read2_b64 v[113:116], v108 offset0:103 offset1:104
	s_waitcnt vmcnt(10) lgkmcnt(1)
	v_fma_f64 v[109:110], v[141:142], v[109:110], v[117:118]
	s_waitcnt vmcnt(9)
	v_fma_f64 v[109:110], v[139:140], v[111:112], v[109:110]
	s_waitcnt vmcnt(8) lgkmcnt(0)
	v_fma_f64 v[109:110], v[119:120], v[113:114], v[109:110]
	s_waitcnt vmcnt(4)
	v_fma_f64 v[112:113], v[121:122], v[115:116], v[109:110]
	ds_read2_b64 v[108:111], v108 offset0:105 offset1:106
	s_waitcnt vmcnt(3) lgkmcnt(0)
	v_fma_f64 v[108:109], v[125:126], v[108:109], v[112:113]
	s_waitcnt vmcnt(2)
	v_fma_f64 v[108:109], v[123:124], v[110:111], v[108:109]
	s_waitcnt vmcnt(0)
	v_add_f64 v[108:109], v[129:130], -v[108:109]
	buffer_store_dword v109, off, s[0:3], 0 offset:276
	buffer_store_dword v108, off, s[0:3], 0 offset:272
	s_and_saveexec_b64 s[4:5], vcc
	s_cbranch_execz .LBB52_259
; %bb.258:
	buffer_load_dword v108, off, s[0:3], 0 offset:264
	buffer_load_dword v109, off, s[0:3], 0 offset:268
	v_mov_b32_e32 v110, 0
	buffer_store_dword v110, off, s[0:3], 0 offset:264
	buffer_store_dword v110, off, s[0:3], 0 offset:268
	s_waitcnt vmcnt(2)
	ds_write_b64 v107, v[108:109]
.LBB52_259:
	s_or_b64 exec, exec, s[4:5]
	s_waitcnt lgkmcnt(0)
	; wave barrier
	buffer_load_dword v117, off, s[0:3], 0 offset:272
	buffer_load_dword v118, off, s[0:3], 0 offset:276
	;; [unrolled: 1-line block ×22, first 2 shown]
	v_mov_b32_e32 v108, 0
	ds_read_b128 v[109:112], v108 offset:704
	ds_read_b128 v[113:116], v108 offset:720
	v_cmp_lt_u32_e32 vcc, 32, v0
	s_waitcnt vmcnt(20) lgkmcnt(1)
	v_fma_f64 v[109:110], v[117:118], v[109:110], 0
	s_waitcnt vmcnt(18)
	v_fma_f64 v[109:110], v[119:120], v[111:112], v[109:110]
	buffer_load_dword v118, off, s[0:3], 0 offset:364
	buffer_load_dword v119, off, s[0:3], 0 offset:384
	;; [unrolled: 1-line block ×7, first 2 shown]
	s_waitcnt vmcnt(23) lgkmcnt(0)
	v_fma_f64 v[109:110], v[121:122], v[113:114], v[109:110]
	s_waitcnt vmcnt(21)
	v_fma_f64 v[120:121], v[123:124], v[115:116], v[109:110]
	ds_read_b128 v[109:112], v108 offset:736
	ds_read_b128 v[113:116], v108 offset:752
	s_waitcnt vmcnt(19) lgkmcnt(1)
	v_fma_f64 v[109:110], v[125:126], v[109:110], v[120:121]
	buffer_load_dword v120, off, s[0:3], 0 offset:388
	s_waitcnt vmcnt(18)
	v_fma_f64 v[109:110], v[127:128], v[111:112], v[109:110]
	buffer_load_dword v122, off, s[0:3], 0 offset:396
	buffer_load_dword v123, off, s[0:3], 0 offset:416
	;; [unrolled: 1-line block ×8, first 2 shown]
	s_waitcnt vmcnt(24) lgkmcnt(0)
	v_fma_f64 v[109:110], v[129:130], v[113:114], v[109:110]
	s_waitcnt vmcnt(19)
	v_fma_f64 v[129:130], v[131:132], v[115:116], v[109:110]
	ds_read_b128 v[109:112], v108 offset:768
	ds_read_b128 v[113:116], v108 offset:784
	s_waitcnt vmcnt(18) lgkmcnt(1)
	v_fma_f64 v[109:110], v[137:138], v[109:110], v[129:130]
	buffer_load_dword v129, off, s[0:3], 0 offset:264
	buffer_load_dword v130, off, s[0:3], 0 offset:268
	s_waitcnt vmcnt(19)
	v_fma_f64 v[109:110], v[135:136], v[111:112], v[109:110]
	s_waitcnt vmcnt(18) lgkmcnt(0)
	v_fma_f64 v[109:110], v[133:134], v[113:114], v[109:110]
	s_waitcnt vmcnt(13)
	v_fma_f64 v[117:118], v[117:118], v[115:116], v[109:110]
	ds_read_b128 v[109:112], v108 offset:800
	ds_read_b128 v[113:116], v108 offset:816
	s_waitcnt vmcnt(12) lgkmcnt(1)
	v_fma_f64 v[109:110], v[141:142], v[109:110], v[117:118]
	s_waitcnt vmcnt(11)
	v_fma_f64 v[109:110], v[139:140], v[111:112], v[109:110]
	s_waitcnt vmcnt(10) lgkmcnt(0)
	v_fma_f64 v[109:110], v[119:120], v[113:114], v[109:110]
	s_waitcnt vmcnt(5)
	v_fma_f64 v[113:114], v[121:122], v[115:116], v[109:110]
	ds_read_b128 v[109:112], v108 offset:832
	ds_read_b64 v[115:116], v108 offset:848
	s_waitcnt vmcnt(4) lgkmcnt(1)
	v_fma_f64 v[109:110], v[127:128], v[109:110], v[113:114]
	s_waitcnt vmcnt(3)
	v_fma_f64 v[109:110], v[125:126], v[111:112], v[109:110]
	s_waitcnt vmcnt(2) lgkmcnt(0)
	v_fma_f64 v[109:110], v[123:124], v[115:116], v[109:110]
	s_waitcnt vmcnt(0)
	v_add_f64 v[109:110], v[129:130], -v[109:110]
	buffer_store_dword v110, off, s[0:3], 0 offset:268
	buffer_store_dword v109, off, s[0:3], 0 offset:264
	s_and_saveexec_b64 s[4:5], vcc
	s_cbranch_execz .LBB52_261
; %bb.260:
	buffer_load_dword v109, off, s[0:3], 0 offset:256
	buffer_load_dword v110, off, s[0:3], 0 offset:260
	s_waitcnt vmcnt(0)
	ds_write_b64 v107, v[109:110]
	buffer_store_dword v108, off, s[0:3], 0 offset:256
	buffer_store_dword v108, off, s[0:3], 0 offset:260
.LBB52_261:
	s_or_b64 exec, exec, s[4:5]
	s_waitcnt lgkmcnt(0)
	; wave barrier
	buffer_load_dword v117, off, s[0:3], 0 offset:264
	buffer_load_dword v118, off, s[0:3], 0 offset:268
	;; [unrolled: 1-line block ×22, first 2 shown]
	ds_read2_b64 v[109:112], v108 offset0:87 offset1:88
	ds_read2_b64 v[113:116], v108 offset0:89 offset1:90
	v_cmp_lt_u32_e32 vcc, 31, v0
	s_waitcnt vmcnt(20) lgkmcnt(1)
	v_fma_f64 v[109:110], v[117:118], v[109:110], 0
	s_waitcnt vmcnt(18)
	v_fma_f64 v[109:110], v[119:120], v[111:112], v[109:110]
	buffer_load_dword v118, off, s[0:3], 0 offset:356
	buffer_load_dword v119, off, s[0:3], 0 offset:376
	;; [unrolled: 1-line block ×7, first 2 shown]
	s_waitcnt vmcnt(23) lgkmcnt(0)
	v_fma_f64 v[109:110], v[121:122], v[113:114], v[109:110]
	s_waitcnt vmcnt(21)
	v_fma_f64 v[120:121], v[123:124], v[115:116], v[109:110]
	ds_read2_b64 v[109:112], v108 offset0:91 offset1:92
	ds_read2_b64 v[113:116], v108 offset0:93 offset1:94
	s_waitcnt vmcnt(19) lgkmcnt(1)
	v_fma_f64 v[109:110], v[125:126], v[109:110], v[120:121]
	buffer_load_dword v120, off, s[0:3], 0 offset:380
	s_waitcnt vmcnt(18)
	v_fma_f64 v[109:110], v[127:128], v[111:112], v[109:110]
	buffer_load_dword v122, off, s[0:3], 0 offset:388
	buffer_load_dword v123, off, s[0:3], 0 offset:408
	;; [unrolled: 1-line block ×8, first 2 shown]
	s_waitcnt vmcnt(24) lgkmcnt(0)
	v_fma_f64 v[109:110], v[129:130], v[113:114], v[109:110]
	s_waitcnt vmcnt(19)
	v_fma_f64 v[129:130], v[131:132], v[115:116], v[109:110]
	ds_read2_b64 v[109:112], v108 offset0:95 offset1:96
	ds_read2_b64 v[113:116], v108 offset0:97 offset1:98
	s_waitcnt vmcnt(18) lgkmcnt(1)
	v_fma_f64 v[109:110], v[137:138], v[109:110], v[129:130]
	buffer_load_dword v130, off, s[0:3], 0 offset:420
	buffer_load_dword v129, off, s[0:3], 0 offset:416
	;; [unrolled: 1-line block ×4, first 2 shown]
	s_waitcnt vmcnt(21)
	v_fma_f64 v[109:110], v[135:136], v[111:112], v[109:110]
	s_waitcnt vmcnt(20) lgkmcnt(0)
	v_fma_f64 v[109:110], v[133:134], v[113:114], v[109:110]
	s_waitcnt vmcnt(15)
	v_fma_f64 v[117:118], v[117:118], v[115:116], v[109:110]
	ds_read2_b64 v[109:112], v108 offset0:99 offset1:100
	ds_read2_b64 v[113:116], v108 offset0:101 offset1:102
	s_waitcnt vmcnt(14) lgkmcnt(1)
	v_fma_f64 v[109:110], v[141:142], v[109:110], v[117:118]
	s_waitcnt vmcnt(13)
	v_fma_f64 v[109:110], v[139:140], v[111:112], v[109:110]
	s_waitcnt vmcnt(12) lgkmcnt(0)
	v_fma_f64 v[109:110], v[119:120], v[113:114], v[109:110]
	s_waitcnt vmcnt(7)
	v_fma_f64 v[117:118], v[121:122], v[115:116], v[109:110]
	ds_read2_b64 v[109:112], v108 offset0:103 offset1:104
	ds_read2_b64 v[113:116], v108 offset0:105 offset1:106
	s_waitcnt vmcnt(6) lgkmcnt(1)
	v_fma_f64 v[108:109], v[127:128], v[109:110], v[117:118]
	s_waitcnt vmcnt(5)
	v_fma_f64 v[108:109], v[125:126], v[111:112], v[108:109]
	s_waitcnt vmcnt(4) lgkmcnt(0)
	v_fma_f64 v[108:109], v[123:124], v[113:114], v[108:109]
	s_waitcnt vmcnt(2)
	v_fma_f64 v[108:109], v[129:130], v[115:116], v[108:109]
	s_waitcnt vmcnt(0)
	v_add_f64 v[108:109], v[131:132], -v[108:109]
	buffer_store_dword v109, off, s[0:3], 0 offset:260
	buffer_store_dword v108, off, s[0:3], 0 offset:256
	s_and_saveexec_b64 s[4:5], vcc
	s_cbranch_execz .LBB52_263
; %bb.262:
	buffer_load_dword v108, off, s[0:3], 0 offset:248
	buffer_load_dword v109, off, s[0:3], 0 offset:252
	v_mov_b32_e32 v110, 0
	buffer_store_dword v110, off, s[0:3], 0 offset:248
	buffer_store_dword v110, off, s[0:3], 0 offset:252
	s_waitcnt vmcnt(2)
	ds_write_b64 v107, v[108:109]
.LBB52_263:
	s_or_b64 exec, exec, s[4:5]
	s_waitcnt lgkmcnt(0)
	; wave barrier
	buffer_load_dword v117, off, s[0:3], 0 offset:256
	buffer_load_dword v118, off, s[0:3], 0 offset:260
	;; [unrolled: 1-line block ×21, first 2 shown]
	v_mov_b32_e32 v108, 0
	ds_read_b128 v[109:112], v108 offset:688
	ds_read_b128 v[113:116], v108 offset:704
	buffer_load_dword v134, off, s[0:3], 0 offset:340
	v_cmp_lt_u32_e32 vcc, 30, v0
	s_waitcnt vmcnt(20) lgkmcnt(1)
	v_fma_f64 v[109:110], v[117:118], v[109:110], 0
	s_waitcnt vmcnt(18)
	v_fma_f64 v[109:110], v[119:120], v[111:112], v[109:110]
	buffer_load_dword v118, off, s[0:3], 0 offset:348
	buffer_load_dword v119, off, s[0:3], 0 offset:368
	;; [unrolled: 1-line block ×7, first 2 shown]
	s_waitcnt vmcnt(23) lgkmcnt(0)
	v_fma_f64 v[109:110], v[121:122], v[113:114], v[109:110]
	s_waitcnt vmcnt(21)
	v_fma_f64 v[120:121], v[123:124], v[115:116], v[109:110]
	ds_read_b128 v[109:112], v108 offset:720
	ds_read_b128 v[113:116], v108 offset:736
	s_waitcnt vmcnt(19) lgkmcnt(1)
	v_fma_f64 v[109:110], v[125:126], v[109:110], v[120:121]
	buffer_load_dword v120, off, s[0:3], 0 offset:372
	s_waitcnt vmcnt(18)
	v_fma_f64 v[109:110], v[127:128], v[111:112], v[109:110]
	buffer_load_dword v122, off, s[0:3], 0 offset:380
	buffer_load_dword v123, off, s[0:3], 0 offset:400
	;; [unrolled: 1-line block ×7, first 2 shown]
	s_waitcnt vmcnt(23) lgkmcnt(0)
	v_fma_f64 v[109:110], v[129:130], v[113:114], v[109:110]
	s_waitcnt vmcnt(18)
	v_fma_f64 v[129:130], v[131:132], v[115:116], v[109:110]
	ds_read_b128 v[109:112], v108 offset:752
	ds_read_b128 v[113:116], v108 offset:768
	buffer_load_dword v124, off, s[0:3], 0 offset:404
	s_waitcnt vmcnt(18) lgkmcnt(1)
	v_fma_f64 v[109:110], v[137:138], v[109:110], v[129:130]
	buffer_load_dword v130, off, s[0:3], 0 offset:412
	buffer_load_dword v131, off, s[0:3], 0 offset:416
	;; [unrolled: 1-line block ×4, first 2 shown]
	s_waitcnt vmcnt(21)
	v_fma_f64 v[109:110], v[135:136], v[111:112], v[109:110]
	s_waitcnt vmcnt(20) lgkmcnt(0)
	v_fma_f64 v[109:110], v[133:134], v[113:114], v[109:110]
	buffer_load_dword v133, off, s[0:3], 0 offset:248
	buffer_load_dword v134, off, s[0:3], 0 offset:252
	s_waitcnt vmcnt(17)
	v_fma_f64 v[117:118], v[117:118], v[115:116], v[109:110]
	ds_read_b128 v[109:112], v108 offset:784
	ds_read_b128 v[113:116], v108 offset:800
	s_waitcnt vmcnt(16) lgkmcnt(1)
	v_fma_f64 v[109:110], v[141:142], v[109:110], v[117:118]
	s_waitcnt vmcnt(15)
	v_fma_f64 v[109:110], v[139:140], v[111:112], v[109:110]
	s_waitcnt vmcnt(14) lgkmcnt(0)
	v_fma_f64 v[109:110], v[119:120], v[113:114], v[109:110]
	s_waitcnt vmcnt(9)
	v_fma_f64 v[117:118], v[121:122], v[115:116], v[109:110]
	ds_read_b128 v[109:112], v108 offset:816
	ds_read_b128 v[113:116], v108 offset:832
	s_waitcnt vmcnt(8) lgkmcnt(1)
	v_fma_f64 v[109:110], v[127:128], v[109:110], v[117:118]
	s_waitcnt vmcnt(7)
	v_fma_f64 v[109:110], v[125:126], v[111:112], v[109:110]
	ds_read_b64 v[111:112], v108 offset:848
	s_waitcnt vmcnt(6) lgkmcnt(1)
	v_fma_f64 v[109:110], v[123:124], v[113:114], v[109:110]
	s_waitcnt vmcnt(3)
	v_fma_f64 v[109:110], v[129:130], v[115:116], v[109:110]
	s_waitcnt vmcnt(2) lgkmcnt(0)
	v_fma_f64 v[109:110], v[131:132], v[111:112], v[109:110]
	s_waitcnt vmcnt(0)
	v_add_f64 v[109:110], v[133:134], -v[109:110]
	buffer_store_dword v110, off, s[0:3], 0 offset:252
	buffer_store_dword v109, off, s[0:3], 0 offset:248
	s_and_saveexec_b64 s[4:5], vcc
	s_cbranch_execz .LBB52_265
; %bb.264:
	buffer_load_dword v109, off, s[0:3], 0 offset:240
	buffer_load_dword v110, off, s[0:3], 0 offset:244
	s_waitcnt vmcnt(0)
	ds_write_b64 v107, v[109:110]
	buffer_store_dword v108, off, s[0:3], 0 offset:240
	buffer_store_dword v108, off, s[0:3], 0 offset:244
.LBB52_265:
	s_or_b64 exec, exec, s[4:5]
	s_waitcnt lgkmcnt(0)
	; wave barrier
	buffer_load_dword v117, off, s[0:3], 0 offset:248
	buffer_load_dword v118, off, s[0:3], 0 offset:252
	;; [unrolled: 1-line block ×21, first 2 shown]
	ds_read2_b64 v[109:112], v108 offset0:85 offset1:86
	ds_read2_b64 v[113:116], v108 offset0:87 offset1:88
	buffer_load_dword v134, off, s[0:3], 0 offset:332
	v_cmp_lt_u32_e32 vcc, 29, v0
	s_waitcnt vmcnt(20) lgkmcnt(1)
	v_fma_f64 v[109:110], v[117:118], v[109:110], 0
	s_waitcnt vmcnt(18)
	v_fma_f64 v[109:110], v[119:120], v[111:112], v[109:110]
	buffer_load_dword v118, off, s[0:3], 0 offset:340
	buffer_load_dword v119, off, s[0:3], 0 offset:360
	;; [unrolled: 1-line block ×7, first 2 shown]
	s_waitcnt vmcnt(23) lgkmcnt(0)
	v_fma_f64 v[109:110], v[121:122], v[113:114], v[109:110]
	s_waitcnt vmcnt(21)
	v_fma_f64 v[120:121], v[123:124], v[115:116], v[109:110]
	ds_read2_b64 v[109:112], v108 offset0:89 offset1:90
	ds_read2_b64 v[113:116], v108 offset0:91 offset1:92
	s_waitcnt vmcnt(19) lgkmcnt(1)
	v_fma_f64 v[109:110], v[125:126], v[109:110], v[120:121]
	buffer_load_dword v120, off, s[0:3], 0 offset:364
	s_waitcnt vmcnt(18)
	v_fma_f64 v[109:110], v[127:128], v[111:112], v[109:110]
	buffer_load_dword v122, off, s[0:3], 0 offset:372
	buffer_load_dword v123, off, s[0:3], 0 offset:392
	;; [unrolled: 1-line block ×8, first 2 shown]
	s_waitcnt vmcnt(24) lgkmcnt(0)
	v_fma_f64 v[109:110], v[129:130], v[113:114], v[109:110]
	s_waitcnt vmcnt(19)
	v_fma_f64 v[129:130], v[131:132], v[115:116], v[109:110]
	ds_read2_b64 v[109:112], v108 offset0:93 offset1:94
	ds_read2_b64 v[113:116], v108 offset0:95 offset1:96
	s_waitcnt vmcnt(18) lgkmcnt(1)
	v_fma_f64 v[109:110], v[137:138], v[109:110], v[129:130]
	s_waitcnt vmcnt(17)
	v_fma_f64 v[109:110], v[135:136], v[111:112], v[109:110]
	buffer_load_dword v130, off, s[0:3], 0 offset:404
	buffer_load_dword v131, off, s[0:3], 0 offset:416
	;; [unrolled: 1-line block ×6, first 2 shown]
	s_waitcnt vmcnt(22) lgkmcnt(0)
	v_fma_f64 v[109:110], v[133:134], v[113:114], v[109:110]
	s_waitcnt vmcnt(17)
	v_fma_f64 v[117:118], v[117:118], v[115:116], v[109:110]
	ds_read2_b64 v[109:112], v108 offset0:97 offset1:98
	buffer_load_dword v133, off, s[0:3], 0 offset:240
	buffer_load_dword v134, off, s[0:3], 0 offset:244
	ds_read2_b64 v[113:116], v108 offset0:99 offset1:100
	s_waitcnt vmcnt(18) lgkmcnt(1)
	v_fma_f64 v[109:110], v[141:142], v[109:110], v[117:118]
	s_waitcnt vmcnt(17)
	v_fma_f64 v[109:110], v[139:140], v[111:112], v[109:110]
	s_waitcnt vmcnt(16) lgkmcnt(0)
	v_fma_f64 v[109:110], v[119:120], v[113:114], v[109:110]
	s_waitcnt vmcnt(11)
	v_fma_f64 v[117:118], v[121:122], v[115:116], v[109:110]
	ds_read2_b64 v[109:112], v108 offset0:101 offset1:102
	ds_read2_b64 v[113:116], v108 offset0:103 offset1:104
	s_waitcnt vmcnt(10) lgkmcnt(1)
	v_fma_f64 v[109:110], v[127:128], v[109:110], v[117:118]
	s_waitcnt vmcnt(9)
	v_fma_f64 v[109:110], v[125:126], v[111:112], v[109:110]
	s_waitcnt vmcnt(8) lgkmcnt(0)
	v_fma_f64 v[109:110], v[123:124], v[113:114], v[109:110]
	s_waitcnt vmcnt(4)
	v_fma_f64 v[112:113], v[129:130], v[115:116], v[109:110]
	ds_read2_b64 v[108:111], v108 offset0:105 offset1:106
	s_waitcnt vmcnt(3) lgkmcnt(0)
	v_fma_f64 v[108:109], v[135:136], v[108:109], v[112:113]
	s_waitcnt vmcnt(2)
	v_fma_f64 v[108:109], v[131:132], v[110:111], v[108:109]
	s_waitcnt vmcnt(0)
	v_add_f64 v[108:109], v[133:134], -v[108:109]
	buffer_store_dword v109, off, s[0:3], 0 offset:244
	buffer_store_dword v108, off, s[0:3], 0 offset:240
	s_and_saveexec_b64 s[4:5], vcc
	s_cbranch_execz .LBB52_267
; %bb.266:
	buffer_load_dword v108, off, s[0:3], 0 offset:232
	buffer_load_dword v109, off, s[0:3], 0 offset:236
	v_mov_b32_e32 v110, 0
	buffer_store_dword v110, off, s[0:3], 0 offset:232
	buffer_store_dword v110, off, s[0:3], 0 offset:236
	s_waitcnt vmcnt(2)
	ds_write_b64 v107, v[108:109]
.LBB52_267:
	s_or_b64 exec, exec, s[4:5]
	s_waitcnt lgkmcnt(0)
	; wave barrier
	buffer_load_dword v117, off, s[0:3], 0 offset:240
	buffer_load_dword v118, off, s[0:3], 0 offset:244
	;; [unrolled: 1-line block ×21, first 2 shown]
	v_mov_b32_e32 v108, 0
	ds_read_b128 v[109:112], v108 offset:672
	ds_read_b128 v[113:116], v108 offset:688
	buffer_load_dword v134, off, s[0:3], 0 offset:324
	v_cmp_lt_u32_e32 vcc, 28, v0
	s_waitcnt vmcnt(20) lgkmcnt(1)
	v_fma_f64 v[109:110], v[117:118], v[109:110], 0
	s_waitcnt vmcnt(18)
	v_fma_f64 v[109:110], v[119:120], v[111:112], v[109:110]
	buffer_load_dword v118, off, s[0:3], 0 offset:332
	buffer_load_dword v119, off, s[0:3], 0 offset:352
	;; [unrolled: 1-line block ×7, first 2 shown]
	s_waitcnt vmcnt(23) lgkmcnt(0)
	v_fma_f64 v[109:110], v[121:122], v[113:114], v[109:110]
	s_waitcnt vmcnt(21)
	v_fma_f64 v[120:121], v[123:124], v[115:116], v[109:110]
	ds_read_b128 v[109:112], v108 offset:704
	ds_read_b128 v[113:116], v108 offset:720
	s_waitcnt vmcnt(19) lgkmcnt(1)
	v_fma_f64 v[109:110], v[125:126], v[109:110], v[120:121]
	buffer_load_dword v120, off, s[0:3], 0 offset:356
	s_waitcnt vmcnt(18)
	v_fma_f64 v[109:110], v[127:128], v[111:112], v[109:110]
	buffer_load_dword v122, off, s[0:3], 0 offset:364
	buffer_load_dword v123, off, s[0:3], 0 offset:384
	;; [unrolled: 1-line block ×8, first 2 shown]
	s_waitcnt vmcnt(24) lgkmcnt(0)
	v_fma_f64 v[109:110], v[129:130], v[113:114], v[109:110]
	s_waitcnt vmcnt(19)
	v_fma_f64 v[129:130], v[131:132], v[115:116], v[109:110]
	ds_read_b128 v[109:112], v108 offset:736
	ds_read_b128 v[113:116], v108 offset:752
	s_waitcnt vmcnt(18) lgkmcnt(1)
	v_fma_f64 v[109:110], v[137:138], v[109:110], v[129:130]
	s_waitcnt vmcnt(17)
	v_fma_f64 v[109:110], v[135:136], v[111:112], v[109:110]
	buffer_load_dword v130, off, s[0:3], 0 offset:396
	buffer_load_dword v131, off, s[0:3], 0 offset:416
	;; [unrolled: 1-line block ×8, first 2 shown]
	s_waitcnt vmcnt(24) lgkmcnt(0)
	v_fma_f64 v[109:110], v[133:134], v[113:114], v[109:110]
	s_waitcnt vmcnt(19)
	v_fma_f64 v[117:118], v[117:118], v[115:116], v[109:110]
	ds_read_b128 v[109:112], v108 offset:768
	ds_read_b128 v[113:116], v108 offset:784
	s_waitcnt vmcnt(18) lgkmcnt(1)
	v_fma_f64 v[109:110], v[141:142], v[109:110], v[117:118]
	buffer_load_dword v117, off, s[0:3], 0 offset:232
	buffer_load_dword v118, off, s[0:3], 0 offset:236
	s_waitcnt vmcnt(19)
	v_fma_f64 v[109:110], v[139:140], v[111:112], v[109:110]
	s_waitcnt vmcnt(18) lgkmcnt(0)
	v_fma_f64 v[109:110], v[119:120], v[113:114], v[109:110]
	s_waitcnt vmcnt(13)
	v_fma_f64 v[119:120], v[121:122], v[115:116], v[109:110]
	ds_read_b128 v[109:112], v108 offset:800
	ds_read_b128 v[113:116], v108 offset:816
	s_waitcnt vmcnt(12) lgkmcnt(1)
	v_fma_f64 v[109:110], v[127:128], v[109:110], v[119:120]
	s_waitcnt vmcnt(11)
	v_fma_f64 v[109:110], v[125:126], v[111:112], v[109:110]
	s_waitcnt vmcnt(10) lgkmcnt(0)
	v_fma_f64 v[109:110], v[123:124], v[113:114], v[109:110]
	s_waitcnt vmcnt(5)
	v_fma_f64 v[113:114], v[129:130], v[115:116], v[109:110]
	ds_read_b128 v[109:112], v108 offset:832
	ds_read_b64 v[115:116], v108 offset:848
	s_waitcnt vmcnt(4) lgkmcnt(1)
	v_fma_f64 v[109:110], v[137:138], v[109:110], v[113:114]
	s_waitcnt vmcnt(3)
	v_fma_f64 v[109:110], v[135:136], v[111:112], v[109:110]
	s_waitcnt vmcnt(2) lgkmcnt(0)
	v_fma_f64 v[109:110], v[131:132], v[115:116], v[109:110]
	s_waitcnt vmcnt(0)
	v_add_f64 v[109:110], v[117:118], -v[109:110]
	buffer_store_dword v110, off, s[0:3], 0 offset:236
	buffer_store_dword v109, off, s[0:3], 0 offset:232
	s_and_saveexec_b64 s[4:5], vcc
	s_cbranch_execz .LBB52_269
; %bb.268:
	buffer_load_dword v109, off, s[0:3], 0 offset:224
	buffer_load_dword v110, off, s[0:3], 0 offset:228
	s_waitcnt vmcnt(0)
	ds_write_b64 v107, v[109:110]
	buffer_store_dword v108, off, s[0:3], 0 offset:224
	buffer_store_dword v108, off, s[0:3], 0 offset:228
.LBB52_269:
	s_or_b64 exec, exec, s[4:5]
	s_waitcnt lgkmcnt(0)
	; wave barrier
	buffer_load_dword v117, off, s[0:3], 0 offset:232
	buffer_load_dword v118, off, s[0:3], 0 offset:236
	;; [unrolled: 1-line block ×21, first 2 shown]
	ds_read2_b64 v[109:112], v108 offset0:83 offset1:84
	ds_read2_b64 v[113:116], v108 offset0:85 offset1:86
	buffer_load_dword v134, off, s[0:3], 0 offset:316
	v_cmp_lt_u32_e32 vcc, 27, v0
	s_waitcnt vmcnt(20) lgkmcnt(1)
	v_fma_f64 v[109:110], v[117:118], v[109:110], 0
	s_waitcnt vmcnt(18)
	v_fma_f64 v[109:110], v[119:120], v[111:112], v[109:110]
	buffer_load_dword v118, off, s[0:3], 0 offset:324
	buffer_load_dword v119, off, s[0:3], 0 offset:344
	buffer_load_dword v139, off, s[0:3], 0 offset:336
	buffer_load_dword v141, off, s[0:3], 0 offset:328
	buffer_load_dword v117, off, s[0:3], 0 offset:320
	buffer_load_dword v142, off, s[0:3], 0 offset:332
	buffer_load_dword v140, off, s[0:3], 0 offset:340
	s_waitcnt vmcnt(23) lgkmcnt(0)
	v_fma_f64 v[109:110], v[121:122], v[113:114], v[109:110]
	s_waitcnt vmcnt(21)
	v_fma_f64 v[120:121], v[123:124], v[115:116], v[109:110]
	ds_read2_b64 v[109:112], v108 offset0:87 offset1:88
	ds_read2_b64 v[113:116], v108 offset0:89 offset1:90
	s_waitcnt vmcnt(19) lgkmcnt(1)
	v_fma_f64 v[109:110], v[125:126], v[109:110], v[120:121]
	buffer_load_dword v120, off, s[0:3], 0 offset:348
	s_waitcnt vmcnt(18)
	v_fma_f64 v[109:110], v[127:128], v[111:112], v[109:110]
	buffer_load_dword v122, off, s[0:3], 0 offset:356
	buffer_load_dword v123, off, s[0:3], 0 offset:376
	;; [unrolled: 1-line block ×8, first 2 shown]
	s_waitcnt vmcnt(24) lgkmcnt(0)
	v_fma_f64 v[109:110], v[129:130], v[113:114], v[109:110]
	s_waitcnt vmcnt(19)
	v_fma_f64 v[129:130], v[131:132], v[115:116], v[109:110]
	ds_read2_b64 v[109:112], v108 offset0:91 offset1:92
	ds_read2_b64 v[113:116], v108 offset0:93 offset1:94
	s_waitcnt vmcnt(18) lgkmcnt(1)
	v_fma_f64 v[109:110], v[137:138], v[109:110], v[129:130]
	s_waitcnt vmcnt(17)
	v_fma_f64 v[109:110], v[135:136], v[111:112], v[109:110]
	buffer_load_dword v130, off, s[0:3], 0 offset:388
	buffer_load_dword v131, off, s[0:3], 0 offset:408
	;; [unrolled: 1-line block ×8, first 2 shown]
	s_waitcnt vmcnt(24) lgkmcnt(0)
	v_fma_f64 v[109:110], v[133:134], v[113:114], v[109:110]
	s_waitcnt vmcnt(19)
	v_fma_f64 v[117:118], v[117:118], v[115:116], v[109:110]
	ds_read2_b64 v[109:112], v108 offset0:95 offset1:96
	ds_read2_b64 v[113:116], v108 offset0:97 offset1:98
	s_waitcnt vmcnt(18) lgkmcnt(1)
	v_fma_f64 v[109:110], v[141:142], v[109:110], v[117:118]
	buffer_load_dword v118, off, s[0:3], 0 offset:420
	buffer_load_dword v117, off, s[0:3], 0 offset:416
	;; [unrolled: 1-line block ×4, first 2 shown]
	s_waitcnt vmcnt(21)
	v_fma_f64 v[109:110], v[139:140], v[111:112], v[109:110]
	s_waitcnt vmcnt(20) lgkmcnt(0)
	v_fma_f64 v[109:110], v[119:120], v[113:114], v[109:110]
	s_waitcnt vmcnt(15)
	v_fma_f64 v[119:120], v[121:122], v[115:116], v[109:110]
	ds_read2_b64 v[109:112], v108 offset0:99 offset1:100
	ds_read2_b64 v[113:116], v108 offset0:101 offset1:102
	s_waitcnt vmcnt(14) lgkmcnt(1)
	v_fma_f64 v[109:110], v[127:128], v[109:110], v[119:120]
	s_waitcnt vmcnt(13)
	v_fma_f64 v[109:110], v[125:126], v[111:112], v[109:110]
	s_waitcnt vmcnt(12) lgkmcnt(0)
	v_fma_f64 v[109:110], v[123:124], v[113:114], v[109:110]
	s_waitcnt vmcnt(7)
	v_fma_f64 v[119:120], v[129:130], v[115:116], v[109:110]
	ds_read2_b64 v[109:112], v108 offset0:103 offset1:104
	ds_read2_b64 v[113:116], v108 offset0:105 offset1:106
	s_waitcnt vmcnt(6) lgkmcnt(1)
	v_fma_f64 v[108:109], v[137:138], v[109:110], v[119:120]
	s_waitcnt vmcnt(5)
	v_fma_f64 v[108:109], v[135:136], v[111:112], v[108:109]
	s_waitcnt vmcnt(4) lgkmcnt(0)
	v_fma_f64 v[108:109], v[131:132], v[113:114], v[108:109]
	s_waitcnt vmcnt(2)
	v_fma_f64 v[108:109], v[117:118], v[115:116], v[108:109]
	s_waitcnt vmcnt(0)
	v_add_f64 v[108:109], v[133:134], -v[108:109]
	buffer_store_dword v109, off, s[0:3], 0 offset:228
	buffer_store_dword v108, off, s[0:3], 0 offset:224
	s_and_saveexec_b64 s[4:5], vcc
	s_cbranch_execz .LBB52_271
; %bb.270:
	buffer_load_dword v108, off, s[0:3], 0 offset:216
	buffer_load_dword v109, off, s[0:3], 0 offset:220
	v_mov_b32_e32 v110, 0
	buffer_store_dword v110, off, s[0:3], 0 offset:216
	buffer_store_dword v110, off, s[0:3], 0 offset:220
	s_waitcnt vmcnt(2)
	ds_write_b64 v107, v[108:109]
.LBB52_271:
	s_or_b64 exec, exec, s[4:5]
	s_waitcnt lgkmcnt(0)
	; wave barrier
	buffer_load_dword v117, off, s[0:3], 0 offset:224
	buffer_load_dword v118, off, s[0:3], 0 offset:228
	;; [unrolled: 1-line block ×21, first 2 shown]
	v_mov_b32_e32 v108, 0
	ds_read_b128 v[109:112], v108 offset:656
	ds_read_b128 v[113:116], v108 offset:672
	buffer_load_dword v134, off, s[0:3], 0 offset:308
	v_cmp_lt_u32_e32 vcc, 26, v0
	s_waitcnt vmcnt(20) lgkmcnt(1)
	v_fma_f64 v[109:110], v[117:118], v[109:110], 0
	s_waitcnt vmcnt(18)
	v_fma_f64 v[109:110], v[119:120], v[111:112], v[109:110]
	buffer_load_dword v118, off, s[0:3], 0 offset:316
	buffer_load_dword v119, off, s[0:3], 0 offset:336
	;; [unrolled: 1-line block ×7, first 2 shown]
	s_waitcnt vmcnt(23) lgkmcnt(0)
	v_fma_f64 v[109:110], v[121:122], v[113:114], v[109:110]
	s_waitcnt vmcnt(21)
	v_fma_f64 v[120:121], v[123:124], v[115:116], v[109:110]
	ds_read_b128 v[109:112], v108 offset:688
	ds_read_b128 v[113:116], v108 offset:704
	s_waitcnt vmcnt(19) lgkmcnt(1)
	v_fma_f64 v[109:110], v[125:126], v[109:110], v[120:121]
	buffer_load_dword v120, off, s[0:3], 0 offset:340
	s_waitcnt vmcnt(18)
	v_fma_f64 v[109:110], v[127:128], v[111:112], v[109:110]
	buffer_load_dword v122, off, s[0:3], 0 offset:348
	buffer_load_dword v123, off, s[0:3], 0 offset:368
	;; [unrolled: 1-line block ×8, first 2 shown]
	s_waitcnt vmcnt(24) lgkmcnt(0)
	v_fma_f64 v[109:110], v[129:130], v[113:114], v[109:110]
	s_waitcnt vmcnt(19)
	v_fma_f64 v[129:130], v[131:132], v[115:116], v[109:110]
	ds_read_b128 v[109:112], v108 offset:720
	ds_read_b128 v[113:116], v108 offset:736
	s_waitcnt vmcnt(18) lgkmcnt(1)
	v_fma_f64 v[109:110], v[137:138], v[109:110], v[129:130]
	s_waitcnt vmcnt(17)
	v_fma_f64 v[109:110], v[135:136], v[111:112], v[109:110]
	buffer_load_dword v130, off, s[0:3], 0 offset:380
	buffer_load_dword v131, off, s[0:3], 0 offset:400
	;; [unrolled: 1-line block ×7, first 2 shown]
	s_waitcnt vmcnt(23) lgkmcnt(0)
	v_fma_f64 v[109:110], v[133:134], v[113:114], v[109:110]
	s_waitcnt vmcnt(18)
	v_fma_f64 v[117:118], v[117:118], v[115:116], v[109:110]
	ds_read_b128 v[109:112], v108 offset:752
	ds_read_b128 v[113:116], v108 offset:768
	buffer_load_dword v132, off, s[0:3], 0 offset:404
	s_waitcnt vmcnt(18) lgkmcnt(1)
	v_fma_f64 v[109:110], v[141:142], v[109:110], v[117:118]
	buffer_load_dword v118, off, s[0:3], 0 offset:412
	buffer_load_dword v133, off, s[0:3], 0 offset:416
	;; [unrolled: 1-line block ×4, first 2 shown]
	s_waitcnt vmcnt(21)
	v_fma_f64 v[109:110], v[139:140], v[111:112], v[109:110]
	s_waitcnt vmcnt(20) lgkmcnt(0)
	v_fma_f64 v[109:110], v[119:120], v[113:114], v[109:110]
	buffer_load_dword v119, off, s[0:3], 0 offset:216
	buffer_load_dword v120, off, s[0:3], 0 offset:220
	s_waitcnt vmcnt(17)
	v_fma_f64 v[121:122], v[121:122], v[115:116], v[109:110]
	ds_read_b128 v[109:112], v108 offset:784
	ds_read_b128 v[113:116], v108 offset:800
	s_waitcnt vmcnt(16) lgkmcnt(1)
	v_fma_f64 v[109:110], v[127:128], v[109:110], v[121:122]
	s_waitcnt vmcnt(15)
	v_fma_f64 v[109:110], v[125:126], v[111:112], v[109:110]
	s_waitcnt vmcnt(14) lgkmcnt(0)
	v_fma_f64 v[109:110], v[123:124], v[113:114], v[109:110]
	s_waitcnt vmcnt(9)
	v_fma_f64 v[121:122], v[129:130], v[115:116], v[109:110]
	ds_read_b128 v[109:112], v108 offset:816
	ds_read_b128 v[113:116], v108 offset:832
	s_waitcnt vmcnt(8) lgkmcnt(1)
	v_fma_f64 v[109:110], v[137:138], v[109:110], v[121:122]
	s_waitcnt vmcnt(7)
	v_fma_f64 v[109:110], v[135:136], v[111:112], v[109:110]
	ds_read_b64 v[111:112], v108 offset:848
	s_waitcnt vmcnt(6) lgkmcnt(1)
	v_fma_f64 v[109:110], v[131:132], v[113:114], v[109:110]
	s_waitcnt vmcnt(3)
	v_fma_f64 v[109:110], v[117:118], v[115:116], v[109:110]
	s_waitcnt vmcnt(2) lgkmcnt(0)
	v_fma_f64 v[109:110], v[133:134], v[111:112], v[109:110]
	s_waitcnt vmcnt(0)
	v_add_f64 v[109:110], v[119:120], -v[109:110]
	buffer_store_dword v110, off, s[0:3], 0 offset:220
	buffer_store_dword v109, off, s[0:3], 0 offset:216
	s_and_saveexec_b64 s[4:5], vcc
	s_cbranch_execz .LBB52_273
; %bb.272:
	buffer_load_dword v109, off, s[0:3], 0 offset:208
	buffer_load_dword v110, off, s[0:3], 0 offset:212
	s_waitcnt vmcnt(0)
	ds_write_b64 v107, v[109:110]
	buffer_store_dword v108, off, s[0:3], 0 offset:208
	buffer_store_dword v108, off, s[0:3], 0 offset:212
.LBB52_273:
	s_or_b64 exec, exec, s[4:5]
	s_waitcnt lgkmcnt(0)
	; wave barrier
	buffer_load_dword v117, off, s[0:3], 0 offset:216
	buffer_load_dword v118, off, s[0:3], 0 offset:220
	;; [unrolled: 1-line block ×22, first 2 shown]
	ds_read2_b64 v[109:112], v108 offset0:81 offset1:82
	ds_read2_b64 v[113:116], v108 offset0:83 offset1:84
	v_cmp_lt_u32_e32 vcc, 25, v0
	s_waitcnt vmcnt(20) lgkmcnt(1)
	v_fma_f64 v[109:110], v[117:118], v[109:110], 0
	s_waitcnt vmcnt(18)
	v_fma_f64 v[109:110], v[119:120], v[111:112], v[109:110]
	buffer_load_dword v118, off, s[0:3], 0 offset:308
	buffer_load_dword v119, off, s[0:3], 0 offset:328
	;; [unrolled: 1-line block ×7, first 2 shown]
	s_waitcnt vmcnt(23) lgkmcnt(0)
	v_fma_f64 v[109:110], v[121:122], v[113:114], v[109:110]
	s_waitcnt vmcnt(21)
	v_fma_f64 v[120:121], v[123:124], v[115:116], v[109:110]
	ds_read2_b64 v[109:112], v108 offset0:85 offset1:86
	ds_read2_b64 v[113:116], v108 offset0:87 offset1:88
	s_waitcnt vmcnt(19) lgkmcnt(1)
	v_fma_f64 v[109:110], v[125:126], v[109:110], v[120:121]
	buffer_load_dword v120, off, s[0:3], 0 offset:332
	s_waitcnt vmcnt(18)
	v_fma_f64 v[109:110], v[127:128], v[111:112], v[109:110]
	buffer_load_dword v122, off, s[0:3], 0 offset:340
	buffer_load_dword v123, off, s[0:3], 0 offset:360
	;; [unrolled: 1-line block ×8, first 2 shown]
	s_waitcnt vmcnt(24) lgkmcnt(0)
	v_fma_f64 v[109:110], v[129:130], v[113:114], v[109:110]
	s_waitcnt vmcnt(19)
	v_fma_f64 v[129:130], v[131:132], v[115:116], v[109:110]
	ds_read2_b64 v[109:112], v108 offset0:89 offset1:90
	ds_read2_b64 v[113:116], v108 offset0:91 offset1:92
	s_waitcnt vmcnt(18) lgkmcnt(1)
	v_fma_f64 v[109:110], v[137:138], v[109:110], v[129:130]
	s_waitcnt vmcnt(17)
	v_fma_f64 v[109:110], v[135:136], v[111:112], v[109:110]
	buffer_load_dword v130, off, s[0:3], 0 offset:372
	buffer_load_dword v131, off, s[0:3], 0 offset:392
	;; [unrolled: 1-line block ×8, first 2 shown]
	s_waitcnt vmcnt(24) lgkmcnt(0)
	v_fma_f64 v[109:110], v[133:134], v[113:114], v[109:110]
	s_waitcnt vmcnt(19)
	v_fma_f64 v[117:118], v[117:118], v[115:116], v[109:110]
	ds_read2_b64 v[109:112], v108 offset0:93 offset1:94
	ds_read2_b64 v[113:116], v108 offset0:95 offset1:96
	s_waitcnt vmcnt(18) lgkmcnt(1)
	v_fma_f64 v[109:110], v[141:142], v[109:110], v[117:118]
	s_waitcnt vmcnt(17)
	v_fma_f64 v[109:110], v[139:140], v[111:112], v[109:110]
	buffer_load_dword v118, off, s[0:3], 0 offset:404
	buffer_load_dword v133, off, s[0:3], 0 offset:416
	buffer_load_dword v139, off, s[0:3], 0 offset:408
	buffer_load_dword v117, off, s[0:3], 0 offset:400
	buffer_load_dword v140, off, s[0:3], 0 offset:412
	buffer_load_dword v134, off, s[0:3], 0 offset:420
	s_waitcnt vmcnt(22) lgkmcnt(0)
	v_fma_f64 v[109:110], v[119:120], v[113:114], v[109:110]
	s_waitcnt vmcnt(17)
	v_fma_f64 v[119:120], v[121:122], v[115:116], v[109:110]
	ds_read2_b64 v[109:112], v108 offset0:97 offset1:98
	buffer_load_dword v121, off, s[0:3], 0 offset:208
	buffer_load_dword v122, off, s[0:3], 0 offset:212
	ds_read2_b64 v[113:116], v108 offset0:99 offset1:100
	s_waitcnt vmcnt(18) lgkmcnt(1)
	v_fma_f64 v[109:110], v[127:128], v[109:110], v[119:120]
	s_waitcnt vmcnt(17)
	v_fma_f64 v[109:110], v[125:126], v[111:112], v[109:110]
	s_waitcnt vmcnt(16) lgkmcnt(0)
	v_fma_f64 v[109:110], v[123:124], v[113:114], v[109:110]
	s_waitcnt vmcnt(11)
	v_fma_f64 v[119:120], v[129:130], v[115:116], v[109:110]
	ds_read2_b64 v[109:112], v108 offset0:101 offset1:102
	ds_read2_b64 v[113:116], v108 offset0:103 offset1:104
	s_waitcnt vmcnt(10) lgkmcnt(1)
	v_fma_f64 v[109:110], v[137:138], v[109:110], v[119:120]
	s_waitcnt vmcnt(9)
	v_fma_f64 v[109:110], v[135:136], v[111:112], v[109:110]
	s_waitcnt vmcnt(8) lgkmcnt(0)
	v_fma_f64 v[109:110], v[131:132], v[113:114], v[109:110]
	s_waitcnt vmcnt(4)
	v_fma_f64 v[112:113], v[117:118], v[115:116], v[109:110]
	ds_read2_b64 v[108:111], v108 offset0:105 offset1:106
	s_waitcnt vmcnt(3) lgkmcnt(0)
	v_fma_f64 v[108:109], v[139:140], v[108:109], v[112:113]
	s_waitcnt vmcnt(2)
	v_fma_f64 v[108:109], v[133:134], v[110:111], v[108:109]
	s_waitcnt vmcnt(0)
	v_add_f64 v[108:109], v[121:122], -v[108:109]
	buffer_store_dword v109, off, s[0:3], 0 offset:212
	buffer_store_dword v108, off, s[0:3], 0 offset:208
	s_and_saveexec_b64 s[4:5], vcc
	s_cbranch_execz .LBB52_275
; %bb.274:
	buffer_load_dword v108, off, s[0:3], 0 offset:200
	buffer_load_dword v109, off, s[0:3], 0 offset:204
	v_mov_b32_e32 v110, 0
	buffer_store_dword v110, off, s[0:3], 0 offset:200
	buffer_store_dword v110, off, s[0:3], 0 offset:204
	s_waitcnt vmcnt(2)
	ds_write_b64 v107, v[108:109]
.LBB52_275:
	s_or_b64 exec, exec, s[4:5]
	s_waitcnt lgkmcnt(0)
	; wave barrier
	buffer_load_dword v117, off, s[0:3], 0 offset:208
	buffer_load_dword v118, off, s[0:3], 0 offset:212
	;; [unrolled: 1-line block ×22, first 2 shown]
	v_mov_b32_e32 v108, 0
	ds_read_b128 v[109:112], v108 offset:640
	ds_read_b128 v[113:116], v108 offset:656
	v_cmp_lt_u32_e32 vcc, 24, v0
	s_waitcnt vmcnt(20) lgkmcnt(1)
	v_fma_f64 v[109:110], v[117:118], v[109:110], 0
	s_waitcnt vmcnt(18)
	v_fma_f64 v[109:110], v[119:120], v[111:112], v[109:110]
	buffer_load_dword v118, off, s[0:3], 0 offset:300
	buffer_load_dword v119, off, s[0:3], 0 offset:320
	buffer_load_dword v139, off, s[0:3], 0 offset:312
	buffer_load_dword v141, off, s[0:3], 0 offset:304
	buffer_load_dword v117, off, s[0:3], 0 offset:296
	buffer_load_dword v142, off, s[0:3], 0 offset:308
	buffer_load_dword v140, off, s[0:3], 0 offset:316
	s_waitcnt vmcnt(23) lgkmcnt(0)
	v_fma_f64 v[109:110], v[121:122], v[113:114], v[109:110]
	s_waitcnt vmcnt(21)
	v_fma_f64 v[120:121], v[123:124], v[115:116], v[109:110]
	ds_read_b128 v[109:112], v108 offset:672
	ds_read_b128 v[113:116], v108 offset:688
	s_waitcnt vmcnt(19) lgkmcnt(1)
	v_fma_f64 v[109:110], v[125:126], v[109:110], v[120:121]
	buffer_load_dword v120, off, s[0:3], 0 offset:324
	s_waitcnt vmcnt(18)
	v_fma_f64 v[109:110], v[127:128], v[111:112], v[109:110]
	buffer_load_dword v122, off, s[0:3], 0 offset:332
	buffer_load_dword v123, off, s[0:3], 0 offset:352
	buffer_load_dword v125, off, s[0:3], 0 offset:344
	buffer_load_dword v127, off, s[0:3], 0 offset:336
	buffer_load_dword v121, off, s[0:3], 0 offset:328
	buffer_load_dword v128, off, s[0:3], 0 offset:340
	buffer_load_dword v126, off, s[0:3], 0 offset:348
	buffer_load_dword v124, off, s[0:3], 0 offset:356
	s_waitcnt vmcnt(24) lgkmcnt(0)
	v_fma_f64 v[109:110], v[129:130], v[113:114], v[109:110]
	s_waitcnt vmcnt(19)
	v_fma_f64 v[129:130], v[131:132], v[115:116], v[109:110]
	ds_read_b128 v[109:112], v108 offset:704
	ds_read_b128 v[113:116], v108 offset:720
	s_waitcnt vmcnt(18) lgkmcnt(1)
	v_fma_f64 v[109:110], v[137:138], v[109:110], v[129:130]
	s_waitcnt vmcnt(17)
	v_fma_f64 v[109:110], v[135:136], v[111:112], v[109:110]
	buffer_load_dword v130, off, s[0:3], 0 offset:364
	buffer_load_dword v131, off, s[0:3], 0 offset:384
	buffer_load_dword v135, off, s[0:3], 0 offset:376
	buffer_load_dword v137, off, s[0:3], 0 offset:368
	buffer_load_dword v129, off, s[0:3], 0 offset:360
	buffer_load_dword v138, off, s[0:3], 0 offset:372
	buffer_load_dword v136, off, s[0:3], 0 offset:380
	buffer_load_dword v132, off, s[0:3], 0 offset:388
	s_waitcnt vmcnt(24) lgkmcnt(0)
	v_fma_f64 v[109:110], v[133:134], v[113:114], v[109:110]
	s_waitcnt vmcnt(19)
	v_fma_f64 v[117:118], v[117:118], v[115:116], v[109:110]
	ds_read_b128 v[109:112], v108 offset:736
	ds_read_b128 v[113:116], v108 offset:752
	s_waitcnt vmcnt(18) lgkmcnt(1)
	v_fma_f64 v[109:110], v[141:142], v[109:110], v[117:118]
	s_waitcnt vmcnt(17)
	v_fma_f64 v[109:110], v[139:140], v[111:112], v[109:110]
	buffer_load_dword v118, off, s[0:3], 0 offset:396
	buffer_load_dword v133, off, s[0:3], 0 offset:416
	buffer_load_dword v139, off, s[0:3], 0 offset:408
	buffer_load_dword v141, off, s[0:3], 0 offset:400
	buffer_load_dword v117, off, s[0:3], 0 offset:392
	buffer_load_dword v142, off, s[0:3], 0 offset:404
	buffer_load_dword v140, off, s[0:3], 0 offset:412
	buffer_load_dword v134, off, s[0:3], 0 offset:420
	s_waitcnt vmcnt(24) lgkmcnt(0)
	v_fma_f64 v[109:110], v[119:120], v[113:114], v[109:110]
	s_waitcnt vmcnt(19)
	v_fma_f64 v[119:120], v[121:122], v[115:116], v[109:110]
	ds_read_b128 v[109:112], v108 offset:768
	ds_read_b128 v[113:116], v108 offset:784
	s_waitcnt vmcnt(18) lgkmcnt(1)
	v_fma_f64 v[109:110], v[127:128], v[109:110], v[119:120]
	buffer_load_dword v119, off, s[0:3], 0 offset:200
	buffer_load_dword v120, off, s[0:3], 0 offset:204
	s_waitcnt vmcnt(19)
	v_fma_f64 v[109:110], v[125:126], v[111:112], v[109:110]
	s_waitcnt vmcnt(18) lgkmcnt(0)
	v_fma_f64 v[109:110], v[123:124], v[113:114], v[109:110]
	s_waitcnt vmcnt(13)
	v_fma_f64 v[121:122], v[129:130], v[115:116], v[109:110]
	ds_read_b128 v[109:112], v108 offset:800
	ds_read_b128 v[113:116], v108 offset:816
	s_waitcnt vmcnt(12) lgkmcnt(1)
	v_fma_f64 v[109:110], v[137:138], v[109:110], v[121:122]
	s_waitcnt vmcnt(11)
	v_fma_f64 v[109:110], v[135:136], v[111:112], v[109:110]
	s_waitcnt vmcnt(10) lgkmcnt(0)
	v_fma_f64 v[109:110], v[131:132], v[113:114], v[109:110]
	s_waitcnt vmcnt(5)
	v_fma_f64 v[113:114], v[117:118], v[115:116], v[109:110]
	ds_read_b128 v[109:112], v108 offset:832
	ds_read_b64 v[115:116], v108 offset:848
	s_waitcnt vmcnt(4) lgkmcnt(1)
	v_fma_f64 v[109:110], v[141:142], v[109:110], v[113:114]
	s_waitcnt vmcnt(3)
	v_fma_f64 v[109:110], v[139:140], v[111:112], v[109:110]
	s_waitcnt vmcnt(2) lgkmcnt(0)
	v_fma_f64 v[109:110], v[133:134], v[115:116], v[109:110]
	s_waitcnt vmcnt(0)
	v_add_f64 v[109:110], v[119:120], -v[109:110]
	buffer_store_dword v110, off, s[0:3], 0 offset:204
	buffer_store_dword v109, off, s[0:3], 0 offset:200
	s_and_saveexec_b64 s[4:5], vcc
	s_cbranch_execz .LBB52_277
; %bb.276:
	buffer_load_dword v109, off, s[0:3], 0 offset:192
	buffer_load_dword v110, off, s[0:3], 0 offset:196
	s_waitcnt vmcnt(0)
	ds_write_b64 v107, v[109:110]
	buffer_store_dword v108, off, s[0:3], 0 offset:192
	buffer_store_dword v108, off, s[0:3], 0 offset:196
.LBB52_277:
	s_or_b64 exec, exec, s[4:5]
	s_waitcnt lgkmcnt(0)
	; wave barrier
	buffer_load_dword v117, off, s[0:3], 0 offset:200
	buffer_load_dword v118, off, s[0:3], 0 offset:204
	;; [unrolled: 1-line block ×22, first 2 shown]
	ds_read2_b64 v[109:112], v108 offset0:79 offset1:80
	ds_read2_b64 v[113:116], v108 offset0:81 offset1:82
	v_cmp_lt_u32_e32 vcc, 23, v0
	s_waitcnt vmcnt(20) lgkmcnt(1)
	v_fma_f64 v[109:110], v[117:118], v[109:110], 0
	s_waitcnt vmcnt(18)
	v_fma_f64 v[109:110], v[119:120], v[111:112], v[109:110]
	buffer_load_dword v118, off, s[0:3], 0 offset:292
	buffer_load_dword v119, off, s[0:3], 0 offset:312
	buffer_load_dword v139, off, s[0:3], 0 offset:304
	buffer_load_dword v141, off, s[0:3], 0 offset:296
	buffer_load_dword v117, off, s[0:3], 0 offset:288
	buffer_load_dword v142, off, s[0:3], 0 offset:300
	buffer_load_dword v140, off, s[0:3], 0 offset:308
	s_waitcnt vmcnt(23) lgkmcnt(0)
	v_fma_f64 v[109:110], v[121:122], v[113:114], v[109:110]
	s_waitcnt vmcnt(21)
	v_fma_f64 v[120:121], v[123:124], v[115:116], v[109:110]
	ds_read2_b64 v[109:112], v108 offset0:83 offset1:84
	ds_read2_b64 v[113:116], v108 offset0:85 offset1:86
	s_waitcnt vmcnt(19) lgkmcnt(1)
	v_fma_f64 v[109:110], v[125:126], v[109:110], v[120:121]
	buffer_load_dword v120, off, s[0:3], 0 offset:316
	s_waitcnt vmcnt(18)
	v_fma_f64 v[109:110], v[127:128], v[111:112], v[109:110]
	buffer_load_dword v122, off, s[0:3], 0 offset:324
	buffer_load_dword v123, off, s[0:3], 0 offset:344
	buffer_load_dword v125, off, s[0:3], 0 offset:336
	buffer_load_dword v127, off, s[0:3], 0 offset:328
	buffer_load_dword v121, off, s[0:3], 0 offset:320
	buffer_load_dword v128, off, s[0:3], 0 offset:332
	buffer_load_dword v126, off, s[0:3], 0 offset:340
	buffer_load_dword v124, off, s[0:3], 0 offset:348
	s_waitcnt vmcnt(24) lgkmcnt(0)
	v_fma_f64 v[109:110], v[129:130], v[113:114], v[109:110]
	s_waitcnt vmcnt(19)
	v_fma_f64 v[129:130], v[131:132], v[115:116], v[109:110]
	ds_read2_b64 v[109:112], v108 offset0:87 offset1:88
	ds_read2_b64 v[113:116], v108 offset0:89 offset1:90
	s_waitcnt vmcnt(18) lgkmcnt(1)
	v_fma_f64 v[109:110], v[137:138], v[109:110], v[129:130]
	s_waitcnt vmcnt(17)
	v_fma_f64 v[109:110], v[135:136], v[111:112], v[109:110]
	buffer_load_dword v130, off, s[0:3], 0 offset:356
	buffer_load_dword v131, off, s[0:3], 0 offset:376
	buffer_load_dword v135, off, s[0:3], 0 offset:368
	buffer_load_dword v137, off, s[0:3], 0 offset:360
	buffer_load_dword v129, off, s[0:3], 0 offset:352
	buffer_load_dword v138, off, s[0:3], 0 offset:364
	buffer_load_dword v136, off, s[0:3], 0 offset:372
	buffer_load_dword v132, off, s[0:3], 0 offset:380
	s_waitcnt vmcnt(24) lgkmcnt(0)
	v_fma_f64 v[109:110], v[133:134], v[113:114], v[109:110]
	s_waitcnt vmcnt(19)
	v_fma_f64 v[117:118], v[117:118], v[115:116], v[109:110]
	ds_read2_b64 v[109:112], v108 offset0:91 offset1:92
	ds_read2_b64 v[113:116], v108 offset0:93 offset1:94
	s_waitcnt vmcnt(18) lgkmcnt(1)
	v_fma_f64 v[109:110], v[141:142], v[109:110], v[117:118]
	;; [unrolled: 18-line block ×3, first 2 shown]
	buffer_load_dword v120, off, s[0:3], 0 offset:420
	buffer_load_dword v119, off, s[0:3], 0 offset:416
	buffer_load_dword v121, off, s[0:3], 0 offset:192
	buffer_load_dword v122, off, s[0:3], 0 offset:196
	s_waitcnt vmcnt(21)
	v_fma_f64 v[109:110], v[125:126], v[111:112], v[109:110]
	s_waitcnt vmcnt(20) lgkmcnt(0)
	v_fma_f64 v[109:110], v[123:124], v[113:114], v[109:110]
	s_waitcnt vmcnt(15)
	v_fma_f64 v[123:124], v[129:130], v[115:116], v[109:110]
	ds_read2_b64 v[109:112], v108 offset0:99 offset1:100
	ds_read2_b64 v[113:116], v108 offset0:101 offset1:102
	s_waitcnt vmcnt(14) lgkmcnt(1)
	v_fma_f64 v[109:110], v[137:138], v[109:110], v[123:124]
	s_waitcnt vmcnt(13)
	v_fma_f64 v[109:110], v[135:136], v[111:112], v[109:110]
	s_waitcnt vmcnt(12) lgkmcnt(0)
	v_fma_f64 v[109:110], v[131:132], v[113:114], v[109:110]
	s_waitcnt vmcnt(7)
	v_fma_f64 v[117:118], v[117:118], v[115:116], v[109:110]
	ds_read2_b64 v[109:112], v108 offset0:103 offset1:104
	ds_read2_b64 v[113:116], v108 offset0:105 offset1:106
	s_waitcnt vmcnt(6) lgkmcnt(1)
	v_fma_f64 v[108:109], v[141:142], v[109:110], v[117:118]
	s_waitcnt vmcnt(5)
	v_fma_f64 v[108:109], v[139:140], v[111:112], v[108:109]
	s_waitcnt vmcnt(4) lgkmcnt(0)
	v_fma_f64 v[108:109], v[133:134], v[113:114], v[108:109]
	s_waitcnt vmcnt(2)
	v_fma_f64 v[108:109], v[119:120], v[115:116], v[108:109]
	s_waitcnt vmcnt(0)
	v_add_f64 v[108:109], v[121:122], -v[108:109]
	buffer_store_dword v109, off, s[0:3], 0 offset:196
	buffer_store_dword v108, off, s[0:3], 0 offset:192
	s_and_saveexec_b64 s[4:5], vcc
	s_cbranch_execz .LBB52_279
; %bb.278:
	buffer_load_dword v108, off, s[0:3], 0 offset:184
	buffer_load_dword v109, off, s[0:3], 0 offset:188
	v_mov_b32_e32 v110, 0
	buffer_store_dword v110, off, s[0:3], 0 offset:184
	buffer_store_dword v110, off, s[0:3], 0 offset:188
	s_waitcnt vmcnt(2)
	ds_write_b64 v107, v[108:109]
.LBB52_279:
	s_or_b64 exec, exec, s[4:5]
	s_waitcnt lgkmcnt(0)
	; wave barrier
	buffer_load_dword v117, off, s[0:3], 0 offset:192
	buffer_load_dword v118, off, s[0:3], 0 offset:196
	;; [unrolled: 1-line block ×22, first 2 shown]
	v_mov_b32_e32 v108, 0
	ds_read_b128 v[109:112], v108 offset:624
	ds_read_b128 v[113:116], v108 offset:640
	v_cmp_lt_u32_e32 vcc, 22, v0
	s_waitcnt vmcnt(20) lgkmcnt(1)
	v_fma_f64 v[109:110], v[117:118], v[109:110], 0
	s_waitcnt vmcnt(18)
	v_fma_f64 v[109:110], v[119:120], v[111:112], v[109:110]
	buffer_load_dword v118, off, s[0:3], 0 offset:284
	buffer_load_dword v119, off, s[0:3], 0 offset:304
	;; [unrolled: 1-line block ×7, first 2 shown]
	s_waitcnt vmcnt(23) lgkmcnt(0)
	v_fma_f64 v[109:110], v[121:122], v[113:114], v[109:110]
	s_waitcnt vmcnt(21)
	v_fma_f64 v[120:121], v[123:124], v[115:116], v[109:110]
	ds_read_b128 v[109:112], v108 offset:656
	ds_read_b128 v[113:116], v108 offset:672
	s_waitcnt vmcnt(19) lgkmcnt(1)
	v_fma_f64 v[109:110], v[125:126], v[109:110], v[120:121]
	buffer_load_dword v120, off, s[0:3], 0 offset:308
	s_waitcnt vmcnt(18)
	v_fma_f64 v[109:110], v[127:128], v[111:112], v[109:110]
	buffer_load_dword v122, off, s[0:3], 0 offset:316
	buffer_load_dword v123, off, s[0:3], 0 offset:336
	;; [unrolled: 1-line block ×7, first 2 shown]
	s_waitcnt vmcnt(23) lgkmcnt(0)
	v_fma_f64 v[109:110], v[129:130], v[113:114], v[109:110]
	s_waitcnt vmcnt(18)
	v_fma_f64 v[129:130], v[131:132], v[115:116], v[109:110]
	ds_read_b128 v[109:112], v108 offset:688
	ds_read_b128 v[113:116], v108 offset:704
	buffer_load_dword v124, off, s[0:3], 0 offset:340
	s_waitcnt vmcnt(18) lgkmcnt(1)
	v_fma_f64 v[109:110], v[137:138], v[109:110], v[129:130]
	s_waitcnt vmcnt(17)
	v_fma_f64 v[109:110], v[135:136], v[111:112], v[109:110]
	buffer_load_dword v130, off, s[0:3], 0 offset:348
	buffer_load_dword v131, off, s[0:3], 0 offset:368
	;; [unrolled: 1-line block ×8, first 2 shown]
	s_waitcnt vmcnt(24) lgkmcnt(0)
	v_fma_f64 v[109:110], v[133:134], v[113:114], v[109:110]
	s_waitcnt vmcnt(19)
	v_fma_f64 v[117:118], v[117:118], v[115:116], v[109:110]
	ds_read_b128 v[109:112], v108 offset:720
	ds_read_b128 v[113:116], v108 offset:736
	s_waitcnt vmcnt(18) lgkmcnt(1)
	v_fma_f64 v[109:110], v[141:142], v[109:110], v[117:118]
	s_waitcnt vmcnt(17)
	v_fma_f64 v[109:110], v[139:140], v[111:112], v[109:110]
	buffer_load_dword v118, off, s[0:3], 0 offset:380
	buffer_load_dword v133, off, s[0:3], 0 offset:400
	;; [unrolled: 1-line block ×7, first 2 shown]
	s_waitcnt vmcnt(23) lgkmcnt(0)
	v_fma_f64 v[109:110], v[119:120], v[113:114], v[109:110]
	s_waitcnt vmcnt(18)
	v_fma_f64 v[119:120], v[121:122], v[115:116], v[109:110]
	ds_read_b128 v[109:112], v108 offset:752
	ds_read_b128 v[113:116], v108 offset:768
	buffer_load_dword v134, off, s[0:3], 0 offset:404
	s_waitcnt vmcnt(18) lgkmcnt(1)
	v_fma_f64 v[109:110], v[127:128], v[109:110], v[119:120]
	buffer_load_dword v120, off, s[0:3], 0 offset:412
	buffer_load_dword v121, off, s[0:3], 0 offset:416
	;; [unrolled: 1-line block ×4, first 2 shown]
	s_waitcnt vmcnt(21)
	v_fma_f64 v[109:110], v[125:126], v[111:112], v[109:110]
	s_waitcnt vmcnt(20) lgkmcnt(0)
	v_fma_f64 v[109:110], v[123:124], v[113:114], v[109:110]
	buffer_load_dword v123, off, s[0:3], 0 offset:184
	buffer_load_dword v124, off, s[0:3], 0 offset:188
	s_waitcnt vmcnt(17)
	v_fma_f64 v[125:126], v[129:130], v[115:116], v[109:110]
	ds_read_b128 v[109:112], v108 offset:784
	ds_read_b128 v[113:116], v108 offset:800
	s_waitcnt vmcnt(16) lgkmcnt(1)
	v_fma_f64 v[109:110], v[137:138], v[109:110], v[125:126]
	s_waitcnt vmcnt(15)
	v_fma_f64 v[109:110], v[135:136], v[111:112], v[109:110]
	s_waitcnt vmcnt(14) lgkmcnt(0)
	v_fma_f64 v[109:110], v[131:132], v[113:114], v[109:110]
	s_waitcnt vmcnt(9)
	v_fma_f64 v[117:118], v[117:118], v[115:116], v[109:110]
	ds_read_b128 v[109:112], v108 offset:816
	ds_read_b128 v[113:116], v108 offset:832
	s_waitcnt vmcnt(8) lgkmcnt(1)
	v_fma_f64 v[109:110], v[141:142], v[109:110], v[117:118]
	s_waitcnt vmcnt(7)
	v_fma_f64 v[109:110], v[139:140], v[111:112], v[109:110]
	ds_read_b64 v[111:112], v108 offset:848
	s_waitcnt vmcnt(6) lgkmcnt(1)
	v_fma_f64 v[109:110], v[133:134], v[113:114], v[109:110]
	s_waitcnt vmcnt(3)
	v_fma_f64 v[109:110], v[119:120], v[115:116], v[109:110]
	s_waitcnt vmcnt(2) lgkmcnt(0)
	v_fma_f64 v[109:110], v[121:122], v[111:112], v[109:110]
	s_waitcnt vmcnt(0)
	v_add_f64 v[109:110], v[123:124], -v[109:110]
	buffer_store_dword v110, off, s[0:3], 0 offset:188
	buffer_store_dword v109, off, s[0:3], 0 offset:184
	s_and_saveexec_b64 s[4:5], vcc
	s_cbranch_execz .LBB52_281
; %bb.280:
	buffer_load_dword v109, off, s[0:3], 0 offset:176
	buffer_load_dword v110, off, s[0:3], 0 offset:180
	s_waitcnt vmcnt(0)
	ds_write_b64 v107, v[109:110]
	buffer_store_dword v108, off, s[0:3], 0 offset:176
	buffer_store_dword v108, off, s[0:3], 0 offset:180
.LBB52_281:
	s_or_b64 exec, exec, s[4:5]
	s_waitcnt lgkmcnt(0)
	; wave barrier
	buffer_load_dword v117, off, s[0:3], 0 offset:184
	buffer_load_dword v118, off, s[0:3], 0 offset:188
	;; [unrolled: 1-line block ×22, first 2 shown]
	ds_read2_b64 v[109:112], v108 offset0:77 offset1:78
	ds_read2_b64 v[113:116], v108 offset0:79 offset1:80
	v_cmp_lt_u32_e32 vcc, 21, v0
	s_waitcnt vmcnt(20) lgkmcnt(1)
	v_fma_f64 v[109:110], v[117:118], v[109:110], 0
	s_waitcnt vmcnt(18)
	v_fma_f64 v[109:110], v[119:120], v[111:112], v[109:110]
	buffer_load_dword v118, off, s[0:3], 0 offset:276
	buffer_load_dword v119, off, s[0:3], 0 offset:296
	;; [unrolled: 1-line block ×7, first 2 shown]
	s_waitcnt vmcnt(23) lgkmcnt(0)
	v_fma_f64 v[109:110], v[121:122], v[113:114], v[109:110]
	s_waitcnt vmcnt(21)
	v_fma_f64 v[120:121], v[123:124], v[115:116], v[109:110]
	ds_read2_b64 v[109:112], v108 offset0:81 offset1:82
	ds_read2_b64 v[113:116], v108 offset0:83 offset1:84
	s_waitcnt vmcnt(19) lgkmcnt(1)
	v_fma_f64 v[109:110], v[125:126], v[109:110], v[120:121]
	buffer_load_dword v120, off, s[0:3], 0 offset:300
	s_waitcnt vmcnt(18)
	v_fma_f64 v[109:110], v[127:128], v[111:112], v[109:110]
	buffer_load_dword v122, off, s[0:3], 0 offset:308
	buffer_load_dword v123, off, s[0:3], 0 offset:328
	;; [unrolled: 1-line block ×7, first 2 shown]
	s_waitcnt vmcnt(23) lgkmcnt(0)
	v_fma_f64 v[109:110], v[129:130], v[113:114], v[109:110]
	s_waitcnt vmcnt(18)
	v_fma_f64 v[129:130], v[131:132], v[115:116], v[109:110]
	ds_read2_b64 v[109:112], v108 offset0:85 offset1:86
	ds_read2_b64 v[113:116], v108 offset0:87 offset1:88
	buffer_load_dword v124, off, s[0:3], 0 offset:332
	s_waitcnt vmcnt(18) lgkmcnt(1)
	v_fma_f64 v[109:110], v[137:138], v[109:110], v[129:130]
	s_waitcnt vmcnt(17)
	v_fma_f64 v[109:110], v[135:136], v[111:112], v[109:110]
	buffer_load_dword v130, off, s[0:3], 0 offset:340
	buffer_load_dword v131, off, s[0:3], 0 offset:360
	;; [unrolled: 1-line block ×8, first 2 shown]
	s_waitcnt vmcnt(24) lgkmcnt(0)
	v_fma_f64 v[109:110], v[133:134], v[113:114], v[109:110]
	s_waitcnt vmcnt(19)
	v_fma_f64 v[117:118], v[117:118], v[115:116], v[109:110]
	ds_read2_b64 v[109:112], v108 offset0:89 offset1:90
	ds_read2_b64 v[113:116], v108 offset0:91 offset1:92
	s_waitcnt vmcnt(18) lgkmcnt(1)
	v_fma_f64 v[109:110], v[141:142], v[109:110], v[117:118]
	s_waitcnt vmcnt(17)
	v_fma_f64 v[109:110], v[139:140], v[111:112], v[109:110]
	buffer_load_dword v118, off, s[0:3], 0 offset:372
	buffer_load_dword v133, off, s[0:3], 0 offset:392
	;; [unrolled: 1-line block ×8, first 2 shown]
	s_waitcnt vmcnt(24) lgkmcnt(0)
	v_fma_f64 v[109:110], v[119:120], v[113:114], v[109:110]
	s_waitcnt vmcnt(19)
	v_fma_f64 v[119:120], v[121:122], v[115:116], v[109:110]
	ds_read2_b64 v[109:112], v108 offset0:93 offset1:94
	ds_read2_b64 v[113:116], v108 offset0:95 offset1:96
	s_waitcnt vmcnt(18) lgkmcnt(1)
	v_fma_f64 v[109:110], v[127:128], v[109:110], v[119:120]
	s_waitcnt vmcnt(17)
	v_fma_f64 v[109:110], v[125:126], v[111:112], v[109:110]
	buffer_load_dword v120, off, s[0:3], 0 offset:404
	buffer_load_dword v121, off, s[0:3], 0 offset:416
	;; [unrolled: 1-line block ×6, first 2 shown]
	s_waitcnt vmcnt(22) lgkmcnt(0)
	v_fma_f64 v[109:110], v[123:124], v[113:114], v[109:110]
	s_waitcnt vmcnt(17)
	v_fma_f64 v[123:124], v[129:130], v[115:116], v[109:110]
	ds_read2_b64 v[109:112], v108 offset0:97 offset1:98
	buffer_load_dword v127, off, s[0:3], 0 offset:176
	buffer_load_dword v128, off, s[0:3], 0 offset:180
	ds_read2_b64 v[113:116], v108 offset0:99 offset1:100
	s_waitcnt vmcnt(18) lgkmcnt(1)
	v_fma_f64 v[109:110], v[137:138], v[109:110], v[123:124]
	s_waitcnt vmcnt(17)
	v_fma_f64 v[109:110], v[135:136], v[111:112], v[109:110]
	s_waitcnt vmcnt(16) lgkmcnt(0)
	v_fma_f64 v[109:110], v[131:132], v[113:114], v[109:110]
	s_waitcnt vmcnt(11)
	v_fma_f64 v[117:118], v[117:118], v[115:116], v[109:110]
	ds_read2_b64 v[109:112], v108 offset0:101 offset1:102
	ds_read2_b64 v[113:116], v108 offset0:103 offset1:104
	s_waitcnt vmcnt(10) lgkmcnt(1)
	v_fma_f64 v[109:110], v[141:142], v[109:110], v[117:118]
	s_waitcnt vmcnt(9)
	v_fma_f64 v[109:110], v[139:140], v[111:112], v[109:110]
	s_waitcnt vmcnt(8) lgkmcnt(0)
	v_fma_f64 v[109:110], v[133:134], v[113:114], v[109:110]
	s_waitcnt vmcnt(4)
	v_fma_f64 v[112:113], v[119:120], v[115:116], v[109:110]
	ds_read2_b64 v[108:111], v108 offset0:105 offset1:106
	s_waitcnt vmcnt(3) lgkmcnt(0)
	v_fma_f64 v[108:109], v[125:126], v[108:109], v[112:113]
	s_waitcnt vmcnt(2)
	v_fma_f64 v[108:109], v[121:122], v[110:111], v[108:109]
	s_waitcnt vmcnt(0)
	v_add_f64 v[108:109], v[127:128], -v[108:109]
	buffer_store_dword v109, off, s[0:3], 0 offset:180
	buffer_store_dword v108, off, s[0:3], 0 offset:176
	s_and_saveexec_b64 s[4:5], vcc
	s_cbranch_execz .LBB52_283
; %bb.282:
	buffer_load_dword v108, off, s[0:3], 0 offset:168
	buffer_load_dword v109, off, s[0:3], 0 offset:172
	v_mov_b32_e32 v110, 0
	buffer_store_dword v110, off, s[0:3], 0 offset:168
	buffer_store_dword v110, off, s[0:3], 0 offset:172
	s_waitcnt vmcnt(2)
	ds_write_b64 v107, v[108:109]
.LBB52_283:
	s_or_b64 exec, exec, s[4:5]
	s_waitcnt lgkmcnt(0)
	; wave barrier
	buffer_load_dword v117, off, s[0:3], 0 offset:176
	buffer_load_dword v118, off, s[0:3], 0 offset:180
	buffer_load_dword v119, off, s[0:3], 0 offset:184
	buffer_load_dword v120, off, s[0:3], 0 offset:188
	buffer_load_dword v121, off, s[0:3], 0 offset:192
	buffer_load_dword v122, off, s[0:3], 0 offset:196
	buffer_load_dword v123, off, s[0:3], 0 offset:200
	buffer_load_dword v124, off, s[0:3], 0 offset:204
	buffer_load_dword v125, off, s[0:3], 0 offset:208
	buffer_load_dword v126, off, s[0:3], 0 offset:212
	buffer_load_dword v127, off, s[0:3], 0 offset:216
	buffer_load_dword v128, off, s[0:3], 0 offset:220
	buffer_load_dword v129, off, s[0:3], 0 offset:224
	buffer_load_dword v130, off, s[0:3], 0 offset:228
	buffer_load_dword v132, off, s[0:3], 0 offset:236
	buffer_load_dword v133, off, s[0:3], 0 offset:256
	buffer_load_dword v135, off, s[0:3], 0 offset:248
	buffer_load_dword v137, off, s[0:3], 0 offset:240
	buffer_load_dword v131, off, s[0:3], 0 offset:232
	buffer_load_dword v138, off, s[0:3], 0 offset:244
	buffer_load_dword v136, off, s[0:3], 0 offset:252
	buffer_load_dword v134, off, s[0:3], 0 offset:260
	v_mov_b32_e32 v108, 0
	ds_read_b128 v[109:112], v108 offset:608
	ds_read_b128 v[113:116], v108 offset:624
	v_cmp_lt_u32_e32 vcc, 20, v0
	s_waitcnt vmcnt(20) lgkmcnt(1)
	v_fma_f64 v[109:110], v[117:118], v[109:110], 0
	s_waitcnt vmcnt(18)
	v_fma_f64 v[109:110], v[119:120], v[111:112], v[109:110]
	buffer_load_dword v118, off, s[0:3], 0 offset:268
	buffer_load_dword v119, off, s[0:3], 0 offset:288
	;; [unrolled: 1-line block ×7, first 2 shown]
	s_waitcnt vmcnt(23) lgkmcnt(0)
	v_fma_f64 v[109:110], v[121:122], v[113:114], v[109:110]
	s_waitcnt vmcnt(21)
	v_fma_f64 v[120:121], v[123:124], v[115:116], v[109:110]
	ds_read_b128 v[109:112], v108 offset:640
	ds_read_b128 v[113:116], v108 offset:656
	s_waitcnt vmcnt(19) lgkmcnt(1)
	v_fma_f64 v[109:110], v[125:126], v[109:110], v[120:121]
	buffer_load_dword v120, off, s[0:3], 0 offset:292
	s_waitcnt vmcnt(18)
	v_fma_f64 v[109:110], v[127:128], v[111:112], v[109:110]
	buffer_load_dword v122, off, s[0:3], 0 offset:300
	buffer_load_dword v123, off, s[0:3], 0 offset:320
	buffer_load_dword v125, off, s[0:3], 0 offset:312
	buffer_load_dword v127, off, s[0:3], 0 offset:304
	buffer_load_dword v121, off, s[0:3], 0 offset:296
	buffer_load_dword v128, off, s[0:3], 0 offset:308
	buffer_load_dword v126, off, s[0:3], 0 offset:316
	s_waitcnt vmcnt(23) lgkmcnt(0)
	v_fma_f64 v[109:110], v[129:130], v[113:114], v[109:110]
	s_waitcnt vmcnt(18)
	v_fma_f64 v[129:130], v[131:132], v[115:116], v[109:110]
	ds_read_b128 v[109:112], v108 offset:672
	ds_read_b128 v[113:116], v108 offset:688
	buffer_load_dword v124, off, s[0:3], 0 offset:324
	s_waitcnt vmcnt(18) lgkmcnt(1)
	v_fma_f64 v[109:110], v[137:138], v[109:110], v[129:130]
	s_waitcnt vmcnt(17)
	v_fma_f64 v[109:110], v[135:136], v[111:112], v[109:110]
	buffer_load_dword v130, off, s[0:3], 0 offset:332
	buffer_load_dword v131, off, s[0:3], 0 offset:352
	buffer_load_dword v135, off, s[0:3], 0 offset:344
	buffer_load_dword v137, off, s[0:3], 0 offset:336
	buffer_load_dword v129, off, s[0:3], 0 offset:328
	buffer_load_dword v138, off, s[0:3], 0 offset:340
	buffer_load_dword v136, off, s[0:3], 0 offset:348
	buffer_load_dword v132, off, s[0:3], 0 offset:356
	s_waitcnt vmcnt(24) lgkmcnt(0)
	v_fma_f64 v[109:110], v[133:134], v[113:114], v[109:110]
	s_waitcnt vmcnt(19)
	v_fma_f64 v[117:118], v[117:118], v[115:116], v[109:110]
	ds_read_b128 v[109:112], v108 offset:704
	ds_read_b128 v[113:116], v108 offset:720
	s_waitcnt vmcnt(18) lgkmcnt(1)
	v_fma_f64 v[109:110], v[141:142], v[109:110], v[117:118]
	s_waitcnt vmcnt(17)
	v_fma_f64 v[109:110], v[139:140], v[111:112], v[109:110]
	buffer_load_dword v118, off, s[0:3], 0 offset:364
	buffer_load_dword v133, off, s[0:3], 0 offset:384
	buffer_load_dword v139, off, s[0:3], 0 offset:376
	buffer_load_dword v141, off, s[0:3], 0 offset:368
	buffer_load_dword v117, off, s[0:3], 0 offset:360
	buffer_load_dword v142, off, s[0:3], 0 offset:372
	buffer_load_dword v140, off, s[0:3], 0 offset:380
	buffer_load_dword v134, off, s[0:3], 0 offset:388
	s_waitcnt vmcnt(24) lgkmcnt(0)
	v_fma_f64 v[109:110], v[119:120], v[113:114], v[109:110]
	s_waitcnt vmcnt(19)
	v_fma_f64 v[119:120], v[121:122], v[115:116], v[109:110]
	ds_read_b128 v[109:112], v108 offset:736
	ds_read_b128 v[113:116], v108 offset:752
	;; [unrolled: 18-line block ×3, first 2 shown]
	s_waitcnt vmcnt(18) lgkmcnt(1)
	v_fma_f64 v[109:110], v[137:138], v[109:110], v[123:124]
	buffer_load_dword v123, off, s[0:3], 0 offset:168
	buffer_load_dword v124, off, s[0:3], 0 offset:172
	s_waitcnt vmcnt(19)
	v_fma_f64 v[109:110], v[135:136], v[111:112], v[109:110]
	s_waitcnt vmcnt(18) lgkmcnt(0)
	v_fma_f64 v[109:110], v[131:132], v[113:114], v[109:110]
	s_waitcnt vmcnt(13)
	v_fma_f64 v[117:118], v[117:118], v[115:116], v[109:110]
	ds_read_b128 v[109:112], v108 offset:800
	ds_read_b128 v[113:116], v108 offset:816
	s_waitcnt vmcnt(12) lgkmcnt(1)
	v_fma_f64 v[109:110], v[141:142], v[109:110], v[117:118]
	s_waitcnt vmcnt(11)
	v_fma_f64 v[109:110], v[139:140], v[111:112], v[109:110]
	s_waitcnt vmcnt(10) lgkmcnt(0)
	v_fma_f64 v[109:110], v[133:134], v[113:114], v[109:110]
	s_waitcnt vmcnt(5)
	v_fma_f64 v[113:114], v[119:120], v[115:116], v[109:110]
	ds_read_b128 v[109:112], v108 offset:832
	ds_read_b64 v[115:116], v108 offset:848
	s_waitcnt vmcnt(4) lgkmcnt(1)
	v_fma_f64 v[109:110], v[127:128], v[109:110], v[113:114]
	s_waitcnt vmcnt(3)
	v_fma_f64 v[109:110], v[125:126], v[111:112], v[109:110]
	s_waitcnt vmcnt(2) lgkmcnt(0)
	v_fma_f64 v[109:110], v[121:122], v[115:116], v[109:110]
	s_waitcnt vmcnt(0)
	v_add_f64 v[109:110], v[123:124], -v[109:110]
	buffer_store_dword v110, off, s[0:3], 0 offset:172
	buffer_store_dword v109, off, s[0:3], 0 offset:168
	s_and_saveexec_b64 s[4:5], vcc
	s_cbranch_execz .LBB52_285
; %bb.284:
	buffer_load_dword v109, off, s[0:3], 0 offset:160
	buffer_load_dword v110, off, s[0:3], 0 offset:164
	s_waitcnt vmcnt(0)
	ds_write_b64 v107, v[109:110]
	buffer_store_dword v108, off, s[0:3], 0 offset:160
	buffer_store_dword v108, off, s[0:3], 0 offset:164
.LBB52_285:
	s_or_b64 exec, exec, s[4:5]
	s_waitcnt lgkmcnt(0)
	; wave barrier
	buffer_load_dword v117, off, s[0:3], 0 offset:168
	buffer_load_dword v118, off, s[0:3], 0 offset:172
	;; [unrolled: 1-line block ×22, first 2 shown]
	ds_read2_b64 v[109:112], v108 offset0:75 offset1:76
	ds_read2_b64 v[113:116], v108 offset0:77 offset1:78
	v_cmp_lt_u32_e32 vcc, 19, v0
	s_waitcnt vmcnt(20) lgkmcnt(1)
	v_fma_f64 v[109:110], v[117:118], v[109:110], 0
	s_waitcnt vmcnt(18)
	v_fma_f64 v[109:110], v[119:120], v[111:112], v[109:110]
	buffer_load_dword v118, off, s[0:3], 0 offset:260
	buffer_load_dword v119, off, s[0:3], 0 offset:280
	buffer_load_dword v139, off, s[0:3], 0 offset:272
	buffer_load_dword v141, off, s[0:3], 0 offset:264
	buffer_load_dword v117, off, s[0:3], 0 offset:256
	buffer_load_dword v142, off, s[0:3], 0 offset:268
	buffer_load_dword v140, off, s[0:3], 0 offset:276
	s_waitcnt vmcnt(23) lgkmcnt(0)
	v_fma_f64 v[109:110], v[121:122], v[113:114], v[109:110]
	s_waitcnt vmcnt(21)
	v_fma_f64 v[120:121], v[123:124], v[115:116], v[109:110]
	ds_read2_b64 v[109:112], v108 offset0:79 offset1:80
	ds_read2_b64 v[113:116], v108 offset0:81 offset1:82
	s_waitcnt vmcnt(19) lgkmcnt(1)
	v_fma_f64 v[109:110], v[125:126], v[109:110], v[120:121]
	buffer_load_dword v120, off, s[0:3], 0 offset:284
	s_waitcnt vmcnt(18)
	v_fma_f64 v[109:110], v[127:128], v[111:112], v[109:110]
	buffer_load_dword v122, off, s[0:3], 0 offset:292
	buffer_load_dword v123, off, s[0:3], 0 offset:312
	;; [unrolled: 1-line block ×7, first 2 shown]
	s_waitcnt vmcnt(23) lgkmcnt(0)
	v_fma_f64 v[109:110], v[129:130], v[113:114], v[109:110]
	s_waitcnt vmcnt(18)
	v_fma_f64 v[129:130], v[131:132], v[115:116], v[109:110]
	ds_read2_b64 v[109:112], v108 offset0:83 offset1:84
	ds_read2_b64 v[113:116], v108 offset0:85 offset1:86
	buffer_load_dword v124, off, s[0:3], 0 offset:316
	s_waitcnt vmcnt(18) lgkmcnt(1)
	v_fma_f64 v[109:110], v[137:138], v[109:110], v[129:130]
	s_waitcnt vmcnt(17)
	v_fma_f64 v[109:110], v[135:136], v[111:112], v[109:110]
	buffer_load_dword v130, off, s[0:3], 0 offset:324
	buffer_load_dword v131, off, s[0:3], 0 offset:344
	buffer_load_dword v135, off, s[0:3], 0 offset:336
	buffer_load_dword v137, off, s[0:3], 0 offset:328
	buffer_load_dword v129, off, s[0:3], 0 offset:320
	buffer_load_dword v138, off, s[0:3], 0 offset:332
	buffer_load_dword v136, off, s[0:3], 0 offset:340
	buffer_load_dword v132, off, s[0:3], 0 offset:348
	s_waitcnt vmcnt(24) lgkmcnt(0)
	v_fma_f64 v[109:110], v[133:134], v[113:114], v[109:110]
	s_waitcnt vmcnt(19)
	v_fma_f64 v[117:118], v[117:118], v[115:116], v[109:110]
	ds_read2_b64 v[109:112], v108 offset0:87 offset1:88
	ds_read2_b64 v[113:116], v108 offset0:89 offset1:90
	s_waitcnt vmcnt(18) lgkmcnt(1)
	v_fma_f64 v[109:110], v[141:142], v[109:110], v[117:118]
	s_waitcnt vmcnt(17)
	v_fma_f64 v[109:110], v[139:140], v[111:112], v[109:110]
	buffer_load_dword v118, off, s[0:3], 0 offset:356
	buffer_load_dword v133, off, s[0:3], 0 offset:376
	buffer_load_dword v139, off, s[0:3], 0 offset:368
	buffer_load_dword v141, off, s[0:3], 0 offset:360
	buffer_load_dword v117, off, s[0:3], 0 offset:352
	buffer_load_dword v142, off, s[0:3], 0 offset:364
	buffer_load_dword v140, off, s[0:3], 0 offset:372
	buffer_load_dword v134, off, s[0:3], 0 offset:380
	s_waitcnt vmcnt(24) lgkmcnt(0)
	v_fma_f64 v[109:110], v[119:120], v[113:114], v[109:110]
	s_waitcnt vmcnt(19)
	v_fma_f64 v[119:120], v[121:122], v[115:116], v[109:110]
	ds_read2_b64 v[109:112], v108 offset0:91 offset1:92
	ds_read2_b64 v[113:116], v108 offset0:93 offset1:94
	s_waitcnt vmcnt(18) lgkmcnt(1)
	v_fma_f64 v[109:110], v[127:128], v[109:110], v[119:120]
	s_waitcnt vmcnt(17)
	v_fma_f64 v[109:110], v[125:126], v[111:112], v[109:110]
	buffer_load_dword v120, off, s[0:3], 0 offset:388
	buffer_load_dword v121, off, s[0:3], 0 offset:408
	buffer_load_dword v125, off, s[0:3], 0 offset:400
	buffer_load_dword v127, off, s[0:3], 0 offset:392
	buffer_load_dword v119, off, s[0:3], 0 offset:384
	buffer_load_dword v128, off, s[0:3], 0 offset:396
	buffer_load_dword v126, off, s[0:3], 0 offset:404
	buffer_load_dword v122, off, s[0:3], 0 offset:412
	s_waitcnt vmcnt(24) lgkmcnt(0)
	v_fma_f64 v[109:110], v[123:124], v[113:114], v[109:110]
	s_waitcnt vmcnt(19)
	v_fma_f64 v[123:124], v[129:130], v[115:116], v[109:110]
	ds_read2_b64 v[109:112], v108 offset0:95 offset1:96
	ds_read2_b64 v[113:116], v108 offset0:97 offset1:98
	s_waitcnt vmcnt(18) lgkmcnt(1)
	v_fma_f64 v[109:110], v[137:138], v[109:110], v[123:124]
	buffer_load_dword v124, off, s[0:3], 0 offset:420
	buffer_load_dword v123, off, s[0:3], 0 offset:416
	;; [unrolled: 1-line block ×4, first 2 shown]
	s_waitcnt vmcnt(21)
	v_fma_f64 v[109:110], v[135:136], v[111:112], v[109:110]
	s_waitcnt vmcnt(20) lgkmcnt(0)
	v_fma_f64 v[109:110], v[131:132], v[113:114], v[109:110]
	s_waitcnt vmcnt(15)
	v_fma_f64 v[117:118], v[117:118], v[115:116], v[109:110]
	ds_read2_b64 v[109:112], v108 offset0:99 offset1:100
	ds_read2_b64 v[113:116], v108 offset0:101 offset1:102
	s_waitcnt vmcnt(14) lgkmcnt(1)
	v_fma_f64 v[109:110], v[141:142], v[109:110], v[117:118]
	s_waitcnt vmcnt(13)
	v_fma_f64 v[109:110], v[139:140], v[111:112], v[109:110]
	s_waitcnt vmcnt(12) lgkmcnt(0)
	v_fma_f64 v[109:110], v[133:134], v[113:114], v[109:110]
	s_waitcnt vmcnt(7)
	v_fma_f64 v[117:118], v[119:120], v[115:116], v[109:110]
	ds_read2_b64 v[109:112], v108 offset0:103 offset1:104
	ds_read2_b64 v[113:116], v108 offset0:105 offset1:106
	s_waitcnt vmcnt(6) lgkmcnt(1)
	v_fma_f64 v[108:109], v[127:128], v[109:110], v[117:118]
	s_waitcnt vmcnt(5)
	v_fma_f64 v[108:109], v[125:126], v[111:112], v[108:109]
	s_waitcnt vmcnt(4) lgkmcnt(0)
	v_fma_f64 v[108:109], v[121:122], v[113:114], v[108:109]
	s_waitcnt vmcnt(2)
	v_fma_f64 v[108:109], v[123:124], v[115:116], v[108:109]
	s_waitcnt vmcnt(0)
	v_add_f64 v[108:109], v[129:130], -v[108:109]
	buffer_store_dword v109, off, s[0:3], 0 offset:164
	buffer_store_dword v108, off, s[0:3], 0 offset:160
	s_and_saveexec_b64 s[4:5], vcc
	s_cbranch_execz .LBB52_287
; %bb.286:
	buffer_load_dword v108, off, s[0:3], 0 offset:152
	buffer_load_dword v109, off, s[0:3], 0 offset:156
	v_mov_b32_e32 v110, 0
	buffer_store_dword v110, off, s[0:3], 0 offset:152
	buffer_store_dword v110, off, s[0:3], 0 offset:156
	s_waitcnt vmcnt(2)
	ds_write_b64 v107, v[108:109]
.LBB52_287:
	s_or_b64 exec, exec, s[4:5]
	s_waitcnt lgkmcnt(0)
	; wave barrier
	buffer_load_dword v117, off, s[0:3], 0 offset:160
	buffer_load_dword v118, off, s[0:3], 0 offset:164
	;; [unrolled: 1-line block ×21, first 2 shown]
	v_mov_b32_e32 v108, 0
	ds_read_b128 v[109:112], v108 offset:592
	ds_read_b128 v[113:116], v108 offset:608
	buffer_load_dword v134, off, s[0:3], 0 offset:244
	v_cmp_lt_u32_e32 vcc, 18, v0
	s_waitcnt vmcnt(20) lgkmcnt(1)
	v_fma_f64 v[109:110], v[117:118], v[109:110], 0
	s_waitcnt vmcnt(18)
	v_fma_f64 v[109:110], v[119:120], v[111:112], v[109:110]
	buffer_load_dword v118, off, s[0:3], 0 offset:252
	buffer_load_dword v119, off, s[0:3], 0 offset:272
	buffer_load_dword v139, off, s[0:3], 0 offset:264
	buffer_load_dword v141, off, s[0:3], 0 offset:256
	buffer_load_dword v117, off, s[0:3], 0 offset:248
	buffer_load_dword v142, off, s[0:3], 0 offset:260
	buffer_load_dword v140, off, s[0:3], 0 offset:268
	s_waitcnt vmcnt(23) lgkmcnt(0)
	v_fma_f64 v[109:110], v[121:122], v[113:114], v[109:110]
	s_waitcnt vmcnt(21)
	v_fma_f64 v[120:121], v[123:124], v[115:116], v[109:110]
	ds_read_b128 v[109:112], v108 offset:624
	ds_read_b128 v[113:116], v108 offset:640
	s_waitcnt vmcnt(19) lgkmcnt(1)
	v_fma_f64 v[109:110], v[125:126], v[109:110], v[120:121]
	buffer_load_dword v120, off, s[0:3], 0 offset:276
	s_waitcnt vmcnt(18)
	v_fma_f64 v[109:110], v[127:128], v[111:112], v[109:110]
	buffer_load_dword v122, off, s[0:3], 0 offset:284
	buffer_load_dword v123, off, s[0:3], 0 offset:304
	;; [unrolled: 1-line block ×7, first 2 shown]
	s_waitcnt vmcnt(23) lgkmcnt(0)
	v_fma_f64 v[109:110], v[129:130], v[113:114], v[109:110]
	s_waitcnt vmcnt(18)
	v_fma_f64 v[129:130], v[131:132], v[115:116], v[109:110]
	ds_read_b128 v[109:112], v108 offset:656
	ds_read_b128 v[113:116], v108 offset:672
	buffer_load_dword v124, off, s[0:3], 0 offset:308
	s_waitcnt vmcnt(18) lgkmcnt(1)
	v_fma_f64 v[109:110], v[137:138], v[109:110], v[129:130]
	s_waitcnt vmcnt(17)
	v_fma_f64 v[109:110], v[135:136], v[111:112], v[109:110]
	buffer_load_dword v130, off, s[0:3], 0 offset:316
	buffer_load_dword v131, off, s[0:3], 0 offset:336
	buffer_load_dword v135, off, s[0:3], 0 offset:328
	buffer_load_dword v137, off, s[0:3], 0 offset:320
	buffer_load_dword v129, off, s[0:3], 0 offset:312
	buffer_load_dword v138, off, s[0:3], 0 offset:324
	buffer_load_dword v136, off, s[0:3], 0 offset:332
	s_waitcnt vmcnt(23) lgkmcnt(0)
	v_fma_f64 v[109:110], v[133:134], v[113:114], v[109:110]
	s_waitcnt vmcnt(18)
	v_fma_f64 v[117:118], v[117:118], v[115:116], v[109:110]
	ds_read_b128 v[109:112], v108 offset:688
	ds_read_b128 v[113:116], v108 offset:704
	buffer_load_dword v132, off, s[0:3], 0 offset:340
	s_waitcnt vmcnt(18) lgkmcnt(1)
	v_fma_f64 v[109:110], v[141:142], v[109:110], v[117:118]
	s_waitcnt vmcnt(17)
	v_fma_f64 v[109:110], v[139:140], v[111:112], v[109:110]
	buffer_load_dword v118, off, s[0:3], 0 offset:348
	buffer_load_dword v133, off, s[0:3], 0 offset:368
	;; [unrolled: 1-line block ×8, first 2 shown]
	s_waitcnt vmcnt(24) lgkmcnt(0)
	v_fma_f64 v[109:110], v[119:120], v[113:114], v[109:110]
	s_waitcnt vmcnt(19)
	v_fma_f64 v[119:120], v[121:122], v[115:116], v[109:110]
	ds_read_b128 v[109:112], v108 offset:720
	ds_read_b128 v[113:116], v108 offset:736
	s_waitcnt vmcnt(18) lgkmcnt(1)
	v_fma_f64 v[109:110], v[127:128], v[109:110], v[119:120]
	s_waitcnt vmcnt(17)
	v_fma_f64 v[109:110], v[125:126], v[111:112], v[109:110]
	buffer_load_dword v120, off, s[0:3], 0 offset:380
	buffer_load_dword v121, off, s[0:3], 0 offset:400
	;; [unrolled: 1-line block ×7, first 2 shown]
	s_waitcnt vmcnt(23) lgkmcnt(0)
	v_fma_f64 v[109:110], v[123:124], v[113:114], v[109:110]
	s_waitcnt vmcnt(18)
	v_fma_f64 v[122:123], v[129:130], v[115:116], v[109:110]
	ds_read_b128 v[109:112], v108 offset:752
	ds_read_b128 v[113:116], v108 offset:768
	s_waitcnt vmcnt(17) lgkmcnt(1)
	v_fma_f64 v[109:110], v[137:138], v[109:110], v[122:123]
	buffer_load_dword v122, off, s[0:3], 0 offset:404
	buffer_load_dword v124, off, s[0:3], 0 offset:412
	;; [unrolled: 1-line block ×5, first 2 shown]
	s_waitcnt vmcnt(21)
	v_fma_f64 v[109:110], v[135:136], v[111:112], v[109:110]
	s_waitcnt vmcnt(20) lgkmcnt(0)
	v_fma_f64 v[109:110], v[131:132], v[113:114], v[109:110]
	buffer_load_dword v131, off, s[0:3], 0 offset:152
	buffer_load_dword v132, off, s[0:3], 0 offset:156
	s_waitcnt vmcnt(17)
	v_fma_f64 v[117:118], v[117:118], v[115:116], v[109:110]
	ds_read_b128 v[109:112], v108 offset:784
	ds_read_b128 v[113:116], v108 offset:800
	s_waitcnt vmcnt(16) lgkmcnt(1)
	v_fma_f64 v[109:110], v[141:142], v[109:110], v[117:118]
	s_waitcnt vmcnt(15)
	v_fma_f64 v[109:110], v[139:140], v[111:112], v[109:110]
	s_waitcnt vmcnt(14) lgkmcnt(0)
	v_fma_f64 v[109:110], v[133:134], v[113:114], v[109:110]
	s_waitcnt vmcnt(9)
	v_fma_f64 v[117:118], v[119:120], v[115:116], v[109:110]
	ds_read_b128 v[109:112], v108 offset:816
	ds_read_b128 v[113:116], v108 offset:832
	s_waitcnt vmcnt(8) lgkmcnt(1)
	v_fma_f64 v[109:110], v[127:128], v[109:110], v[117:118]
	s_waitcnt vmcnt(7)
	v_fma_f64 v[109:110], v[125:126], v[111:112], v[109:110]
	ds_read_b64 v[111:112], v108 offset:848
	s_waitcnt vmcnt(6) lgkmcnt(1)
	v_fma_f64 v[109:110], v[121:122], v[113:114], v[109:110]
	s_waitcnt vmcnt(3)
	v_fma_f64 v[109:110], v[123:124], v[115:116], v[109:110]
	s_waitcnt vmcnt(2) lgkmcnt(0)
	v_fma_f64 v[109:110], v[129:130], v[111:112], v[109:110]
	s_waitcnt vmcnt(0)
	v_add_f64 v[109:110], v[131:132], -v[109:110]
	buffer_store_dword v110, off, s[0:3], 0 offset:156
	buffer_store_dword v109, off, s[0:3], 0 offset:152
	s_and_saveexec_b64 s[4:5], vcc
	s_cbranch_execz .LBB52_289
; %bb.288:
	buffer_load_dword v109, off, s[0:3], 0 offset:144
	buffer_load_dword v110, off, s[0:3], 0 offset:148
	s_waitcnt vmcnt(0)
	ds_write_b64 v107, v[109:110]
	buffer_store_dword v108, off, s[0:3], 0 offset:144
	buffer_store_dword v108, off, s[0:3], 0 offset:148
.LBB52_289:
	s_or_b64 exec, exec, s[4:5]
	s_waitcnt lgkmcnt(0)
	; wave barrier
	buffer_load_dword v117, off, s[0:3], 0 offset:152
	buffer_load_dword v118, off, s[0:3], 0 offset:156
	;; [unrolled: 1-line block ×21, first 2 shown]
	ds_read2_b64 v[109:112], v108 offset0:73 offset1:74
	ds_read2_b64 v[113:116], v108 offset0:75 offset1:76
	buffer_load_dword v134, off, s[0:3], 0 offset:236
	v_cmp_lt_u32_e32 vcc, 17, v0
	s_waitcnt vmcnt(20) lgkmcnt(1)
	v_fma_f64 v[109:110], v[117:118], v[109:110], 0
	s_waitcnt vmcnt(18)
	v_fma_f64 v[109:110], v[119:120], v[111:112], v[109:110]
	buffer_load_dword v118, off, s[0:3], 0 offset:244
	buffer_load_dword v119, off, s[0:3], 0 offset:264
	buffer_load_dword v139, off, s[0:3], 0 offset:256
	buffer_load_dword v141, off, s[0:3], 0 offset:248
	buffer_load_dword v117, off, s[0:3], 0 offset:240
	buffer_load_dword v142, off, s[0:3], 0 offset:252
	buffer_load_dword v140, off, s[0:3], 0 offset:260
	s_waitcnt vmcnt(23) lgkmcnt(0)
	v_fma_f64 v[109:110], v[121:122], v[113:114], v[109:110]
	s_waitcnt vmcnt(21)
	v_fma_f64 v[120:121], v[123:124], v[115:116], v[109:110]
	ds_read2_b64 v[109:112], v108 offset0:77 offset1:78
	ds_read2_b64 v[113:116], v108 offset0:79 offset1:80
	s_waitcnt vmcnt(19) lgkmcnt(1)
	v_fma_f64 v[109:110], v[125:126], v[109:110], v[120:121]
	buffer_load_dword v120, off, s[0:3], 0 offset:268
	s_waitcnt vmcnt(18)
	v_fma_f64 v[109:110], v[127:128], v[111:112], v[109:110]
	buffer_load_dword v122, off, s[0:3], 0 offset:276
	buffer_load_dword v123, off, s[0:3], 0 offset:296
	;; [unrolled: 1-line block ×8, first 2 shown]
	s_waitcnt vmcnt(24) lgkmcnt(0)
	v_fma_f64 v[109:110], v[129:130], v[113:114], v[109:110]
	s_waitcnt vmcnt(19)
	v_fma_f64 v[129:130], v[131:132], v[115:116], v[109:110]
	ds_read2_b64 v[109:112], v108 offset0:81 offset1:82
	ds_read2_b64 v[113:116], v108 offset0:83 offset1:84
	s_waitcnt vmcnt(18) lgkmcnt(1)
	v_fma_f64 v[109:110], v[137:138], v[109:110], v[129:130]
	s_waitcnt vmcnt(17)
	v_fma_f64 v[109:110], v[135:136], v[111:112], v[109:110]
	buffer_load_dword v130, off, s[0:3], 0 offset:308
	buffer_load_dword v131, off, s[0:3], 0 offset:328
	;; [unrolled: 1-line block ×7, first 2 shown]
	s_waitcnt vmcnt(23) lgkmcnt(0)
	v_fma_f64 v[109:110], v[133:134], v[113:114], v[109:110]
	s_waitcnt vmcnt(18)
	v_fma_f64 v[117:118], v[117:118], v[115:116], v[109:110]
	ds_read2_b64 v[109:112], v108 offset0:85 offset1:86
	ds_read2_b64 v[113:116], v108 offset0:87 offset1:88
	buffer_load_dword v132, off, s[0:3], 0 offset:332
	s_waitcnt vmcnt(18) lgkmcnt(1)
	v_fma_f64 v[109:110], v[141:142], v[109:110], v[117:118]
	s_waitcnt vmcnt(17)
	v_fma_f64 v[109:110], v[139:140], v[111:112], v[109:110]
	buffer_load_dword v118, off, s[0:3], 0 offset:340
	buffer_load_dword v133, off, s[0:3], 0 offset:360
	;; [unrolled: 1-line block ×8, first 2 shown]
	s_waitcnt vmcnt(24) lgkmcnt(0)
	v_fma_f64 v[109:110], v[119:120], v[113:114], v[109:110]
	s_waitcnt vmcnt(19)
	v_fma_f64 v[119:120], v[121:122], v[115:116], v[109:110]
	ds_read2_b64 v[109:112], v108 offset0:89 offset1:90
	ds_read2_b64 v[113:116], v108 offset0:91 offset1:92
	s_waitcnt vmcnt(18) lgkmcnt(1)
	v_fma_f64 v[109:110], v[127:128], v[109:110], v[119:120]
	s_waitcnt vmcnt(17)
	v_fma_f64 v[109:110], v[125:126], v[111:112], v[109:110]
	buffer_load_dword v120, off, s[0:3], 0 offset:372
	buffer_load_dword v121, off, s[0:3], 0 offset:392
	;; [unrolled: 1-line block ×7, first 2 shown]
	s_waitcnt vmcnt(23) lgkmcnt(0)
	v_fma_f64 v[109:110], v[123:124], v[113:114], v[109:110]
	s_waitcnt vmcnt(18)
	v_fma_f64 v[122:123], v[129:130], v[115:116], v[109:110]
	ds_read2_b64 v[109:112], v108 offset0:93 offset1:94
	ds_read2_b64 v[113:116], v108 offset0:95 offset1:96
	s_waitcnt vmcnt(17) lgkmcnt(1)
	v_fma_f64 v[109:110], v[137:138], v[109:110], v[122:123]
	buffer_load_dword v122, off, s[0:3], 0 offset:396
	s_waitcnt vmcnt(17)
	v_fma_f64 v[109:110], v[135:136], v[111:112], v[109:110]
	buffer_load_dword v124, off, s[0:3], 0 offset:404
	buffer_load_dword v129, off, s[0:3], 0 offset:416
	;; [unrolled: 1-line block ×6, first 2 shown]
	s_waitcnt vmcnt(22) lgkmcnt(0)
	v_fma_f64 v[109:110], v[131:132], v[113:114], v[109:110]
	s_waitcnt vmcnt(17)
	v_fma_f64 v[117:118], v[117:118], v[115:116], v[109:110]
	ds_read2_b64 v[109:112], v108 offset0:97 offset1:98
	buffer_load_dword v131, off, s[0:3], 0 offset:144
	buffer_load_dword v132, off, s[0:3], 0 offset:148
	ds_read2_b64 v[113:116], v108 offset0:99 offset1:100
	s_waitcnt vmcnt(18) lgkmcnt(1)
	v_fma_f64 v[109:110], v[141:142], v[109:110], v[117:118]
	s_waitcnt vmcnt(17)
	v_fma_f64 v[109:110], v[139:140], v[111:112], v[109:110]
	s_waitcnt vmcnt(16) lgkmcnt(0)
	v_fma_f64 v[109:110], v[133:134], v[113:114], v[109:110]
	s_waitcnt vmcnt(11)
	v_fma_f64 v[117:118], v[119:120], v[115:116], v[109:110]
	ds_read2_b64 v[109:112], v108 offset0:101 offset1:102
	ds_read2_b64 v[113:116], v108 offset0:103 offset1:104
	s_waitcnt vmcnt(10) lgkmcnt(1)
	v_fma_f64 v[109:110], v[127:128], v[109:110], v[117:118]
	s_waitcnt vmcnt(9)
	v_fma_f64 v[109:110], v[125:126], v[111:112], v[109:110]
	s_waitcnt vmcnt(8) lgkmcnt(0)
	v_fma_f64 v[109:110], v[121:122], v[113:114], v[109:110]
	s_waitcnt vmcnt(4)
	v_fma_f64 v[112:113], v[123:124], v[115:116], v[109:110]
	ds_read2_b64 v[108:111], v108 offset0:105 offset1:106
	s_waitcnt vmcnt(3) lgkmcnt(0)
	v_fma_f64 v[108:109], v[135:136], v[108:109], v[112:113]
	s_waitcnt vmcnt(2)
	v_fma_f64 v[108:109], v[129:130], v[110:111], v[108:109]
	s_waitcnt vmcnt(0)
	v_add_f64 v[108:109], v[131:132], -v[108:109]
	buffer_store_dword v109, off, s[0:3], 0 offset:148
	buffer_store_dword v108, off, s[0:3], 0 offset:144
	s_and_saveexec_b64 s[4:5], vcc
	s_cbranch_execz .LBB52_291
; %bb.290:
	buffer_load_dword v108, off, s[0:3], 0 offset:136
	buffer_load_dword v109, off, s[0:3], 0 offset:140
	v_mov_b32_e32 v110, 0
	buffer_store_dword v110, off, s[0:3], 0 offset:136
	buffer_store_dword v110, off, s[0:3], 0 offset:140
	s_waitcnt vmcnt(2)
	ds_write_b64 v107, v[108:109]
.LBB52_291:
	s_or_b64 exec, exec, s[4:5]
	s_waitcnt lgkmcnt(0)
	; wave barrier
	buffer_load_dword v117, off, s[0:3], 0 offset:144
	buffer_load_dword v118, off, s[0:3], 0 offset:148
	;; [unrolled: 1-line block ×21, first 2 shown]
	v_mov_b32_e32 v108, 0
	ds_read_b128 v[109:112], v108 offset:576
	ds_read_b128 v[113:116], v108 offset:592
	buffer_load_dword v134, off, s[0:3], 0 offset:228
	v_cmp_lt_u32_e32 vcc, 16, v0
	s_waitcnt vmcnt(20) lgkmcnt(1)
	v_fma_f64 v[109:110], v[117:118], v[109:110], 0
	s_waitcnt vmcnt(18)
	v_fma_f64 v[109:110], v[119:120], v[111:112], v[109:110]
	buffer_load_dword v118, off, s[0:3], 0 offset:236
	buffer_load_dword v119, off, s[0:3], 0 offset:256
	;; [unrolled: 1-line block ×7, first 2 shown]
	s_waitcnt vmcnt(23) lgkmcnt(0)
	v_fma_f64 v[109:110], v[121:122], v[113:114], v[109:110]
	s_waitcnt vmcnt(21)
	v_fma_f64 v[120:121], v[123:124], v[115:116], v[109:110]
	ds_read_b128 v[109:112], v108 offset:608
	ds_read_b128 v[113:116], v108 offset:624
	s_waitcnt vmcnt(19) lgkmcnt(1)
	v_fma_f64 v[109:110], v[125:126], v[109:110], v[120:121]
	buffer_load_dword v120, off, s[0:3], 0 offset:260
	s_waitcnt vmcnt(18)
	v_fma_f64 v[109:110], v[127:128], v[111:112], v[109:110]
	buffer_load_dword v122, off, s[0:3], 0 offset:268
	buffer_load_dword v123, off, s[0:3], 0 offset:288
	;; [unrolled: 1-line block ×8, first 2 shown]
	s_waitcnt vmcnt(24) lgkmcnt(0)
	v_fma_f64 v[109:110], v[129:130], v[113:114], v[109:110]
	s_waitcnt vmcnt(19)
	v_fma_f64 v[129:130], v[131:132], v[115:116], v[109:110]
	ds_read_b128 v[109:112], v108 offset:640
	ds_read_b128 v[113:116], v108 offset:656
	s_waitcnt vmcnt(18) lgkmcnt(1)
	v_fma_f64 v[109:110], v[137:138], v[109:110], v[129:130]
	s_waitcnt vmcnt(17)
	v_fma_f64 v[109:110], v[135:136], v[111:112], v[109:110]
	buffer_load_dword v130, off, s[0:3], 0 offset:300
	buffer_load_dword v131, off, s[0:3], 0 offset:320
	;; [unrolled: 1-line block ×7, first 2 shown]
	s_waitcnt vmcnt(23) lgkmcnt(0)
	v_fma_f64 v[109:110], v[133:134], v[113:114], v[109:110]
	s_waitcnt vmcnt(18)
	v_fma_f64 v[117:118], v[117:118], v[115:116], v[109:110]
	ds_read_b128 v[109:112], v108 offset:672
	ds_read_b128 v[113:116], v108 offset:688
	buffer_load_dword v132, off, s[0:3], 0 offset:324
	s_waitcnt vmcnt(18) lgkmcnt(1)
	v_fma_f64 v[109:110], v[141:142], v[109:110], v[117:118]
	s_waitcnt vmcnt(17)
	v_fma_f64 v[109:110], v[139:140], v[111:112], v[109:110]
	buffer_load_dword v118, off, s[0:3], 0 offset:332
	buffer_load_dword v133, off, s[0:3], 0 offset:352
	buffer_load_dword v139, off, s[0:3], 0 offset:344
	buffer_load_dword v141, off, s[0:3], 0 offset:336
	buffer_load_dword v117, off, s[0:3], 0 offset:328
	buffer_load_dword v142, off, s[0:3], 0 offset:340
	buffer_load_dword v140, off, s[0:3], 0 offset:348
	buffer_load_dword v134, off, s[0:3], 0 offset:356
	s_waitcnt vmcnt(24) lgkmcnt(0)
	v_fma_f64 v[109:110], v[119:120], v[113:114], v[109:110]
	s_waitcnt vmcnt(19)
	v_fma_f64 v[119:120], v[121:122], v[115:116], v[109:110]
	ds_read_b128 v[109:112], v108 offset:704
	ds_read_b128 v[113:116], v108 offset:720
	s_waitcnt vmcnt(18) lgkmcnt(1)
	v_fma_f64 v[109:110], v[127:128], v[109:110], v[119:120]
	s_waitcnt vmcnt(17)
	v_fma_f64 v[109:110], v[125:126], v[111:112], v[109:110]
	buffer_load_dword v120, off, s[0:3], 0 offset:364
	buffer_load_dword v121, off, s[0:3], 0 offset:384
	;; [unrolled: 1-line block ×7, first 2 shown]
	s_waitcnt vmcnt(23) lgkmcnt(0)
	v_fma_f64 v[109:110], v[123:124], v[113:114], v[109:110]
	s_waitcnt vmcnt(18)
	v_fma_f64 v[122:123], v[129:130], v[115:116], v[109:110]
	ds_read_b128 v[109:112], v108 offset:736
	ds_read_b128 v[113:116], v108 offset:752
	s_waitcnt vmcnt(17) lgkmcnt(1)
	v_fma_f64 v[109:110], v[137:138], v[109:110], v[122:123]
	buffer_load_dword v122, off, s[0:3], 0 offset:388
	s_waitcnt vmcnt(17)
	v_fma_f64 v[109:110], v[135:136], v[111:112], v[109:110]
	buffer_load_dword v124, off, s[0:3], 0 offset:396
	buffer_load_dword v129, off, s[0:3], 0 offset:416
	;; [unrolled: 1-line block ×8, first 2 shown]
	s_waitcnt vmcnt(24) lgkmcnt(0)
	v_fma_f64 v[109:110], v[131:132], v[113:114], v[109:110]
	s_waitcnt vmcnt(19)
	v_fma_f64 v[117:118], v[117:118], v[115:116], v[109:110]
	ds_read_b128 v[109:112], v108 offset:768
	ds_read_b128 v[113:116], v108 offset:784
	s_waitcnt vmcnt(18) lgkmcnt(1)
	v_fma_f64 v[109:110], v[141:142], v[109:110], v[117:118]
	buffer_load_dword v117, off, s[0:3], 0 offset:136
	buffer_load_dword v118, off, s[0:3], 0 offset:140
	s_waitcnt vmcnt(19)
	v_fma_f64 v[109:110], v[139:140], v[111:112], v[109:110]
	s_waitcnt vmcnt(18) lgkmcnt(0)
	v_fma_f64 v[109:110], v[133:134], v[113:114], v[109:110]
	s_waitcnt vmcnt(13)
	v_fma_f64 v[119:120], v[119:120], v[115:116], v[109:110]
	ds_read_b128 v[109:112], v108 offset:800
	ds_read_b128 v[113:116], v108 offset:816
	s_waitcnt vmcnt(12) lgkmcnt(1)
	v_fma_f64 v[109:110], v[127:128], v[109:110], v[119:120]
	s_waitcnt vmcnt(11)
	v_fma_f64 v[109:110], v[125:126], v[111:112], v[109:110]
	s_waitcnt vmcnt(10) lgkmcnt(0)
	v_fma_f64 v[109:110], v[121:122], v[113:114], v[109:110]
	s_waitcnt vmcnt(5)
	v_fma_f64 v[113:114], v[123:124], v[115:116], v[109:110]
	ds_read_b128 v[109:112], v108 offset:832
	ds_read_b64 v[115:116], v108 offset:848
	s_waitcnt vmcnt(4) lgkmcnt(1)
	v_fma_f64 v[109:110], v[137:138], v[109:110], v[113:114]
	s_waitcnt vmcnt(3)
	v_fma_f64 v[109:110], v[135:136], v[111:112], v[109:110]
	s_waitcnt vmcnt(2) lgkmcnt(0)
	v_fma_f64 v[109:110], v[129:130], v[115:116], v[109:110]
	s_waitcnt vmcnt(0)
	v_add_f64 v[109:110], v[117:118], -v[109:110]
	buffer_store_dword v110, off, s[0:3], 0 offset:140
	buffer_store_dword v109, off, s[0:3], 0 offset:136
	s_and_saveexec_b64 s[4:5], vcc
	s_cbranch_execz .LBB52_293
; %bb.292:
	buffer_load_dword v109, off, s[0:3], 0 offset:128
	buffer_load_dword v110, off, s[0:3], 0 offset:132
	s_waitcnt vmcnt(0)
	ds_write_b64 v107, v[109:110]
	buffer_store_dword v108, off, s[0:3], 0 offset:128
	buffer_store_dword v108, off, s[0:3], 0 offset:132
.LBB52_293:
	s_or_b64 exec, exec, s[4:5]
	s_waitcnt lgkmcnt(0)
	; wave barrier
	buffer_load_dword v117, off, s[0:3], 0 offset:136
	buffer_load_dword v118, off, s[0:3], 0 offset:140
	;; [unrolled: 1-line block ×21, first 2 shown]
	ds_read2_b64 v[109:112], v108 offset0:71 offset1:72
	ds_read2_b64 v[113:116], v108 offset0:73 offset1:74
	buffer_load_dword v134, off, s[0:3], 0 offset:220
	v_cmp_lt_u32_e32 vcc, 15, v0
	s_waitcnt vmcnt(20) lgkmcnt(1)
	v_fma_f64 v[109:110], v[117:118], v[109:110], 0
	s_waitcnt vmcnt(18)
	v_fma_f64 v[109:110], v[119:120], v[111:112], v[109:110]
	buffer_load_dword v118, off, s[0:3], 0 offset:228
	buffer_load_dword v119, off, s[0:3], 0 offset:248
	;; [unrolled: 1-line block ×7, first 2 shown]
	s_waitcnt vmcnt(23) lgkmcnt(0)
	v_fma_f64 v[109:110], v[121:122], v[113:114], v[109:110]
	s_waitcnt vmcnt(21)
	v_fma_f64 v[120:121], v[123:124], v[115:116], v[109:110]
	ds_read2_b64 v[109:112], v108 offset0:75 offset1:76
	ds_read2_b64 v[113:116], v108 offset0:77 offset1:78
	s_waitcnt vmcnt(19) lgkmcnt(1)
	v_fma_f64 v[109:110], v[125:126], v[109:110], v[120:121]
	buffer_load_dword v120, off, s[0:3], 0 offset:252
	s_waitcnt vmcnt(18)
	v_fma_f64 v[109:110], v[127:128], v[111:112], v[109:110]
	buffer_load_dword v122, off, s[0:3], 0 offset:260
	buffer_load_dword v123, off, s[0:3], 0 offset:280
	;; [unrolled: 1-line block ×8, first 2 shown]
	s_waitcnt vmcnt(24) lgkmcnt(0)
	v_fma_f64 v[109:110], v[129:130], v[113:114], v[109:110]
	s_waitcnt vmcnt(19)
	v_fma_f64 v[129:130], v[131:132], v[115:116], v[109:110]
	ds_read2_b64 v[109:112], v108 offset0:79 offset1:80
	ds_read2_b64 v[113:116], v108 offset0:81 offset1:82
	s_waitcnt vmcnt(18) lgkmcnt(1)
	v_fma_f64 v[109:110], v[137:138], v[109:110], v[129:130]
	s_waitcnt vmcnt(17)
	v_fma_f64 v[109:110], v[135:136], v[111:112], v[109:110]
	buffer_load_dword v130, off, s[0:3], 0 offset:292
	buffer_load_dword v131, off, s[0:3], 0 offset:312
	;; [unrolled: 1-line block ×7, first 2 shown]
	s_waitcnt vmcnt(23) lgkmcnt(0)
	v_fma_f64 v[109:110], v[133:134], v[113:114], v[109:110]
	s_waitcnt vmcnt(18)
	v_fma_f64 v[117:118], v[117:118], v[115:116], v[109:110]
	ds_read2_b64 v[109:112], v108 offset0:83 offset1:84
	ds_read2_b64 v[113:116], v108 offset0:85 offset1:86
	buffer_load_dword v132, off, s[0:3], 0 offset:316
	s_waitcnt vmcnt(18) lgkmcnt(1)
	v_fma_f64 v[109:110], v[141:142], v[109:110], v[117:118]
	s_waitcnt vmcnt(17)
	v_fma_f64 v[109:110], v[139:140], v[111:112], v[109:110]
	buffer_load_dword v118, off, s[0:3], 0 offset:324
	buffer_load_dword v133, off, s[0:3], 0 offset:344
	;; [unrolled: 1-line block ×8, first 2 shown]
	s_waitcnt vmcnt(24) lgkmcnt(0)
	v_fma_f64 v[109:110], v[119:120], v[113:114], v[109:110]
	s_waitcnt vmcnt(19)
	v_fma_f64 v[119:120], v[121:122], v[115:116], v[109:110]
	ds_read2_b64 v[109:112], v108 offset0:87 offset1:88
	ds_read2_b64 v[113:116], v108 offset0:89 offset1:90
	s_waitcnt vmcnt(18) lgkmcnt(1)
	v_fma_f64 v[109:110], v[127:128], v[109:110], v[119:120]
	s_waitcnt vmcnt(17)
	v_fma_f64 v[109:110], v[125:126], v[111:112], v[109:110]
	buffer_load_dword v120, off, s[0:3], 0 offset:356
	buffer_load_dword v121, off, s[0:3], 0 offset:376
	;; [unrolled: 1-line block ×7, first 2 shown]
	s_waitcnt vmcnt(23) lgkmcnt(0)
	v_fma_f64 v[109:110], v[123:124], v[113:114], v[109:110]
	s_waitcnt vmcnt(18)
	v_fma_f64 v[122:123], v[129:130], v[115:116], v[109:110]
	ds_read2_b64 v[109:112], v108 offset0:91 offset1:92
	ds_read2_b64 v[113:116], v108 offset0:93 offset1:94
	s_waitcnt vmcnt(17) lgkmcnt(1)
	v_fma_f64 v[109:110], v[137:138], v[109:110], v[122:123]
	buffer_load_dword v122, off, s[0:3], 0 offset:380
	s_waitcnt vmcnt(17)
	v_fma_f64 v[109:110], v[135:136], v[111:112], v[109:110]
	buffer_load_dword v124, off, s[0:3], 0 offset:388
	buffer_load_dword v129, off, s[0:3], 0 offset:408
	;; [unrolled: 1-line block ×8, first 2 shown]
	s_waitcnt vmcnt(24) lgkmcnt(0)
	v_fma_f64 v[109:110], v[131:132], v[113:114], v[109:110]
	s_waitcnt vmcnt(19)
	v_fma_f64 v[117:118], v[117:118], v[115:116], v[109:110]
	ds_read2_b64 v[109:112], v108 offset0:95 offset1:96
	ds_read2_b64 v[113:116], v108 offset0:97 offset1:98
	s_waitcnt vmcnt(18) lgkmcnt(1)
	v_fma_f64 v[109:110], v[141:142], v[109:110], v[117:118]
	buffer_load_dword v118, off, s[0:3], 0 offset:420
	buffer_load_dword v117, off, s[0:3], 0 offset:416
	;; [unrolled: 1-line block ×4, first 2 shown]
	s_waitcnt vmcnt(21)
	v_fma_f64 v[109:110], v[139:140], v[111:112], v[109:110]
	s_waitcnt vmcnt(20) lgkmcnt(0)
	v_fma_f64 v[109:110], v[133:134], v[113:114], v[109:110]
	s_waitcnt vmcnt(15)
	v_fma_f64 v[119:120], v[119:120], v[115:116], v[109:110]
	ds_read2_b64 v[109:112], v108 offset0:99 offset1:100
	ds_read2_b64 v[113:116], v108 offset0:101 offset1:102
	s_waitcnt vmcnt(14) lgkmcnt(1)
	v_fma_f64 v[109:110], v[127:128], v[109:110], v[119:120]
	s_waitcnt vmcnt(13)
	v_fma_f64 v[109:110], v[125:126], v[111:112], v[109:110]
	s_waitcnt vmcnt(12) lgkmcnt(0)
	v_fma_f64 v[109:110], v[121:122], v[113:114], v[109:110]
	s_waitcnt vmcnt(7)
	v_fma_f64 v[119:120], v[123:124], v[115:116], v[109:110]
	ds_read2_b64 v[109:112], v108 offset0:103 offset1:104
	ds_read2_b64 v[113:116], v108 offset0:105 offset1:106
	s_waitcnt vmcnt(6) lgkmcnt(1)
	v_fma_f64 v[108:109], v[137:138], v[109:110], v[119:120]
	s_waitcnt vmcnt(5)
	v_fma_f64 v[108:109], v[135:136], v[111:112], v[108:109]
	s_waitcnt vmcnt(4) lgkmcnt(0)
	v_fma_f64 v[108:109], v[129:130], v[113:114], v[108:109]
	s_waitcnt vmcnt(2)
	v_fma_f64 v[108:109], v[117:118], v[115:116], v[108:109]
	s_waitcnt vmcnt(0)
	v_add_f64 v[108:109], v[131:132], -v[108:109]
	buffer_store_dword v109, off, s[0:3], 0 offset:132
	buffer_store_dword v108, off, s[0:3], 0 offset:128
	s_and_saveexec_b64 s[4:5], vcc
	s_cbranch_execz .LBB52_295
; %bb.294:
	buffer_load_dword v108, off, s[0:3], 0 offset:120
	buffer_load_dword v109, off, s[0:3], 0 offset:124
	v_mov_b32_e32 v110, 0
	buffer_store_dword v110, off, s[0:3], 0 offset:120
	buffer_store_dword v110, off, s[0:3], 0 offset:124
	s_waitcnt vmcnt(2)
	ds_write_b64 v107, v[108:109]
.LBB52_295:
	s_or_b64 exec, exec, s[4:5]
	s_waitcnt lgkmcnt(0)
	; wave barrier
	buffer_load_dword v117, off, s[0:3], 0 offset:128
	buffer_load_dword v118, off, s[0:3], 0 offset:132
	;; [unrolled: 1-line block ×21, first 2 shown]
	v_mov_b32_e32 v108, 0
	ds_read_b128 v[109:112], v108 offset:560
	ds_read_b128 v[113:116], v108 offset:576
	buffer_load_dword v134, off, s[0:3], 0 offset:212
	v_cmp_lt_u32_e32 vcc, 14, v0
	s_waitcnt vmcnt(20) lgkmcnt(1)
	v_fma_f64 v[109:110], v[117:118], v[109:110], 0
	s_waitcnt vmcnt(18)
	v_fma_f64 v[109:110], v[119:120], v[111:112], v[109:110]
	buffer_load_dword v118, off, s[0:3], 0 offset:220
	buffer_load_dword v119, off, s[0:3], 0 offset:240
	;; [unrolled: 1-line block ×7, first 2 shown]
	s_waitcnt vmcnt(23) lgkmcnt(0)
	v_fma_f64 v[109:110], v[121:122], v[113:114], v[109:110]
	s_waitcnt vmcnt(21)
	v_fma_f64 v[120:121], v[123:124], v[115:116], v[109:110]
	ds_read_b128 v[109:112], v108 offset:592
	ds_read_b128 v[113:116], v108 offset:608
	s_waitcnt vmcnt(19) lgkmcnt(1)
	v_fma_f64 v[109:110], v[125:126], v[109:110], v[120:121]
	buffer_load_dword v120, off, s[0:3], 0 offset:244
	s_waitcnt vmcnt(18)
	v_fma_f64 v[109:110], v[127:128], v[111:112], v[109:110]
	buffer_load_dword v122, off, s[0:3], 0 offset:252
	buffer_load_dword v123, off, s[0:3], 0 offset:272
	;; [unrolled: 1-line block ×8, first 2 shown]
	s_waitcnt vmcnt(24) lgkmcnt(0)
	v_fma_f64 v[109:110], v[129:130], v[113:114], v[109:110]
	s_waitcnt vmcnt(19)
	v_fma_f64 v[129:130], v[131:132], v[115:116], v[109:110]
	ds_read_b128 v[109:112], v108 offset:624
	ds_read_b128 v[113:116], v108 offset:640
	s_waitcnt vmcnt(18) lgkmcnt(1)
	v_fma_f64 v[109:110], v[137:138], v[109:110], v[129:130]
	s_waitcnt vmcnt(17)
	v_fma_f64 v[109:110], v[135:136], v[111:112], v[109:110]
	buffer_load_dword v130, off, s[0:3], 0 offset:284
	buffer_load_dword v131, off, s[0:3], 0 offset:304
	buffer_load_dword v135, off, s[0:3], 0 offset:296
	buffer_load_dword v137, off, s[0:3], 0 offset:288
	buffer_load_dword v129, off, s[0:3], 0 offset:280
	buffer_load_dword v138, off, s[0:3], 0 offset:292
	buffer_load_dword v136, off, s[0:3], 0 offset:300
	s_waitcnt vmcnt(23) lgkmcnt(0)
	v_fma_f64 v[109:110], v[133:134], v[113:114], v[109:110]
	s_waitcnt vmcnt(18)
	v_fma_f64 v[117:118], v[117:118], v[115:116], v[109:110]
	ds_read_b128 v[109:112], v108 offset:656
	ds_read_b128 v[113:116], v108 offset:672
	buffer_load_dword v132, off, s[0:3], 0 offset:308
	s_waitcnt vmcnt(18) lgkmcnt(1)
	v_fma_f64 v[109:110], v[141:142], v[109:110], v[117:118]
	s_waitcnt vmcnt(17)
	v_fma_f64 v[109:110], v[139:140], v[111:112], v[109:110]
	buffer_load_dword v118, off, s[0:3], 0 offset:316
	buffer_load_dword v133, off, s[0:3], 0 offset:336
	;; [unrolled: 1-line block ×7, first 2 shown]
	s_waitcnt vmcnt(23) lgkmcnt(0)
	v_fma_f64 v[109:110], v[119:120], v[113:114], v[109:110]
	s_waitcnt vmcnt(18)
	v_fma_f64 v[119:120], v[121:122], v[115:116], v[109:110]
	ds_read_b128 v[109:112], v108 offset:688
	ds_read_b128 v[113:116], v108 offset:704
	buffer_load_dword v134, off, s[0:3], 0 offset:340
	s_waitcnt vmcnt(18) lgkmcnt(1)
	v_fma_f64 v[109:110], v[127:128], v[109:110], v[119:120]
	s_waitcnt vmcnt(17)
	v_fma_f64 v[109:110], v[125:126], v[111:112], v[109:110]
	buffer_load_dword v120, off, s[0:3], 0 offset:348
	buffer_load_dword v121, off, s[0:3], 0 offset:368
	;; [unrolled: 1-line block ×7, first 2 shown]
	s_waitcnt vmcnt(23) lgkmcnt(0)
	v_fma_f64 v[109:110], v[123:124], v[113:114], v[109:110]
	s_waitcnt vmcnt(18)
	v_fma_f64 v[122:123], v[129:130], v[115:116], v[109:110]
	ds_read_b128 v[109:112], v108 offset:720
	ds_read_b128 v[113:116], v108 offset:736
	s_waitcnt vmcnt(17) lgkmcnt(1)
	v_fma_f64 v[109:110], v[137:138], v[109:110], v[122:123]
	buffer_load_dword v122, off, s[0:3], 0 offset:372
	s_waitcnt vmcnt(17)
	v_fma_f64 v[109:110], v[135:136], v[111:112], v[109:110]
	buffer_load_dword v124, off, s[0:3], 0 offset:380
	buffer_load_dword v129, off, s[0:3], 0 offset:400
	;; [unrolled: 1-line block ×7, first 2 shown]
	s_waitcnt vmcnt(23) lgkmcnt(0)
	v_fma_f64 v[109:110], v[131:132], v[113:114], v[109:110]
	s_waitcnt vmcnt(18)
	v_fma_f64 v[117:118], v[117:118], v[115:116], v[109:110]
	ds_read_b128 v[109:112], v108 offset:752
	ds_read_b128 v[113:116], v108 offset:768
	buffer_load_dword v130, off, s[0:3], 0 offset:404
	s_waitcnt vmcnt(18) lgkmcnt(1)
	v_fma_f64 v[109:110], v[141:142], v[109:110], v[117:118]
	buffer_load_dword v118, off, s[0:3], 0 offset:412
	buffer_load_dword v131, off, s[0:3], 0 offset:416
	;; [unrolled: 1-line block ×4, first 2 shown]
	s_waitcnt vmcnt(21)
	v_fma_f64 v[109:110], v[139:140], v[111:112], v[109:110]
	s_waitcnt vmcnt(20) lgkmcnt(0)
	v_fma_f64 v[109:110], v[133:134], v[113:114], v[109:110]
	buffer_load_dword v133, off, s[0:3], 0 offset:120
	buffer_load_dword v134, off, s[0:3], 0 offset:124
	s_waitcnt vmcnt(17)
	v_fma_f64 v[119:120], v[119:120], v[115:116], v[109:110]
	ds_read_b128 v[109:112], v108 offset:784
	ds_read_b128 v[113:116], v108 offset:800
	s_waitcnt vmcnt(16) lgkmcnt(1)
	v_fma_f64 v[109:110], v[127:128], v[109:110], v[119:120]
	s_waitcnt vmcnt(15)
	v_fma_f64 v[109:110], v[125:126], v[111:112], v[109:110]
	s_waitcnt vmcnt(14) lgkmcnt(0)
	v_fma_f64 v[109:110], v[121:122], v[113:114], v[109:110]
	s_waitcnt vmcnt(9)
	v_fma_f64 v[119:120], v[123:124], v[115:116], v[109:110]
	ds_read_b128 v[109:112], v108 offset:816
	ds_read_b128 v[113:116], v108 offset:832
	s_waitcnt vmcnt(8) lgkmcnt(1)
	v_fma_f64 v[109:110], v[137:138], v[109:110], v[119:120]
	s_waitcnt vmcnt(7)
	v_fma_f64 v[109:110], v[135:136], v[111:112], v[109:110]
	ds_read_b64 v[111:112], v108 offset:848
	s_waitcnt vmcnt(6) lgkmcnt(1)
	v_fma_f64 v[109:110], v[129:130], v[113:114], v[109:110]
	s_waitcnt vmcnt(3)
	v_fma_f64 v[109:110], v[117:118], v[115:116], v[109:110]
	s_waitcnt vmcnt(2) lgkmcnt(0)
	v_fma_f64 v[109:110], v[131:132], v[111:112], v[109:110]
	s_waitcnt vmcnt(0)
	v_add_f64 v[109:110], v[133:134], -v[109:110]
	buffer_store_dword v110, off, s[0:3], 0 offset:124
	buffer_store_dword v109, off, s[0:3], 0 offset:120
	s_and_saveexec_b64 s[4:5], vcc
	s_cbranch_execz .LBB52_297
; %bb.296:
	buffer_load_dword v109, off, s[0:3], 0 offset:112
	buffer_load_dword v110, off, s[0:3], 0 offset:116
	s_waitcnt vmcnt(0)
	ds_write_b64 v107, v[109:110]
	buffer_store_dword v108, off, s[0:3], 0 offset:112
	buffer_store_dword v108, off, s[0:3], 0 offset:116
.LBB52_297:
	s_or_b64 exec, exec, s[4:5]
	s_waitcnt lgkmcnt(0)
	; wave barrier
	buffer_load_dword v117, off, s[0:3], 0 offset:120
	buffer_load_dword v118, off, s[0:3], 0 offset:124
	;; [unrolled: 1-line block ×22, first 2 shown]
	ds_read2_b64 v[109:112], v108 offset0:69 offset1:70
	ds_read2_b64 v[113:116], v108 offset0:71 offset1:72
	v_cmp_lt_u32_e32 vcc, 13, v0
	s_waitcnt vmcnt(20) lgkmcnt(1)
	v_fma_f64 v[109:110], v[117:118], v[109:110], 0
	s_waitcnt vmcnt(18)
	v_fma_f64 v[109:110], v[119:120], v[111:112], v[109:110]
	buffer_load_dword v118, off, s[0:3], 0 offset:212
	buffer_load_dword v119, off, s[0:3], 0 offset:232
	;; [unrolled: 1-line block ×7, first 2 shown]
	s_waitcnt vmcnt(23) lgkmcnt(0)
	v_fma_f64 v[109:110], v[121:122], v[113:114], v[109:110]
	s_waitcnt vmcnt(21)
	v_fma_f64 v[120:121], v[123:124], v[115:116], v[109:110]
	ds_read2_b64 v[109:112], v108 offset0:73 offset1:74
	ds_read2_b64 v[113:116], v108 offset0:75 offset1:76
	s_waitcnt vmcnt(19) lgkmcnt(1)
	v_fma_f64 v[109:110], v[125:126], v[109:110], v[120:121]
	buffer_load_dword v120, off, s[0:3], 0 offset:236
	s_waitcnt vmcnt(18)
	v_fma_f64 v[109:110], v[127:128], v[111:112], v[109:110]
	buffer_load_dword v122, off, s[0:3], 0 offset:244
	buffer_load_dword v123, off, s[0:3], 0 offset:264
	;; [unrolled: 1-line block ×8, first 2 shown]
	s_waitcnt vmcnt(24) lgkmcnt(0)
	v_fma_f64 v[109:110], v[129:130], v[113:114], v[109:110]
	s_waitcnt vmcnt(19)
	v_fma_f64 v[129:130], v[131:132], v[115:116], v[109:110]
	ds_read2_b64 v[109:112], v108 offset0:77 offset1:78
	ds_read2_b64 v[113:116], v108 offset0:79 offset1:80
	s_waitcnt vmcnt(18) lgkmcnt(1)
	v_fma_f64 v[109:110], v[137:138], v[109:110], v[129:130]
	s_waitcnt vmcnt(17)
	v_fma_f64 v[109:110], v[135:136], v[111:112], v[109:110]
	buffer_load_dword v130, off, s[0:3], 0 offset:276
	buffer_load_dword v131, off, s[0:3], 0 offset:296
	;; [unrolled: 1-line block ×8, first 2 shown]
	s_waitcnt vmcnt(24) lgkmcnt(0)
	v_fma_f64 v[109:110], v[133:134], v[113:114], v[109:110]
	s_waitcnt vmcnt(19)
	v_fma_f64 v[117:118], v[117:118], v[115:116], v[109:110]
	ds_read2_b64 v[109:112], v108 offset0:81 offset1:82
	ds_read2_b64 v[113:116], v108 offset0:83 offset1:84
	s_waitcnt vmcnt(18) lgkmcnt(1)
	v_fma_f64 v[109:110], v[141:142], v[109:110], v[117:118]
	s_waitcnt vmcnt(17)
	v_fma_f64 v[109:110], v[139:140], v[111:112], v[109:110]
	buffer_load_dword v118, off, s[0:3], 0 offset:308
	buffer_load_dword v133, off, s[0:3], 0 offset:328
	;; [unrolled: 1-line block ×7, first 2 shown]
	s_waitcnt vmcnt(23) lgkmcnt(0)
	v_fma_f64 v[109:110], v[119:120], v[113:114], v[109:110]
	s_waitcnt vmcnt(18)
	v_fma_f64 v[119:120], v[121:122], v[115:116], v[109:110]
	ds_read2_b64 v[109:112], v108 offset0:85 offset1:86
	ds_read2_b64 v[113:116], v108 offset0:87 offset1:88
	buffer_load_dword v134, off, s[0:3], 0 offset:332
	s_waitcnt vmcnt(18) lgkmcnt(1)
	v_fma_f64 v[109:110], v[127:128], v[109:110], v[119:120]
	s_waitcnt vmcnt(17)
	v_fma_f64 v[109:110], v[125:126], v[111:112], v[109:110]
	buffer_load_dword v120, off, s[0:3], 0 offset:340
	buffer_load_dword v121, off, s[0:3], 0 offset:360
	;; [unrolled: 1-line block ×7, first 2 shown]
	s_waitcnt vmcnt(23) lgkmcnt(0)
	v_fma_f64 v[109:110], v[123:124], v[113:114], v[109:110]
	s_waitcnt vmcnt(18)
	v_fma_f64 v[122:123], v[129:130], v[115:116], v[109:110]
	ds_read2_b64 v[109:112], v108 offset0:89 offset1:90
	ds_read2_b64 v[113:116], v108 offset0:91 offset1:92
	s_waitcnt vmcnt(17) lgkmcnt(1)
	v_fma_f64 v[109:110], v[137:138], v[109:110], v[122:123]
	buffer_load_dword v122, off, s[0:3], 0 offset:364
	s_waitcnt vmcnt(17)
	v_fma_f64 v[109:110], v[135:136], v[111:112], v[109:110]
	buffer_load_dword v124, off, s[0:3], 0 offset:372
	buffer_load_dword v129, off, s[0:3], 0 offset:392
	;; [unrolled: 1-line block ×8, first 2 shown]
	s_waitcnt vmcnt(24) lgkmcnt(0)
	v_fma_f64 v[109:110], v[131:132], v[113:114], v[109:110]
	s_waitcnt vmcnt(19)
	v_fma_f64 v[117:118], v[117:118], v[115:116], v[109:110]
	ds_read2_b64 v[109:112], v108 offset0:93 offset1:94
	ds_read2_b64 v[113:116], v108 offset0:95 offset1:96
	s_waitcnt vmcnt(18) lgkmcnt(1)
	v_fma_f64 v[109:110], v[141:142], v[109:110], v[117:118]
	s_waitcnt vmcnt(17)
	v_fma_f64 v[109:110], v[139:140], v[111:112], v[109:110]
	buffer_load_dword v118, off, s[0:3], 0 offset:404
	buffer_load_dword v131, off, s[0:3], 0 offset:416
	;; [unrolled: 1-line block ×6, first 2 shown]
	s_waitcnt vmcnt(22) lgkmcnt(0)
	v_fma_f64 v[109:110], v[133:134], v[113:114], v[109:110]
	s_waitcnt vmcnt(17)
	v_fma_f64 v[119:120], v[119:120], v[115:116], v[109:110]
	ds_read2_b64 v[109:112], v108 offset0:97 offset1:98
	buffer_load_dword v133, off, s[0:3], 0 offset:112
	buffer_load_dword v134, off, s[0:3], 0 offset:116
	ds_read2_b64 v[113:116], v108 offset0:99 offset1:100
	s_waitcnt vmcnt(18) lgkmcnt(1)
	v_fma_f64 v[109:110], v[127:128], v[109:110], v[119:120]
	s_waitcnt vmcnt(17)
	v_fma_f64 v[109:110], v[125:126], v[111:112], v[109:110]
	s_waitcnt vmcnt(16) lgkmcnt(0)
	v_fma_f64 v[109:110], v[121:122], v[113:114], v[109:110]
	s_waitcnt vmcnt(11)
	v_fma_f64 v[119:120], v[123:124], v[115:116], v[109:110]
	ds_read2_b64 v[109:112], v108 offset0:101 offset1:102
	ds_read2_b64 v[113:116], v108 offset0:103 offset1:104
	s_waitcnt vmcnt(10) lgkmcnt(1)
	v_fma_f64 v[109:110], v[137:138], v[109:110], v[119:120]
	s_waitcnt vmcnt(9)
	v_fma_f64 v[109:110], v[135:136], v[111:112], v[109:110]
	s_waitcnt vmcnt(8) lgkmcnt(0)
	v_fma_f64 v[109:110], v[129:130], v[113:114], v[109:110]
	s_waitcnt vmcnt(4)
	v_fma_f64 v[112:113], v[117:118], v[115:116], v[109:110]
	ds_read2_b64 v[108:111], v108 offset0:105 offset1:106
	s_waitcnt vmcnt(3) lgkmcnt(0)
	v_fma_f64 v[108:109], v[139:140], v[108:109], v[112:113]
	s_waitcnt vmcnt(2)
	v_fma_f64 v[108:109], v[131:132], v[110:111], v[108:109]
	s_waitcnt vmcnt(0)
	v_add_f64 v[108:109], v[133:134], -v[108:109]
	buffer_store_dword v109, off, s[0:3], 0 offset:116
	buffer_store_dword v108, off, s[0:3], 0 offset:112
	s_and_saveexec_b64 s[4:5], vcc
	s_cbranch_execz .LBB52_299
; %bb.298:
	buffer_load_dword v108, off, s[0:3], 0 offset:104
	buffer_load_dword v109, off, s[0:3], 0 offset:108
	v_mov_b32_e32 v110, 0
	buffer_store_dword v110, off, s[0:3], 0 offset:104
	buffer_store_dword v110, off, s[0:3], 0 offset:108
	s_waitcnt vmcnt(2)
	ds_write_b64 v107, v[108:109]
.LBB52_299:
	s_or_b64 exec, exec, s[4:5]
	s_waitcnt lgkmcnt(0)
	; wave barrier
	buffer_load_dword v117, off, s[0:3], 0 offset:112
	buffer_load_dword v118, off, s[0:3], 0 offset:116
	;; [unrolled: 1-line block ×22, first 2 shown]
	v_mov_b32_e32 v108, 0
	ds_read_b128 v[109:112], v108 offset:544
	ds_read_b128 v[113:116], v108 offset:560
	v_cmp_lt_u32_e32 vcc, 12, v0
	s_waitcnt vmcnt(20) lgkmcnt(1)
	v_fma_f64 v[109:110], v[117:118], v[109:110], 0
	s_waitcnt vmcnt(18)
	v_fma_f64 v[109:110], v[119:120], v[111:112], v[109:110]
	buffer_load_dword v118, off, s[0:3], 0 offset:204
	buffer_load_dword v119, off, s[0:3], 0 offset:224
	;; [unrolled: 1-line block ×7, first 2 shown]
	s_waitcnt vmcnt(23) lgkmcnt(0)
	v_fma_f64 v[109:110], v[121:122], v[113:114], v[109:110]
	s_waitcnt vmcnt(21)
	v_fma_f64 v[120:121], v[123:124], v[115:116], v[109:110]
	ds_read_b128 v[109:112], v108 offset:576
	ds_read_b128 v[113:116], v108 offset:592
	s_waitcnt vmcnt(19) lgkmcnt(1)
	v_fma_f64 v[109:110], v[125:126], v[109:110], v[120:121]
	buffer_load_dword v120, off, s[0:3], 0 offset:228
	s_waitcnt vmcnt(18)
	v_fma_f64 v[109:110], v[127:128], v[111:112], v[109:110]
	buffer_load_dword v122, off, s[0:3], 0 offset:236
	buffer_load_dword v123, off, s[0:3], 0 offset:256
	;; [unrolled: 1-line block ×8, first 2 shown]
	s_waitcnt vmcnt(24) lgkmcnt(0)
	v_fma_f64 v[109:110], v[129:130], v[113:114], v[109:110]
	s_waitcnt vmcnt(19)
	v_fma_f64 v[129:130], v[131:132], v[115:116], v[109:110]
	ds_read_b128 v[109:112], v108 offset:608
	ds_read_b128 v[113:116], v108 offset:624
	s_waitcnt vmcnt(18) lgkmcnt(1)
	v_fma_f64 v[109:110], v[137:138], v[109:110], v[129:130]
	s_waitcnt vmcnt(17)
	v_fma_f64 v[109:110], v[135:136], v[111:112], v[109:110]
	buffer_load_dword v130, off, s[0:3], 0 offset:268
	buffer_load_dword v131, off, s[0:3], 0 offset:288
	;; [unrolled: 1-line block ×8, first 2 shown]
	s_waitcnt vmcnt(24) lgkmcnt(0)
	v_fma_f64 v[109:110], v[133:134], v[113:114], v[109:110]
	s_waitcnt vmcnt(19)
	v_fma_f64 v[117:118], v[117:118], v[115:116], v[109:110]
	ds_read_b128 v[109:112], v108 offset:640
	ds_read_b128 v[113:116], v108 offset:656
	s_waitcnt vmcnt(18) lgkmcnt(1)
	v_fma_f64 v[109:110], v[141:142], v[109:110], v[117:118]
	s_waitcnt vmcnt(17)
	v_fma_f64 v[109:110], v[139:140], v[111:112], v[109:110]
	buffer_load_dword v118, off, s[0:3], 0 offset:300
	buffer_load_dword v133, off, s[0:3], 0 offset:320
	;; [unrolled: 1-line block ×7, first 2 shown]
	s_waitcnt vmcnt(23) lgkmcnt(0)
	v_fma_f64 v[109:110], v[119:120], v[113:114], v[109:110]
	s_waitcnt vmcnt(18)
	v_fma_f64 v[119:120], v[121:122], v[115:116], v[109:110]
	ds_read_b128 v[109:112], v108 offset:672
	ds_read_b128 v[113:116], v108 offset:688
	buffer_load_dword v134, off, s[0:3], 0 offset:324
	s_waitcnt vmcnt(18) lgkmcnt(1)
	v_fma_f64 v[109:110], v[127:128], v[109:110], v[119:120]
	s_waitcnt vmcnt(17)
	v_fma_f64 v[109:110], v[125:126], v[111:112], v[109:110]
	buffer_load_dword v120, off, s[0:3], 0 offset:332
	buffer_load_dword v121, off, s[0:3], 0 offset:352
	;; [unrolled: 1-line block ×7, first 2 shown]
	s_waitcnt vmcnt(23) lgkmcnt(0)
	v_fma_f64 v[109:110], v[123:124], v[113:114], v[109:110]
	s_waitcnt vmcnt(18)
	v_fma_f64 v[122:123], v[129:130], v[115:116], v[109:110]
	ds_read_b128 v[109:112], v108 offset:704
	ds_read_b128 v[113:116], v108 offset:720
	s_waitcnt vmcnt(17) lgkmcnt(1)
	v_fma_f64 v[109:110], v[137:138], v[109:110], v[122:123]
	buffer_load_dword v122, off, s[0:3], 0 offset:356
	s_waitcnt vmcnt(17)
	v_fma_f64 v[109:110], v[135:136], v[111:112], v[109:110]
	buffer_load_dword v124, off, s[0:3], 0 offset:364
	buffer_load_dword v129, off, s[0:3], 0 offset:384
	;; [unrolled: 1-line block ×8, first 2 shown]
	s_waitcnt vmcnt(24) lgkmcnt(0)
	v_fma_f64 v[109:110], v[131:132], v[113:114], v[109:110]
	s_waitcnt vmcnt(19)
	v_fma_f64 v[117:118], v[117:118], v[115:116], v[109:110]
	ds_read_b128 v[109:112], v108 offset:736
	ds_read_b128 v[113:116], v108 offset:752
	s_waitcnt vmcnt(18) lgkmcnt(1)
	v_fma_f64 v[109:110], v[141:142], v[109:110], v[117:118]
	s_waitcnt vmcnt(17)
	v_fma_f64 v[109:110], v[139:140], v[111:112], v[109:110]
	buffer_load_dword v118, off, s[0:3], 0 offset:396
	buffer_load_dword v131, off, s[0:3], 0 offset:416
	;; [unrolled: 1-line block ×8, first 2 shown]
	s_waitcnt vmcnt(24) lgkmcnt(0)
	v_fma_f64 v[109:110], v[133:134], v[113:114], v[109:110]
	s_waitcnt vmcnt(19)
	v_fma_f64 v[119:120], v[119:120], v[115:116], v[109:110]
	ds_read_b128 v[109:112], v108 offset:768
	ds_read_b128 v[113:116], v108 offset:784
	s_waitcnt vmcnt(18) lgkmcnt(1)
	v_fma_f64 v[109:110], v[127:128], v[109:110], v[119:120]
	buffer_load_dword v119, off, s[0:3], 0 offset:104
	buffer_load_dword v120, off, s[0:3], 0 offset:108
	s_waitcnt vmcnt(19)
	v_fma_f64 v[109:110], v[125:126], v[111:112], v[109:110]
	s_waitcnt vmcnt(18) lgkmcnt(0)
	v_fma_f64 v[109:110], v[121:122], v[113:114], v[109:110]
	s_waitcnt vmcnt(13)
	v_fma_f64 v[121:122], v[123:124], v[115:116], v[109:110]
	ds_read_b128 v[109:112], v108 offset:800
	ds_read_b128 v[113:116], v108 offset:816
	s_waitcnt vmcnt(12) lgkmcnt(1)
	v_fma_f64 v[109:110], v[137:138], v[109:110], v[121:122]
	s_waitcnt vmcnt(11)
	v_fma_f64 v[109:110], v[135:136], v[111:112], v[109:110]
	s_waitcnt vmcnt(10) lgkmcnt(0)
	v_fma_f64 v[109:110], v[129:130], v[113:114], v[109:110]
	s_waitcnt vmcnt(5)
	v_fma_f64 v[113:114], v[117:118], v[115:116], v[109:110]
	ds_read_b128 v[109:112], v108 offset:832
	ds_read_b64 v[115:116], v108 offset:848
	s_waitcnt vmcnt(4) lgkmcnt(1)
	v_fma_f64 v[109:110], v[141:142], v[109:110], v[113:114]
	s_waitcnt vmcnt(3)
	v_fma_f64 v[109:110], v[139:140], v[111:112], v[109:110]
	s_waitcnt vmcnt(2) lgkmcnt(0)
	v_fma_f64 v[109:110], v[131:132], v[115:116], v[109:110]
	s_waitcnt vmcnt(0)
	v_add_f64 v[109:110], v[119:120], -v[109:110]
	buffer_store_dword v110, off, s[0:3], 0 offset:108
	buffer_store_dword v109, off, s[0:3], 0 offset:104
	s_and_saveexec_b64 s[4:5], vcc
	s_cbranch_execz .LBB52_301
; %bb.300:
	buffer_load_dword v109, off, s[0:3], 0 offset:96
	buffer_load_dword v110, off, s[0:3], 0 offset:100
	s_waitcnt vmcnt(0)
	ds_write_b64 v107, v[109:110]
	buffer_store_dword v108, off, s[0:3], 0 offset:96
	buffer_store_dword v108, off, s[0:3], 0 offset:100
.LBB52_301:
	s_or_b64 exec, exec, s[4:5]
	s_waitcnt lgkmcnt(0)
	; wave barrier
	buffer_load_dword v117, off, s[0:3], 0 offset:104
	buffer_load_dword v118, off, s[0:3], 0 offset:108
	;; [unrolled: 1-line block ×22, first 2 shown]
	ds_read2_b64 v[109:112], v108 offset0:67 offset1:68
	ds_read2_b64 v[113:116], v108 offset0:69 offset1:70
	v_cmp_lt_u32_e32 vcc, 11, v0
	s_waitcnt vmcnt(20) lgkmcnt(1)
	v_fma_f64 v[109:110], v[117:118], v[109:110], 0
	s_waitcnt vmcnt(18)
	v_fma_f64 v[109:110], v[119:120], v[111:112], v[109:110]
	buffer_load_dword v118, off, s[0:3], 0 offset:196
	buffer_load_dword v119, off, s[0:3], 0 offset:216
	;; [unrolled: 1-line block ×7, first 2 shown]
	s_waitcnt vmcnt(23) lgkmcnt(0)
	v_fma_f64 v[109:110], v[121:122], v[113:114], v[109:110]
	s_waitcnt vmcnt(21)
	v_fma_f64 v[120:121], v[123:124], v[115:116], v[109:110]
	ds_read2_b64 v[109:112], v108 offset0:71 offset1:72
	ds_read2_b64 v[113:116], v108 offset0:73 offset1:74
	s_waitcnt vmcnt(19) lgkmcnt(1)
	v_fma_f64 v[109:110], v[125:126], v[109:110], v[120:121]
	buffer_load_dword v120, off, s[0:3], 0 offset:220
	s_waitcnt vmcnt(18)
	v_fma_f64 v[109:110], v[127:128], v[111:112], v[109:110]
	buffer_load_dword v122, off, s[0:3], 0 offset:228
	buffer_load_dword v123, off, s[0:3], 0 offset:248
	buffer_load_dword v125, off, s[0:3], 0 offset:240
	buffer_load_dword v127, off, s[0:3], 0 offset:232
	buffer_load_dword v121, off, s[0:3], 0 offset:224
	buffer_load_dword v128, off, s[0:3], 0 offset:236
	buffer_load_dword v126, off, s[0:3], 0 offset:244
	buffer_load_dword v124, off, s[0:3], 0 offset:252
	s_waitcnt vmcnt(24) lgkmcnt(0)
	v_fma_f64 v[109:110], v[129:130], v[113:114], v[109:110]
	s_waitcnt vmcnt(19)
	v_fma_f64 v[129:130], v[131:132], v[115:116], v[109:110]
	ds_read2_b64 v[109:112], v108 offset0:75 offset1:76
	ds_read2_b64 v[113:116], v108 offset0:77 offset1:78
	s_waitcnt vmcnt(18) lgkmcnt(1)
	v_fma_f64 v[109:110], v[137:138], v[109:110], v[129:130]
	s_waitcnt vmcnt(17)
	v_fma_f64 v[109:110], v[135:136], v[111:112], v[109:110]
	buffer_load_dword v130, off, s[0:3], 0 offset:260
	buffer_load_dword v131, off, s[0:3], 0 offset:280
	;; [unrolled: 1-line block ×8, first 2 shown]
	s_waitcnt vmcnt(24) lgkmcnt(0)
	v_fma_f64 v[109:110], v[133:134], v[113:114], v[109:110]
	s_waitcnt vmcnt(19)
	v_fma_f64 v[117:118], v[117:118], v[115:116], v[109:110]
	ds_read2_b64 v[109:112], v108 offset0:79 offset1:80
	ds_read2_b64 v[113:116], v108 offset0:81 offset1:82
	s_waitcnt vmcnt(18) lgkmcnt(1)
	v_fma_f64 v[109:110], v[141:142], v[109:110], v[117:118]
	s_waitcnt vmcnt(17)
	v_fma_f64 v[109:110], v[139:140], v[111:112], v[109:110]
	buffer_load_dword v118, off, s[0:3], 0 offset:292
	buffer_load_dword v133, off, s[0:3], 0 offset:312
	;; [unrolled: 1-line block ×7, first 2 shown]
	s_waitcnt vmcnt(23) lgkmcnt(0)
	v_fma_f64 v[109:110], v[119:120], v[113:114], v[109:110]
	s_waitcnt vmcnt(18)
	v_fma_f64 v[119:120], v[121:122], v[115:116], v[109:110]
	ds_read2_b64 v[109:112], v108 offset0:83 offset1:84
	ds_read2_b64 v[113:116], v108 offset0:85 offset1:86
	buffer_load_dword v134, off, s[0:3], 0 offset:316
	s_waitcnt vmcnt(18) lgkmcnt(1)
	v_fma_f64 v[109:110], v[127:128], v[109:110], v[119:120]
	s_waitcnt vmcnt(17)
	v_fma_f64 v[109:110], v[125:126], v[111:112], v[109:110]
	buffer_load_dword v120, off, s[0:3], 0 offset:324
	buffer_load_dword v121, off, s[0:3], 0 offset:344
	;; [unrolled: 1-line block ×7, first 2 shown]
	s_waitcnt vmcnt(23) lgkmcnt(0)
	v_fma_f64 v[109:110], v[123:124], v[113:114], v[109:110]
	s_waitcnt vmcnt(18)
	v_fma_f64 v[122:123], v[129:130], v[115:116], v[109:110]
	ds_read2_b64 v[109:112], v108 offset0:87 offset1:88
	ds_read2_b64 v[113:116], v108 offset0:89 offset1:90
	s_waitcnt vmcnt(17) lgkmcnt(1)
	v_fma_f64 v[109:110], v[137:138], v[109:110], v[122:123]
	buffer_load_dword v122, off, s[0:3], 0 offset:348
	s_waitcnt vmcnt(17)
	v_fma_f64 v[109:110], v[135:136], v[111:112], v[109:110]
	buffer_load_dword v124, off, s[0:3], 0 offset:356
	buffer_load_dword v129, off, s[0:3], 0 offset:376
	;; [unrolled: 1-line block ×8, first 2 shown]
	s_waitcnt vmcnt(24) lgkmcnt(0)
	v_fma_f64 v[109:110], v[131:132], v[113:114], v[109:110]
	s_waitcnt vmcnt(19)
	v_fma_f64 v[117:118], v[117:118], v[115:116], v[109:110]
	ds_read2_b64 v[109:112], v108 offset0:91 offset1:92
	ds_read2_b64 v[113:116], v108 offset0:93 offset1:94
	s_waitcnt vmcnt(18) lgkmcnt(1)
	v_fma_f64 v[109:110], v[141:142], v[109:110], v[117:118]
	s_waitcnt vmcnt(17)
	v_fma_f64 v[109:110], v[139:140], v[111:112], v[109:110]
	buffer_load_dword v118, off, s[0:3], 0 offset:388
	buffer_load_dword v131, off, s[0:3], 0 offset:408
	buffer_load_dword v139, off, s[0:3], 0 offset:400
	buffer_load_dword v141, off, s[0:3], 0 offset:392
	buffer_load_dword v117, off, s[0:3], 0 offset:384
	buffer_load_dword v142, off, s[0:3], 0 offset:396
	buffer_load_dword v140, off, s[0:3], 0 offset:404
	buffer_load_dword v132, off, s[0:3], 0 offset:412
	s_waitcnt vmcnt(24) lgkmcnt(0)
	v_fma_f64 v[109:110], v[133:134], v[113:114], v[109:110]
	s_waitcnt vmcnt(19)
	v_fma_f64 v[119:120], v[119:120], v[115:116], v[109:110]
	ds_read2_b64 v[109:112], v108 offset0:95 offset1:96
	ds_read2_b64 v[113:116], v108 offset0:97 offset1:98
	s_waitcnt vmcnt(18) lgkmcnt(1)
	v_fma_f64 v[109:110], v[127:128], v[109:110], v[119:120]
	buffer_load_dword v120, off, s[0:3], 0 offset:420
	buffer_load_dword v119, off, s[0:3], 0 offset:416
	s_waitcnt vmcnt(19)
	v_fma_f64 v[109:110], v[125:126], v[111:112], v[109:110]
	buffer_load_dword v125, off, s[0:3], 0 offset:96
	buffer_load_dword v126, off, s[0:3], 0 offset:100
	s_waitcnt vmcnt(20) lgkmcnt(0)
	v_fma_f64 v[109:110], v[121:122], v[113:114], v[109:110]
	s_waitcnt vmcnt(15)
	v_fma_f64 v[121:122], v[123:124], v[115:116], v[109:110]
	ds_read2_b64 v[109:112], v108 offset0:99 offset1:100
	ds_read2_b64 v[113:116], v108 offset0:101 offset1:102
	s_waitcnt vmcnt(14) lgkmcnt(1)
	v_fma_f64 v[109:110], v[137:138], v[109:110], v[121:122]
	s_waitcnt vmcnt(13)
	v_fma_f64 v[109:110], v[135:136], v[111:112], v[109:110]
	s_waitcnt vmcnt(12) lgkmcnt(0)
	v_fma_f64 v[109:110], v[129:130], v[113:114], v[109:110]
	s_waitcnt vmcnt(7)
	v_fma_f64 v[117:118], v[117:118], v[115:116], v[109:110]
	ds_read2_b64 v[109:112], v108 offset0:103 offset1:104
	ds_read2_b64 v[113:116], v108 offset0:105 offset1:106
	s_waitcnt vmcnt(6) lgkmcnt(1)
	v_fma_f64 v[108:109], v[141:142], v[109:110], v[117:118]
	s_waitcnt vmcnt(5)
	v_fma_f64 v[108:109], v[139:140], v[111:112], v[108:109]
	s_waitcnt vmcnt(4) lgkmcnt(0)
	v_fma_f64 v[108:109], v[131:132], v[113:114], v[108:109]
	s_waitcnt vmcnt(2)
	v_fma_f64 v[108:109], v[119:120], v[115:116], v[108:109]
	s_waitcnt vmcnt(0)
	v_add_f64 v[108:109], v[125:126], -v[108:109]
	buffer_store_dword v109, off, s[0:3], 0 offset:100
	buffer_store_dword v108, off, s[0:3], 0 offset:96
	s_and_saveexec_b64 s[4:5], vcc
	s_cbranch_execz .LBB52_303
; %bb.302:
	buffer_load_dword v108, off, s[0:3], 0 offset:88
	buffer_load_dword v109, off, s[0:3], 0 offset:92
	v_mov_b32_e32 v110, 0
	buffer_store_dword v110, off, s[0:3], 0 offset:88
	buffer_store_dword v110, off, s[0:3], 0 offset:92
	s_waitcnt vmcnt(2)
	ds_write_b64 v107, v[108:109]
.LBB52_303:
	s_or_b64 exec, exec, s[4:5]
	s_waitcnt lgkmcnt(0)
	; wave barrier
	buffer_load_dword v117, off, s[0:3], 0 offset:96
	buffer_load_dword v118, off, s[0:3], 0 offset:100
	buffer_load_dword v119, off, s[0:3], 0 offset:104
	buffer_load_dword v120, off, s[0:3], 0 offset:108
	buffer_load_dword v121, off, s[0:3], 0 offset:112
	buffer_load_dword v122, off, s[0:3], 0 offset:116
	buffer_load_dword v123, off, s[0:3], 0 offset:120
	buffer_load_dword v124, off, s[0:3], 0 offset:124
	buffer_load_dword v125, off, s[0:3], 0 offset:128
	buffer_load_dword v126, off, s[0:3], 0 offset:132
	buffer_load_dword v127, off, s[0:3], 0 offset:136
	buffer_load_dword v128, off, s[0:3], 0 offset:140
	buffer_load_dword v129, off, s[0:3], 0 offset:144
	buffer_load_dword v130, off, s[0:3], 0 offset:148
	buffer_load_dword v132, off, s[0:3], 0 offset:156
	buffer_load_dword v133, off, s[0:3], 0 offset:176
	buffer_load_dword v135, off, s[0:3], 0 offset:168
	buffer_load_dword v137, off, s[0:3], 0 offset:160
	buffer_load_dword v131, off, s[0:3], 0 offset:152
	buffer_load_dword v138, off, s[0:3], 0 offset:164
	buffer_load_dword v136, off, s[0:3], 0 offset:172
	buffer_load_dword v134, off, s[0:3], 0 offset:180
	v_mov_b32_e32 v108, 0
	ds_read_b128 v[109:112], v108 offset:528
	ds_read_b128 v[113:116], v108 offset:544
	v_cmp_lt_u32_e32 vcc, 10, v0
	s_waitcnt vmcnt(20) lgkmcnt(1)
	v_fma_f64 v[109:110], v[117:118], v[109:110], 0
	s_waitcnt vmcnt(18)
	v_fma_f64 v[109:110], v[119:120], v[111:112], v[109:110]
	buffer_load_dword v118, off, s[0:3], 0 offset:188
	buffer_load_dword v119, off, s[0:3], 0 offset:208
	;; [unrolled: 1-line block ×7, first 2 shown]
	s_waitcnt vmcnt(23) lgkmcnt(0)
	v_fma_f64 v[109:110], v[121:122], v[113:114], v[109:110]
	s_waitcnt vmcnt(21)
	v_fma_f64 v[120:121], v[123:124], v[115:116], v[109:110]
	ds_read_b128 v[109:112], v108 offset:560
	ds_read_b128 v[113:116], v108 offset:576
	s_waitcnt vmcnt(19) lgkmcnt(1)
	v_fma_f64 v[109:110], v[125:126], v[109:110], v[120:121]
	buffer_load_dword v120, off, s[0:3], 0 offset:212
	s_waitcnt vmcnt(18)
	v_fma_f64 v[109:110], v[127:128], v[111:112], v[109:110]
	buffer_load_dword v122, off, s[0:3], 0 offset:220
	buffer_load_dword v123, off, s[0:3], 0 offset:240
	;; [unrolled: 1-line block ×7, first 2 shown]
	s_waitcnt vmcnt(23) lgkmcnt(0)
	v_fma_f64 v[109:110], v[129:130], v[113:114], v[109:110]
	s_waitcnt vmcnt(18)
	v_fma_f64 v[129:130], v[131:132], v[115:116], v[109:110]
	ds_read_b128 v[109:112], v108 offset:592
	ds_read_b128 v[113:116], v108 offset:608
	buffer_load_dword v124, off, s[0:3], 0 offset:244
	s_waitcnt vmcnt(18) lgkmcnt(1)
	v_fma_f64 v[109:110], v[137:138], v[109:110], v[129:130]
	s_waitcnt vmcnt(17)
	v_fma_f64 v[109:110], v[135:136], v[111:112], v[109:110]
	buffer_load_dword v130, off, s[0:3], 0 offset:252
	buffer_load_dword v131, off, s[0:3], 0 offset:272
	;; [unrolled: 1-line block ×8, first 2 shown]
	s_waitcnt vmcnt(24) lgkmcnt(0)
	v_fma_f64 v[109:110], v[133:134], v[113:114], v[109:110]
	s_waitcnt vmcnt(19)
	v_fma_f64 v[117:118], v[117:118], v[115:116], v[109:110]
	ds_read_b128 v[109:112], v108 offset:624
	ds_read_b128 v[113:116], v108 offset:640
	s_waitcnt vmcnt(18) lgkmcnt(1)
	v_fma_f64 v[109:110], v[141:142], v[109:110], v[117:118]
	s_waitcnt vmcnt(17)
	v_fma_f64 v[109:110], v[139:140], v[111:112], v[109:110]
	buffer_load_dword v118, off, s[0:3], 0 offset:284
	buffer_load_dword v133, off, s[0:3], 0 offset:304
	buffer_load_dword v139, off, s[0:3], 0 offset:296
	buffer_load_dword v141, off, s[0:3], 0 offset:288
	buffer_load_dword v117, off, s[0:3], 0 offset:280
	buffer_load_dword v142, off, s[0:3], 0 offset:292
	buffer_load_dword v140, off, s[0:3], 0 offset:300
	s_waitcnt vmcnt(23) lgkmcnt(0)
	v_fma_f64 v[109:110], v[119:120], v[113:114], v[109:110]
	s_waitcnt vmcnt(18)
	v_fma_f64 v[119:120], v[121:122], v[115:116], v[109:110]
	ds_read_b128 v[109:112], v108 offset:656
	ds_read_b128 v[113:116], v108 offset:672
	buffer_load_dword v134, off, s[0:3], 0 offset:308
	s_waitcnt vmcnt(18) lgkmcnt(1)
	v_fma_f64 v[109:110], v[127:128], v[109:110], v[119:120]
	s_waitcnt vmcnt(17)
	v_fma_f64 v[109:110], v[125:126], v[111:112], v[109:110]
	buffer_load_dword v120, off, s[0:3], 0 offset:316
	buffer_load_dword v121, off, s[0:3], 0 offset:336
	;; [unrolled: 1-line block ×7, first 2 shown]
	s_waitcnt vmcnt(23) lgkmcnt(0)
	v_fma_f64 v[109:110], v[123:124], v[113:114], v[109:110]
	s_waitcnt vmcnt(18)
	v_fma_f64 v[122:123], v[129:130], v[115:116], v[109:110]
	ds_read_b128 v[109:112], v108 offset:688
	ds_read_b128 v[113:116], v108 offset:704
	s_waitcnt vmcnt(17) lgkmcnt(1)
	v_fma_f64 v[109:110], v[137:138], v[109:110], v[122:123]
	buffer_load_dword v122, off, s[0:3], 0 offset:340
	s_waitcnt vmcnt(17)
	v_fma_f64 v[109:110], v[135:136], v[111:112], v[109:110]
	buffer_load_dword v124, off, s[0:3], 0 offset:348
	buffer_load_dword v129, off, s[0:3], 0 offset:368
	;; [unrolled: 1-line block ×8, first 2 shown]
	s_waitcnt vmcnt(24) lgkmcnt(0)
	v_fma_f64 v[109:110], v[131:132], v[113:114], v[109:110]
	s_waitcnt vmcnt(19)
	v_fma_f64 v[117:118], v[117:118], v[115:116], v[109:110]
	ds_read_b128 v[109:112], v108 offset:720
	ds_read_b128 v[113:116], v108 offset:736
	s_waitcnt vmcnt(18) lgkmcnt(1)
	v_fma_f64 v[109:110], v[141:142], v[109:110], v[117:118]
	s_waitcnt vmcnt(17)
	v_fma_f64 v[109:110], v[139:140], v[111:112], v[109:110]
	buffer_load_dword v118, off, s[0:3], 0 offset:380
	buffer_load_dword v131, off, s[0:3], 0 offset:400
	;; [unrolled: 1-line block ×7, first 2 shown]
	s_waitcnt vmcnt(23) lgkmcnt(0)
	v_fma_f64 v[109:110], v[133:134], v[113:114], v[109:110]
	s_waitcnt vmcnt(18)
	v_fma_f64 v[119:120], v[119:120], v[115:116], v[109:110]
	ds_read_b128 v[109:112], v108 offset:752
	ds_read_b128 v[113:116], v108 offset:768
	buffer_load_dword v132, off, s[0:3], 0 offset:404
	s_waitcnt vmcnt(18) lgkmcnt(1)
	v_fma_f64 v[109:110], v[127:128], v[109:110], v[119:120]
	s_waitcnt vmcnt(17)
	v_fma_f64 v[109:110], v[125:126], v[111:112], v[109:110]
	buffer_load_dword v120, off, s[0:3], 0 offset:412
	buffer_load_dword v125, off, s[0:3], 0 offset:416
	;; [unrolled: 1-line block ×4, first 2 shown]
	s_waitcnt vmcnt(20) lgkmcnt(0)
	v_fma_f64 v[109:110], v[121:122], v[113:114], v[109:110]
	buffer_load_dword v121, off, s[0:3], 0 offset:88
	buffer_load_dword v122, off, s[0:3], 0 offset:92
	s_waitcnt vmcnt(17)
	v_fma_f64 v[123:124], v[123:124], v[115:116], v[109:110]
	ds_read_b128 v[109:112], v108 offset:784
	ds_read_b128 v[113:116], v108 offset:800
	s_waitcnt vmcnt(16) lgkmcnt(1)
	v_fma_f64 v[109:110], v[137:138], v[109:110], v[123:124]
	s_waitcnt vmcnt(15)
	v_fma_f64 v[109:110], v[135:136], v[111:112], v[109:110]
	s_waitcnt vmcnt(14) lgkmcnt(0)
	v_fma_f64 v[109:110], v[129:130], v[113:114], v[109:110]
	s_waitcnt vmcnt(9)
	v_fma_f64 v[117:118], v[117:118], v[115:116], v[109:110]
	ds_read_b128 v[109:112], v108 offset:816
	ds_read_b128 v[113:116], v108 offset:832
	s_waitcnt vmcnt(8) lgkmcnt(1)
	v_fma_f64 v[109:110], v[141:142], v[109:110], v[117:118]
	s_waitcnt vmcnt(7)
	v_fma_f64 v[109:110], v[139:140], v[111:112], v[109:110]
	ds_read_b64 v[111:112], v108 offset:848
	s_waitcnt vmcnt(6) lgkmcnt(1)
	v_fma_f64 v[109:110], v[131:132], v[113:114], v[109:110]
	s_waitcnt vmcnt(3)
	v_fma_f64 v[109:110], v[119:120], v[115:116], v[109:110]
	s_waitcnt vmcnt(2) lgkmcnt(0)
	v_fma_f64 v[109:110], v[125:126], v[111:112], v[109:110]
	s_waitcnt vmcnt(0)
	v_add_f64 v[109:110], v[121:122], -v[109:110]
	buffer_store_dword v110, off, s[0:3], 0 offset:92
	buffer_store_dword v109, off, s[0:3], 0 offset:88
	s_and_saveexec_b64 s[4:5], vcc
	s_cbranch_execz .LBB52_305
; %bb.304:
	buffer_load_dword v109, off, s[0:3], 0 offset:80
	buffer_load_dword v110, off, s[0:3], 0 offset:84
	s_waitcnt vmcnt(0)
	ds_write_b64 v107, v[109:110]
	buffer_store_dword v108, off, s[0:3], 0 offset:80
	buffer_store_dword v108, off, s[0:3], 0 offset:84
.LBB52_305:
	s_or_b64 exec, exec, s[4:5]
	s_waitcnt lgkmcnt(0)
	; wave barrier
	buffer_load_dword v117, off, s[0:3], 0 offset:88
	buffer_load_dword v118, off, s[0:3], 0 offset:92
	;; [unrolled: 1-line block ×22, first 2 shown]
	ds_read2_b64 v[109:112], v108 offset0:65 offset1:66
	ds_read2_b64 v[113:116], v108 offset0:67 offset1:68
	v_cmp_lt_u32_e32 vcc, 9, v0
	s_waitcnt vmcnt(20) lgkmcnt(1)
	v_fma_f64 v[109:110], v[117:118], v[109:110], 0
	s_waitcnt vmcnt(18)
	v_fma_f64 v[109:110], v[119:120], v[111:112], v[109:110]
	buffer_load_dword v118, off, s[0:3], 0 offset:180
	buffer_load_dword v119, off, s[0:3], 0 offset:200
	;; [unrolled: 1-line block ×7, first 2 shown]
	s_waitcnt vmcnt(23) lgkmcnt(0)
	v_fma_f64 v[109:110], v[121:122], v[113:114], v[109:110]
	s_waitcnt vmcnt(21)
	v_fma_f64 v[120:121], v[123:124], v[115:116], v[109:110]
	ds_read2_b64 v[109:112], v108 offset0:69 offset1:70
	ds_read2_b64 v[113:116], v108 offset0:71 offset1:72
	s_waitcnt vmcnt(19) lgkmcnt(1)
	v_fma_f64 v[109:110], v[125:126], v[109:110], v[120:121]
	buffer_load_dword v120, off, s[0:3], 0 offset:204
	s_waitcnt vmcnt(18)
	v_fma_f64 v[109:110], v[127:128], v[111:112], v[109:110]
	buffer_load_dword v122, off, s[0:3], 0 offset:212
	buffer_load_dword v123, off, s[0:3], 0 offset:232
	;; [unrolled: 1-line block ×7, first 2 shown]
	s_waitcnt vmcnt(23) lgkmcnt(0)
	v_fma_f64 v[109:110], v[129:130], v[113:114], v[109:110]
	s_waitcnt vmcnt(18)
	v_fma_f64 v[129:130], v[131:132], v[115:116], v[109:110]
	ds_read2_b64 v[109:112], v108 offset0:73 offset1:74
	ds_read2_b64 v[113:116], v108 offset0:75 offset1:76
	buffer_load_dword v124, off, s[0:3], 0 offset:236
	s_waitcnt vmcnt(18) lgkmcnt(1)
	v_fma_f64 v[109:110], v[137:138], v[109:110], v[129:130]
	s_waitcnt vmcnt(17)
	v_fma_f64 v[109:110], v[135:136], v[111:112], v[109:110]
	buffer_load_dword v130, off, s[0:3], 0 offset:244
	buffer_load_dword v131, off, s[0:3], 0 offset:264
	;; [unrolled: 1-line block ×8, first 2 shown]
	s_waitcnt vmcnt(24) lgkmcnt(0)
	v_fma_f64 v[109:110], v[133:134], v[113:114], v[109:110]
	s_waitcnt vmcnt(19)
	v_fma_f64 v[117:118], v[117:118], v[115:116], v[109:110]
	ds_read2_b64 v[109:112], v108 offset0:77 offset1:78
	ds_read2_b64 v[113:116], v108 offset0:79 offset1:80
	s_waitcnt vmcnt(18) lgkmcnt(1)
	v_fma_f64 v[109:110], v[141:142], v[109:110], v[117:118]
	s_waitcnt vmcnt(17)
	v_fma_f64 v[109:110], v[139:140], v[111:112], v[109:110]
	buffer_load_dword v118, off, s[0:3], 0 offset:276
	buffer_load_dword v133, off, s[0:3], 0 offset:296
	;; [unrolled: 1-line block ×8, first 2 shown]
	s_waitcnt vmcnt(24) lgkmcnt(0)
	v_fma_f64 v[109:110], v[119:120], v[113:114], v[109:110]
	s_waitcnt vmcnt(19)
	v_fma_f64 v[119:120], v[121:122], v[115:116], v[109:110]
	ds_read2_b64 v[109:112], v108 offset0:81 offset1:82
	ds_read2_b64 v[113:116], v108 offset0:83 offset1:84
	s_waitcnt vmcnt(18) lgkmcnt(1)
	v_fma_f64 v[109:110], v[127:128], v[109:110], v[119:120]
	s_waitcnt vmcnt(17)
	v_fma_f64 v[109:110], v[125:126], v[111:112], v[109:110]
	buffer_load_dword v120, off, s[0:3], 0 offset:308
	buffer_load_dword v121, off, s[0:3], 0 offset:328
	buffer_load_dword v125, off, s[0:3], 0 offset:320
	buffer_load_dword v127, off, s[0:3], 0 offset:312
	buffer_load_dword v119, off, s[0:3], 0 offset:304
	buffer_load_dword v128, off, s[0:3], 0 offset:316
	buffer_load_dword v126, off, s[0:3], 0 offset:324
	s_waitcnt vmcnt(23) lgkmcnt(0)
	v_fma_f64 v[109:110], v[123:124], v[113:114], v[109:110]
	s_waitcnt vmcnt(18)
	v_fma_f64 v[122:123], v[129:130], v[115:116], v[109:110]
	ds_read2_b64 v[109:112], v108 offset0:85 offset1:86
	ds_read2_b64 v[113:116], v108 offset0:87 offset1:88
	s_waitcnt vmcnt(17) lgkmcnt(1)
	v_fma_f64 v[109:110], v[137:138], v[109:110], v[122:123]
	buffer_load_dword v122, off, s[0:3], 0 offset:332
	s_waitcnt vmcnt(17)
	v_fma_f64 v[109:110], v[135:136], v[111:112], v[109:110]
	buffer_load_dword v124, off, s[0:3], 0 offset:340
	buffer_load_dword v129, off, s[0:3], 0 offset:360
	;; [unrolled: 1-line block ×8, first 2 shown]
	s_waitcnt vmcnt(24) lgkmcnt(0)
	v_fma_f64 v[109:110], v[131:132], v[113:114], v[109:110]
	s_waitcnt vmcnt(19)
	v_fma_f64 v[117:118], v[117:118], v[115:116], v[109:110]
	ds_read2_b64 v[109:112], v108 offset0:89 offset1:90
	ds_read2_b64 v[113:116], v108 offset0:91 offset1:92
	s_waitcnt vmcnt(18) lgkmcnt(1)
	v_fma_f64 v[109:110], v[141:142], v[109:110], v[117:118]
	s_waitcnt vmcnt(17)
	v_fma_f64 v[109:110], v[139:140], v[111:112], v[109:110]
	buffer_load_dword v118, off, s[0:3], 0 offset:372
	buffer_load_dword v131, off, s[0:3], 0 offset:392
	;; [unrolled: 1-line block ×8, first 2 shown]
	s_waitcnt vmcnt(24) lgkmcnt(0)
	v_fma_f64 v[109:110], v[133:134], v[113:114], v[109:110]
	s_waitcnt vmcnt(19)
	v_fma_f64 v[119:120], v[119:120], v[115:116], v[109:110]
	ds_read2_b64 v[109:112], v108 offset0:93 offset1:94
	ds_read2_b64 v[113:116], v108 offset0:95 offset1:96
	s_waitcnt vmcnt(18) lgkmcnt(1)
	v_fma_f64 v[109:110], v[127:128], v[109:110], v[119:120]
	s_waitcnt vmcnt(17)
	v_fma_f64 v[109:110], v[125:126], v[111:112], v[109:110]
	buffer_load_dword v120, off, s[0:3], 0 offset:404
	buffer_load_dword v125, off, s[0:3], 0 offset:416
	;; [unrolled: 1-line block ×6, first 2 shown]
	s_waitcnt vmcnt(22) lgkmcnt(0)
	v_fma_f64 v[109:110], v[121:122], v[113:114], v[109:110]
	s_waitcnt vmcnt(17)
	v_fma_f64 v[121:122], v[123:124], v[115:116], v[109:110]
	ds_read2_b64 v[109:112], v108 offset0:97 offset1:98
	buffer_load_dword v123, off, s[0:3], 0 offset:80
	buffer_load_dword v124, off, s[0:3], 0 offset:84
	ds_read2_b64 v[113:116], v108 offset0:99 offset1:100
	s_waitcnt vmcnt(18) lgkmcnt(1)
	v_fma_f64 v[109:110], v[137:138], v[109:110], v[121:122]
	s_waitcnt vmcnt(17)
	v_fma_f64 v[109:110], v[135:136], v[111:112], v[109:110]
	s_waitcnt vmcnt(16) lgkmcnt(0)
	v_fma_f64 v[109:110], v[129:130], v[113:114], v[109:110]
	s_waitcnt vmcnt(11)
	v_fma_f64 v[117:118], v[117:118], v[115:116], v[109:110]
	ds_read2_b64 v[109:112], v108 offset0:101 offset1:102
	ds_read2_b64 v[113:116], v108 offset0:103 offset1:104
	s_waitcnt vmcnt(10) lgkmcnt(1)
	v_fma_f64 v[109:110], v[141:142], v[109:110], v[117:118]
	s_waitcnt vmcnt(9)
	v_fma_f64 v[109:110], v[139:140], v[111:112], v[109:110]
	s_waitcnt vmcnt(8) lgkmcnt(0)
	v_fma_f64 v[109:110], v[131:132], v[113:114], v[109:110]
	s_waitcnt vmcnt(4)
	v_fma_f64 v[112:113], v[119:120], v[115:116], v[109:110]
	ds_read2_b64 v[108:111], v108 offset0:105 offset1:106
	s_waitcnt vmcnt(3) lgkmcnt(0)
	v_fma_f64 v[108:109], v[127:128], v[108:109], v[112:113]
	s_waitcnt vmcnt(2)
	v_fma_f64 v[108:109], v[125:126], v[110:111], v[108:109]
	s_waitcnt vmcnt(0)
	v_add_f64 v[108:109], v[123:124], -v[108:109]
	buffer_store_dword v109, off, s[0:3], 0 offset:84
	buffer_store_dword v108, off, s[0:3], 0 offset:80
	s_and_saveexec_b64 s[4:5], vcc
	s_cbranch_execz .LBB52_307
; %bb.306:
	buffer_load_dword v108, off, s[0:3], 0 offset:72
	buffer_load_dword v109, off, s[0:3], 0 offset:76
	v_mov_b32_e32 v110, 0
	buffer_store_dword v110, off, s[0:3], 0 offset:72
	buffer_store_dword v110, off, s[0:3], 0 offset:76
	s_waitcnt vmcnt(2)
	ds_write_b64 v107, v[108:109]
.LBB52_307:
	s_or_b64 exec, exec, s[4:5]
	s_waitcnt lgkmcnt(0)
	; wave barrier
	buffer_load_dword v117, off, s[0:3], 0 offset:80
	buffer_load_dword v118, off, s[0:3], 0 offset:84
	;; [unrolled: 1-line block ×22, first 2 shown]
	v_mov_b32_e32 v108, 0
	ds_read_b128 v[109:112], v108 offset:512
	ds_read_b128 v[113:116], v108 offset:528
	v_cmp_lt_u32_e32 vcc, 8, v0
	s_waitcnt vmcnt(20) lgkmcnt(1)
	v_fma_f64 v[109:110], v[117:118], v[109:110], 0
	s_waitcnt vmcnt(18)
	v_fma_f64 v[109:110], v[119:120], v[111:112], v[109:110]
	buffer_load_dword v118, off, s[0:3], 0 offset:172
	buffer_load_dword v119, off, s[0:3], 0 offset:192
	buffer_load_dword v139, off, s[0:3], 0 offset:184
	buffer_load_dword v141, off, s[0:3], 0 offset:176
	buffer_load_dword v117, off, s[0:3], 0 offset:168
	buffer_load_dword v142, off, s[0:3], 0 offset:180
	buffer_load_dword v140, off, s[0:3], 0 offset:188
	s_waitcnt vmcnt(23) lgkmcnt(0)
	v_fma_f64 v[109:110], v[121:122], v[113:114], v[109:110]
	s_waitcnt vmcnt(21)
	v_fma_f64 v[120:121], v[123:124], v[115:116], v[109:110]
	ds_read_b128 v[109:112], v108 offset:544
	ds_read_b128 v[113:116], v108 offset:560
	s_waitcnt vmcnt(19) lgkmcnt(1)
	v_fma_f64 v[109:110], v[125:126], v[109:110], v[120:121]
	buffer_load_dword v120, off, s[0:3], 0 offset:196
	s_waitcnt vmcnt(18)
	v_fma_f64 v[109:110], v[127:128], v[111:112], v[109:110]
	buffer_load_dword v122, off, s[0:3], 0 offset:204
	buffer_load_dword v123, off, s[0:3], 0 offset:224
	;; [unrolled: 1-line block ×7, first 2 shown]
	s_waitcnt vmcnt(23) lgkmcnt(0)
	v_fma_f64 v[109:110], v[129:130], v[113:114], v[109:110]
	s_waitcnt vmcnt(18)
	v_fma_f64 v[129:130], v[131:132], v[115:116], v[109:110]
	ds_read_b128 v[109:112], v108 offset:576
	ds_read_b128 v[113:116], v108 offset:592
	buffer_load_dword v124, off, s[0:3], 0 offset:228
	s_waitcnt vmcnt(18) lgkmcnt(1)
	v_fma_f64 v[109:110], v[137:138], v[109:110], v[129:130]
	s_waitcnt vmcnt(17)
	v_fma_f64 v[109:110], v[135:136], v[111:112], v[109:110]
	buffer_load_dword v130, off, s[0:3], 0 offset:236
	buffer_load_dword v131, off, s[0:3], 0 offset:256
	;; [unrolled: 1-line block ×8, first 2 shown]
	s_waitcnt vmcnt(24) lgkmcnt(0)
	v_fma_f64 v[109:110], v[133:134], v[113:114], v[109:110]
	s_waitcnt vmcnt(19)
	v_fma_f64 v[117:118], v[117:118], v[115:116], v[109:110]
	ds_read_b128 v[109:112], v108 offset:608
	ds_read_b128 v[113:116], v108 offset:624
	s_waitcnt vmcnt(18) lgkmcnt(1)
	v_fma_f64 v[109:110], v[141:142], v[109:110], v[117:118]
	s_waitcnt vmcnt(17)
	v_fma_f64 v[109:110], v[139:140], v[111:112], v[109:110]
	buffer_load_dword v118, off, s[0:3], 0 offset:268
	buffer_load_dword v133, off, s[0:3], 0 offset:288
	buffer_load_dword v139, off, s[0:3], 0 offset:280
	buffer_load_dword v141, off, s[0:3], 0 offset:272
	buffer_load_dword v117, off, s[0:3], 0 offset:264
	buffer_load_dword v142, off, s[0:3], 0 offset:276
	buffer_load_dword v140, off, s[0:3], 0 offset:284
	buffer_load_dword v134, off, s[0:3], 0 offset:292
	s_waitcnt vmcnt(24) lgkmcnt(0)
	v_fma_f64 v[109:110], v[119:120], v[113:114], v[109:110]
	s_waitcnt vmcnt(19)
	v_fma_f64 v[119:120], v[121:122], v[115:116], v[109:110]
	ds_read_b128 v[109:112], v108 offset:640
	ds_read_b128 v[113:116], v108 offset:656
	s_waitcnt vmcnt(18) lgkmcnt(1)
	v_fma_f64 v[109:110], v[127:128], v[109:110], v[119:120]
	s_waitcnt vmcnt(17)
	v_fma_f64 v[109:110], v[125:126], v[111:112], v[109:110]
	buffer_load_dword v120, off, s[0:3], 0 offset:300
	buffer_load_dword v121, off, s[0:3], 0 offset:320
	;; [unrolled: 1-line block ×7, first 2 shown]
	s_waitcnt vmcnt(23) lgkmcnt(0)
	v_fma_f64 v[109:110], v[123:124], v[113:114], v[109:110]
	s_waitcnt vmcnt(18)
	v_fma_f64 v[122:123], v[129:130], v[115:116], v[109:110]
	ds_read_b128 v[109:112], v108 offset:672
	ds_read_b128 v[113:116], v108 offset:688
	s_waitcnt vmcnt(17) lgkmcnt(1)
	v_fma_f64 v[109:110], v[137:138], v[109:110], v[122:123]
	buffer_load_dword v122, off, s[0:3], 0 offset:324
	s_waitcnt vmcnt(17)
	v_fma_f64 v[109:110], v[135:136], v[111:112], v[109:110]
	buffer_load_dword v124, off, s[0:3], 0 offset:332
	buffer_load_dword v129, off, s[0:3], 0 offset:352
	buffer_load_dword v135, off, s[0:3], 0 offset:344
	buffer_load_dword v137, off, s[0:3], 0 offset:336
	buffer_load_dword v123, off, s[0:3], 0 offset:328
	buffer_load_dword v138, off, s[0:3], 0 offset:340
	buffer_load_dword v136, off, s[0:3], 0 offset:348
	buffer_load_dword v130, off, s[0:3], 0 offset:356
	s_waitcnt vmcnt(24) lgkmcnt(0)
	v_fma_f64 v[109:110], v[131:132], v[113:114], v[109:110]
	s_waitcnt vmcnt(19)
	v_fma_f64 v[117:118], v[117:118], v[115:116], v[109:110]
	ds_read_b128 v[109:112], v108 offset:704
	ds_read_b128 v[113:116], v108 offset:720
	s_waitcnt vmcnt(18) lgkmcnt(1)
	v_fma_f64 v[109:110], v[141:142], v[109:110], v[117:118]
	s_waitcnt vmcnt(17)
	v_fma_f64 v[109:110], v[139:140], v[111:112], v[109:110]
	buffer_load_dword v118, off, s[0:3], 0 offset:364
	buffer_load_dword v131, off, s[0:3], 0 offset:384
	buffer_load_dword v139, off, s[0:3], 0 offset:376
	buffer_load_dword v141, off, s[0:3], 0 offset:368
	buffer_load_dword v117, off, s[0:3], 0 offset:360
	buffer_load_dword v142, off, s[0:3], 0 offset:372
	buffer_load_dword v140, off, s[0:3], 0 offset:380
	buffer_load_dword v132, off, s[0:3], 0 offset:388
	s_waitcnt vmcnt(24) lgkmcnt(0)
	v_fma_f64 v[109:110], v[133:134], v[113:114], v[109:110]
	s_waitcnt vmcnt(19)
	v_fma_f64 v[119:120], v[119:120], v[115:116], v[109:110]
	ds_read_b128 v[109:112], v108 offset:736
	ds_read_b128 v[113:116], v108 offset:752
	s_waitcnt vmcnt(18) lgkmcnt(1)
	v_fma_f64 v[109:110], v[127:128], v[109:110], v[119:120]
	;; [unrolled: 18-line block ×3, first 2 shown]
	buffer_load_dword v121, off, s[0:3], 0 offset:72
	buffer_load_dword v122, off, s[0:3], 0 offset:76
	s_waitcnt vmcnt(19)
	v_fma_f64 v[109:110], v[135:136], v[111:112], v[109:110]
	s_waitcnt vmcnt(18) lgkmcnt(0)
	v_fma_f64 v[109:110], v[129:130], v[113:114], v[109:110]
	s_waitcnt vmcnt(13)
	v_fma_f64 v[117:118], v[117:118], v[115:116], v[109:110]
	ds_read_b128 v[109:112], v108 offset:800
	ds_read_b128 v[113:116], v108 offset:816
	s_waitcnt vmcnt(12) lgkmcnt(1)
	v_fma_f64 v[109:110], v[141:142], v[109:110], v[117:118]
	s_waitcnt vmcnt(11)
	v_fma_f64 v[109:110], v[139:140], v[111:112], v[109:110]
	s_waitcnt vmcnt(10) lgkmcnt(0)
	v_fma_f64 v[109:110], v[131:132], v[113:114], v[109:110]
	s_waitcnt vmcnt(5)
	v_fma_f64 v[113:114], v[119:120], v[115:116], v[109:110]
	ds_read_b128 v[109:112], v108 offset:832
	ds_read_b64 v[115:116], v108 offset:848
	s_waitcnt vmcnt(4) lgkmcnt(1)
	v_fma_f64 v[109:110], v[133:134], v[109:110], v[113:114]
	s_waitcnt vmcnt(3)
	v_fma_f64 v[109:110], v[127:128], v[111:112], v[109:110]
	s_waitcnt vmcnt(2) lgkmcnt(0)
	v_fma_f64 v[109:110], v[125:126], v[115:116], v[109:110]
	s_waitcnt vmcnt(0)
	v_add_f64 v[109:110], v[121:122], -v[109:110]
	buffer_store_dword v110, off, s[0:3], 0 offset:76
	buffer_store_dword v109, off, s[0:3], 0 offset:72
	s_and_saveexec_b64 s[4:5], vcc
	s_cbranch_execz .LBB52_309
; %bb.308:
	buffer_load_dword v109, off, s[0:3], 0 offset:64
	buffer_load_dword v110, off, s[0:3], 0 offset:68
	s_waitcnt vmcnt(0)
	ds_write_b64 v107, v[109:110]
	buffer_store_dword v108, off, s[0:3], 0 offset:64
	buffer_store_dword v108, off, s[0:3], 0 offset:68
.LBB52_309:
	s_or_b64 exec, exec, s[4:5]
	s_waitcnt lgkmcnt(0)
	; wave barrier
	buffer_load_dword v117, off, s[0:3], 0 offset:72
	buffer_load_dword v118, off, s[0:3], 0 offset:76
	;; [unrolled: 1-line block ×22, first 2 shown]
	ds_read2_b64 v[109:112], v108 offset0:63 offset1:64
	ds_read2_b64 v[113:116], v108 offset0:65 offset1:66
	v_cmp_lt_u32_e32 vcc, 7, v0
	s_waitcnt vmcnt(20) lgkmcnt(1)
	v_fma_f64 v[109:110], v[117:118], v[109:110], 0
	s_waitcnt vmcnt(18)
	v_fma_f64 v[109:110], v[119:120], v[111:112], v[109:110]
	buffer_load_dword v118, off, s[0:3], 0 offset:164
	buffer_load_dword v119, off, s[0:3], 0 offset:184
	;; [unrolled: 1-line block ×7, first 2 shown]
	s_waitcnt vmcnt(23) lgkmcnt(0)
	v_fma_f64 v[109:110], v[121:122], v[113:114], v[109:110]
	s_waitcnt vmcnt(21)
	v_fma_f64 v[120:121], v[123:124], v[115:116], v[109:110]
	ds_read2_b64 v[109:112], v108 offset0:67 offset1:68
	ds_read2_b64 v[113:116], v108 offset0:69 offset1:70
	s_waitcnt vmcnt(19) lgkmcnt(1)
	v_fma_f64 v[109:110], v[125:126], v[109:110], v[120:121]
	buffer_load_dword v120, off, s[0:3], 0 offset:188
	s_waitcnt vmcnt(18)
	v_fma_f64 v[109:110], v[127:128], v[111:112], v[109:110]
	buffer_load_dword v122, off, s[0:3], 0 offset:196
	buffer_load_dword v123, off, s[0:3], 0 offset:216
	;; [unrolled: 1-line block ×7, first 2 shown]
	s_waitcnt vmcnt(23) lgkmcnt(0)
	v_fma_f64 v[109:110], v[129:130], v[113:114], v[109:110]
	s_waitcnt vmcnt(18)
	v_fma_f64 v[129:130], v[131:132], v[115:116], v[109:110]
	ds_read2_b64 v[109:112], v108 offset0:71 offset1:72
	ds_read2_b64 v[113:116], v108 offset0:73 offset1:74
	buffer_load_dword v124, off, s[0:3], 0 offset:220
	s_waitcnt vmcnt(18) lgkmcnt(1)
	v_fma_f64 v[109:110], v[137:138], v[109:110], v[129:130]
	s_waitcnt vmcnt(17)
	v_fma_f64 v[109:110], v[135:136], v[111:112], v[109:110]
	buffer_load_dword v130, off, s[0:3], 0 offset:228
	buffer_load_dword v131, off, s[0:3], 0 offset:248
	;; [unrolled: 1-line block ×8, first 2 shown]
	s_waitcnt vmcnt(24) lgkmcnt(0)
	v_fma_f64 v[109:110], v[133:134], v[113:114], v[109:110]
	s_waitcnt vmcnt(19)
	v_fma_f64 v[117:118], v[117:118], v[115:116], v[109:110]
	ds_read2_b64 v[109:112], v108 offset0:75 offset1:76
	ds_read2_b64 v[113:116], v108 offset0:77 offset1:78
	s_waitcnt vmcnt(18) lgkmcnt(1)
	v_fma_f64 v[109:110], v[141:142], v[109:110], v[117:118]
	s_waitcnt vmcnt(17)
	v_fma_f64 v[109:110], v[139:140], v[111:112], v[109:110]
	buffer_load_dword v118, off, s[0:3], 0 offset:260
	buffer_load_dword v133, off, s[0:3], 0 offset:280
	;; [unrolled: 1-line block ×8, first 2 shown]
	s_waitcnt vmcnt(24) lgkmcnt(0)
	v_fma_f64 v[109:110], v[119:120], v[113:114], v[109:110]
	s_waitcnt vmcnt(19)
	v_fma_f64 v[119:120], v[121:122], v[115:116], v[109:110]
	ds_read2_b64 v[109:112], v108 offset0:79 offset1:80
	ds_read2_b64 v[113:116], v108 offset0:81 offset1:82
	s_waitcnt vmcnt(18) lgkmcnt(1)
	v_fma_f64 v[109:110], v[127:128], v[109:110], v[119:120]
	s_waitcnt vmcnt(17)
	v_fma_f64 v[109:110], v[125:126], v[111:112], v[109:110]
	buffer_load_dword v120, off, s[0:3], 0 offset:292
	buffer_load_dword v121, off, s[0:3], 0 offset:312
	;; [unrolled: 1-line block ×7, first 2 shown]
	s_waitcnt vmcnt(23) lgkmcnt(0)
	v_fma_f64 v[109:110], v[123:124], v[113:114], v[109:110]
	s_waitcnt vmcnt(18)
	v_fma_f64 v[122:123], v[129:130], v[115:116], v[109:110]
	ds_read2_b64 v[109:112], v108 offset0:83 offset1:84
	ds_read2_b64 v[113:116], v108 offset0:85 offset1:86
	s_waitcnt vmcnt(17) lgkmcnt(1)
	v_fma_f64 v[109:110], v[137:138], v[109:110], v[122:123]
	buffer_load_dword v122, off, s[0:3], 0 offset:316
	s_waitcnt vmcnt(17)
	v_fma_f64 v[109:110], v[135:136], v[111:112], v[109:110]
	buffer_load_dword v124, off, s[0:3], 0 offset:324
	buffer_load_dword v129, off, s[0:3], 0 offset:344
	buffer_load_dword v135, off, s[0:3], 0 offset:336
	buffer_load_dword v137, off, s[0:3], 0 offset:328
	buffer_load_dword v123, off, s[0:3], 0 offset:320
	buffer_load_dword v138, off, s[0:3], 0 offset:332
	buffer_load_dword v136, off, s[0:3], 0 offset:340
	buffer_load_dword v130, off, s[0:3], 0 offset:348
	s_waitcnt vmcnt(24) lgkmcnt(0)
	v_fma_f64 v[109:110], v[131:132], v[113:114], v[109:110]
	s_waitcnt vmcnt(19)
	v_fma_f64 v[117:118], v[117:118], v[115:116], v[109:110]
	ds_read2_b64 v[109:112], v108 offset0:87 offset1:88
	ds_read2_b64 v[113:116], v108 offset0:89 offset1:90
	s_waitcnt vmcnt(18) lgkmcnt(1)
	v_fma_f64 v[109:110], v[141:142], v[109:110], v[117:118]
	s_waitcnt vmcnt(17)
	v_fma_f64 v[109:110], v[139:140], v[111:112], v[109:110]
	buffer_load_dword v118, off, s[0:3], 0 offset:356
	buffer_load_dword v131, off, s[0:3], 0 offset:376
	buffer_load_dword v139, off, s[0:3], 0 offset:368
	buffer_load_dword v141, off, s[0:3], 0 offset:360
	buffer_load_dword v117, off, s[0:3], 0 offset:352
	buffer_load_dword v142, off, s[0:3], 0 offset:364
	buffer_load_dword v140, off, s[0:3], 0 offset:372
	buffer_load_dword v132, off, s[0:3], 0 offset:380
	s_waitcnt vmcnt(24) lgkmcnt(0)
	v_fma_f64 v[109:110], v[133:134], v[113:114], v[109:110]
	s_waitcnt vmcnt(19)
	v_fma_f64 v[119:120], v[119:120], v[115:116], v[109:110]
	ds_read2_b64 v[109:112], v108 offset0:91 offset1:92
	ds_read2_b64 v[113:116], v108 offset0:93 offset1:94
	s_waitcnt vmcnt(18) lgkmcnt(1)
	v_fma_f64 v[109:110], v[127:128], v[109:110], v[119:120]
	;; [unrolled: 18-line block ×3, first 2 shown]
	buffer_load_dword v122, off, s[0:3], 0 offset:420
	buffer_load_dword v121, off, s[0:3], 0 offset:416
	;; [unrolled: 1-line block ×4, first 2 shown]
	s_waitcnt vmcnt(21)
	v_fma_f64 v[109:110], v[135:136], v[111:112], v[109:110]
	s_waitcnt vmcnt(20) lgkmcnt(0)
	v_fma_f64 v[109:110], v[129:130], v[113:114], v[109:110]
	s_waitcnt vmcnt(15)
	v_fma_f64 v[117:118], v[117:118], v[115:116], v[109:110]
	ds_read2_b64 v[109:112], v108 offset0:99 offset1:100
	ds_read2_b64 v[113:116], v108 offset0:101 offset1:102
	s_waitcnt vmcnt(14) lgkmcnt(1)
	v_fma_f64 v[109:110], v[141:142], v[109:110], v[117:118]
	s_waitcnt vmcnt(13)
	v_fma_f64 v[109:110], v[139:140], v[111:112], v[109:110]
	s_waitcnt vmcnt(12) lgkmcnt(0)
	v_fma_f64 v[109:110], v[131:132], v[113:114], v[109:110]
	s_waitcnt vmcnt(7)
	v_fma_f64 v[117:118], v[119:120], v[115:116], v[109:110]
	ds_read2_b64 v[109:112], v108 offset0:103 offset1:104
	ds_read2_b64 v[113:116], v108 offset0:105 offset1:106
	s_waitcnt vmcnt(6) lgkmcnt(1)
	v_fma_f64 v[108:109], v[133:134], v[109:110], v[117:118]
	s_waitcnt vmcnt(5)
	v_fma_f64 v[108:109], v[127:128], v[111:112], v[108:109]
	s_waitcnt vmcnt(4) lgkmcnt(0)
	v_fma_f64 v[108:109], v[125:126], v[113:114], v[108:109]
	s_waitcnt vmcnt(2)
	v_fma_f64 v[108:109], v[121:122], v[115:116], v[108:109]
	s_waitcnt vmcnt(0)
	v_add_f64 v[108:109], v[123:124], -v[108:109]
	buffer_store_dword v109, off, s[0:3], 0 offset:68
	buffer_store_dword v108, off, s[0:3], 0 offset:64
	s_and_saveexec_b64 s[4:5], vcc
	s_cbranch_execz .LBB52_311
; %bb.310:
	buffer_load_dword v108, off, s[0:3], 0 offset:56
	buffer_load_dword v109, off, s[0:3], 0 offset:60
	v_mov_b32_e32 v110, 0
	buffer_store_dword v110, off, s[0:3], 0 offset:56
	buffer_store_dword v110, off, s[0:3], 0 offset:60
	s_waitcnt vmcnt(2)
	ds_write_b64 v107, v[108:109]
.LBB52_311:
	s_or_b64 exec, exec, s[4:5]
	s_waitcnt lgkmcnt(0)
	; wave barrier
	buffer_load_dword v117, off, s[0:3], 0 offset:64
	buffer_load_dword v118, off, s[0:3], 0 offset:68
	;; [unrolled: 1-line block ×21, first 2 shown]
	v_mov_b32_e32 v108, 0
	ds_read_b128 v[109:112], v108 offset:496
	ds_read_b128 v[113:116], v108 offset:512
	buffer_load_dword v134, off, s[0:3], 0 offset:148
	v_cmp_lt_u32_e32 vcc, 6, v0
	s_waitcnt vmcnt(20) lgkmcnt(1)
	v_fma_f64 v[109:110], v[117:118], v[109:110], 0
	s_waitcnt vmcnt(18)
	v_fma_f64 v[109:110], v[119:120], v[111:112], v[109:110]
	buffer_load_dword v118, off, s[0:3], 0 offset:156
	buffer_load_dword v119, off, s[0:3], 0 offset:176
	;; [unrolled: 1-line block ×7, first 2 shown]
	s_waitcnt vmcnt(23) lgkmcnt(0)
	v_fma_f64 v[109:110], v[121:122], v[113:114], v[109:110]
	s_waitcnt vmcnt(21)
	v_fma_f64 v[120:121], v[123:124], v[115:116], v[109:110]
	ds_read_b128 v[109:112], v108 offset:528
	ds_read_b128 v[113:116], v108 offset:544
	s_waitcnt vmcnt(19) lgkmcnt(1)
	v_fma_f64 v[109:110], v[125:126], v[109:110], v[120:121]
	buffer_load_dword v120, off, s[0:3], 0 offset:180
	s_waitcnt vmcnt(18)
	v_fma_f64 v[109:110], v[127:128], v[111:112], v[109:110]
	buffer_load_dword v122, off, s[0:3], 0 offset:188
	buffer_load_dword v123, off, s[0:3], 0 offset:208
	;; [unrolled: 1-line block ×7, first 2 shown]
	s_waitcnt vmcnt(23) lgkmcnt(0)
	v_fma_f64 v[109:110], v[129:130], v[113:114], v[109:110]
	s_waitcnt vmcnt(18)
	v_fma_f64 v[129:130], v[131:132], v[115:116], v[109:110]
	ds_read_b128 v[109:112], v108 offset:560
	ds_read_b128 v[113:116], v108 offset:576
	buffer_load_dword v124, off, s[0:3], 0 offset:212
	s_waitcnt vmcnt(18) lgkmcnt(1)
	v_fma_f64 v[109:110], v[137:138], v[109:110], v[129:130]
	s_waitcnt vmcnt(17)
	v_fma_f64 v[109:110], v[135:136], v[111:112], v[109:110]
	buffer_load_dword v130, off, s[0:3], 0 offset:220
	buffer_load_dword v131, off, s[0:3], 0 offset:240
	buffer_load_dword v135, off, s[0:3], 0 offset:232
	buffer_load_dword v137, off, s[0:3], 0 offset:224
	buffer_load_dword v129, off, s[0:3], 0 offset:216
	buffer_load_dword v138, off, s[0:3], 0 offset:228
	buffer_load_dword v136, off, s[0:3], 0 offset:236
	s_waitcnt vmcnt(23) lgkmcnt(0)
	v_fma_f64 v[109:110], v[133:134], v[113:114], v[109:110]
	s_waitcnt vmcnt(18)
	v_fma_f64 v[117:118], v[117:118], v[115:116], v[109:110]
	ds_read_b128 v[109:112], v108 offset:592
	ds_read_b128 v[113:116], v108 offset:608
	buffer_load_dword v132, off, s[0:3], 0 offset:244
	s_waitcnt vmcnt(18) lgkmcnt(1)
	v_fma_f64 v[109:110], v[141:142], v[109:110], v[117:118]
	s_waitcnt vmcnt(17)
	v_fma_f64 v[109:110], v[139:140], v[111:112], v[109:110]
	buffer_load_dword v118, off, s[0:3], 0 offset:252
	buffer_load_dword v133, off, s[0:3], 0 offset:272
	;; [unrolled: 1-line block ×8, first 2 shown]
	s_waitcnt vmcnt(24) lgkmcnt(0)
	v_fma_f64 v[109:110], v[119:120], v[113:114], v[109:110]
	s_waitcnt vmcnt(19)
	v_fma_f64 v[119:120], v[121:122], v[115:116], v[109:110]
	ds_read_b128 v[109:112], v108 offset:624
	ds_read_b128 v[113:116], v108 offset:640
	s_waitcnt vmcnt(18) lgkmcnt(1)
	v_fma_f64 v[109:110], v[127:128], v[109:110], v[119:120]
	s_waitcnt vmcnt(17)
	v_fma_f64 v[109:110], v[125:126], v[111:112], v[109:110]
	buffer_load_dword v120, off, s[0:3], 0 offset:284
	buffer_load_dword v121, off, s[0:3], 0 offset:304
	;; [unrolled: 1-line block ×7, first 2 shown]
	s_waitcnt vmcnt(23) lgkmcnt(0)
	v_fma_f64 v[109:110], v[123:124], v[113:114], v[109:110]
	s_waitcnt vmcnt(18)
	v_fma_f64 v[122:123], v[129:130], v[115:116], v[109:110]
	ds_read_b128 v[109:112], v108 offset:656
	ds_read_b128 v[113:116], v108 offset:672
	s_waitcnt vmcnt(17) lgkmcnt(1)
	v_fma_f64 v[109:110], v[137:138], v[109:110], v[122:123]
	buffer_load_dword v122, off, s[0:3], 0 offset:308
	s_waitcnt vmcnt(17)
	v_fma_f64 v[109:110], v[135:136], v[111:112], v[109:110]
	buffer_load_dword v124, off, s[0:3], 0 offset:316
	buffer_load_dword v129, off, s[0:3], 0 offset:336
	;; [unrolled: 1-line block ×7, first 2 shown]
	s_waitcnt vmcnt(23) lgkmcnt(0)
	v_fma_f64 v[109:110], v[131:132], v[113:114], v[109:110]
	s_waitcnt vmcnt(18)
	v_fma_f64 v[117:118], v[117:118], v[115:116], v[109:110]
	ds_read_b128 v[109:112], v108 offset:688
	ds_read_b128 v[113:116], v108 offset:704
	buffer_load_dword v130, off, s[0:3], 0 offset:340
	s_waitcnt vmcnt(18) lgkmcnt(1)
	v_fma_f64 v[109:110], v[141:142], v[109:110], v[117:118]
	s_waitcnt vmcnt(17)
	v_fma_f64 v[109:110], v[139:140], v[111:112], v[109:110]
	buffer_load_dword v118, off, s[0:3], 0 offset:348
	buffer_load_dword v131, off, s[0:3], 0 offset:368
	;; [unrolled: 1-line block ×8, first 2 shown]
	s_waitcnt vmcnt(24) lgkmcnt(0)
	v_fma_f64 v[109:110], v[133:134], v[113:114], v[109:110]
	s_waitcnt vmcnt(19)
	v_fma_f64 v[119:120], v[119:120], v[115:116], v[109:110]
	ds_read_b128 v[109:112], v108 offset:720
	ds_read_b128 v[113:116], v108 offset:736
	s_waitcnt vmcnt(18) lgkmcnt(1)
	v_fma_f64 v[109:110], v[127:128], v[109:110], v[119:120]
	s_waitcnt vmcnt(17)
	v_fma_f64 v[109:110], v[125:126], v[111:112], v[109:110]
	buffer_load_dword v120, off, s[0:3], 0 offset:380
	buffer_load_dword v125, off, s[0:3], 0 offset:400
	buffer_load_dword v127, off, s[0:3], 0 offset:392
	buffer_load_dword v133, off, s[0:3], 0 offset:384
	buffer_load_dword v119, off, s[0:3], 0 offset:376
	buffer_load_dword v134, off, s[0:3], 0 offset:388
	buffer_load_dword v128, off, s[0:3], 0 offset:396
	s_waitcnt vmcnt(23) lgkmcnt(0)
	v_fma_f64 v[109:110], v[121:122], v[113:114], v[109:110]
	s_waitcnt vmcnt(18)
	v_fma_f64 v[121:122], v[123:124], v[115:116], v[109:110]
	ds_read_b128 v[109:112], v108 offset:752
	ds_read_b128 v[113:116], v108 offset:768
	buffer_load_dword v126, off, s[0:3], 0 offset:404
	s_waitcnt vmcnt(18) lgkmcnt(1)
	v_fma_f64 v[109:110], v[137:138], v[109:110], v[121:122]
	buffer_load_dword v122, off, s[0:3], 0 offset:412
	buffer_load_dword v123, off, s[0:3], 0 offset:416
	buffer_load_dword v121, off, s[0:3], 0 offset:408
	buffer_load_dword v124, off, s[0:3], 0 offset:420
	s_waitcnt vmcnt(21)
	v_fma_f64 v[109:110], v[135:136], v[111:112], v[109:110]
	s_waitcnt vmcnt(20) lgkmcnt(0)
	v_fma_f64 v[109:110], v[129:130], v[113:114], v[109:110]
	buffer_load_dword v129, off, s[0:3], 0 offset:56
	buffer_load_dword v130, off, s[0:3], 0 offset:60
	s_waitcnt vmcnt(17)
	v_fma_f64 v[117:118], v[117:118], v[115:116], v[109:110]
	ds_read_b128 v[109:112], v108 offset:784
	ds_read_b128 v[113:116], v108 offset:800
	s_waitcnt vmcnt(16) lgkmcnt(1)
	v_fma_f64 v[109:110], v[141:142], v[109:110], v[117:118]
	s_waitcnt vmcnt(15)
	v_fma_f64 v[109:110], v[139:140], v[111:112], v[109:110]
	s_waitcnt vmcnt(14) lgkmcnt(0)
	v_fma_f64 v[109:110], v[131:132], v[113:114], v[109:110]
	s_waitcnt vmcnt(9)
	v_fma_f64 v[117:118], v[119:120], v[115:116], v[109:110]
	ds_read_b128 v[109:112], v108 offset:816
	ds_read_b128 v[113:116], v108 offset:832
	s_waitcnt vmcnt(8) lgkmcnt(1)
	v_fma_f64 v[109:110], v[133:134], v[109:110], v[117:118]
	s_waitcnt vmcnt(7)
	v_fma_f64 v[109:110], v[127:128], v[111:112], v[109:110]
	ds_read_b64 v[111:112], v108 offset:848
	s_waitcnt vmcnt(6) lgkmcnt(1)
	v_fma_f64 v[109:110], v[125:126], v[113:114], v[109:110]
	s_waitcnt vmcnt(3)
	v_fma_f64 v[109:110], v[121:122], v[115:116], v[109:110]
	s_waitcnt vmcnt(2) lgkmcnt(0)
	v_fma_f64 v[109:110], v[123:124], v[111:112], v[109:110]
	s_waitcnt vmcnt(0)
	v_add_f64 v[109:110], v[129:130], -v[109:110]
	buffer_store_dword v110, off, s[0:3], 0 offset:60
	buffer_store_dword v109, off, s[0:3], 0 offset:56
	s_and_saveexec_b64 s[4:5], vcc
	s_cbranch_execz .LBB52_313
; %bb.312:
	buffer_load_dword v109, off, s[0:3], 0 offset:48
	buffer_load_dword v110, off, s[0:3], 0 offset:52
	s_waitcnt vmcnt(0)
	ds_write_b64 v107, v[109:110]
	buffer_store_dword v108, off, s[0:3], 0 offset:48
	buffer_store_dword v108, off, s[0:3], 0 offset:52
.LBB52_313:
	s_or_b64 exec, exec, s[4:5]
	s_waitcnt lgkmcnt(0)
	; wave barrier
	buffer_load_dword v117, off, s[0:3], 0 offset:56
	buffer_load_dword v118, off, s[0:3], 0 offset:60
	;; [unrolled: 1-line block ×21, first 2 shown]
	ds_read2_b64 v[109:112], v108 offset0:61 offset1:62
	ds_read2_b64 v[113:116], v108 offset0:63 offset1:64
	buffer_load_dword v134, off, s[0:3], 0 offset:140
	v_cmp_lt_u32_e32 vcc, 5, v0
	s_waitcnt vmcnt(20) lgkmcnt(1)
	v_fma_f64 v[109:110], v[117:118], v[109:110], 0
	s_waitcnt vmcnt(18)
	v_fma_f64 v[109:110], v[119:120], v[111:112], v[109:110]
	buffer_load_dword v118, off, s[0:3], 0 offset:148
	buffer_load_dword v119, off, s[0:3], 0 offset:168
	buffer_load_dword v139, off, s[0:3], 0 offset:160
	buffer_load_dword v141, off, s[0:3], 0 offset:152
	buffer_load_dword v117, off, s[0:3], 0 offset:144
	buffer_load_dword v142, off, s[0:3], 0 offset:156
	buffer_load_dword v140, off, s[0:3], 0 offset:164
	s_waitcnt vmcnt(23) lgkmcnt(0)
	v_fma_f64 v[109:110], v[121:122], v[113:114], v[109:110]
	s_waitcnt vmcnt(21)
	v_fma_f64 v[120:121], v[123:124], v[115:116], v[109:110]
	ds_read2_b64 v[109:112], v108 offset0:65 offset1:66
	ds_read2_b64 v[113:116], v108 offset0:67 offset1:68
	s_waitcnt vmcnt(19) lgkmcnt(1)
	v_fma_f64 v[109:110], v[125:126], v[109:110], v[120:121]
	buffer_load_dword v120, off, s[0:3], 0 offset:172
	s_waitcnt vmcnt(18)
	v_fma_f64 v[109:110], v[127:128], v[111:112], v[109:110]
	buffer_load_dword v122, off, s[0:3], 0 offset:180
	buffer_load_dword v123, off, s[0:3], 0 offset:200
	;; [unrolled: 1-line block ×8, first 2 shown]
	s_waitcnt vmcnt(24) lgkmcnt(0)
	v_fma_f64 v[109:110], v[129:130], v[113:114], v[109:110]
	s_waitcnt vmcnt(19)
	v_fma_f64 v[129:130], v[131:132], v[115:116], v[109:110]
	ds_read2_b64 v[109:112], v108 offset0:69 offset1:70
	ds_read2_b64 v[113:116], v108 offset0:71 offset1:72
	s_waitcnt vmcnt(18) lgkmcnt(1)
	v_fma_f64 v[109:110], v[137:138], v[109:110], v[129:130]
	s_waitcnt vmcnt(17)
	v_fma_f64 v[109:110], v[135:136], v[111:112], v[109:110]
	buffer_load_dword v130, off, s[0:3], 0 offset:212
	buffer_load_dword v131, off, s[0:3], 0 offset:232
	;; [unrolled: 1-line block ×7, first 2 shown]
	s_waitcnt vmcnt(23) lgkmcnt(0)
	v_fma_f64 v[109:110], v[133:134], v[113:114], v[109:110]
	s_waitcnt vmcnt(18)
	v_fma_f64 v[117:118], v[117:118], v[115:116], v[109:110]
	ds_read2_b64 v[109:112], v108 offset0:73 offset1:74
	ds_read2_b64 v[113:116], v108 offset0:75 offset1:76
	buffer_load_dword v132, off, s[0:3], 0 offset:236
	s_waitcnt vmcnt(18) lgkmcnt(1)
	v_fma_f64 v[109:110], v[141:142], v[109:110], v[117:118]
	s_waitcnt vmcnt(17)
	v_fma_f64 v[109:110], v[139:140], v[111:112], v[109:110]
	buffer_load_dword v118, off, s[0:3], 0 offset:244
	buffer_load_dword v133, off, s[0:3], 0 offset:264
	;; [unrolled: 1-line block ×8, first 2 shown]
	s_waitcnt vmcnt(24) lgkmcnt(0)
	v_fma_f64 v[109:110], v[119:120], v[113:114], v[109:110]
	s_waitcnt vmcnt(19)
	v_fma_f64 v[119:120], v[121:122], v[115:116], v[109:110]
	ds_read2_b64 v[109:112], v108 offset0:77 offset1:78
	ds_read2_b64 v[113:116], v108 offset0:79 offset1:80
	s_waitcnt vmcnt(18) lgkmcnt(1)
	v_fma_f64 v[109:110], v[127:128], v[109:110], v[119:120]
	s_waitcnt vmcnt(17)
	v_fma_f64 v[109:110], v[125:126], v[111:112], v[109:110]
	buffer_load_dword v120, off, s[0:3], 0 offset:276
	buffer_load_dword v121, off, s[0:3], 0 offset:296
	;; [unrolled: 1-line block ×7, first 2 shown]
	s_waitcnt vmcnt(23) lgkmcnt(0)
	v_fma_f64 v[109:110], v[123:124], v[113:114], v[109:110]
	s_waitcnt vmcnt(18)
	v_fma_f64 v[122:123], v[129:130], v[115:116], v[109:110]
	ds_read2_b64 v[109:112], v108 offset0:81 offset1:82
	ds_read2_b64 v[113:116], v108 offset0:83 offset1:84
	s_waitcnt vmcnt(17) lgkmcnt(1)
	v_fma_f64 v[109:110], v[137:138], v[109:110], v[122:123]
	buffer_load_dword v122, off, s[0:3], 0 offset:300
	s_waitcnt vmcnt(17)
	v_fma_f64 v[109:110], v[135:136], v[111:112], v[109:110]
	buffer_load_dword v124, off, s[0:3], 0 offset:308
	buffer_load_dword v129, off, s[0:3], 0 offset:328
	;; [unrolled: 1-line block ×7, first 2 shown]
	s_waitcnt vmcnt(23) lgkmcnt(0)
	v_fma_f64 v[109:110], v[131:132], v[113:114], v[109:110]
	s_waitcnt vmcnt(18)
	v_fma_f64 v[117:118], v[117:118], v[115:116], v[109:110]
	ds_read2_b64 v[109:112], v108 offset0:85 offset1:86
	ds_read2_b64 v[113:116], v108 offset0:87 offset1:88
	buffer_load_dword v130, off, s[0:3], 0 offset:332
	s_waitcnt vmcnt(18) lgkmcnt(1)
	v_fma_f64 v[109:110], v[141:142], v[109:110], v[117:118]
	s_waitcnt vmcnt(17)
	v_fma_f64 v[109:110], v[139:140], v[111:112], v[109:110]
	buffer_load_dword v118, off, s[0:3], 0 offset:340
	buffer_load_dword v131, off, s[0:3], 0 offset:360
	;; [unrolled: 1-line block ×8, first 2 shown]
	s_waitcnt vmcnt(24) lgkmcnt(0)
	v_fma_f64 v[109:110], v[133:134], v[113:114], v[109:110]
	s_waitcnt vmcnt(19)
	v_fma_f64 v[119:120], v[119:120], v[115:116], v[109:110]
	ds_read2_b64 v[109:112], v108 offset0:89 offset1:90
	ds_read2_b64 v[113:116], v108 offset0:91 offset1:92
	s_waitcnt vmcnt(18) lgkmcnt(1)
	v_fma_f64 v[109:110], v[127:128], v[109:110], v[119:120]
	s_waitcnt vmcnt(17)
	v_fma_f64 v[109:110], v[125:126], v[111:112], v[109:110]
	buffer_load_dword v120, off, s[0:3], 0 offset:372
	buffer_load_dword v125, off, s[0:3], 0 offset:392
	;; [unrolled: 1-line block ×8, first 2 shown]
	s_waitcnt vmcnt(24) lgkmcnt(0)
	v_fma_f64 v[109:110], v[121:122], v[113:114], v[109:110]
	s_waitcnt vmcnt(19)
	v_fma_f64 v[121:122], v[123:124], v[115:116], v[109:110]
	ds_read2_b64 v[109:112], v108 offset0:93 offset1:94
	ds_read2_b64 v[113:116], v108 offset0:95 offset1:96
	s_waitcnt vmcnt(18) lgkmcnt(1)
	v_fma_f64 v[109:110], v[137:138], v[109:110], v[121:122]
	s_waitcnt vmcnt(17)
	v_fma_f64 v[109:110], v[135:136], v[111:112], v[109:110]
	buffer_load_dword v122, off, s[0:3], 0 offset:404
	buffer_load_dword v123, off, s[0:3], 0 offset:416
	;; [unrolled: 1-line block ×6, first 2 shown]
	s_waitcnt vmcnt(22) lgkmcnt(0)
	v_fma_f64 v[109:110], v[129:130], v[113:114], v[109:110]
	s_waitcnt vmcnt(17)
	v_fma_f64 v[117:118], v[117:118], v[115:116], v[109:110]
	ds_read2_b64 v[109:112], v108 offset0:97 offset1:98
	buffer_load_dword v129, off, s[0:3], 0 offset:48
	buffer_load_dword v130, off, s[0:3], 0 offset:52
	ds_read2_b64 v[113:116], v108 offset0:99 offset1:100
	s_waitcnt vmcnt(18) lgkmcnt(1)
	v_fma_f64 v[109:110], v[141:142], v[109:110], v[117:118]
	s_waitcnt vmcnt(17)
	v_fma_f64 v[109:110], v[139:140], v[111:112], v[109:110]
	s_waitcnt vmcnt(16) lgkmcnt(0)
	v_fma_f64 v[109:110], v[131:132], v[113:114], v[109:110]
	s_waitcnt vmcnt(11)
	v_fma_f64 v[117:118], v[119:120], v[115:116], v[109:110]
	ds_read2_b64 v[109:112], v108 offset0:101 offset1:102
	ds_read2_b64 v[113:116], v108 offset0:103 offset1:104
	s_waitcnt vmcnt(10) lgkmcnt(1)
	v_fma_f64 v[109:110], v[133:134], v[109:110], v[117:118]
	s_waitcnt vmcnt(9)
	v_fma_f64 v[109:110], v[127:128], v[111:112], v[109:110]
	s_waitcnt vmcnt(8) lgkmcnt(0)
	v_fma_f64 v[109:110], v[125:126], v[113:114], v[109:110]
	s_waitcnt vmcnt(4)
	v_fma_f64 v[112:113], v[121:122], v[115:116], v[109:110]
	ds_read2_b64 v[108:111], v108 offset0:105 offset1:106
	s_waitcnt vmcnt(3) lgkmcnt(0)
	v_fma_f64 v[108:109], v[135:136], v[108:109], v[112:113]
	s_waitcnt vmcnt(2)
	v_fma_f64 v[108:109], v[123:124], v[110:111], v[108:109]
	s_waitcnt vmcnt(0)
	v_add_f64 v[108:109], v[129:130], -v[108:109]
	buffer_store_dword v109, off, s[0:3], 0 offset:52
	buffer_store_dword v108, off, s[0:3], 0 offset:48
	s_and_saveexec_b64 s[4:5], vcc
	s_cbranch_execz .LBB52_315
; %bb.314:
	buffer_load_dword v108, off, s[0:3], 0 offset:40
	buffer_load_dword v109, off, s[0:3], 0 offset:44
	v_mov_b32_e32 v110, 0
	buffer_store_dword v110, off, s[0:3], 0 offset:40
	buffer_store_dword v110, off, s[0:3], 0 offset:44
	s_waitcnt vmcnt(2)
	ds_write_b64 v107, v[108:109]
.LBB52_315:
	s_or_b64 exec, exec, s[4:5]
	s_waitcnt lgkmcnt(0)
	; wave barrier
	buffer_load_dword v117, off, s[0:3], 0 offset:48
	buffer_load_dword v118, off, s[0:3], 0 offset:52
	;; [unrolled: 1-line block ×21, first 2 shown]
	v_mov_b32_e32 v108, 0
	ds_read_b128 v[109:112], v108 offset:480
	ds_read_b128 v[113:116], v108 offset:496
	buffer_load_dword v134, off, s[0:3], 0 offset:132
	v_cmp_lt_u32_e32 vcc, 4, v0
	s_waitcnt vmcnt(20) lgkmcnt(1)
	v_fma_f64 v[109:110], v[117:118], v[109:110], 0
	s_waitcnt vmcnt(18)
	v_fma_f64 v[109:110], v[119:120], v[111:112], v[109:110]
	buffer_load_dword v118, off, s[0:3], 0 offset:140
	buffer_load_dword v119, off, s[0:3], 0 offset:160
	;; [unrolled: 1-line block ×7, first 2 shown]
	s_waitcnt vmcnt(23) lgkmcnt(0)
	v_fma_f64 v[109:110], v[121:122], v[113:114], v[109:110]
	s_waitcnt vmcnt(21)
	v_fma_f64 v[120:121], v[123:124], v[115:116], v[109:110]
	ds_read_b128 v[109:112], v108 offset:512
	ds_read_b128 v[113:116], v108 offset:528
	s_waitcnt vmcnt(19) lgkmcnt(1)
	v_fma_f64 v[109:110], v[125:126], v[109:110], v[120:121]
	buffer_load_dword v120, off, s[0:3], 0 offset:164
	s_waitcnt vmcnt(18)
	v_fma_f64 v[109:110], v[127:128], v[111:112], v[109:110]
	buffer_load_dword v122, off, s[0:3], 0 offset:172
	buffer_load_dword v123, off, s[0:3], 0 offset:192
	;; [unrolled: 1-line block ×8, first 2 shown]
	s_waitcnt vmcnt(24) lgkmcnt(0)
	v_fma_f64 v[109:110], v[129:130], v[113:114], v[109:110]
	s_waitcnt vmcnt(19)
	v_fma_f64 v[129:130], v[131:132], v[115:116], v[109:110]
	ds_read_b128 v[109:112], v108 offset:544
	ds_read_b128 v[113:116], v108 offset:560
	s_waitcnt vmcnt(18) lgkmcnt(1)
	v_fma_f64 v[109:110], v[137:138], v[109:110], v[129:130]
	s_waitcnt vmcnt(17)
	v_fma_f64 v[109:110], v[135:136], v[111:112], v[109:110]
	buffer_load_dword v130, off, s[0:3], 0 offset:204
	buffer_load_dword v131, off, s[0:3], 0 offset:224
	;; [unrolled: 1-line block ×7, first 2 shown]
	s_waitcnt vmcnt(23) lgkmcnt(0)
	v_fma_f64 v[109:110], v[133:134], v[113:114], v[109:110]
	s_waitcnt vmcnt(18)
	v_fma_f64 v[117:118], v[117:118], v[115:116], v[109:110]
	ds_read_b128 v[109:112], v108 offset:576
	ds_read_b128 v[113:116], v108 offset:592
	buffer_load_dword v132, off, s[0:3], 0 offset:228
	s_waitcnt vmcnt(18) lgkmcnt(1)
	v_fma_f64 v[109:110], v[141:142], v[109:110], v[117:118]
	s_waitcnt vmcnt(17)
	v_fma_f64 v[109:110], v[139:140], v[111:112], v[109:110]
	buffer_load_dword v118, off, s[0:3], 0 offset:236
	buffer_load_dword v133, off, s[0:3], 0 offset:256
	;; [unrolled: 1-line block ×8, first 2 shown]
	s_waitcnt vmcnt(24) lgkmcnt(0)
	v_fma_f64 v[109:110], v[119:120], v[113:114], v[109:110]
	s_waitcnt vmcnt(19)
	v_fma_f64 v[119:120], v[121:122], v[115:116], v[109:110]
	ds_read_b128 v[109:112], v108 offset:608
	ds_read_b128 v[113:116], v108 offset:624
	s_waitcnt vmcnt(18) lgkmcnt(1)
	v_fma_f64 v[109:110], v[127:128], v[109:110], v[119:120]
	s_waitcnt vmcnt(17)
	v_fma_f64 v[109:110], v[125:126], v[111:112], v[109:110]
	buffer_load_dword v120, off, s[0:3], 0 offset:268
	buffer_load_dword v121, off, s[0:3], 0 offset:288
	;; [unrolled: 1-line block ×7, first 2 shown]
	s_waitcnt vmcnt(23) lgkmcnt(0)
	v_fma_f64 v[109:110], v[123:124], v[113:114], v[109:110]
	s_waitcnt vmcnt(18)
	v_fma_f64 v[122:123], v[129:130], v[115:116], v[109:110]
	ds_read_b128 v[109:112], v108 offset:640
	ds_read_b128 v[113:116], v108 offset:656
	s_waitcnt vmcnt(17) lgkmcnt(1)
	v_fma_f64 v[109:110], v[137:138], v[109:110], v[122:123]
	buffer_load_dword v122, off, s[0:3], 0 offset:292
	s_waitcnt vmcnt(17)
	v_fma_f64 v[109:110], v[135:136], v[111:112], v[109:110]
	buffer_load_dword v124, off, s[0:3], 0 offset:300
	buffer_load_dword v129, off, s[0:3], 0 offset:320
	;; [unrolled: 1-line block ×7, first 2 shown]
	s_waitcnt vmcnt(23) lgkmcnt(0)
	v_fma_f64 v[109:110], v[131:132], v[113:114], v[109:110]
	s_waitcnt vmcnt(18)
	v_fma_f64 v[117:118], v[117:118], v[115:116], v[109:110]
	ds_read_b128 v[109:112], v108 offset:672
	ds_read_b128 v[113:116], v108 offset:688
	buffer_load_dword v130, off, s[0:3], 0 offset:324
	s_waitcnt vmcnt(18) lgkmcnt(1)
	v_fma_f64 v[109:110], v[141:142], v[109:110], v[117:118]
	s_waitcnt vmcnt(17)
	v_fma_f64 v[109:110], v[139:140], v[111:112], v[109:110]
	buffer_load_dword v118, off, s[0:3], 0 offset:332
	buffer_load_dword v131, off, s[0:3], 0 offset:352
	buffer_load_dword v139, off, s[0:3], 0 offset:344
	buffer_load_dword v141, off, s[0:3], 0 offset:336
	buffer_load_dword v117, off, s[0:3], 0 offset:328
	buffer_load_dword v142, off, s[0:3], 0 offset:340
	buffer_load_dword v140, off, s[0:3], 0 offset:348
	buffer_load_dword v132, off, s[0:3], 0 offset:356
	s_waitcnt vmcnt(24) lgkmcnt(0)
	v_fma_f64 v[109:110], v[133:134], v[113:114], v[109:110]
	s_waitcnt vmcnt(19)
	v_fma_f64 v[119:120], v[119:120], v[115:116], v[109:110]
	ds_read_b128 v[109:112], v108 offset:704
	ds_read_b128 v[113:116], v108 offset:720
	s_waitcnt vmcnt(18) lgkmcnt(1)
	v_fma_f64 v[109:110], v[127:128], v[109:110], v[119:120]
	s_waitcnt vmcnt(17)
	v_fma_f64 v[109:110], v[125:126], v[111:112], v[109:110]
	buffer_load_dword v120, off, s[0:3], 0 offset:364
	buffer_load_dword v125, off, s[0:3], 0 offset:384
	buffer_load_dword v127, off, s[0:3], 0 offset:376
	buffer_load_dword v133, off, s[0:3], 0 offset:368
	buffer_load_dword v119, off, s[0:3], 0 offset:360
	buffer_load_dword v134, off, s[0:3], 0 offset:372
	buffer_load_dword v128, off, s[0:3], 0 offset:380
	buffer_load_dword v126, off, s[0:3], 0 offset:388
	s_waitcnt vmcnt(24) lgkmcnt(0)
	v_fma_f64 v[109:110], v[121:122], v[113:114], v[109:110]
	s_waitcnt vmcnt(19)
	v_fma_f64 v[121:122], v[123:124], v[115:116], v[109:110]
	ds_read_b128 v[109:112], v108 offset:736
	ds_read_b128 v[113:116], v108 offset:752
	;; [unrolled: 18-line block ×3, first 2 shown]
	s_waitcnt vmcnt(18) lgkmcnt(1)
	v_fma_f64 v[109:110], v[141:142], v[109:110], v[117:118]
	buffer_load_dword v117, off, s[0:3], 0 offset:40
	buffer_load_dword v118, off, s[0:3], 0 offset:44
	s_waitcnt vmcnt(19)
	v_fma_f64 v[109:110], v[139:140], v[111:112], v[109:110]
	s_waitcnt vmcnt(18) lgkmcnt(0)
	v_fma_f64 v[109:110], v[131:132], v[113:114], v[109:110]
	s_waitcnt vmcnt(13)
	v_fma_f64 v[119:120], v[119:120], v[115:116], v[109:110]
	ds_read_b128 v[109:112], v108 offset:800
	ds_read_b128 v[113:116], v108 offset:816
	s_waitcnt vmcnt(12) lgkmcnt(1)
	v_fma_f64 v[109:110], v[133:134], v[109:110], v[119:120]
	s_waitcnt vmcnt(11)
	v_fma_f64 v[109:110], v[127:128], v[111:112], v[109:110]
	s_waitcnt vmcnt(10) lgkmcnt(0)
	v_fma_f64 v[109:110], v[125:126], v[113:114], v[109:110]
	s_waitcnt vmcnt(5)
	v_fma_f64 v[113:114], v[121:122], v[115:116], v[109:110]
	ds_read_b128 v[109:112], v108 offset:832
	ds_read_b64 v[115:116], v108 offset:848
	s_waitcnt vmcnt(4) lgkmcnt(1)
	v_fma_f64 v[109:110], v[137:138], v[109:110], v[113:114]
	s_waitcnt vmcnt(3)
	v_fma_f64 v[109:110], v[135:136], v[111:112], v[109:110]
	s_waitcnt vmcnt(2) lgkmcnt(0)
	v_fma_f64 v[109:110], v[123:124], v[115:116], v[109:110]
	s_waitcnt vmcnt(0)
	v_add_f64 v[109:110], v[117:118], -v[109:110]
	buffer_store_dword v110, off, s[0:3], 0 offset:44
	buffer_store_dword v109, off, s[0:3], 0 offset:40
	s_and_saveexec_b64 s[4:5], vcc
	s_cbranch_execz .LBB52_317
; %bb.316:
	buffer_load_dword v109, off, s[0:3], 0 offset:32
	buffer_load_dword v110, off, s[0:3], 0 offset:36
	s_waitcnt vmcnt(0)
	ds_write_b64 v107, v[109:110]
	buffer_store_dword v108, off, s[0:3], 0 offset:32
	buffer_store_dword v108, off, s[0:3], 0 offset:36
.LBB52_317:
	s_or_b64 exec, exec, s[4:5]
	s_waitcnt lgkmcnt(0)
	; wave barrier
	buffer_load_dword v117, off, s[0:3], 0 offset:40
	buffer_load_dword v118, off, s[0:3], 0 offset:44
	;; [unrolled: 1-line block ×21, first 2 shown]
	ds_read2_b64 v[109:112], v108 offset0:59 offset1:60
	ds_read2_b64 v[113:116], v108 offset0:61 offset1:62
	buffer_load_dword v134, off, s[0:3], 0 offset:124
	v_cmp_lt_u32_e32 vcc, 3, v0
	s_waitcnt vmcnt(20) lgkmcnt(1)
	v_fma_f64 v[109:110], v[117:118], v[109:110], 0
	s_waitcnt vmcnt(18)
	v_fma_f64 v[109:110], v[119:120], v[111:112], v[109:110]
	buffer_load_dword v118, off, s[0:3], 0 offset:132
	buffer_load_dword v119, off, s[0:3], 0 offset:152
	;; [unrolled: 1-line block ×7, first 2 shown]
	s_waitcnt vmcnt(23) lgkmcnt(0)
	v_fma_f64 v[109:110], v[121:122], v[113:114], v[109:110]
	s_waitcnt vmcnt(21)
	v_fma_f64 v[120:121], v[123:124], v[115:116], v[109:110]
	ds_read2_b64 v[109:112], v108 offset0:63 offset1:64
	ds_read2_b64 v[113:116], v108 offset0:65 offset1:66
	s_waitcnt vmcnt(19) lgkmcnt(1)
	v_fma_f64 v[109:110], v[125:126], v[109:110], v[120:121]
	buffer_load_dword v120, off, s[0:3], 0 offset:156
	s_waitcnt vmcnt(18)
	v_fma_f64 v[109:110], v[127:128], v[111:112], v[109:110]
	buffer_load_dword v122, off, s[0:3], 0 offset:164
	buffer_load_dword v123, off, s[0:3], 0 offset:184
	;; [unrolled: 1-line block ×8, first 2 shown]
	s_waitcnt vmcnt(24) lgkmcnt(0)
	v_fma_f64 v[109:110], v[129:130], v[113:114], v[109:110]
	s_waitcnt vmcnt(19)
	v_fma_f64 v[129:130], v[131:132], v[115:116], v[109:110]
	ds_read2_b64 v[109:112], v108 offset0:67 offset1:68
	ds_read2_b64 v[113:116], v108 offset0:69 offset1:70
	s_waitcnt vmcnt(18) lgkmcnt(1)
	v_fma_f64 v[109:110], v[137:138], v[109:110], v[129:130]
	s_waitcnt vmcnt(17)
	v_fma_f64 v[109:110], v[135:136], v[111:112], v[109:110]
	buffer_load_dword v130, off, s[0:3], 0 offset:196
	buffer_load_dword v131, off, s[0:3], 0 offset:216
	;; [unrolled: 1-line block ×7, first 2 shown]
	s_waitcnt vmcnt(23) lgkmcnt(0)
	v_fma_f64 v[109:110], v[133:134], v[113:114], v[109:110]
	s_waitcnt vmcnt(18)
	v_fma_f64 v[117:118], v[117:118], v[115:116], v[109:110]
	ds_read2_b64 v[109:112], v108 offset0:71 offset1:72
	ds_read2_b64 v[113:116], v108 offset0:73 offset1:74
	buffer_load_dword v132, off, s[0:3], 0 offset:220
	s_waitcnt vmcnt(18) lgkmcnt(1)
	v_fma_f64 v[109:110], v[141:142], v[109:110], v[117:118]
	s_waitcnt vmcnt(17)
	v_fma_f64 v[109:110], v[139:140], v[111:112], v[109:110]
	buffer_load_dword v118, off, s[0:3], 0 offset:228
	buffer_load_dword v133, off, s[0:3], 0 offset:248
	buffer_load_dword v139, off, s[0:3], 0 offset:240
	buffer_load_dword v141, off, s[0:3], 0 offset:232
	buffer_load_dword v117, off, s[0:3], 0 offset:224
	buffer_load_dword v142, off, s[0:3], 0 offset:236
	buffer_load_dword v140, off, s[0:3], 0 offset:244
	buffer_load_dword v134, off, s[0:3], 0 offset:252
	s_waitcnt vmcnt(24) lgkmcnt(0)
	v_fma_f64 v[109:110], v[119:120], v[113:114], v[109:110]
	s_waitcnt vmcnt(19)
	v_fma_f64 v[119:120], v[121:122], v[115:116], v[109:110]
	ds_read2_b64 v[109:112], v108 offset0:75 offset1:76
	ds_read2_b64 v[113:116], v108 offset0:77 offset1:78
	s_waitcnt vmcnt(18) lgkmcnt(1)
	v_fma_f64 v[109:110], v[127:128], v[109:110], v[119:120]
	s_waitcnt vmcnt(17)
	v_fma_f64 v[109:110], v[125:126], v[111:112], v[109:110]
	buffer_load_dword v120, off, s[0:3], 0 offset:260
	buffer_load_dword v121, off, s[0:3], 0 offset:280
	;; [unrolled: 1-line block ×7, first 2 shown]
	s_waitcnt vmcnt(23) lgkmcnt(0)
	v_fma_f64 v[109:110], v[123:124], v[113:114], v[109:110]
	s_waitcnt vmcnt(18)
	v_fma_f64 v[122:123], v[129:130], v[115:116], v[109:110]
	ds_read2_b64 v[109:112], v108 offset0:79 offset1:80
	ds_read2_b64 v[113:116], v108 offset0:81 offset1:82
	s_waitcnt vmcnt(17) lgkmcnt(1)
	v_fma_f64 v[109:110], v[137:138], v[109:110], v[122:123]
	buffer_load_dword v122, off, s[0:3], 0 offset:284
	s_waitcnt vmcnt(17)
	v_fma_f64 v[109:110], v[135:136], v[111:112], v[109:110]
	buffer_load_dword v124, off, s[0:3], 0 offset:292
	buffer_load_dword v129, off, s[0:3], 0 offset:312
	;; [unrolled: 1-line block ×7, first 2 shown]
	s_waitcnt vmcnt(23) lgkmcnt(0)
	v_fma_f64 v[109:110], v[131:132], v[113:114], v[109:110]
	s_waitcnt vmcnt(18)
	v_fma_f64 v[117:118], v[117:118], v[115:116], v[109:110]
	ds_read2_b64 v[109:112], v108 offset0:83 offset1:84
	ds_read2_b64 v[113:116], v108 offset0:85 offset1:86
	buffer_load_dword v130, off, s[0:3], 0 offset:316
	s_waitcnt vmcnt(18) lgkmcnt(1)
	v_fma_f64 v[109:110], v[141:142], v[109:110], v[117:118]
	s_waitcnt vmcnt(17)
	v_fma_f64 v[109:110], v[139:140], v[111:112], v[109:110]
	buffer_load_dword v118, off, s[0:3], 0 offset:324
	buffer_load_dword v131, off, s[0:3], 0 offset:344
	buffer_load_dword v139, off, s[0:3], 0 offset:336
	buffer_load_dword v141, off, s[0:3], 0 offset:328
	buffer_load_dword v117, off, s[0:3], 0 offset:320
	buffer_load_dword v142, off, s[0:3], 0 offset:332
	buffer_load_dword v140, off, s[0:3], 0 offset:340
	buffer_load_dword v132, off, s[0:3], 0 offset:348
	s_waitcnt vmcnt(24) lgkmcnt(0)
	v_fma_f64 v[109:110], v[133:134], v[113:114], v[109:110]
	s_waitcnt vmcnt(19)
	v_fma_f64 v[119:120], v[119:120], v[115:116], v[109:110]
	ds_read2_b64 v[109:112], v108 offset0:87 offset1:88
	ds_read2_b64 v[113:116], v108 offset0:89 offset1:90
	s_waitcnt vmcnt(18) lgkmcnt(1)
	v_fma_f64 v[109:110], v[127:128], v[109:110], v[119:120]
	s_waitcnt vmcnt(17)
	v_fma_f64 v[109:110], v[125:126], v[111:112], v[109:110]
	buffer_load_dword v120, off, s[0:3], 0 offset:356
	buffer_load_dword v125, off, s[0:3], 0 offset:376
	buffer_load_dword v127, off, s[0:3], 0 offset:368
	buffer_load_dword v133, off, s[0:3], 0 offset:360
	buffer_load_dword v119, off, s[0:3], 0 offset:352
	buffer_load_dword v134, off, s[0:3], 0 offset:364
	buffer_load_dword v128, off, s[0:3], 0 offset:372
	buffer_load_dword v126, off, s[0:3], 0 offset:380
	s_waitcnt vmcnt(24) lgkmcnt(0)
	v_fma_f64 v[109:110], v[121:122], v[113:114], v[109:110]
	s_waitcnt vmcnt(19)
	v_fma_f64 v[121:122], v[123:124], v[115:116], v[109:110]
	ds_read2_b64 v[109:112], v108 offset0:91 offset1:92
	ds_read2_b64 v[113:116], v108 offset0:93 offset1:94
	;; [unrolled: 18-line block ×3, first 2 shown]
	s_waitcnt vmcnt(18) lgkmcnt(1)
	v_fma_f64 v[109:110], v[141:142], v[109:110], v[117:118]
	buffer_load_dword v118, off, s[0:3], 0 offset:420
	buffer_load_dword v117, off, s[0:3], 0 offset:416
	;; [unrolled: 1-line block ×4, first 2 shown]
	s_waitcnt vmcnt(21)
	v_fma_f64 v[109:110], v[139:140], v[111:112], v[109:110]
	s_waitcnt vmcnt(20) lgkmcnt(0)
	v_fma_f64 v[109:110], v[131:132], v[113:114], v[109:110]
	s_waitcnt vmcnt(15)
	v_fma_f64 v[119:120], v[119:120], v[115:116], v[109:110]
	ds_read2_b64 v[109:112], v108 offset0:99 offset1:100
	ds_read2_b64 v[113:116], v108 offset0:101 offset1:102
	s_waitcnt vmcnt(14) lgkmcnt(1)
	v_fma_f64 v[109:110], v[133:134], v[109:110], v[119:120]
	s_waitcnt vmcnt(13)
	v_fma_f64 v[109:110], v[127:128], v[111:112], v[109:110]
	s_waitcnt vmcnt(12) lgkmcnt(0)
	v_fma_f64 v[109:110], v[125:126], v[113:114], v[109:110]
	s_waitcnt vmcnt(7)
	v_fma_f64 v[119:120], v[121:122], v[115:116], v[109:110]
	ds_read2_b64 v[109:112], v108 offset0:103 offset1:104
	ds_read2_b64 v[113:116], v108 offset0:105 offset1:106
	s_waitcnt vmcnt(6) lgkmcnt(1)
	v_fma_f64 v[108:109], v[137:138], v[109:110], v[119:120]
	s_waitcnt vmcnt(5)
	v_fma_f64 v[108:109], v[135:136], v[111:112], v[108:109]
	s_waitcnt vmcnt(4) lgkmcnt(0)
	v_fma_f64 v[108:109], v[123:124], v[113:114], v[108:109]
	s_waitcnt vmcnt(2)
	v_fma_f64 v[108:109], v[117:118], v[115:116], v[108:109]
	s_waitcnt vmcnt(0)
	v_add_f64 v[108:109], v[129:130], -v[108:109]
	buffer_store_dword v109, off, s[0:3], 0 offset:36
	buffer_store_dword v108, off, s[0:3], 0 offset:32
	s_and_saveexec_b64 s[4:5], vcc
	s_cbranch_execz .LBB52_319
; %bb.318:
	buffer_load_dword v108, off, s[0:3], 0 offset:24
	buffer_load_dword v109, off, s[0:3], 0 offset:28
	v_mov_b32_e32 v110, 0
	buffer_store_dword v110, off, s[0:3], 0 offset:24
	buffer_store_dword v110, off, s[0:3], 0 offset:28
	s_waitcnt vmcnt(2)
	ds_write_b64 v107, v[108:109]
.LBB52_319:
	s_or_b64 exec, exec, s[4:5]
	s_waitcnt lgkmcnt(0)
	; wave barrier
	buffer_load_dword v117, off, s[0:3], 0 offset:32
	buffer_load_dword v118, off, s[0:3], 0 offset:36
	;; [unrolled: 1-line block ×21, first 2 shown]
	v_mov_b32_e32 v108, 0
	ds_read_b128 v[109:112], v108 offset:464
	ds_read_b128 v[113:116], v108 offset:480
	buffer_load_dword v134, off, s[0:3], 0 offset:116
	v_cmp_lt_u32_e32 vcc, 2, v0
	s_waitcnt vmcnt(20) lgkmcnt(1)
	v_fma_f64 v[109:110], v[117:118], v[109:110], 0
	s_waitcnt vmcnt(18)
	v_fma_f64 v[109:110], v[119:120], v[111:112], v[109:110]
	buffer_load_dword v118, off, s[0:3], 0 offset:124
	buffer_load_dword v119, off, s[0:3], 0 offset:144
	;; [unrolled: 1-line block ×7, first 2 shown]
	s_waitcnt vmcnt(23) lgkmcnt(0)
	v_fma_f64 v[109:110], v[121:122], v[113:114], v[109:110]
	s_waitcnt vmcnt(21)
	v_fma_f64 v[120:121], v[123:124], v[115:116], v[109:110]
	ds_read_b128 v[109:112], v108 offset:496
	ds_read_b128 v[113:116], v108 offset:512
	s_waitcnt vmcnt(19) lgkmcnt(1)
	v_fma_f64 v[109:110], v[125:126], v[109:110], v[120:121]
	buffer_load_dword v120, off, s[0:3], 0 offset:148
	s_waitcnt vmcnt(18)
	v_fma_f64 v[109:110], v[127:128], v[111:112], v[109:110]
	buffer_load_dword v122, off, s[0:3], 0 offset:156
	buffer_load_dword v123, off, s[0:3], 0 offset:176
	;; [unrolled: 1-line block ×8, first 2 shown]
	s_waitcnt vmcnt(24) lgkmcnt(0)
	v_fma_f64 v[109:110], v[129:130], v[113:114], v[109:110]
	s_waitcnt vmcnt(19)
	v_fma_f64 v[129:130], v[131:132], v[115:116], v[109:110]
	ds_read_b128 v[109:112], v108 offset:528
	ds_read_b128 v[113:116], v108 offset:544
	s_waitcnt vmcnt(18) lgkmcnt(1)
	v_fma_f64 v[109:110], v[137:138], v[109:110], v[129:130]
	s_waitcnt vmcnt(17)
	v_fma_f64 v[109:110], v[135:136], v[111:112], v[109:110]
	buffer_load_dword v130, off, s[0:3], 0 offset:188
	buffer_load_dword v131, off, s[0:3], 0 offset:208
	;; [unrolled: 1-line block ×7, first 2 shown]
	s_waitcnt vmcnt(23) lgkmcnt(0)
	v_fma_f64 v[109:110], v[133:134], v[113:114], v[109:110]
	s_waitcnt vmcnt(18)
	v_fma_f64 v[117:118], v[117:118], v[115:116], v[109:110]
	ds_read_b128 v[109:112], v108 offset:560
	ds_read_b128 v[113:116], v108 offset:576
	buffer_load_dword v132, off, s[0:3], 0 offset:212
	s_waitcnt vmcnt(18) lgkmcnt(1)
	v_fma_f64 v[109:110], v[141:142], v[109:110], v[117:118]
	s_waitcnt vmcnt(17)
	v_fma_f64 v[109:110], v[139:140], v[111:112], v[109:110]
	buffer_load_dword v118, off, s[0:3], 0 offset:220
	buffer_load_dword v133, off, s[0:3], 0 offset:240
	;; [unrolled: 1-line block ×7, first 2 shown]
	s_waitcnt vmcnt(23) lgkmcnt(0)
	v_fma_f64 v[109:110], v[119:120], v[113:114], v[109:110]
	s_waitcnt vmcnt(18)
	v_fma_f64 v[119:120], v[121:122], v[115:116], v[109:110]
	ds_read_b128 v[109:112], v108 offset:592
	ds_read_b128 v[113:116], v108 offset:608
	buffer_load_dword v134, off, s[0:3], 0 offset:244
	s_waitcnt vmcnt(18) lgkmcnt(1)
	v_fma_f64 v[109:110], v[127:128], v[109:110], v[119:120]
	s_waitcnt vmcnt(17)
	v_fma_f64 v[109:110], v[125:126], v[111:112], v[109:110]
	buffer_load_dword v120, off, s[0:3], 0 offset:252
	buffer_load_dword v121, off, s[0:3], 0 offset:272
	;; [unrolled: 1-line block ×7, first 2 shown]
	s_waitcnt vmcnt(23) lgkmcnt(0)
	v_fma_f64 v[109:110], v[123:124], v[113:114], v[109:110]
	s_waitcnt vmcnt(18)
	v_fma_f64 v[122:123], v[129:130], v[115:116], v[109:110]
	ds_read_b128 v[109:112], v108 offset:624
	ds_read_b128 v[113:116], v108 offset:640
	s_waitcnt vmcnt(17) lgkmcnt(1)
	v_fma_f64 v[109:110], v[137:138], v[109:110], v[122:123]
	buffer_load_dword v122, off, s[0:3], 0 offset:276
	s_waitcnt vmcnt(17)
	v_fma_f64 v[109:110], v[135:136], v[111:112], v[109:110]
	buffer_load_dword v124, off, s[0:3], 0 offset:284
	buffer_load_dword v129, off, s[0:3], 0 offset:304
	;; [unrolled: 1-line block ×7, first 2 shown]
	s_waitcnt vmcnt(23) lgkmcnt(0)
	v_fma_f64 v[109:110], v[131:132], v[113:114], v[109:110]
	s_waitcnt vmcnt(18)
	v_fma_f64 v[117:118], v[117:118], v[115:116], v[109:110]
	ds_read_b128 v[109:112], v108 offset:656
	ds_read_b128 v[113:116], v108 offset:672
	buffer_load_dword v130, off, s[0:3], 0 offset:308
	s_waitcnt vmcnt(18) lgkmcnt(1)
	v_fma_f64 v[109:110], v[141:142], v[109:110], v[117:118]
	s_waitcnt vmcnt(17)
	v_fma_f64 v[109:110], v[139:140], v[111:112], v[109:110]
	buffer_load_dword v118, off, s[0:3], 0 offset:316
	buffer_load_dword v131, off, s[0:3], 0 offset:336
	;; [unrolled: 1-line block ×7, first 2 shown]
	s_waitcnt vmcnt(23) lgkmcnt(0)
	v_fma_f64 v[109:110], v[133:134], v[113:114], v[109:110]
	s_waitcnt vmcnt(18)
	v_fma_f64 v[119:120], v[119:120], v[115:116], v[109:110]
	ds_read_b128 v[109:112], v108 offset:688
	ds_read_b128 v[113:116], v108 offset:704
	buffer_load_dword v132, off, s[0:3], 0 offset:340
	s_waitcnt vmcnt(18) lgkmcnt(1)
	v_fma_f64 v[109:110], v[127:128], v[109:110], v[119:120]
	s_waitcnt vmcnt(17)
	v_fma_f64 v[109:110], v[125:126], v[111:112], v[109:110]
	buffer_load_dword v120, off, s[0:3], 0 offset:348
	buffer_load_dword v125, off, s[0:3], 0 offset:368
	;; [unrolled: 1-line block ×8, first 2 shown]
	s_waitcnt vmcnt(24) lgkmcnt(0)
	v_fma_f64 v[109:110], v[121:122], v[113:114], v[109:110]
	s_waitcnt vmcnt(19)
	v_fma_f64 v[121:122], v[123:124], v[115:116], v[109:110]
	ds_read_b128 v[109:112], v108 offset:720
	ds_read_b128 v[113:116], v108 offset:736
	s_waitcnt vmcnt(18) lgkmcnt(1)
	v_fma_f64 v[109:110], v[137:138], v[109:110], v[121:122]
	s_waitcnt vmcnt(17)
	v_fma_f64 v[109:110], v[135:136], v[111:112], v[109:110]
	buffer_load_dword v122, off, s[0:3], 0 offset:380
	buffer_load_dword v123, off, s[0:3], 0 offset:400
	;; [unrolled: 1-line block ×7, first 2 shown]
	s_waitcnt vmcnt(23) lgkmcnt(0)
	v_fma_f64 v[109:110], v[129:130], v[113:114], v[109:110]
	s_waitcnt vmcnt(18)
	v_fma_f64 v[117:118], v[117:118], v[115:116], v[109:110]
	ds_read_b128 v[109:112], v108 offset:752
	ds_read_b128 v[113:116], v108 offset:768
	buffer_load_dword v124, off, s[0:3], 0 offset:404
	s_waitcnt vmcnt(18) lgkmcnt(1)
	v_fma_f64 v[109:110], v[141:142], v[109:110], v[117:118]
	buffer_load_dword v118, off, s[0:3], 0 offset:412
	buffer_load_dword v129, off, s[0:3], 0 offset:416
	buffer_load_dword v117, off, s[0:3], 0 offset:408
	buffer_load_dword v130, off, s[0:3], 0 offset:420
	s_waitcnt vmcnt(21)
	v_fma_f64 v[109:110], v[139:140], v[111:112], v[109:110]
	s_waitcnt vmcnt(20) lgkmcnt(0)
	v_fma_f64 v[109:110], v[131:132], v[113:114], v[109:110]
	buffer_load_dword v131, off, s[0:3], 0 offset:24
	buffer_load_dword v132, off, s[0:3], 0 offset:28
	s_waitcnt vmcnt(17)
	v_fma_f64 v[119:120], v[119:120], v[115:116], v[109:110]
	ds_read_b128 v[109:112], v108 offset:784
	ds_read_b128 v[113:116], v108 offset:800
	s_waitcnt vmcnt(16) lgkmcnt(1)
	v_fma_f64 v[109:110], v[133:134], v[109:110], v[119:120]
	s_waitcnt vmcnt(15)
	v_fma_f64 v[109:110], v[127:128], v[111:112], v[109:110]
	s_waitcnt vmcnt(14) lgkmcnt(0)
	v_fma_f64 v[109:110], v[125:126], v[113:114], v[109:110]
	s_waitcnt vmcnt(9)
	v_fma_f64 v[119:120], v[121:122], v[115:116], v[109:110]
	ds_read_b128 v[109:112], v108 offset:816
	ds_read_b128 v[113:116], v108 offset:832
	s_waitcnt vmcnt(8) lgkmcnt(1)
	v_fma_f64 v[109:110], v[137:138], v[109:110], v[119:120]
	s_waitcnt vmcnt(7)
	v_fma_f64 v[109:110], v[135:136], v[111:112], v[109:110]
	ds_read_b64 v[111:112], v108 offset:848
	s_waitcnt vmcnt(6) lgkmcnt(1)
	v_fma_f64 v[109:110], v[123:124], v[113:114], v[109:110]
	s_waitcnt vmcnt(3)
	v_fma_f64 v[109:110], v[117:118], v[115:116], v[109:110]
	s_waitcnt vmcnt(2) lgkmcnt(0)
	v_fma_f64 v[109:110], v[129:130], v[111:112], v[109:110]
	s_waitcnt vmcnt(0)
	v_add_f64 v[109:110], v[131:132], -v[109:110]
	buffer_store_dword v110, off, s[0:3], 0 offset:28
	buffer_store_dword v109, off, s[0:3], 0 offset:24
	s_and_saveexec_b64 s[4:5], vcc
	s_cbranch_execz .LBB52_321
; %bb.320:
	buffer_load_dword v109, off, s[0:3], 0 offset:16
	buffer_load_dword v110, off, s[0:3], 0 offset:20
	s_waitcnt vmcnt(0)
	ds_write_b64 v107, v[109:110]
	buffer_store_dword v108, off, s[0:3], 0 offset:16
	buffer_store_dword v108, off, s[0:3], 0 offset:20
.LBB52_321:
	s_or_b64 exec, exec, s[4:5]
	s_waitcnt lgkmcnt(0)
	; wave barrier
	buffer_load_dword v117, off, s[0:3], 0 offset:24
	buffer_load_dword v118, off, s[0:3], 0 offset:28
	;; [unrolled: 1-line block ×22, first 2 shown]
	ds_read2_b64 v[109:112], v108 offset0:57 offset1:58
	ds_read2_b64 v[113:116], v108 offset0:59 offset1:60
	v_cmp_lt_u32_e32 vcc, 1, v0
	s_waitcnt vmcnt(20) lgkmcnt(1)
	v_fma_f64 v[109:110], v[117:118], v[109:110], 0
	s_waitcnt vmcnt(18)
	v_fma_f64 v[109:110], v[119:120], v[111:112], v[109:110]
	buffer_load_dword v118, off, s[0:3], 0 offset:116
	buffer_load_dword v119, off, s[0:3], 0 offset:136
	;; [unrolled: 1-line block ×7, first 2 shown]
	s_waitcnt vmcnt(23) lgkmcnt(0)
	v_fma_f64 v[109:110], v[121:122], v[113:114], v[109:110]
	s_waitcnt vmcnt(21)
	v_fma_f64 v[120:121], v[123:124], v[115:116], v[109:110]
	ds_read2_b64 v[109:112], v108 offset0:61 offset1:62
	ds_read2_b64 v[113:116], v108 offset0:63 offset1:64
	s_waitcnt vmcnt(19) lgkmcnt(1)
	v_fma_f64 v[109:110], v[125:126], v[109:110], v[120:121]
	buffer_load_dword v120, off, s[0:3], 0 offset:140
	s_waitcnt vmcnt(18)
	v_fma_f64 v[109:110], v[127:128], v[111:112], v[109:110]
	buffer_load_dword v122, off, s[0:3], 0 offset:148
	buffer_load_dword v123, off, s[0:3], 0 offset:168
	;; [unrolled: 1-line block ×8, first 2 shown]
	s_waitcnt vmcnt(24) lgkmcnt(0)
	v_fma_f64 v[109:110], v[129:130], v[113:114], v[109:110]
	s_waitcnt vmcnt(19)
	v_fma_f64 v[129:130], v[131:132], v[115:116], v[109:110]
	ds_read2_b64 v[109:112], v108 offset0:65 offset1:66
	ds_read2_b64 v[113:116], v108 offset0:67 offset1:68
	s_waitcnt vmcnt(18) lgkmcnt(1)
	v_fma_f64 v[109:110], v[137:138], v[109:110], v[129:130]
	s_waitcnt vmcnt(17)
	v_fma_f64 v[109:110], v[135:136], v[111:112], v[109:110]
	buffer_load_dword v130, off, s[0:3], 0 offset:180
	buffer_load_dword v131, off, s[0:3], 0 offset:200
	;; [unrolled: 1-line block ×8, first 2 shown]
	s_waitcnt vmcnt(24) lgkmcnt(0)
	v_fma_f64 v[109:110], v[133:134], v[113:114], v[109:110]
	s_waitcnt vmcnt(19)
	v_fma_f64 v[117:118], v[117:118], v[115:116], v[109:110]
	ds_read2_b64 v[109:112], v108 offset0:69 offset1:70
	ds_read2_b64 v[113:116], v108 offset0:71 offset1:72
	s_waitcnt vmcnt(18) lgkmcnt(1)
	v_fma_f64 v[109:110], v[141:142], v[109:110], v[117:118]
	s_waitcnt vmcnt(17)
	v_fma_f64 v[109:110], v[139:140], v[111:112], v[109:110]
	buffer_load_dword v118, off, s[0:3], 0 offset:212
	buffer_load_dword v133, off, s[0:3], 0 offset:232
	buffer_load_dword v139, off, s[0:3], 0 offset:224
	buffer_load_dword v141, off, s[0:3], 0 offset:216
	buffer_load_dword v117, off, s[0:3], 0 offset:208
	buffer_load_dword v142, off, s[0:3], 0 offset:220
	buffer_load_dword v140, off, s[0:3], 0 offset:228
	s_waitcnt vmcnt(23) lgkmcnt(0)
	v_fma_f64 v[109:110], v[119:120], v[113:114], v[109:110]
	s_waitcnt vmcnt(18)
	v_fma_f64 v[119:120], v[121:122], v[115:116], v[109:110]
	ds_read2_b64 v[109:112], v108 offset0:73 offset1:74
	ds_read2_b64 v[113:116], v108 offset0:75 offset1:76
	buffer_load_dword v134, off, s[0:3], 0 offset:236
	s_waitcnt vmcnt(18) lgkmcnt(1)
	v_fma_f64 v[109:110], v[127:128], v[109:110], v[119:120]
	s_waitcnt vmcnt(17)
	v_fma_f64 v[109:110], v[125:126], v[111:112], v[109:110]
	buffer_load_dword v120, off, s[0:3], 0 offset:244
	buffer_load_dword v121, off, s[0:3], 0 offset:264
	;; [unrolled: 1-line block ×7, first 2 shown]
	s_waitcnt vmcnt(23) lgkmcnt(0)
	v_fma_f64 v[109:110], v[123:124], v[113:114], v[109:110]
	s_waitcnt vmcnt(18)
	v_fma_f64 v[122:123], v[129:130], v[115:116], v[109:110]
	ds_read2_b64 v[109:112], v108 offset0:77 offset1:78
	ds_read2_b64 v[113:116], v108 offset0:79 offset1:80
	s_waitcnt vmcnt(17) lgkmcnt(1)
	v_fma_f64 v[109:110], v[137:138], v[109:110], v[122:123]
	buffer_load_dword v122, off, s[0:3], 0 offset:268
	s_waitcnt vmcnt(17)
	v_fma_f64 v[109:110], v[135:136], v[111:112], v[109:110]
	buffer_load_dword v124, off, s[0:3], 0 offset:276
	buffer_load_dword v129, off, s[0:3], 0 offset:296
	;; [unrolled: 1-line block ×8, first 2 shown]
	s_waitcnt vmcnt(24) lgkmcnt(0)
	v_fma_f64 v[109:110], v[131:132], v[113:114], v[109:110]
	s_waitcnt vmcnt(19)
	v_fma_f64 v[117:118], v[117:118], v[115:116], v[109:110]
	ds_read2_b64 v[109:112], v108 offset0:81 offset1:82
	ds_read2_b64 v[113:116], v108 offset0:83 offset1:84
	s_waitcnt vmcnt(18) lgkmcnt(1)
	v_fma_f64 v[109:110], v[141:142], v[109:110], v[117:118]
	s_waitcnt vmcnt(17)
	v_fma_f64 v[109:110], v[139:140], v[111:112], v[109:110]
	buffer_load_dword v118, off, s[0:3], 0 offset:308
	buffer_load_dword v131, off, s[0:3], 0 offset:328
	;; [unrolled: 1-line block ×7, first 2 shown]
	s_waitcnt vmcnt(23) lgkmcnt(0)
	v_fma_f64 v[109:110], v[133:134], v[113:114], v[109:110]
	s_waitcnt vmcnt(18)
	v_fma_f64 v[119:120], v[119:120], v[115:116], v[109:110]
	ds_read2_b64 v[109:112], v108 offset0:85 offset1:86
	ds_read2_b64 v[113:116], v108 offset0:87 offset1:88
	buffer_load_dword v132, off, s[0:3], 0 offset:332
	s_waitcnt vmcnt(18) lgkmcnt(1)
	v_fma_f64 v[109:110], v[127:128], v[109:110], v[119:120]
	s_waitcnt vmcnt(17)
	v_fma_f64 v[109:110], v[125:126], v[111:112], v[109:110]
	buffer_load_dword v120, off, s[0:3], 0 offset:340
	buffer_load_dword v125, off, s[0:3], 0 offset:360
	;; [unrolled: 1-line block ×8, first 2 shown]
	s_waitcnt vmcnt(24) lgkmcnt(0)
	v_fma_f64 v[109:110], v[121:122], v[113:114], v[109:110]
	s_waitcnt vmcnt(19)
	v_fma_f64 v[121:122], v[123:124], v[115:116], v[109:110]
	ds_read2_b64 v[109:112], v108 offset0:89 offset1:90
	ds_read2_b64 v[113:116], v108 offset0:91 offset1:92
	s_waitcnt vmcnt(18) lgkmcnt(1)
	v_fma_f64 v[109:110], v[137:138], v[109:110], v[121:122]
	s_waitcnt vmcnt(17)
	v_fma_f64 v[109:110], v[135:136], v[111:112], v[109:110]
	buffer_load_dword v122, off, s[0:3], 0 offset:372
	buffer_load_dword v123, off, s[0:3], 0 offset:392
	;; [unrolled: 1-line block ×8, first 2 shown]
	s_waitcnt vmcnt(24) lgkmcnt(0)
	v_fma_f64 v[109:110], v[129:130], v[113:114], v[109:110]
	s_waitcnt vmcnt(19)
	v_fma_f64 v[117:118], v[117:118], v[115:116], v[109:110]
	ds_read2_b64 v[109:112], v108 offset0:93 offset1:94
	ds_read2_b64 v[113:116], v108 offset0:95 offset1:96
	s_waitcnt vmcnt(18) lgkmcnt(1)
	v_fma_f64 v[109:110], v[141:142], v[109:110], v[117:118]
	s_waitcnt vmcnt(17)
	v_fma_f64 v[109:110], v[139:140], v[111:112], v[109:110]
	buffer_load_dword v118, off, s[0:3], 0 offset:404
	buffer_load_dword v129, off, s[0:3], 0 offset:416
	buffer_load_dword v139, off, s[0:3], 0 offset:408
	buffer_load_dword v117, off, s[0:3], 0 offset:400
	buffer_load_dword v140, off, s[0:3], 0 offset:412
	buffer_load_dword v130, off, s[0:3], 0 offset:420
	s_waitcnt vmcnt(22) lgkmcnt(0)
	v_fma_f64 v[109:110], v[131:132], v[113:114], v[109:110]
	s_waitcnt vmcnt(17)
	v_fma_f64 v[119:120], v[119:120], v[115:116], v[109:110]
	ds_read2_b64 v[109:112], v108 offset0:97 offset1:98
	buffer_load_dword v131, off, s[0:3], 0 offset:16
	buffer_load_dword v132, off, s[0:3], 0 offset:20
	ds_read2_b64 v[113:116], v108 offset0:99 offset1:100
	s_waitcnt vmcnt(18) lgkmcnt(1)
	v_fma_f64 v[109:110], v[133:134], v[109:110], v[119:120]
	s_waitcnt vmcnt(17)
	v_fma_f64 v[109:110], v[127:128], v[111:112], v[109:110]
	s_waitcnt vmcnt(16) lgkmcnt(0)
	v_fma_f64 v[109:110], v[125:126], v[113:114], v[109:110]
	s_waitcnt vmcnt(11)
	v_fma_f64 v[119:120], v[121:122], v[115:116], v[109:110]
	ds_read2_b64 v[109:112], v108 offset0:101 offset1:102
	ds_read2_b64 v[113:116], v108 offset0:103 offset1:104
	s_waitcnt vmcnt(10) lgkmcnt(1)
	v_fma_f64 v[109:110], v[137:138], v[109:110], v[119:120]
	s_waitcnt vmcnt(9)
	v_fma_f64 v[109:110], v[135:136], v[111:112], v[109:110]
	s_waitcnt vmcnt(8) lgkmcnt(0)
	v_fma_f64 v[109:110], v[123:124], v[113:114], v[109:110]
	s_waitcnt vmcnt(4)
	v_fma_f64 v[112:113], v[117:118], v[115:116], v[109:110]
	ds_read2_b64 v[108:111], v108 offset0:105 offset1:106
	s_waitcnt vmcnt(3) lgkmcnt(0)
	v_fma_f64 v[108:109], v[139:140], v[108:109], v[112:113]
	s_waitcnt vmcnt(2)
	v_fma_f64 v[108:109], v[129:130], v[110:111], v[108:109]
	s_waitcnt vmcnt(0)
	v_add_f64 v[108:109], v[131:132], -v[108:109]
	buffer_store_dword v109, off, s[0:3], 0 offset:20
	buffer_store_dword v108, off, s[0:3], 0 offset:16
	s_and_saveexec_b64 s[4:5], vcc
	s_cbranch_execz .LBB52_323
; %bb.322:
	buffer_load_dword v108, off, s[0:3], 0 offset:8
	buffer_load_dword v109, off, s[0:3], 0 offset:12
	v_mov_b32_e32 v110, 0
	buffer_store_dword v110, off, s[0:3], 0 offset:8
	buffer_store_dword v110, off, s[0:3], 0 offset:12
	s_waitcnt vmcnt(2)
	ds_write_b64 v107, v[108:109]
.LBB52_323:
	s_or_b64 exec, exec, s[4:5]
	s_waitcnt lgkmcnt(0)
	; wave barrier
	buffer_load_dword v117, off, s[0:3], 0 offset:16
	buffer_load_dword v118, off, s[0:3], 0 offset:20
	;; [unrolled: 1-line block ×22, first 2 shown]
	v_mov_b32_e32 v108, 0
	ds_read_b128 v[109:112], v108 offset:448
	ds_read_b128 v[113:116], v108 offset:464
	v_cmp_ne_u32_e32 vcc, 0, v0
	s_waitcnt vmcnt(20) lgkmcnt(1)
	v_fma_f64 v[109:110], v[117:118], v[109:110], 0
	s_waitcnt vmcnt(18)
	v_fma_f64 v[109:110], v[119:120], v[111:112], v[109:110]
	buffer_load_dword v118, off, s[0:3], 0 offset:108
	buffer_load_dword v119, off, s[0:3], 0 offset:128
	;; [unrolled: 1-line block ×7, first 2 shown]
	s_waitcnt vmcnt(23) lgkmcnt(0)
	v_fma_f64 v[109:110], v[121:122], v[113:114], v[109:110]
	s_waitcnt vmcnt(21)
	v_fma_f64 v[120:121], v[123:124], v[115:116], v[109:110]
	ds_read_b128 v[109:112], v108 offset:480
	ds_read_b128 v[113:116], v108 offset:496
	s_waitcnt vmcnt(19) lgkmcnt(1)
	v_fma_f64 v[109:110], v[125:126], v[109:110], v[120:121]
	buffer_load_dword v120, off, s[0:3], 0 offset:132
	s_waitcnt vmcnt(18)
	v_fma_f64 v[109:110], v[127:128], v[111:112], v[109:110]
	buffer_load_dword v122, off, s[0:3], 0 offset:140
	buffer_load_dword v123, off, s[0:3], 0 offset:160
	;; [unrolled: 1-line block ×8, first 2 shown]
	s_waitcnt vmcnt(24) lgkmcnt(0)
	v_fma_f64 v[109:110], v[129:130], v[113:114], v[109:110]
	s_waitcnt vmcnt(19)
	v_fma_f64 v[129:130], v[131:132], v[115:116], v[109:110]
	ds_read_b128 v[109:112], v108 offset:512
	ds_read_b128 v[113:116], v108 offset:528
	s_waitcnt vmcnt(18) lgkmcnt(1)
	v_fma_f64 v[109:110], v[137:138], v[109:110], v[129:130]
	s_waitcnt vmcnt(17)
	v_fma_f64 v[109:110], v[135:136], v[111:112], v[109:110]
	buffer_load_dword v130, off, s[0:3], 0 offset:172
	buffer_load_dword v131, off, s[0:3], 0 offset:192
	;; [unrolled: 1-line block ×8, first 2 shown]
	s_waitcnt vmcnt(24) lgkmcnt(0)
	v_fma_f64 v[109:110], v[133:134], v[113:114], v[109:110]
	s_waitcnt vmcnt(19)
	v_fma_f64 v[117:118], v[117:118], v[115:116], v[109:110]
	ds_read_b128 v[109:112], v108 offset:544
	ds_read_b128 v[113:116], v108 offset:560
	s_waitcnt vmcnt(18) lgkmcnt(1)
	v_fma_f64 v[109:110], v[141:142], v[109:110], v[117:118]
	s_waitcnt vmcnt(17)
	v_fma_f64 v[109:110], v[139:140], v[111:112], v[109:110]
	buffer_load_dword v118, off, s[0:3], 0 offset:204
	buffer_load_dword v133, off, s[0:3], 0 offset:224
	;; [unrolled: 1-line block ×7, first 2 shown]
	s_waitcnt vmcnt(23) lgkmcnt(0)
	v_fma_f64 v[109:110], v[119:120], v[113:114], v[109:110]
	s_waitcnt vmcnt(18)
	v_fma_f64 v[119:120], v[121:122], v[115:116], v[109:110]
	ds_read_b128 v[109:112], v108 offset:576
	ds_read_b128 v[113:116], v108 offset:592
	buffer_load_dword v134, off, s[0:3], 0 offset:228
	s_waitcnt vmcnt(18) lgkmcnt(1)
	v_fma_f64 v[109:110], v[127:128], v[109:110], v[119:120]
	s_waitcnt vmcnt(17)
	v_fma_f64 v[109:110], v[125:126], v[111:112], v[109:110]
	buffer_load_dword v120, off, s[0:3], 0 offset:236
	buffer_load_dword v121, off, s[0:3], 0 offset:256
	buffer_load_dword v125, off, s[0:3], 0 offset:248
	buffer_load_dword v127, off, s[0:3], 0 offset:240
	buffer_load_dword v119, off, s[0:3], 0 offset:232
	buffer_load_dword v128, off, s[0:3], 0 offset:244
	buffer_load_dword v126, off, s[0:3], 0 offset:252
	s_waitcnt vmcnt(23) lgkmcnt(0)
	v_fma_f64 v[109:110], v[123:124], v[113:114], v[109:110]
	s_waitcnt vmcnt(18)
	v_fma_f64 v[122:123], v[129:130], v[115:116], v[109:110]
	ds_read_b128 v[109:112], v108 offset:608
	ds_read_b128 v[113:116], v108 offset:624
	s_waitcnt vmcnt(17) lgkmcnt(1)
	v_fma_f64 v[109:110], v[137:138], v[109:110], v[122:123]
	buffer_load_dword v122, off, s[0:3], 0 offset:260
	s_waitcnt vmcnt(17)
	v_fma_f64 v[109:110], v[135:136], v[111:112], v[109:110]
	buffer_load_dword v124, off, s[0:3], 0 offset:268
	buffer_load_dword v129, off, s[0:3], 0 offset:288
	;; [unrolled: 1-line block ×8, first 2 shown]
	s_waitcnt vmcnt(24) lgkmcnt(0)
	v_fma_f64 v[109:110], v[131:132], v[113:114], v[109:110]
	s_waitcnt vmcnt(19)
	v_fma_f64 v[117:118], v[117:118], v[115:116], v[109:110]
	ds_read_b128 v[109:112], v108 offset:640
	ds_read_b128 v[113:116], v108 offset:656
	s_waitcnt vmcnt(18) lgkmcnt(1)
	v_fma_f64 v[109:110], v[141:142], v[109:110], v[117:118]
	s_waitcnt vmcnt(17)
	v_fma_f64 v[109:110], v[139:140], v[111:112], v[109:110]
	buffer_load_dword v118, off, s[0:3], 0 offset:300
	buffer_load_dword v131, off, s[0:3], 0 offset:320
	;; [unrolled: 1-line block ×7, first 2 shown]
	s_waitcnt vmcnt(23) lgkmcnt(0)
	v_fma_f64 v[109:110], v[133:134], v[113:114], v[109:110]
	s_waitcnt vmcnt(18)
	v_fma_f64 v[119:120], v[119:120], v[115:116], v[109:110]
	ds_read_b128 v[109:112], v108 offset:672
	ds_read_b128 v[113:116], v108 offset:688
	buffer_load_dword v132, off, s[0:3], 0 offset:324
	s_waitcnt vmcnt(18) lgkmcnt(1)
	v_fma_f64 v[109:110], v[127:128], v[109:110], v[119:120]
	s_waitcnt vmcnt(17)
	v_fma_f64 v[109:110], v[125:126], v[111:112], v[109:110]
	buffer_load_dword v120, off, s[0:3], 0 offset:332
	buffer_load_dword v125, off, s[0:3], 0 offset:352
	buffer_load_dword v127, off, s[0:3], 0 offset:344
	buffer_load_dword v133, off, s[0:3], 0 offset:336
	buffer_load_dword v119, off, s[0:3], 0 offset:328
	buffer_load_dword v134, off, s[0:3], 0 offset:340
	buffer_load_dword v128, off, s[0:3], 0 offset:348
	buffer_load_dword v126, off, s[0:3], 0 offset:356
	s_waitcnt vmcnt(24) lgkmcnt(0)
	v_fma_f64 v[109:110], v[121:122], v[113:114], v[109:110]
	s_waitcnt vmcnt(19)
	v_fma_f64 v[121:122], v[123:124], v[115:116], v[109:110]
	ds_read_b128 v[109:112], v108 offset:704
	ds_read_b128 v[113:116], v108 offset:720
	s_waitcnt vmcnt(18) lgkmcnt(1)
	v_fma_f64 v[109:110], v[137:138], v[109:110], v[121:122]
	s_waitcnt vmcnt(17)
	v_fma_f64 v[109:110], v[135:136], v[111:112], v[109:110]
	buffer_load_dword v122, off, s[0:3], 0 offset:364
	buffer_load_dword v123, off, s[0:3], 0 offset:384
	buffer_load_dword v135, off, s[0:3], 0 offset:376
	buffer_load_dword v137, off, s[0:3], 0 offset:368
	buffer_load_dword v121, off, s[0:3], 0 offset:360
	buffer_load_dword v138, off, s[0:3], 0 offset:372
	buffer_load_dword v136, off, s[0:3], 0 offset:380
	buffer_load_dword v124, off, s[0:3], 0 offset:388
	s_waitcnt vmcnt(24) lgkmcnt(0)
	v_fma_f64 v[109:110], v[129:130], v[113:114], v[109:110]
	s_waitcnt vmcnt(19)
	v_fma_f64 v[117:118], v[117:118], v[115:116], v[109:110]
	ds_read_b128 v[109:112], v108 offset:736
	ds_read_b128 v[113:116], v108 offset:752
	;; [unrolled: 18-line block ×3, first 2 shown]
	s_waitcnt vmcnt(18) lgkmcnt(1)
	v_fma_f64 v[109:110], v[133:134], v[109:110], v[119:120]
	buffer_load_dword v119, off, s[0:3], 0 offset:8
	buffer_load_dword v120, off, s[0:3], 0 offset:12
	s_waitcnt vmcnt(19)
	v_fma_f64 v[109:110], v[127:128], v[111:112], v[109:110]
	s_waitcnt vmcnt(18) lgkmcnt(0)
	v_fma_f64 v[109:110], v[125:126], v[113:114], v[109:110]
	s_waitcnt vmcnt(13)
	v_fma_f64 v[121:122], v[121:122], v[115:116], v[109:110]
	ds_read_b128 v[109:112], v108 offset:800
	ds_read_b128 v[113:116], v108 offset:816
	s_waitcnt vmcnt(12) lgkmcnt(1)
	v_fma_f64 v[109:110], v[137:138], v[109:110], v[121:122]
	s_waitcnt vmcnt(11)
	v_fma_f64 v[109:110], v[135:136], v[111:112], v[109:110]
	s_waitcnt vmcnt(10) lgkmcnt(0)
	v_fma_f64 v[109:110], v[123:124], v[113:114], v[109:110]
	s_waitcnt vmcnt(5)
	v_fma_f64 v[113:114], v[117:118], v[115:116], v[109:110]
	ds_read_b128 v[109:112], v108 offset:832
	ds_read_b64 v[115:116], v108 offset:848
	s_waitcnt vmcnt(4) lgkmcnt(1)
	v_fma_f64 v[109:110], v[141:142], v[109:110], v[113:114]
	s_waitcnt vmcnt(3)
	v_fma_f64 v[109:110], v[139:140], v[111:112], v[109:110]
	s_waitcnt vmcnt(2) lgkmcnt(0)
	v_fma_f64 v[109:110], v[129:130], v[115:116], v[109:110]
	s_waitcnt vmcnt(0)
	v_add_f64 v[109:110], v[119:120], -v[109:110]
	buffer_store_dword v110, off, s[0:3], 0 offset:12
	buffer_store_dword v109, off, s[0:3], 0 offset:8
	s_and_saveexec_b64 s[4:5], vcc
	s_cbranch_execz .LBB52_325
; %bb.324:
	buffer_load_dword v109, off, s[0:3], 0
	buffer_load_dword v110, off, s[0:3], 0 offset:4
	s_waitcnt vmcnt(0)
	ds_write_b64 v107, v[109:110]
	buffer_store_dword v108, off, s[0:3], 0
	buffer_store_dword v108, off, s[0:3], 0 offset:4
.LBB52_325:
	s_or_b64 exec, exec, s[4:5]
	s_waitcnt lgkmcnt(0)
	; wave barrier
	buffer_load_dword v117, off, s[0:3], 0 offset:8
	buffer_load_dword v118, off, s[0:3], 0 offset:12
	;; [unrolled: 1-line block ×22, first 2 shown]
	ds_read2_b64 v[109:112], v108 offset0:55 offset1:56
	ds_read2_b64 v[113:116], v108 offset0:57 offset1:58
	s_and_b64 vcc, exec, s[22:23]
	s_waitcnt vmcnt(20) lgkmcnt(1)
	v_fma_f64 v[109:110], v[117:118], v[109:110], 0
	s_waitcnt vmcnt(18)
	v_fma_f64 v[109:110], v[119:120], v[111:112], v[109:110]
	buffer_load_dword v118, off, s[0:3], 0 offset:100
	buffer_load_dword v119, off, s[0:3], 0 offset:120
	;; [unrolled: 1-line block ×7, first 2 shown]
	s_waitcnt vmcnt(23) lgkmcnt(0)
	v_fma_f64 v[109:110], v[121:122], v[113:114], v[109:110]
	s_waitcnt vmcnt(21)
	v_fma_f64 v[120:121], v[123:124], v[115:116], v[109:110]
	ds_read2_b64 v[109:112], v108 offset0:59 offset1:60
	ds_read2_b64 v[113:116], v108 offset0:61 offset1:62
	s_waitcnt vmcnt(19) lgkmcnt(1)
	v_fma_f64 v[109:110], v[125:126], v[109:110], v[120:121]
	buffer_load_dword v120, off, s[0:3], 0 offset:124
	s_waitcnt vmcnt(18)
	v_fma_f64 v[109:110], v[127:128], v[111:112], v[109:110]
	buffer_load_dword v122, off, s[0:3], 0 offset:132
	buffer_load_dword v123, off, s[0:3], 0 offset:152
	;; [unrolled: 1-line block ×8, first 2 shown]
	s_waitcnt vmcnt(24) lgkmcnt(0)
	v_fma_f64 v[109:110], v[129:130], v[113:114], v[109:110]
	s_waitcnt vmcnt(19)
	v_fma_f64 v[129:130], v[131:132], v[115:116], v[109:110]
	ds_read2_b64 v[109:112], v108 offset0:63 offset1:64
	ds_read2_b64 v[113:116], v108 offset0:65 offset1:66
	s_waitcnt vmcnt(18) lgkmcnt(1)
	v_fma_f64 v[109:110], v[137:138], v[109:110], v[129:130]
	s_waitcnt vmcnt(17)
	v_fma_f64 v[109:110], v[135:136], v[111:112], v[109:110]
	buffer_load_dword v130, off, s[0:3], 0 offset:164
	buffer_load_dword v131, off, s[0:3], 0 offset:184
	;; [unrolled: 1-line block ×8, first 2 shown]
	s_waitcnt vmcnt(24) lgkmcnt(0)
	v_fma_f64 v[109:110], v[133:134], v[113:114], v[109:110]
	s_waitcnt vmcnt(19)
	v_fma_f64 v[117:118], v[117:118], v[115:116], v[109:110]
	ds_read2_b64 v[109:112], v108 offset0:67 offset1:68
	ds_read2_b64 v[113:116], v108 offset0:69 offset1:70
	s_waitcnt vmcnt(18) lgkmcnt(1)
	v_fma_f64 v[109:110], v[141:142], v[109:110], v[117:118]
	s_waitcnt vmcnt(17)
	v_fma_f64 v[109:110], v[139:140], v[111:112], v[109:110]
	buffer_load_dword v118, off, s[0:3], 0 offset:196
	buffer_load_dword v133, off, s[0:3], 0 offset:216
	;; [unrolled: 1-line block ×7, first 2 shown]
	s_waitcnt vmcnt(23) lgkmcnt(0)
	v_fma_f64 v[109:110], v[119:120], v[113:114], v[109:110]
	s_waitcnt vmcnt(18)
	v_fma_f64 v[119:120], v[121:122], v[115:116], v[109:110]
	ds_read2_b64 v[109:112], v108 offset0:71 offset1:72
	ds_read2_b64 v[113:116], v108 offset0:73 offset1:74
	buffer_load_dword v134, off, s[0:3], 0 offset:220
	s_waitcnt vmcnt(18) lgkmcnt(1)
	v_fma_f64 v[109:110], v[127:128], v[109:110], v[119:120]
	s_waitcnt vmcnt(17)
	v_fma_f64 v[109:110], v[125:126], v[111:112], v[109:110]
	buffer_load_dword v120, off, s[0:3], 0 offset:228
	buffer_load_dword v121, off, s[0:3], 0 offset:248
	;; [unrolled: 1-line block ×7, first 2 shown]
	s_waitcnt vmcnt(23) lgkmcnt(0)
	v_fma_f64 v[109:110], v[123:124], v[113:114], v[109:110]
	s_waitcnt vmcnt(18)
	v_fma_f64 v[122:123], v[129:130], v[115:116], v[109:110]
	ds_read2_b64 v[109:112], v108 offset0:75 offset1:76
	ds_read2_b64 v[113:116], v108 offset0:77 offset1:78
	s_waitcnt vmcnt(17) lgkmcnt(1)
	v_fma_f64 v[109:110], v[137:138], v[109:110], v[122:123]
	buffer_load_dword v122, off, s[0:3], 0 offset:252
	s_waitcnt vmcnt(17)
	v_fma_f64 v[109:110], v[135:136], v[111:112], v[109:110]
	buffer_load_dword v124, off, s[0:3], 0 offset:260
	buffer_load_dword v129, off, s[0:3], 0 offset:280
	;; [unrolled: 1-line block ×8, first 2 shown]
	s_waitcnt vmcnt(24) lgkmcnt(0)
	v_fma_f64 v[109:110], v[131:132], v[113:114], v[109:110]
	s_waitcnt vmcnt(19)
	v_fma_f64 v[117:118], v[117:118], v[115:116], v[109:110]
	ds_read2_b64 v[109:112], v108 offset0:79 offset1:80
	ds_read2_b64 v[113:116], v108 offset0:81 offset1:82
	s_waitcnt vmcnt(18) lgkmcnt(1)
	v_fma_f64 v[109:110], v[141:142], v[109:110], v[117:118]
	s_waitcnt vmcnt(17)
	v_fma_f64 v[109:110], v[139:140], v[111:112], v[109:110]
	buffer_load_dword v118, off, s[0:3], 0 offset:292
	buffer_load_dword v131, off, s[0:3], 0 offset:312
	;; [unrolled: 1-line block ×7, first 2 shown]
	s_waitcnt vmcnt(23) lgkmcnt(0)
	v_fma_f64 v[109:110], v[133:134], v[113:114], v[109:110]
	s_waitcnt vmcnt(18)
	v_fma_f64 v[119:120], v[119:120], v[115:116], v[109:110]
	ds_read2_b64 v[109:112], v108 offset0:83 offset1:84
	ds_read2_b64 v[113:116], v108 offset0:85 offset1:86
	buffer_load_dword v132, off, s[0:3], 0 offset:316
	s_waitcnt vmcnt(18) lgkmcnt(1)
	v_fma_f64 v[109:110], v[127:128], v[109:110], v[119:120]
	s_waitcnt vmcnt(17)
	v_fma_f64 v[109:110], v[125:126], v[111:112], v[109:110]
	buffer_load_dword v120, off, s[0:3], 0 offset:324
	buffer_load_dword v125, off, s[0:3], 0 offset:344
	buffer_load_dword v127, off, s[0:3], 0 offset:336
	buffer_load_dword v133, off, s[0:3], 0 offset:328
	buffer_load_dword v119, off, s[0:3], 0 offset:320
	buffer_load_dword v134, off, s[0:3], 0 offset:332
	buffer_load_dword v128, off, s[0:3], 0 offset:340
	buffer_load_dword v126, off, s[0:3], 0 offset:348
	s_waitcnt vmcnt(24) lgkmcnt(0)
	v_fma_f64 v[109:110], v[121:122], v[113:114], v[109:110]
	s_waitcnt vmcnt(19)
	v_fma_f64 v[121:122], v[123:124], v[115:116], v[109:110]
	ds_read2_b64 v[109:112], v108 offset0:87 offset1:88
	ds_read2_b64 v[113:116], v108 offset0:89 offset1:90
	s_waitcnt vmcnt(18) lgkmcnt(1)
	v_fma_f64 v[109:110], v[137:138], v[109:110], v[121:122]
	s_waitcnt vmcnt(17)
	v_fma_f64 v[109:110], v[135:136], v[111:112], v[109:110]
	buffer_load_dword v122, off, s[0:3], 0 offset:356
	buffer_load_dword v123, off, s[0:3], 0 offset:376
	;; [unrolled: 1-line block ×8, first 2 shown]
	s_waitcnt vmcnt(24) lgkmcnt(0)
	v_fma_f64 v[109:110], v[129:130], v[113:114], v[109:110]
	s_waitcnt vmcnt(19)
	v_fma_f64 v[117:118], v[117:118], v[115:116], v[109:110]
	ds_read2_b64 v[109:112], v108 offset0:91 offset1:92
	ds_read2_b64 v[113:116], v108 offset0:93 offset1:94
	s_waitcnt vmcnt(18) lgkmcnt(1)
	v_fma_f64 v[109:110], v[141:142], v[109:110], v[117:118]
	s_waitcnt vmcnt(17)
	v_fma_f64 v[110:111], v[139:140], v[111:112], v[109:110]
	buffer_load_dword v130, off, s[0:3], 0 offset:388
	buffer_load_dword v109, off, s[0:3], 0 offset:408
	;; [unrolled: 1-line block ×7, first 2 shown]
	s_waitcnt vmcnt(23) lgkmcnt(0)
	v_fma_f64 v[110:111], v[131:132], v[113:114], v[110:111]
	s_waitcnt vmcnt(18)
	v_fma_f64 v[119:120], v[119:120], v[115:116], v[110:111]
	ds_read2_b64 v[111:114], v108 offset0:95 offset1:96
	ds_read2_b64 v[115:118], v108 offset0:97 offset1:98
	buffer_load_dword v110, off, s[0:3], 0 offset:412
	s_waitcnt vmcnt(18) lgkmcnt(1)
	v_fma_f64 v[111:112], v[133:134], v[111:112], v[119:120]
	buffer_load_dword v120, off, s[0:3], 0 offset:420
	buffer_load_dword v119, off, s[0:3], 0 offset:416
	s_waitcnt vmcnt(19)
	v_fma_f64 v[111:112], v[127:128], v[113:114], v[111:112]
	buffer_load_dword v127, off, s[0:3], 0
	buffer_load_dword v128, off, s[0:3], 0 offset:4
	s_waitcnt vmcnt(20) lgkmcnt(0)
	v_fma_f64 v[111:112], v[125:126], v[115:116], v[111:112]
	s_waitcnt vmcnt(15)
	v_fma_f64 v[121:122], v[121:122], v[117:118], v[111:112]
	ds_read2_b64 v[111:114], v108 offset0:99 offset1:100
	ds_read2_b64 v[115:118], v108 offset0:101 offset1:102
	s_waitcnt vmcnt(14) lgkmcnt(1)
	v_fma_f64 v[111:112], v[137:138], v[111:112], v[121:122]
	s_waitcnt vmcnt(13)
	v_fma_f64 v[111:112], v[135:136], v[113:114], v[111:112]
	s_waitcnt vmcnt(12) lgkmcnt(0)
	v_fma_f64 v[111:112], v[123:124], v[115:116], v[111:112]
	s_waitcnt vmcnt(7)
	v_fma_f64 v[121:122], v[129:130], v[117:118], v[111:112]
	ds_read2_b64 v[111:114], v108 offset0:103 offset1:104
	ds_read2_b64 v[115:118], v108 offset0:105 offset1:106
	s_waitcnt vmcnt(6) lgkmcnt(1)
	v_fma_f64 v[107:108], v[141:142], v[111:112], v[121:122]
	s_waitcnt vmcnt(5)
	v_fma_f64 v[107:108], v[139:140], v[113:114], v[107:108]
	s_waitcnt vmcnt(4) lgkmcnt(0)
	v_fma_f64 v[107:108], v[109:110], v[115:116], v[107:108]
	s_waitcnt vmcnt(2)
	v_fma_f64 v[107:108], v[119:120], v[117:118], v[107:108]
	s_waitcnt vmcnt(0)
	v_add_f64 v[107:108], v[127:128], -v[107:108]
	buffer_store_dword v108, off, s[0:3], 0 offset:4
	buffer_store_dword v107, off, s[0:3], 0
	s_cbranch_vccz .LBB52_430
; %bb.326:
	v_mov_b32_e32 v0, 0
	global_load_dword v107, v0, s[20:21] offset:204
	s_waitcnt vmcnt(0)
	v_add_u32_e32 v107, -1, v107
	v_cmp_ne_u32_e32 vcc, 51, v107
	s_cbranch_vccz .LBB52_328
; %bb.327:
	v_lshlrev_b32_e32 v107, 3, v107
	buffer_load_dword v108, v107, s[0:3], 0 offen
	buffer_load_dword v111, v107, s[0:3], 0 offen offset:4
	s_waitcnt vmcnt(1)
	buffer_store_dword v108, off, s[0:3], 0 offset:408
	s_waitcnt vmcnt(1)
	buffer_store_dword v111, off, s[0:3], 0 offset:412
	buffer_store_dword v109, v107, s[0:3], 0 offen
	buffer_store_dword v110, v107, s[0:3], 0 offen offset:4
.LBB52_328:
	global_load_dword v0, v0, s[20:21] offset:200
	s_waitcnt vmcnt(0)
	v_add_u32_e32 v0, -1, v0
	v_cmp_eq_u32_e32 vcc, 50, v0
	s_cbranch_vccnz .LBB52_330
; %bb.329:
	v_lshlrev_b32_e32 v0, 3, v0
	buffer_load_dword v107, v0, s[0:3], 0 offen
	buffer_load_dword v108, v0, s[0:3], 0 offen offset:4
	buffer_load_dword v109, off, s[0:3], 0 offset:404
	buffer_load_dword v110, off, s[0:3], 0 offset:400
	s_waitcnt vmcnt(3)
	buffer_store_dword v107, off, s[0:3], 0 offset:400
	s_waitcnt vmcnt(3)
	buffer_store_dword v108, off, s[0:3], 0 offset:404
	s_waitcnt vmcnt(3)
	buffer_store_dword v109, v0, s[0:3], 0 offen offset:4
	s_waitcnt vmcnt(3)
	buffer_store_dword v110, v0, s[0:3], 0 offen
.LBB52_330:
	v_mov_b32_e32 v0, 0
	global_load_dword v107, v0, s[20:21] offset:196
	s_waitcnt vmcnt(0)
	v_add_u32_e32 v107, -1, v107
	v_cmp_eq_u32_e32 vcc, 49, v107
	s_cbranch_vccnz .LBB52_332
; %bb.331:
	v_lshlrev_b32_e32 v107, 3, v107
	buffer_load_dword v108, v107, s[0:3], 0 offen
	buffer_load_dword v109, v107, s[0:3], 0 offen offset:4
	buffer_load_dword v110, off, s[0:3], 0 offset:392
	buffer_load_dword v111, off, s[0:3], 0 offset:396
	s_waitcnt vmcnt(3)
	buffer_store_dword v108, off, s[0:3], 0 offset:392
	s_waitcnt vmcnt(3)
	buffer_store_dword v109, off, s[0:3], 0 offset:396
	s_waitcnt vmcnt(3)
	buffer_store_dword v110, v107, s[0:3], 0 offen
	s_waitcnt vmcnt(3)
	buffer_store_dword v111, v107, s[0:3], 0 offen offset:4
.LBB52_332:
	global_load_dword v0, v0, s[20:21] offset:192
	s_waitcnt vmcnt(0)
	v_add_u32_e32 v0, -1, v0
	v_cmp_eq_u32_e32 vcc, 48, v0
	s_cbranch_vccnz .LBB52_334
; %bb.333:
	v_lshlrev_b32_e32 v0, 3, v0
	buffer_load_dword v107, v0, s[0:3], 0 offen
	buffer_load_dword v108, v0, s[0:3], 0 offen offset:4
	buffer_load_dword v109, off, s[0:3], 0 offset:388
	buffer_load_dword v110, off, s[0:3], 0 offset:384
	s_waitcnt vmcnt(3)
	buffer_store_dword v107, off, s[0:3], 0 offset:384
	s_waitcnt vmcnt(3)
	buffer_store_dword v108, off, s[0:3], 0 offset:388
	s_waitcnt vmcnt(3)
	buffer_store_dword v109, v0, s[0:3], 0 offen offset:4
	s_waitcnt vmcnt(3)
	buffer_store_dword v110, v0, s[0:3], 0 offen
.LBB52_334:
	v_mov_b32_e32 v0, 0
	global_load_dword v107, v0, s[20:21] offset:188
	s_waitcnt vmcnt(0)
	v_add_u32_e32 v107, -1, v107
	v_cmp_eq_u32_e32 vcc, 47, v107
	s_cbranch_vccnz .LBB52_336
; %bb.335:
	v_lshlrev_b32_e32 v107, 3, v107
	buffer_load_dword v108, v107, s[0:3], 0 offen
	buffer_load_dword v109, v107, s[0:3], 0 offen offset:4
	buffer_load_dword v110, off, s[0:3], 0 offset:376
	buffer_load_dword v111, off, s[0:3], 0 offset:380
	s_waitcnt vmcnt(3)
	buffer_store_dword v108, off, s[0:3], 0 offset:376
	s_waitcnt vmcnt(3)
	buffer_store_dword v109, off, s[0:3], 0 offset:380
	s_waitcnt vmcnt(3)
	buffer_store_dword v110, v107, s[0:3], 0 offen
	s_waitcnt vmcnt(3)
	buffer_store_dword v111, v107, s[0:3], 0 offen offset:4
.LBB52_336:
	;; [unrolled: 41-line block ×25, first 2 shown]
	global_load_dword v0, v0, s[20:21]
	s_nop 0
	buffer_load_dword v107, off, s[0:3], 0
	buffer_load_dword v108, off, s[0:3], 0 offset:4
	s_waitcnt vmcnt(2)
	v_add_u32_e32 v0, -1, v0
	v_cmp_eq_u32_e32 vcc, 0, v0
	s_cbranch_vccnz .LBB52_430
; %bb.429:
	v_lshlrev_b32_e32 v0, 3, v0
	buffer_load_dword v109, v0, s[0:3], 0 offen offset:4
	buffer_load_dword v110, v0, s[0:3], 0 offen
	s_waitcnt vmcnt(1)
	buffer_store_dword v109, off, s[0:3], 0 offset:4
	s_waitcnt vmcnt(1)
	buffer_store_dword v110, off, s[0:3], 0
	buffer_store_dword v108, v0, s[0:3], 0 offen offset:4
	buffer_store_dword v107, v0, s[0:3], 0 offen
	buffer_load_dword v107, off, s[0:3], 0
	s_nop 0
	buffer_load_dword v108, off, s[0:3], 0 offset:4
.LBB52_430:
	buffer_load_dword v109, off, s[0:3], 0 offset:8
	buffer_load_dword v110, off, s[0:3], 0 offset:12
	;; [unrolled: 1-line block ×104, first 2 shown]
	s_waitcnt vmcnt(62)
	global_store_dwordx2 v[95:96], v[107:108], off
	global_store_dwordx2 v[99:100], v[109:110], off
	;; [unrolled: 1-line block ×22, first 2 shown]
	s_waitcnt vmcnt(62)
	global_store_dwordx2 v[41:42], v[151:152], off
	global_store_dwordx2 v[43:44], v[153:154], off
	;; [unrolled: 1-line block ×11, first 2 shown]
	s_waitcnt vmcnt(62)
	global_store_dwordx2 v[63:64], v[173:174], off
	global_store_dwordx2 v[65:66], v[175:176], off
	global_store_dwordx2 v[67:68], v[177:178], off
	global_store_dwordx2 v[69:70], v[179:180], off
	global_store_dwordx2 v[71:72], v[181:182], off
	s_waitcnt vmcnt(62)
	global_store_dwordx2 v[73:74], v[183:184], off
	global_store_dwordx2 v[75:76], v[185:186], off
	global_store_dwordx2 v[77:78], v[187:188], off
	s_waitcnt vmcnt(62)
	global_store_dwordx2 v[79:80], v[189:190], off
	s_waitcnt vmcnt(62)
	global_store_dwordx2 v[81:82], v[191:192], off
	;; [unrolled: 2-line block ×12, first 2 shown]
	s_endpgm
	.section	.rodata,"a",@progbits
	.p2align	6, 0x0
	.amdhsa_kernel _ZN9rocsolver6v33100L18getri_kernel_smallILi53EdPdEEvT1_iilPiilS4_bb
		.amdhsa_group_segment_fixed_size 856
		.amdhsa_private_segment_fixed_size 432
		.amdhsa_kernarg_size 60
		.amdhsa_user_sgpr_count 6
		.amdhsa_user_sgpr_private_segment_buffer 1
		.amdhsa_user_sgpr_dispatch_ptr 0
		.amdhsa_user_sgpr_queue_ptr 0
		.amdhsa_user_sgpr_kernarg_segment_ptr 1
		.amdhsa_user_sgpr_dispatch_id 0
		.amdhsa_user_sgpr_flat_scratch_init 0
		.amdhsa_user_sgpr_private_segment_size 0
		.amdhsa_uses_dynamic_stack 0
		.amdhsa_system_sgpr_private_segment_wavefront_offset 1
		.amdhsa_system_sgpr_workgroup_id_x 1
		.amdhsa_system_sgpr_workgroup_id_y 0
		.amdhsa_system_sgpr_workgroup_id_z 0
		.amdhsa_system_sgpr_workgroup_info 0
		.amdhsa_system_vgpr_workitem_id 0
		.amdhsa_next_free_vgpr 213
		.amdhsa_next_free_sgpr 24
		.amdhsa_reserve_vcc 1
		.amdhsa_reserve_flat_scratch 0
		.amdhsa_float_round_mode_32 0
		.amdhsa_float_round_mode_16_64 0
		.amdhsa_float_denorm_mode_32 3
		.amdhsa_float_denorm_mode_16_64 3
		.amdhsa_dx10_clamp 1
		.amdhsa_ieee_mode 1
		.amdhsa_fp16_overflow 0
		.amdhsa_exception_fp_ieee_invalid_op 0
		.amdhsa_exception_fp_denorm_src 0
		.amdhsa_exception_fp_ieee_div_zero 0
		.amdhsa_exception_fp_ieee_overflow 0
		.amdhsa_exception_fp_ieee_underflow 0
		.amdhsa_exception_fp_ieee_inexact 0
		.amdhsa_exception_int_div_zero 0
	.end_amdhsa_kernel
	.section	.text._ZN9rocsolver6v33100L18getri_kernel_smallILi53EdPdEEvT1_iilPiilS4_bb,"axG",@progbits,_ZN9rocsolver6v33100L18getri_kernel_smallILi53EdPdEEvT1_iilPiilS4_bb,comdat
.Lfunc_end52:
	.size	_ZN9rocsolver6v33100L18getri_kernel_smallILi53EdPdEEvT1_iilPiilS4_bb, .Lfunc_end52-_ZN9rocsolver6v33100L18getri_kernel_smallILi53EdPdEEvT1_iilPiilS4_bb
                                        ; -- End function
	.set _ZN9rocsolver6v33100L18getri_kernel_smallILi53EdPdEEvT1_iilPiilS4_bb.num_vgpr, 213
	.set _ZN9rocsolver6v33100L18getri_kernel_smallILi53EdPdEEvT1_iilPiilS4_bb.num_agpr, 0
	.set _ZN9rocsolver6v33100L18getri_kernel_smallILi53EdPdEEvT1_iilPiilS4_bb.numbered_sgpr, 24
	.set _ZN9rocsolver6v33100L18getri_kernel_smallILi53EdPdEEvT1_iilPiilS4_bb.num_named_barrier, 0
	.set _ZN9rocsolver6v33100L18getri_kernel_smallILi53EdPdEEvT1_iilPiilS4_bb.private_seg_size, 432
	.set _ZN9rocsolver6v33100L18getri_kernel_smallILi53EdPdEEvT1_iilPiilS4_bb.uses_vcc, 1
	.set _ZN9rocsolver6v33100L18getri_kernel_smallILi53EdPdEEvT1_iilPiilS4_bb.uses_flat_scratch, 0
	.set _ZN9rocsolver6v33100L18getri_kernel_smallILi53EdPdEEvT1_iilPiilS4_bb.has_dyn_sized_stack, 0
	.set _ZN9rocsolver6v33100L18getri_kernel_smallILi53EdPdEEvT1_iilPiilS4_bb.has_recursion, 0
	.set _ZN9rocsolver6v33100L18getri_kernel_smallILi53EdPdEEvT1_iilPiilS4_bb.has_indirect_call, 0
	.section	.AMDGPU.csdata,"",@progbits
; Kernel info:
; codeLenInByte = 70048
; TotalNumSgprs: 28
; NumVgprs: 213
; ScratchSize: 432
; MemoryBound: 1
; FloatMode: 240
; IeeeMode: 1
; LDSByteSize: 856 bytes/workgroup (compile time only)
; SGPRBlocks: 3
; VGPRBlocks: 53
; NumSGPRsForWavesPerEU: 28
; NumVGPRsForWavesPerEU: 213
; Occupancy: 1
; WaveLimiterHint : 1
; COMPUTE_PGM_RSRC2:SCRATCH_EN: 1
; COMPUTE_PGM_RSRC2:USER_SGPR: 6
; COMPUTE_PGM_RSRC2:TRAP_HANDLER: 0
; COMPUTE_PGM_RSRC2:TGID_X_EN: 1
; COMPUTE_PGM_RSRC2:TGID_Y_EN: 0
; COMPUTE_PGM_RSRC2:TGID_Z_EN: 0
; COMPUTE_PGM_RSRC2:TIDIG_COMP_CNT: 0
	.section	.text._ZN9rocsolver6v33100L18getri_kernel_smallILi54EdPdEEvT1_iilPiilS4_bb,"axG",@progbits,_ZN9rocsolver6v33100L18getri_kernel_smallILi54EdPdEEvT1_iilPiilS4_bb,comdat
	.globl	_ZN9rocsolver6v33100L18getri_kernel_smallILi54EdPdEEvT1_iilPiilS4_bb ; -- Begin function _ZN9rocsolver6v33100L18getri_kernel_smallILi54EdPdEEvT1_iilPiilS4_bb
	.p2align	8
	.type	_ZN9rocsolver6v33100L18getri_kernel_smallILi54EdPdEEvT1_iilPiilS4_bb,@function
_ZN9rocsolver6v33100L18getri_kernel_smallILi54EdPdEEvT1_iilPiilS4_bb: ; @_ZN9rocsolver6v33100L18getri_kernel_smallILi54EdPdEEvT1_iilPiilS4_bb
; %bb.0:
	s_add_u32 s0, s0, s7
	s_addc_u32 s1, s1, 0
	v_cmp_gt_u32_e32 vcc, 54, v0
	s_and_saveexec_b64 s[8:9], vcc
	s_cbranch_execz .LBB53_224
; %bb.1:
	s_load_dword s12, s[4:5], 0x38
	s_load_dwordx4 s[16:19], s[4:5], 0x10
	s_load_dwordx4 s[8:11], s[4:5], 0x28
                                        ; implicit-def: $sgpr20_sgpr21
	s_waitcnt lgkmcnt(0)
	s_bitcmp1_b32 s12, 8
	s_cselect_b64 s[22:23], -1, 0
	s_ashr_i32 s7, s6, 31
	s_bfe_u32 s12, s12, 0x10008
	s_cmp_eq_u32 s12, 0
	s_cbranch_scc1 .LBB53_3
; %bb.2:
	s_load_dword s12, s[4:5], 0x20
	s_mul_i32 s13, s8, s7
	s_mul_hi_u32 s14, s8, s6
	s_mul_i32 s9, s9, s6
	s_add_i32 s14, s14, s13
	s_add_i32 s9, s14, s9
	s_mul_i32 s8, s8, s6
	s_waitcnt lgkmcnt(0)
	s_ashr_i32 s13, s12, 31
	s_lshl_b64 s[8:9], s[8:9], 2
	s_add_u32 s14, s18, s8
	s_addc_u32 s15, s19, s9
	s_lshl_b64 s[8:9], s[12:13], 2
	s_add_u32 s20, s14, s8
	s_addc_u32 s21, s15, s9
.LBB53_3:
	s_load_dwordx4 s[12:15], s[4:5], 0x0
	s_load_dword s8, s[4:5], 0x38
	s_mul_i32 s9, s16, s7
	s_mul_hi_u32 s18, s16, s6
	s_add_i32 s9, s18, s9
	s_waitcnt lgkmcnt(0)
	s_ashr_i32 s5, s14, 31
	s_mov_b32 s4, s14
	s_mul_i32 s14, s17, s6
	s_add_i32 s17, s9, s14
	s_mul_i32 s16, s16, s6
	s_lshl_b64 s[16:17], s[16:17], 3
	s_add_u32 s9, s12, s16
	s_addc_u32 s12, s13, s17
	s_lshl_b64 s[4:5], s[4:5], 3
	s_add_u32 s4, s9, s4
	s_addc_u32 s5, s12, s5
	s_add_i32 s9, s15, s15
	v_add_u32_e32 v3, s9, v0
	v_ashrrev_i32_e32 v4, 31, v3
	v_lshlrev_b64 v[1:2], 3, v[3:4]
	v_add_u32_e32 v5, s15, v3
	v_mov_b32_e32 v4, s5
	v_add_co_u32_e32 v1, vcc, s4, v1
	v_ashrrev_i32_e32 v6, 31, v5
	v_addc_co_u32_e32 v2, vcc, v4, v2, vcc
	v_lshlrev_b64 v[3:4], 3, v[5:6]
	v_add_u32_e32 v7, s15, v5
	v_mov_b32_e32 v6, s5
	v_add_co_u32_e32 v3, vcc, s4, v3
	v_ashrrev_i32_e32 v8, 31, v7
	v_addc_co_u32_e32 v4, vcc, v6, v4, vcc
	;; [unrolled: 6-line block ×8, first 2 shown]
	v_lshlrev_b64 v[17:18], 3, v[19:20]
	v_mov_b32_e32 v21, s5
	v_add_co_u32_e32 v17, vcc, s4, v17
	v_addc_co_u32_e32 v18, vcc, v21, v18, vcc
	v_add_u32_e32 v21, s15, v19
	v_ashrrev_i32_e32 v22, 31, v21
	v_lshlrev_b64 v[19:20], 3, v[21:22]
	v_mov_b32_e32 v23, s5
	v_add_co_u32_e32 v19, vcc, s4, v19
	v_addc_co_u32_e32 v20, vcc, v23, v20, vcc
	v_add_u32_e32 v23, s15, v21
	v_ashrrev_i32_e32 v24, 31, v23
	;; [unrolled: 6-line block ×37, first 2 shown]
	v_lshlrev_b32_e32 v111, 3, v0
	v_lshlrev_b64 v[91:92], 3, v[93:94]
	global_load_dwordx2 v[109:110], v111, s[4:5]
	global_load_dwordx2 v[114:115], v[1:2], off
	v_mov_b32_e32 v94, s5
	v_add_co_u32_e32 v97, vcc, s4, v111
	s_ashr_i32 s13, s15, 31
	s_mov_b32 s12, s15
	v_addc_co_u32_e32 v98, vcc, 0, v94, vcc
	s_lshl_b64 s[12:13], s[12:13], 3
	v_mov_b32_e32 v94, s13
	v_add_co_u32_e32 v101, vcc, s12, v97
	v_addc_co_u32_e32 v102, vcc, v98, v94, vcc
	global_load_dwordx2 v[112:113], v[101:102], off
	global_load_dwordx2 v[116:117], v[3:4], off
	;; [unrolled: 1-line block ×7, first 2 shown]
	v_mov_b32_e32 v95, s5
	v_add_co_u32_e32 v91, vcc, s4, v91
	v_addc_co_u32_e32 v92, vcc, v95, v92, vcc
	v_add_u32_e32 v95, s15, v93
	v_ashrrev_i32_e32 v96, 31, v95
	v_lshlrev_b64 v[93:94], 3, v[95:96]
	v_mov_b32_e32 v99, s5
	v_add_co_u32_e32 v93, vcc, s4, v93
	v_addc_co_u32_e32 v94, vcc, v99, v94, vcc
	v_add_u32_e32 v99, s15, v95
	v_ashrrev_i32_e32 v100, 31, v99
	v_lshlrev_b64 v[95:96], 3, v[99:100]
	v_mov_b32_e32 v103, s5
	v_add_co_u32_e32 v95, vcc, s4, v95
	v_addc_co_u32_e32 v96, vcc, v103, v96, vcc
	v_add_u32_e32 v103, s15, v99
	global_load_dwordx2 v[128:129], v[15:16], off
	global_load_dwordx2 v[130:131], v[17:18], off
	v_ashrrev_i32_e32 v104, 31, v103
	v_lshlrev_b64 v[99:100], 3, v[103:104]
	v_mov_b32_e32 v105, s5
	v_add_co_u32_e32 v99, vcc, s4, v99
	v_addc_co_u32_e32 v100, vcc, v105, v100, vcc
	v_add_u32_e32 v105, s15, v103
	v_ashrrev_i32_e32 v106, 31, v105
	v_lshlrev_b64 v[103:104], 3, v[105:106]
	v_mov_b32_e32 v107, s5
	global_load_dwordx2 v[132:133], v[19:20], off
	global_load_dwordx2 v[134:135], v[21:22], off
	v_add_co_u32_e32 v103, vcc, s4, v103
	v_addc_co_u32_e32 v104, vcc, v107, v104, vcc
	v_add_u32_e32 v107, s15, v105
	v_ashrrev_i32_e32 v108, 31, v107
	v_lshlrev_b64 v[105:106], 3, v[107:108]
	v_mov_b32_e32 v146, s5
	v_add_co_u32_e32 v105, vcc, s4, v105
	global_load_dwordx2 v[136:137], v[23:24], off
	global_load_dwordx2 v[138:139], v[25:26], off
	;; [unrolled: 1-line block ×5, first 2 shown]
	v_addc_co_u32_e32 v106, vcc, v146, v106, vcc
	global_load_dwordx2 v[146:147], v[33:34], off
	global_load_dwordx2 v[148:149], v[35:36], off
	;; [unrolled: 1-line block ×8, first 2 shown]
	v_add_u32_e32 v107, s15, v107
	v_ashrrev_i32_e32 v108, 31, v107
	v_lshlrev_b64 v[107:108], 3, v[107:108]
	v_mov_b32_e32 v162, s5
	v_add_co_u32_e32 v107, vcc, s4, v107
	v_addc_co_u32_e32 v108, vcc, v162, v108, vcc
	global_load_dwordx2 v[162:163], v[49:50], off
	global_load_dwordx2 v[164:165], v[51:52], off
	;; [unrolled: 1-line block ×15, first 2 shown]
	s_bitcmp0_b32 s8, 0
	s_waitcnt vmcnt(40)
	buffer_store_dword v110, off, s[0:3], 0 offset:4
	buffer_store_dword v109, off, s[0:3], 0
	global_load_dwordx2 v[109:110], v[53:54], off
	s_mov_b64 s[8:9], -1
	s_waitcnt vmcnt(41)
	buffer_store_dword v113, off, s[0:3], 0 offset:12
	buffer_store_dword v112, off, s[0:3], 0 offset:8
	global_load_dwordx2 v[112:113], v[57:58], off
	s_nop 0
	buffer_store_dword v115, off, s[0:3], 0 offset:20
	buffer_store_dword v114, off, s[0:3], 0 offset:16
	global_load_dwordx2 v[114:115], v[61:62], off
	s_waitcnt vmcnt(46)
	buffer_store_dword v117, off, s[0:3], 0 offset:28
	buffer_store_dword v116, off, s[0:3], 0 offset:24
	global_load_dwordx2 v[116:117], v[65:66], off
	s_waitcnt vmcnt(48)
	;; [unrolled: 4-line block ×10, first 2 shown]
	buffer_store_dword v134, off, s[0:3], 0 offset:96
	buffer_store_dword v135, off, s[0:3], 0 offset:100
	global_load_dwordx2 v[134:135], v[105:106], off
	s_nop 0
	buffer_store_dword v136, off, s[0:3], 0 offset:104
	buffer_store_dword v137, off, s[0:3], 0 offset:108
	;; [unrolled: 1-line block ×4, first 2 shown]
	s_waitcnt vmcnt(62)
	buffer_store_dword v140, off, s[0:3], 0 offset:120
	buffer_store_dword v141, off, s[0:3], 0 offset:124
	;; [unrolled: 1-line block ×14, first 2 shown]
	s_waitcnt vmcnt(62)
	buffer_store_dword v154, off, s[0:3], 0 offset:176
	buffer_store_dword v155, off, s[0:3], 0 offset:180
	;; [unrolled: 1-line block ×12, first 2 shown]
	s_waitcnt vmcnt(62)
	buffer_store_dword v109, off, s[0:3], 0 offset:224
	buffer_store_dword v110, off, s[0:3], 0 offset:228
	buffer_store_dword v166, off, s[0:3], 0 offset:232
	buffer_store_dword v167, off, s[0:3], 0 offset:236
	buffer_store_dword v112, off, s[0:3], 0 offset:240
	buffer_store_dword v113, off, s[0:3], 0 offset:244
	buffer_store_dword v169, off, s[0:3], 0 offset:252
	buffer_store_dword v168, off, s[0:3], 0 offset:248
	s_waitcnt vmcnt(62)
	buffer_store_dword v115, off, s[0:3], 0 offset:260
	buffer_store_dword v114, off, s[0:3], 0 offset:256
	;; [unrolled: 1-line block ×12, first 2 shown]
	s_waitcnt vmcnt(62)
	buffer_store_dword v121, off, s[0:3], 0 offset:308
	buffer_store_dword v120, off, s[0:3], 0 offset:304
	;; [unrolled: 1-line block ×16, first 2 shown]
	s_waitcnt vmcnt(62)
	buffer_store_dword v128, off, s[0:3], 0 offset:368
	buffer_store_dword v129, off, s[0:3], 0 offset:372
	buffer_store_dword v184, off, s[0:3], 0 offset:376
	buffer_store_dword v185, off, s[0:3], 0 offset:380
	buffer_store_dword v130, off, s[0:3], 0 offset:384
	buffer_store_dword v131, off, s[0:3], 0 offset:388
	buffer_store_dword v187, off, s[0:3], 0 offset:396
	buffer_store_dword v186, off, s[0:3], 0 offset:392
	buffer_store_dword v133, off, s[0:3], 0 offset:404
	buffer_store_dword v132, off, s[0:3], 0 offset:400
	buffer_store_dword v188, off, s[0:3], 0 offset:408
	buffer_store_dword v189, off, s[0:3], 0 offset:412
	buffer_store_dword v134, off, s[0:3], 0 offset:416
	buffer_store_dword v135, off, s[0:3], 0 offset:420
	buffer_store_dword v190, off, s[0:3], 0 offset:424
	buffer_store_dword v191, off, s[0:3], 0 offset:428
	s_cbranch_scc1 .LBB53_222
; %bb.4:
	v_cmp_eq_u32_e64 s[4:5], 0, v0
	s_and_saveexec_b64 s[8:9], s[4:5]
; %bb.5:
	v_mov_b32_e32 v109, 0
	ds_write_b32 v109, v109 offset:864
; %bb.6:
	s_or_b64 exec, exec, s[8:9]
	v_mov_b32_e32 v109, 0
	v_lshl_add_u32 v109, v0, 3, v109
	s_waitcnt lgkmcnt(0)
	; wave barrier
	buffer_load_dword v112, v109, s[0:3], 0 offen
	buffer_load_dword v113, v109, s[0:3], 0 offen offset:4
	s_waitcnt vmcnt(0)
	v_cmp_eq_f64_e32 vcc, 0, v[112:113]
	s_and_saveexec_b64 s[12:13], vcc
	s_cbranch_execz .LBB53_10
; %bb.7:
	v_mov_b32_e32 v110, 0
	ds_read_b32 v113, v110 offset:864
	v_add_u32_e32 v112, 1, v0
	s_waitcnt lgkmcnt(0)
	v_readfirstlane_b32 s8, v113
	s_cmp_eq_u32 s8, 0
	s_cselect_b64 s[14:15], -1, 0
	v_cmp_gt_i32_e32 vcc, s8, v112
	s_or_b64 s[14:15], s[14:15], vcc
	s_and_b64 exec, exec, s[14:15]
	s_cbranch_execz .LBB53_10
; %bb.8:
	s_mov_b64 s[14:15], 0
	v_mov_b32_e32 v113, s8
.LBB53_9:                               ; =>This Inner Loop Header: Depth=1
	ds_cmpst_rtn_b32 v113, v110, v113, v112 offset:864
	s_waitcnt lgkmcnt(0)
	v_cmp_ne_u32_e32 vcc, 0, v113
	v_cmp_le_i32_e64 s[8:9], v113, v112
	s_and_b64 s[8:9], vcc, s[8:9]
	s_and_b64 s[8:9], exec, s[8:9]
	s_or_b64 s[14:15], s[8:9], s[14:15]
	s_andn2_b64 exec, exec, s[14:15]
	s_cbranch_execnz .LBB53_9
.LBB53_10:
	s_or_b64 exec, exec, s[12:13]
	v_mov_b32_e32 v112, 0
	; wave barrier
	ds_read_b32 v110, v112 offset:864
	s_and_saveexec_b64 s[8:9], s[4:5]
	s_cbranch_execz .LBB53_12
; %bb.11:
	s_lshl_b64 s[12:13], s[6:7], 2
	s_add_u32 s12, s10, s12
	s_addc_u32 s13, s11, s13
	s_waitcnt lgkmcnt(0)
	global_store_dword v112, v110, s[12:13]
.LBB53_12:
	s_or_b64 exec, exec, s[8:9]
	s_waitcnt lgkmcnt(0)
	v_cmp_ne_u32_e32 vcc, 0, v110
	s_mov_b64 s[8:9], 0
	s_cbranch_vccnz .LBB53_222
; %bb.13:
	buffer_load_dword v112, v109, s[0:3], 0 offen
	buffer_load_dword v113, v109, s[0:3], 0 offen offset:4
	s_waitcnt vmcnt(0)
	v_div_scale_f64 v[114:115], s[8:9], v[112:113], v[112:113], 1.0
	v_rcp_f64_e32 v[116:117], v[114:115]
	v_fma_f64 v[118:119], -v[114:115], v[116:117], 1.0
	v_fma_f64 v[116:117], v[116:117], v[118:119], v[116:117]
	v_div_scale_f64 v[118:119], vcc, 1.0, v[112:113], 1.0
	v_fma_f64 v[120:121], -v[114:115], v[116:117], 1.0
	v_fma_f64 v[116:117], v[116:117], v[120:121], v[116:117]
	v_mul_f64 v[120:121], v[118:119], v[116:117]
	v_fma_f64 v[114:115], -v[114:115], v[120:121], v[118:119]
	v_div_fmas_f64 v[114:115], v[114:115], v[116:117], v[120:121]
	v_div_fixup_f64 v[113:114], v[114:115], v[112:113], 1.0
	v_add_u32_e32 v112, 0x1b0, v111
	buffer_store_dword v114, v109, s[0:3], 0 offen offset:4
	buffer_store_dword v113, v109, s[0:3], 0 offen
	buffer_load_dword v116, off, s[0:3], 0 offset:12
	buffer_load_dword v115, off, s[0:3], 0 offset:8
	v_xor_b32_e32 v114, 0x80000000, v114
	s_waitcnt vmcnt(0)
	ds_write2_b64 v111, v[113:114], v[115:116] offset1:54
	s_waitcnt lgkmcnt(0)
	; wave barrier
	s_and_saveexec_b64 s[8:9], s[4:5]
	s_cbranch_execz .LBB53_15
; %bb.14:
	buffer_load_dword v113, v109, s[0:3], 0 offen
	buffer_load_dword v114, v109, s[0:3], 0 offen offset:4
	ds_read_b64 v[115:116], v112
	v_mov_b32_e32 v110, 0
	ds_read_b64 v[117:118], v110 offset:8
	s_waitcnt vmcnt(0) lgkmcnt(1)
	v_fma_f64 v[113:114], v[113:114], v[115:116], 0
	s_waitcnt lgkmcnt(0)
	v_mul_f64 v[113:114], v[113:114], v[117:118]
	buffer_store_dword v113, off, s[0:3], 0 offset:8
	buffer_store_dword v114, off, s[0:3], 0 offset:12
.LBB53_15:
	s_or_b64 exec, exec, s[8:9]
	; wave barrier
	buffer_load_dword v113, off, s[0:3], 0 offset:16
	buffer_load_dword v114, off, s[0:3], 0 offset:20
	v_cmp_gt_u32_e32 vcc, 2, v0
	s_waitcnt vmcnt(0)
	ds_write_b64 v112, v[113:114]
	s_waitcnt lgkmcnt(0)
	; wave barrier
	s_and_saveexec_b64 s[8:9], vcc
	s_cbranch_execz .LBB53_17
; %bb.16:
	buffer_load_dword v113, v109, s[0:3], 0 offen
	buffer_load_dword v114, v109, s[0:3], 0 offen offset:4
                                        ; kill: killed $vgpr109
	s_nop 0
	buffer_load_dword v109, off, s[0:3], 0 offset:8
	buffer_load_dword v110, off, s[0:3], 0 offset:12
	ds_read_b64 v[115:116], v112
	s_waitcnt vmcnt(2) lgkmcnt(0)
	v_fma_f64 v[117:118], v[113:114], v[115:116], 0
	v_mov_b32_e32 v113, 0
	ds_read2_b64 v[113:116], v113 offset0:2 offset1:55
	s_waitcnt vmcnt(0) lgkmcnt(0)
	v_fma_f64 v[109:110], v[109:110], v[115:116], v[117:118]
	v_cndmask_b32_e64 v110, v118, v110, s[4:5]
	v_cndmask_b32_e64 v109, v117, v109, s[4:5]
	v_mul_f64 v[109:110], v[109:110], v[113:114]
	buffer_store_dword v110, off, s[0:3], 0 offset:20
	buffer_store_dword v109, off, s[0:3], 0 offset:16
.LBB53_17:
	s_or_b64 exec, exec, s[8:9]
	; wave barrier
	buffer_load_dword v109, off, s[0:3], 0 offset:24
	buffer_load_dword v110, off, s[0:3], 0 offset:28
	v_cmp_gt_u32_e32 vcc, 3, v0
	v_add_u32_e32 v113, -1, v0
	s_waitcnt vmcnt(0)
	ds_write_b64 v112, v[109:110]
	s_waitcnt lgkmcnt(0)
	; wave barrier
	s_and_saveexec_b64 s[4:5], vcc
	s_cbranch_execz .LBB53_21
; %bb.18:
	v_mov_b32_e32 v109, 0
	v_add_u32_e32 v114, -1, v0
	v_add_u32_e32 v115, 0x1b0, v111
	v_mov_b32_e32 v116, v111
	v_mov_b32_e32 v110, 0
	s_mov_b64 s[8:9], 0
.LBB53_19:                              ; =>This Inner Loop Header: Depth=1
	buffer_load_dword v117, v116, s[0:3], 0 offen
	buffer_load_dword v118, v116, s[0:3], 0 offen offset:4
	ds_read_b64 v[119:120], v115
	v_add_u32_e32 v114, 1, v114
	v_cmp_lt_u32_e32 vcc, 1, v114
	v_add_u32_e32 v115, 8, v115
	s_or_b64 s[8:9], vcc, s[8:9]
	v_add_u32_e32 v116, 8, v116
	s_waitcnt vmcnt(0) lgkmcnt(0)
	v_fma_f64 v[109:110], v[117:118], v[119:120], v[109:110]
	s_andn2_b64 exec, exec, s[8:9]
	s_cbranch_execnz .LBB53_19
; %bb.20:
	s_or_b64 exec, exec, s[8:9]
	v_mov_b32_e32 v114, 0
	ds_read_b64 v[114:115], v114 offset:24
	s_waitcnt lgkmcnt(0)
	v_mul_f64 v[109:110], v[109:110], v[114:115]
	buffer_store_dword v110, off, s[0:3], 0 offset:28
	buffer_store_dword v109, off, s[0:3], 0 offset:24
.LBB53_21:
	s_or_b64 exec, exec, s[4:5]
	; wave barrier
	buffer_load_dword v109, off, s[0:3], 0 offset:32
	buffer_load_dword v110, off, s[0:3], 0 offset:36
	v_cmp_gt_u32_e32 vcc, 4, v0
	s_waitcnt vmcnt(0)
	ds_write_b64 v112, v[109:110]
	s_waitcnt lgkmcnt(0)
	; wave barrier
	s_and_saveexec_b64 s[4:5], vcc
	s_cbranch_execz .LBB53_25
; %bb.22:
	v_mov_b32_e32 v109, 0
	v_add_u32_e32 v114, -1, v0
	v_add_u32_e32 v115, 0x1b0, v111
	v_mov_b32_e32 v116, v111
	v_mov_b32_e32 v110, 0
	s_mov_b64 s[8:9], 0
.LBB53_23:                              ; =>This Inner Loop Header: Depth=1
	buffer_load_dword v117, v116, s[0:3], 0 offen
	buffer_load_dword v118, v116, s[0:3], 0 offen offset:4
	ds_read_b64 v[119:120], v115
	v_add_u32_e32 v114, 1, v114
	v_cmp_lt_u32_e32 vcc, 2, v114
	v_add_u32_e32 v115, 8, v115
	s_or_b64 s[8:9], vcc, s[8:9]
	v_add_u32_e32 v116, 8, v116
	s_waitcnt vmcnt(0) lgkmcnt(0)
	v_fma_f64 v[109:110], v[117:118], v[119:120], v[109:110]
	s_andn2_b64 exec, exec, s[8:9]
	s_cbranch_execnz .LBB53_23
; %bb.24:
	s_or_b64 exec, exec, s[8:9]
	v_mov_b32_e32 v114, 0
	ds_read_b64 v[114:115], v114 offset:32
	s_waitcnt lgkmcnt(0)
	v_mul_f64 v[109:110], v[109:110], v[114:115]
	buffer_store_dword v110, off, s[0:3], 0 offset:36
	buffer_store_dword v109, off, s[0:3], 0 offset:32
.LBB53_25:
	s_or_b64 exec, exec, s[4:5]
	; wave barrier
	buffer_load_dword v109, off, s[0:3], 0 offset:40
	buffer_load_dword v110, off, s[0:3], 0 offset:44
	v_cmp_gt_u32_e32 vcc, 5, v0
	;; [unrolled: 40-line block ×21, first 2 shown]
	s_waitcnt vmcnt(0)
	ds_write_b64 v112, v[109:110]
	s_waitcnt lgkmcnt(0)
	; wave barrier
	s_and_saveexec_b64 s[4:5], vcc
	s_cbranch_execz .LBB53_105
; %bb.102:
	v_mov_b32_e32 v109, 0
	v_add_u32_e32 v114, -1, v0
	v_add_u32_e32 v115, 0x1b0, v111
	v_mov_b32_e32 v116, v111
	v_mov_b32_e32 v110, 0
	s_mov_b64 s[8:9], 0
.LBB53_103:                             ; =>This Inner Loop Header: Depth=1
	buffer_load_dword v117, v116, s[0:3], 0 offen
	buffer_load_dword v118, v116, s[0:3], 0 offen offset:4
	ds_read_b64 v[119:120], v115
	v_add_u32_e32 v114, 1, v114
	v_cmp_lt_u32_e32 vcc, 22, v114
	v_add_u32_e32 v115, 8, v115
	s_or_b64 s[8:9], vcc, s[8:9]
	v_add_u32_e32 v116, 8, v116
	s_waitcnt vmcnt(0) lgkmcnt(0)
	v_fma_f64 v[109:110], v[117:118], v[119:120], v[109:110]
	s_andn2_b64 exec, exec, s[8:9]
	s_cbranch_execnz .LBB53_103
; %bb.104:
	s_or_b64 exec, exec, s[8:9]
	v_mov_b32_e32 v114, 0
	ds_read_b64 v[114:115], v114 offset:192
	s_waitcnt lgkmcnt(0)
	v_mul_f64 v[109:110], v[109:110], v[114:115]
	buffer_store_dword v110, off, s[0:3], 0 offset:196
	buffer_store_dword v109, off, s[0:3], 0 offset:192
.LBB53_105:
	s_or_b64 exec, exec, s[4:5]
	; wave barrier
	buffer_load_dword v109, off, s[0:3], 0 offset:200
	buffer_load_dword v110, off, s[0:3], 0 offset:204
	v_cmp_gt_u32_e32 vcc, 25, v0
	s_waitcnt vmcnt(0)
	ds_write_b64 v112, v[109:110]
	s_waitcnt lgkmcnt(0)
	; wave barrier
	s_and_saveexec_b64 s[4:5], vcc
	s_cbranch_execz .LBB53_109
; %bb.106:
	v_mov_b32_e32 v109, 0
	v_add_u32_e32 v114, -1, v0
	v_add_u32_e32 v115, 0x1b0, v111
	v_mov_b32_e32 v116, v111
	v_mov_b32_e32 v110, 0
	s_mov_b64 s[8:9], 0
.LBB53_107:                             ; =>This Inner Loop Header: Depth=1
	buffer_load_dword v117, v116, s[0:3], 0 offen
	buffer_load_dword v118, v116, s[0:3], 0 offen offset:4
	ds_read_b64 v[119:120], v115
	v_add_u32_e32 v114, 1, v114
	v_cmp_lt_u32_e32 vcc, 23, v114
	v_add_u32_e32 v115, 8, v115
	s_or_b64 s[8:9], vcc, s[8:9]
	v_add_u32_e32 v116, 8, v116
	s_waitcnt vmcnt(0) lgkmcnt(0)
	v_fma_f64 v[109:110], v[117:118], v[119:120], v[109:110]
	s_andn2_b64 exec, exec, s[8:9]
	s_cbranch_execnz .LBB53_107
; %bb.108:
	s_or_b64 exec, exec, s[8:9]
	v_mov_b32_e32 v114, 0
	ds_read_b64 v[114:115], v114 offset:200
	s_waitcnt lgkmcnt(0)
	v_mul_f64 v[109:110], v[109:110], v[114:115]
	buffer_store_dword v110, off, s[0:3], 0 offset:204
	buffer_store_dword v109, off, s[0:3], 0 offset:200
.LBB53_109:
	s_or_b64 exec, exec, s[4:5]
	; wave barrier
	buffer_load_dword v109, off, s[0:3], 0 offset:208
	buffer_load_dword v110, off, s[0:3], 0 offset:212
	v_cmp_gt_u32_e32 vcc, 26, v0
	;; [unrolled: 40-line block ×28, first 2 shown]
	s_waitcnt vmcnt(0)
	ds_write_b64 v112, v[109:110]
	s_waitcnt lgkmcnt(0)
	; wave barrier
	s_and_saveexec_b64 s[4:5], vcc
	s_cbranch_execz .LBB53_217
; %bb.214:
	v_mov_b32_e32 v109, 0
	v_add_u32_e32 v114, -1, v0
	v_add_u32_e32 v115, 0x1b0, v111
	v_mov_b32_e32 v116, v111
	v_mov_b32_e32 v110, 0
	s_mov_b64 s[8:9], 0
.LBB53_215:                             ; =>This Inner Loop Header: Depth=1
	buffer_load_dword v117, v116, s[0:3], 0 offen
	buffer_load_dword v118, v116, s[0:3], 0 offen offset:4
	ds_read_b64 v[119:120], v115
	v_add_u32_e32 v114, 1, v114
	v_cmp_lt_u32_e32 vcc, 50, v114
	v_add_u32_e32 v115, 8, v115
	s_or_b64 s[8:9], vcc, s[8:9]
	v_add_u32_e32 v116, 8, v116
	s_waitcnt vmcnt(0) lgkmcnt(0)
	v_fma_f64 v[109:110], v[117:118], v[119:120], v[109:110]
	s_andn2_b64 exec, exec, s[8:9]
	s_cbranch_execnz .LBB53_215
; %bb.216:
	s_or_b64 exec, exec, s[8:9]
	v_mov_b32_e32 v114, 0
	ds_read_b64 v[114:115], v114 offset:416
	s_waitcnt lgkmcnt(0)
	v_mul_f64 v[109:110], v[109:110], v[114:115]
	buffer_store_dword v110, off, s[0:3], 0 offset:420
	buffer_store_dword v109, off, s[0:3], 0 offset:416
.LBB53_217:
	s_or_b64 exec, exec, s[4:5]
	; wave barrier
	buffer_load_dword v109, off, s[0:3], 0 offset:424
	buffer_load_dword v110, off, s[0:3], 0 offset:428
	v_cmp_ne_u32_e32 vcc, 53, v0
	s_waitcnt vmcnt(0)
	ds_write_b64 v112, v[109:110]
	s_waitcnt lgkmcnt(0)
	; wave barrier
	s_and_saveexec_b64 s[4:5], vcc
	s_cbranch_execz .LBB53_221
; %bb.218:
	v_mov_b32_e32 v109, 0
	v_add_u32_e32 v112, 0x1b0, v111
	v_mov_b32_e32 v110, 0
	s_mov_b64 s[8:9], 0
.LBB53_219:                             ; =>This Inner Loop Header: Depth=1
	buffer_load_dword v114, v111, s[0:3], 0 offen
	buffer_load_dword v115, v111, s[0:3], 0 offen offset:4
	ds_read_b64 v[116:117], v112
	v_add_u32_e32 v113, 1, v113
	v_cmp_lt_u32_e32 vcc, 51, v113
	v_add_u32_e32 v112, 8, v112
	s_or_b64 s[8:9], vcc, s[8:9]
	v_add_u32_e32 v111, 8, v111
	s_waitcnt vmcnt(0) lgkmcnt(0)
	v_fma_f64 v[109:110], v[114:115], v[116:117], v[109:110]
	s_andn2_b64 exec, exec, s[8:9]
	s_cbranch_execnz .LBB53_219
; %bb.220:
	s_or_b64 exec, exec, s[8:9]
	v_mov_b32_e32 v111, 0
	ds_read_b64 v[111:112], v111 offset:424
	s_waitcnt lgkmcnt(0)
	v_mul_f64 v[109:110], v[109:110], v[111:112]
	buffer_store_dword v110, off, s[0:3], 0 offset:428
	buffer_store_dword v109, off, s[0:3], 0 offset:424
.LBB53_221:
	s_or_b64 exec, exec, s[4:5]
	s_mov_b64 s[8:9], -1
	; wave barrier
.LBB53_222:
	s_and_b64 vcc, exec, s[8:9]
	s_cbranch_vccz .LBB53_224
; %bb.223:
	s_lshl_b64 s[4:5], s[6:7], 2
	s_add_u32 s4, s10, s4
	s_addc_u32 s5, s11, s5
	v_mov_b32_e32 v109, 0
	global_load_dword v109, v109, s[4:5]
	s_waitcnt vmcnt(0)
	v_cmp_ne_u32_e32 vcc, 0, v109
	s_cbranch_vccz .LBB53_225
.LBB53_224:
	s_endpgm
.LBB53_225:
	v_mov_b32_e32 v109, 0x1b0
	v_lshl_add_u32 v109, v0, 3, v109
	v_cmp_eq_u32_e32 vcc, 53, v0
	s_and_saveexec_b64 s[4:5], vcc
	s_cbranch_execz .LBB53_227
; %bb.226:
	buffer_load_dword v110, off, s[0:3], 0 offset:416
	buffer_load_dword v111, off, s[0:3], 0 offset:420
	v_mov_b32_e32 v112, 0
	buffer_store_dword v112, off, s[0:3], 0 offset:416
	buffer_store_dword v112, off, s[0:3], 0 offset:420
	s_waitcnt vmcnt(2)
	ds_write_b64 v109, v[110:111]
.LBB53_227:
	s_or_b64 exec, exec, s[4:5]
	s_waitcnt lgkmcnt(0)
	; wave barrier
	buffer_load_dword v111, off, s[0:3], 0 offset:424
	buffer_load_dword v112, off, s[0:3], 0 offset:428
	;; [unrolled: 1-line block ×4, first 2 shown]
	v_mov_b32_e32 v110, 0
	ds_read_b64 v[115:116], v110 offset:856
	v_cmp_lt_u32_e32 vcc, 51, v0
	s_waitcnt vmcnt(2) lgkmcnt(0)
	v_fma_f64 v[111:112], v[111:112], v[115:116], 0
	s_waitcnt vmcnt(0)
	v_add_f64 v[111:112], v[113:114], -v[111:112]
	buffer_store_dword v111, off, s[0:3], 0 offset:416
	buffer_store_dword v112, off, s[0:3], 0 offset:420
	s_and_saveexec_b64 s[4:5], vcc
	s_cbranch_execz .LBB53_229
; %bb.228:
	buffer_load_dword v111, off, s[0:3], 0 offset:408
	buffer_load_dword v112, off, s[0:3], 0 offset:412
	s_waitcnt vmcnt(0)
	ds_write_b64 v109, v[111:112]
	buffer_store_dword v110, off, s[0:3], 0 offset:408
	buffer_store_dword v110, off, s[0:3], 0 offset:412
.LBB53_229:
	s_or_b64 exec, exec, s[4:5]
	s_waitcnt lgkmcnt(0)
	; wave barrier
	buffer_load_dword v114, off, s[0:3], 0 offset:416
	buffer_load_dword v115, off, s[0:3], 0 offset:420
	;; [unrolled: 1-line block ×6, first 2 shown]
	ds_read_b128 v[110:113], v110 offset:848
	v_cmp_lt_u32_e32 vcc, 50, v0
	s_waitcnt vmcnt(4) lgkmcnt(0)
	v_fma_f64 v[110:111], v[114:115], v[110:111], 0
	s_waitcnt vmcnt(2)
	v_fma_f64 v[110:111], v[116:117], v[112:113], v[110:111]
	s_waitcnt vmcnt(0)
	v_add_f64 v[110:111], v[118:119], -v[110:111]
	buffer_store_dword v110, off, s[0:3], 0 offset:408
	buffer_store_dword v111, off, s[0:3], 0 offset:412
	s_and_saveexec_b64 s[4:5], vcc
	s_cbranch_execz .LBB53_231
; %bb.230:
	buffer_load_dword v110, off, s[0:3], 0 offset:400
	buffer_load_dword v111, off, s[0:3], 0 offset:404
	v_mov_b32_e32 v112, 0
	buffer_store_dword v112, off, s[0:3], 0 offset:400
	buffer_store_dword v112, off, s[0:3], 0 offset:404
	s_waitcnt vmcnt(2)
	ds_write_b64 v109, v[110:111]
.LBB53_231:
	s_or_b64 exec, exec, s[4:5]
	s_waitcnt lgkmcnt(0)
	; wave barrier
	buffer_load_dword v115, off, s[0:3], 0 offset:408
	buffer_load_dword v116, off, s[0:3], 0 offset:412
	;; [unrolled: 1-line block ×8, first 2 shown]
	v_mov_b32_e32 v110, 0
	ds_read2_b64 v[111:114], v110 offset0:105 offset1:106
	ds_read_b64 v[123:124], v110 offset:856
	v_cmp_lt_u32_e32 vcc, 49, v0
	s_waitcnt vmcnt(6) lgkmcnt(1)
	v_fma_f64 v[111:112], v[115:116], v[111:112], 0
	s_waitcnt vmcnt(4)
	v_fma_f64 v[111:112], v[117:118], v[113:114], v[111:112]
	s_waitcnt vmcnt(2) lgkmcnt(0)
	v_fma_f64 v[111:112], v[119:120], v[123:124], v[111:112]
	s_waitcnt vmcnt(0)
	v_add_f64 v[111:112], v[121:122], -v[111:112]
	buffer_store_dword v111, off, s[0:3], 0 offset:400
	buffer_store_dword v112, off, s[0:3], 0 offset:404
	s_and_saveexec_b64 s[4:5], vcc
	s_cbranch_execz .LBB53_233
; %bb.232:
	buffer_load_dword v111, off, s[0:3], 0 offset:392
	buffer_load_dword v112, off, s[0:3], 0 offset:396
	s_waitcnt vmcnt(0)
	ds_write_b64 v109, v[111:112]
	buffer_store_dword v110, off, s[0:3], 0 offset:392
	buffer_store_dword v110, off, s[0:3], 0 offset:396
.LBB53_233:
	s_or_b64 exec, exec, s[4:5]
	s_waitcnt lgkmcnt(0)
	; wave barrier
	buffer_load_dword v115, off, s[0:3], 0 offset:400
	buffer_load_dword v116, off, s[0:3], 0 offset:404
	;; [unrolled: 1-line block ×10, first 2 shown]
	ds_read_b128 v[111:114], v110 offset:832
	v_cmp_lt_u32_e32 vcc, 48, v0
	s_waitcnt vmcnt(8) lgkmcnt(0)
	v_fma_f64 v[111:112], v[115:116], v[111:112], 0
	s_waitcnt vmcnt(6)
	v_fma_f64 v[114:115], v[117:118], v[113:114], v[111:112]
	ds_read_b128 v[110:113], v110 offset:848
	s_waitcnt vmcnt(4) lgkmcnt(0)
	v_fma_f64 v[110:111], v[119:120], v[110:111], v[114:115]
	s_waitcnt vmcnt(2)
	v_fma_f64 v[110:111], v[121:122], v[112:113], v[110:111]
	s_waitcnt vmcnt(0)
	v_add_f64 v[110:111], v[123:124], -v[110:111]
	buffer_store_dword v110, off, s[0:3], 0 offset:392
	buffer_store_dword v111, off, s[0:3], 0 offset:396
	s_and_saveexec_b64 s[4:5], vcc
	s_cbranch_execz .LBB53_235
; %bb.234:
	buffer_load_dword v110, off, s[0:3], 0 offset:384
	buffer_load_dword v111, off, s[0:3], 0 offset:388
	v_mov_b32_e32 v112, 0
	buffer_store_dword v112, off, s[0:3], 0 offset:384
	buffer_store_dword v112, off, s[0:3], 0 offset:388
	s_waitcnt vmcnt(2)
	ds_write_b64 v109, v[110:111]
.LBB53_235:
	s_or_b64 exec, exec, s[4:5]
	s_waitcnt lgkmcnt(0)
	; wave barrier
	buffer_load_dword v115, off, s[0:3], 0 offset:392
	buffer_load_dword v116, off, s[0:3], 0 offset:396
	buffer_load_dword v117, off, s[0:3], 0 offset:400
	buffer_load_dword v118, off, s[0:3], 0 offset:404
	buffer_load_dword v119, off, s[0:3], 0 offset:408
	buffer_load_dword v120, off, s[0:3], 0 offset:412
	buffer_load_dword v121, off, s[0:3], 0 offset:416
	buffer_load_dword v122, off, s[0:3], 0 offset:420
	buffer_load_dword v123, off, s[0:3], 0 offset:424
	buffer_load_dword v124, off, s[0:3], 0 offset:428
	buffer_load_dword v125, off, s[0:3], 0 offset:384
	buffer_load_dword v126, off, s[0:3], 0 offset:388
	v_mov_b32_e32 v110, 0
	ds_read2_b64 v[111:114], v110 offset0:103 offset1:104
	v_cmp_lt_u32_e32 vcc, 47, v0
	s_waitcnt vmcnt(10) lgkmcnt(0)
	v_fma_f64 v[111:112], v[115:116], v[111:112], 0
	s_waitcnt vmcnt(8)
	v_fma_f64 v[115:116], v[117:118], v[113:114], v[111:112]
	ds_read2_b64 v[111:114], v110 offset0:105 offset1:106
	s_waitcnt vmcnt(6) lgkmcnt(0)
	v_fma_f64 v[111:112], v[119:120], v[111:112], v[115:116]
	s_waitcnt vmcnt(4)
	v_fma_f64 v[111:112], v[121:122], v[113:114], v[111:112]
	ds_read_b64 v[113:114], v110 offset:856
	s_waitcnt vmcnt(2) lgkmcnt(0)
	v_fma_f64 v[111:112], v[123:124], v[113:114], v[111:112]
	s_waitcnt vmcnt(0)
	v_add_f64 v[111:112], v[125:126], -v[111:112]
	buffer_store_dword v111, off, s[0:3], 0 offset:384
	buffer_store_dword v112, off, s[0:3], 0 offset:388
	s_and_saveexec_b64 s[4:5], vcc
	s_cbranch_execz .LBB53_237
; %bb.236:
	buffer_load_dword v111, off, s[0:3], 0 offset:376
	buffer_load_dword v112, off, s[0:3], 0 offset:380
	s_waitcnt vmcnt(0)
	ds_write_b64 v109, v[111:112]
	buffer_store_dword v110, off, s[0:3], 0 offset:376
	buffer_store_dword v110, off, s[0:3], 0 offset:380
.LBB53_237:
	s_or_b64 exec, exec, s[4:5]
	s_waitcnt lgkmcnt(0)
	; wave barrier
	buffer_load_dword v119, off, s[0:3], 0 offset:384
	buffer_load_dword v120, off, s[0:3], 0 offset:388
	;; [unrolled: 1-line block ×14, first 2 shown]
	ds_read_b128 v[111:114], v110 offset:816
	ds_read_b128 v[115:118], v110 offset:832
	v_cmp_lt_u32_e32 vcc, 46, v0
	s_waitcnt vmcnt(12) lgkmcnt(1)
	v_fma_f64 v[111:112], v[119:120], v[111:112], 0
	s_waitcnt vmcnt(10)
	v_fma_f64 v[111:112], v[121:122], v[113:114], v[111:112]
	s_waitcnt vmcnt(8) lgkmcnt(0)
	v_fma_f64 v[111:112], v[123:124], v[115:116], v[111:112]
	s_waitcnt vmcnt(6)
	v_fma_f64 v[114:115], v[125:126], v[117:118], v[111:112]
	ds_read_b128 v[110:113], v110 offset:848
	s_waitcnt vmcnt(4) lgkmcnt(0)
	v_fma_f64 v[110:111], v[127:128], v[110:111], v[114:115]
	s_waitcnt vmcnt(2)
	v_fma_f64 v[110:111], v[129:130], v[112:113], v[110:111]
	s_waitcnt vmcnt(0)
	v_add_f64 v[110:111], v[131:132], -v[110:111]
	buffer_store_dword v110, off, s[0:3], 0 offset:376
	buffer_store_dword v111, off, s[0:3], 0 offset:380
	s_and_saveexec_b64 s[4:5], vcc
	s_cbranch_execz .LBB53_239
; %bb.238:
	buffer_load_dword v110, off, s[0:3], 0 offset:368
	buffer_load_dword v111, off, s[0:3], 0 offset:372
	v_mov_b32_e32 v112, 0
	buffer_store_dword v112, off, s[0:3], 0 offset:368
	buffer_store_dword v112, off, s[0:3], 0 offset:372
	s_waitcnt vmcnt(2)
	ds_write_b64 v109, v[110:111]
.LBB53_239:
	s_or_b64 exec, exec, s[4:5]
	s_waitcnt lgkmcnt(0)
	; wave barrier
	buffer_load_dword v119, off, s[0:3], 0 offset:376
	buffer_load_dword v120, off, s[0:3], 0 offset:380
	;; [unrolled: 1-line block ×16, first 2 shown]
	v_mov_b32_e32 v110, 0
	ds_read2_b64 v[111:114], v110 offset0:101 offset1:102
	ds_read2_b64 v[115:118], v110 offset0:103 offset1:104
	v_cmp_lt_u32_e32 vcc, 45, v0
	s_waitcnt vmcnt(14) lgkmcnt(1)
	v_fma_f64 v[111:112], v[119:120], v[111:112], 0
	s_waitcnt vmcnt(12)
	v_fma_f64 v[111:112], v[121:122], v[113:114], v[111:112]
	s_waitcnt vmcnt(10) lgkmcnt(0)
	v_fma_f64 v[111:112], v[123:124], v[115:116], v[111:112]
	s_waitcnt vmcnt(8)
	v_fma_f64 v[115:116], v[125:126], v[117:118], v[111:112]
	ds_read2_b64 v[111:114], v110 offset0:105 offset1:106
	ds_read_b64 v[117:118], v110 offset:856
	s_waitcnt vmcnt(6) lgkmcnt(1)
	v_fma_f64 v[111:112], v[127:128], v[111:112], v[115:116]
	s_waitcnt vmcnt(4)
	v_fma_f64 v[111:112], v[129:130], v[113:114], v[111:112]
	s_waitcnt vmcnt(2) lgkmcnt(0)
	v_fma_f64 v[111:112], v[131:132], v[117:118], v[111:112]
	s_waitcnt vmcnt(0)
	v_add_f64 v[111:112], v[133:134], -v[111:112]
	buffer_store_dword v111, off, s[0:3], 0 offset:368
	buffer_store_dword v112, off, s[0:3], 0 offset:372
	s_and_saveexec_b64 s[4:5], vcc
	s_cbranch_execz .LBB53_241
; %bb.240:
	buffer_load_dword v111, off, s[0:3], 0 offset:360
	buffer_load_dword v112, off, s[0:3], 0 offset:364
	s_waitcnt vmcnt(0)
	ds_write_b64 v109, v[111:112]
	buffer_store_dword v110, off, s[0:3], 0 offset:360
	buffer_store_dword v110, off, s[0:3], 0 offset:364
.LBB53_241:
	s_or_b64 exec, exec, s[4:5]
	s_waitcnt lgkmcnt(0)
	; wave barrier
	buffer_load_dword v119, off, s[0:3], 0 offset:368
	buffer_load_dword v120, off, s[0:3], 0 offset:372
	;; [unrolled: 1-line block ×18, first 2 shown]
	ds_read_b128 v[111:114], v110 offset:800
	ds_read_b128 v[115:118], v110 offset:816
	v_cmp_lt_u32_e32 vcc, 44, v0
	s_waitcnt vmcnt(16) lgkmcnt(1)
	v_fma_f64 v[111:112], v[119:120], v[111:112], 0
	s_waitcnt vmcnt(14)
	v_fma_f64 v[111:112], v[121:122], v[113:114], v[111:112]
	s_waitcnt vmcnt(12) lgkmcnt(0)
	v_fma_f64 v[111:112], v[123:124], v[115:116], v[111:112]
	s_waitcnt vmcnt(10)
	v_fma_f64 v[119:120], v[125:126], v[117:118], v[111:112]
	ds_read_b128 v[111:114], v110 offset:832
	ds_read_b128 v[115:118], v110 offset:848
	s_waitcnt vmcnt(8) lgkmcnt(1)
	v_fma_f64 v[110:111], v[127:128], v[111:112], v[119:120]
	s_waitcnt vmcnt(6)
	v_fma_f64 v[110:111], v[129:130], v[113:114], v[110:111]
	s_waitcnt vmcnt(4) lgkmcnt(0)
	v_fma_f64 v[110:111], v[131:132], v[115:116], v[110:111]
	s_waitcnt vmcnt(2)
	v_fma_f64 v[110:111], v[133:134], v[117:118], v[110:111]
	s_waitcnt vmcnt(0)
	v_add_f64 v[110:111], v[135:136], -v[110:111]
	buffer_store_dword v110, off, s[0:3], 0 offset:360
	buffer_store_dword v111, off, s[0:3], 0 offset:364
	s_and_saveexec_b64 s[4:5], vcc
	s_cbranch_execz .LBB53_243
; %bb.242:
	buffer_load_dword v110, off, s[0:3], 0 offset:352
	buffer_load_dword v111, off, s[0:3], 0 offset:356
	v_mov_b32_e32 v112, 0
	buffer_store_dword v112, off, s[0:3], 0 offset:352
	buffer_store_dword v112, off, s[0:3], 0 offset:356
	s_waitcnt vmcnt(2)
	ds_write_b64 v109, v[110:111]
.LBB53_243:
	s_or_b64 exec, exec, s[4:5]
	s_waitcnt lgkmcnt(0)
	; wave barrier
	buffer_load_dword v119, off, s[0:3], 0 offset:360
	buffer_load_dword v120, off, s[0:3], 0 offset:364
	;; [unrolled: 1-line block ×20, first 2 shown]
	v_mov_b32_e32 v110, 0
	ds_read2_b64 v[111:114], v110 offset0:99 offset1:100
	ds_read2_b64 v[115:118], v110 offset0:101 offset1:102
	v_cmp_lt_u32_e32 vcc, 43, v0
	s_waitcnt vmcnt(18) lgkmcnt(1)
	v_fma_f64 v[111:112], v[119:120], v[111:112], 0
	s_waitcnt vmcnt(16)
	v_fma_f64 v[111:112], v[121:122], v[113:114], v[111:112]
	s_waitcnt vmcnt(14) lgkmcnt(0)
	v_fma_f64 v[111:112], v[123:124], v[115:116], v[111:112]
	s_waitcnt vmcnt(12)
	v_fma_f64 v[119:120], v[125:126], v[117:118], v[111:112]
	ds_read2_b64 v[111:114], v110 offset0:103 offset1:104
	ds_read2_b64 v[115:118], v110 offset0:105 offset1:106
	s_waitcnt vmcnt(10) lgkmcnt(1)
	v_fma_f64 v[111:112], v[127:128], v[111:112], v[119:120]
	s_waitcnt vmcnt(8)
	v_fma_f64 v[111:112], v[129:130], v[113:114], v[111:112]
	ds_read_b64 v[113:114], v110 offset:856
	s_waitcnt vmcnt(6) lgkmcnt(1)
	v_fma_f64 v[111:112], v[131:132], v[115:116], v[111:112]
	s_waitcnt vmcnt(3)
	v_fma_f64 v[111:112], v[133:134], v[117:118], v[111:112]
	s_waitcnt vmcnt(2) lgkmcnt(0)
	v_fma_f64 v[111:112], v[135:136], v[113:114], v[111:112]
	s_waitcnt vmcnt(0)
	v_add_f64 v[111:112], v[137:138], -v[111:112]
	buffer_store_dword v111, off, s[0:3], 0 offset:352
	buffer_store_dword v112, off, s[0:3], 0 offset:356
	s_and_saveexec_b64 s[4:5], vcc
	s_cbranch_execz .LBB53_245
; %bb.244:
	buffer_load_dword v111, off, s[0:3], 0 offset:344
	buffer_load_dword v112, off, s[0:3], 0 offset:348
	s_waitcnt vmcnt(0)
	ds_write_b64 v109, v[111:112]
	buffer_store_dword v110, off, s[0:3], 0 offset:344
	buffer_store_dword v110, off, s[0:3], 0 offset:348
.LBB53_245:
	s_or_b64 exec, exec, s[4:5]
	s_waitcnt lgkmcnt(0)
	; wave barrier
	buffer_load_dword v119, off, s[0:3], 0 offset:352
	buffer_load_dword v120, off, s[0:3], 0 offset:356
	;; [unrolled: 1-line block ×20, first 2 shown]
	ds_read_b128 v[111:114], v110 offset:784
	buffer_load_dword v139, off, s[0:3], 0 offset:344
	buffer_load_dword v140, off, s[0:3], 0 offset:348
	ds_read_b128 v[115:118], v110 offset:800
	v_cmp_lt_u32_e32 vcc, 42, v0
	s_waitcnt vmcnt(20) lgkmcnt(1)
	v_fma_f64 v[111:112], v[119:120], v[111:112], 0
	s_waitcnt vmcnt(18)
	v_fma_f64 v[111:112], v[121:122], v[113:114], v[111:112]
	s_waitcnt vmcnt(16) lgkmcnt(0)
	v_fma_f64 v[111:112], v[123:124], v[115:116], v[111:112]
	s_waitcnt vmcnt(14)
	v_fma_f64 v[119:120], v[125:126], v[117:118], v[111:112]
	ds_read_b128 v[111:114], v110 offset:816
	ds_read_b128 v[115:118], v110 offset:832
	s_waitcnt vmcnt(12) lgkmcnt(1)
	v_fma_f64 v[111:112], v[127:128], v[111:112], v[119:120]
	s_waitcnt vmcnt(10)
	v_fma_f64 v[111:112], v[129:130], v[113:114], v[111:112]
	s_waitcnt vmcnt(8) lgkmcnt(0)
	v_fma_f64 v[111:112], v[131:132], v[115:116], v[111:112]
	s_waitcnt vmcnt(4)
	v_fma_f64 v[114:115], v[133:134], v[117:118], v[111:112]
	ds_read_b128 v[110:113], v110 offset:848
	s_waitcnt vmcnt(3) lgkmcnt(0)
	v_fma_f64 v[110:111], v[137:138], v[110:111], v[114:115]
	s_waitcnt vmcnt(2)
	v_fma_f64 v[110:111], v[135:136], v[112:113], v[110:111]
	s_waitcnt vmcnt(0)
	v_add_f64 v[110:111], v[139:140], -v[110:111]
	buffer_store_dword v110, off, s[0:3], 0 offset:344
	buffer_store_dword v111, off, s[0:3], 0 offset:348
	s_and_saveexec_b64 s[4:5], vcc
	s_cbranch_execz .LBB53_247
; %bb.246:
	buffer_load_dword v110, off, s[0:3], 0 offset:336
	buffer_load_dword v111, off, s[0:3], 0 offset:340
	v_mov_b32_e32 v112, 0
	buffer_store_dword v112, off, s[0:3], 0 offset:336
	buffer_store_dword v112, off, s[0:3], 0 offset:340
	s_waitcnt vmcnt(2)
	ds_write_b64 v109, v[110:111]
.LBB53_247:
	s_or_b64 exec, exec, s[4:5]
	s_waitcnt lgkmcnt(0)
	; wave barrier
	buffer_load_dword v119, off, s[0:3], 0 offset:344
	buffer_load_dword v120, off, s[0:3], 0 offset:348
	;; [unrolled: 1-line block ×21, first 2 shown]
	v_mov_b32_e32 v110, 0
	ds_read2_b64 v[111:114], v110 offset0:97 offset1:98
	ds_read2_b64 v[115:118], v110 offset0:99 offset1:100
	buffer_load_dword v136, off, s[0:3], 0 offset:428
	v_cmp_lt_u32_e32 vcc, 41, v0
	s_waitcnt vmcnt(20) lgkmcnt(1)
	v_fma_f64 v[111:112], v[119:120], v[111:112], 0
	buffer_load_dword v119, off, s[0:3], 0 offset:336
	buffer_load_dword v120, off, s[0:3], 0 offset:340
	s_waitcnt vmcnt(20)
	v_fma_f64 v[111:112], v[121:122], v[113:114], v[111:112]
	s_waitcnt vmcnt(18) lgkmcnt(0)
	v_fma_f64 v[111:112], v[123:124], v[115:116], v[111:112]
	s_waitcnt vmcnt(16)
	v_fma_f64 v[121:122], v[125:126], v[117:118], v[111:112]
	ds_read2_b64 v[111:114], v110 offset0:101 offset1:102
	ds_read2_b64 v[115:118], v110 offset0:103 offset1:104
	s_waitcnt vmcnt(14) lgkmcnt(1)
	v_fma_f64 v[111:112], v[127:128], v[111:112], v[121:122]
	s_waitcnt vmcnt(12)
	v_fma_f64 v[111:112], v[129:130], v[113:114], v[111:112]
	s_waitcnt vmcnt(10) lgkmcnt(0)
	v_fma_f64 v[111:112], v[131:132], v[115:116], v[111:112]
	s_waitcnt vmcnt(5)
	v_fma_f64 v[115:116], v[133:134], v[117:118], v[111:112]
	ds_read2_b64 v[111:114], v110 offset0:105 offset1:106
	ds_read_b64 v[117:118], v110 offset:856
	s_waitcnt vmcnt(4) lgkmcnt(1)
	v_fma_f64 v[111:112], v[139:140], v[111:112], v[115:116]
	s_waitcnt vmcnt(3)
	v_fma_f64 v[111:112], v[137:138], v[113:114], v[111:112]
	s_waitcnt vmcnt(2) lgkmcnt(0)
	v_fma_f64 v[111:112], v[135:136], v[117:118], v[111:112]
	s_waitcnt vmcnt(0)
	v_add_f64 v[111:112], v[119:120], -v[111:112]
	buffer_store_dword v112, off, s[0:3], 0 offset:340
	buffer_store_dword v111, off, s[0:3], 0 offset:336
	s_and_saveexec_b64 s[4:5], vcc
	s_cbranch_execz .LBB53_249
; %bb.248:
	buffer_load_dword v111, off, s[0:3], 0 offset:328
	buffer_load_dword v112, off, s[0:3], 0 offset:332
	s_waitcnt vmcnt(0)
	ds_write_b64 v109, v[111:112]
	buffer_store_dword v110, off, s[0:3], 0 offset:328
	buffer_store_dword v110, off, s[0:3], 0 offset:332
.LBB53_249:
	s_or_b64 exec, exec, s[4:5]
	s_waitcnt lgkmcnt(0)
	; wave barrier
	buffer_load_dword v119, off, s[0:3], 0 offset:336
	buffer_load_dword v120, off, s[0:3], 0 offset:340
	;; [unrolled: 1-line block ×21, first 2 shown]
	ds_read_b128 v[111:114], v110 offset:768
	ds_read_b128 v[115:118], v110 offset:784
	buffer_load_dword v136, off, s[0:3], 0 offset:420
	v_cmp_lt_u32_e32 vcc, 40, v0
	s_waitcnt vmcnt(20) lgkmcnt(1)
	v_fma_f64 v[111:112], v[119:120], v[111:112], 0
	buffer_load_dword v120, off, s[0:3], 0 offset:428
	buffer_load_dword v119, off, s[0:3], 0 offset:424
	s_waitcnt vmcnt(20)
	v_fma_f64 v[111:112], v[121:122], v[113:114], v[111:112]
	buffer_load_dword v121, off, s[0:3], 0 offset:328
	buffer_load_dword v122, off, s[0:3], 0 offset:332
	s_waitcnt vmcnt(20) lgkmcnt(0)
	v_fma_f64 v[111:112], v[123:124], v[115:116], v[111:112]
	s_waitcnt vmcnt(18)
	v_fma_f64 v[123:124], v[125:126], v[117:118], v[111:112]
	ds_read_b128 v[111:114], v110 offset:800
	ds_read_b128 v[115:118], v110 offset:816
	s_waitcnt vmcnt(16) lgkmcnt(1)
	v_fma_f64 v[111:112], v[127:128], v[111:112], v[123:124]
	s_waitcnt vmcnt(14)
	v_fma_f64 v[111:112], v[129:130], v[113:114], v[111:112]
	s_waitcnt vmcnt(12) lgkmcnt(0)
	v_fma_f64 v[111:112], v[131:132], v[115:116], v[111:112]
	s_waitcnt vmcnt(7)
	v_fma_f64 v[123:124], v[133:134], v[117:118], v[111:112]
	ds_read_b128 v[111:114], v110 offset:832
	ds_read_b128 v[115:118], v110 offset:848
	s_waitcnt vmcnt(6) lgkmcnt(1)
	v_fma_f64 v[110:111], v[139:140], v[111:112], v[123:124]
	s_waitcnt vmcnt(5)
	v_fma_f64 v[110:111], v[137:138], v[113:114], v[110:111]
	s_waitcnt vmcnt(4) lgkmcnt(0)
	v_fma_f64 v[110:111], v[135:136], v[115:116], v[110:111]
	s_waitcnt vmcnt(2)
	v_fma_f64 v[110:111], v[119:120], v[117:118], v[110:111]
	s_waitcnt vmcnt(0)
	v_add_f64 v[110:111], v[121:122], -v[110:111]
	buffer_store_dword v111, off, s[0:3], 0 offset:332
	buffer_store_dword v110, off, s[0:3], 0 offset:328
	s_and_saveexec_b64 s[4:5], vcc
	s_cbranch_execz .LBB53_251
; %bb.250:
	buffer_load_dword v110, off, s[0:3], 0 offset:320
	buffer_load_dword v111, off, s[0:3], 0 offset:324
	v_mov_b32_e32 v112, 0
	buffer_store_dword v112, off, s[0:3], 0 offset:320
	buffer_store_dword v112, off, s[0:3], 0 offset:324
	s_waitcnt vmcnt(2)
	ds_write_b64 v109, v[110:111]
.LBB53_251:
	s_or_b64 exec, exec, s[4:5]
	s_waitcnt lgkmcnt(0)
	; wave barrier
	buffer_load_dword v119, off, s[0:3], 0 offset:328
	buffer_load_dword v120, off, s[0:3], 0 offset:332
	;; [unrolled: 1-line block ×21, first 2 shown]
	v_mov_b32_e32 v110, 0
	ds_read2_b64 v[111:114], v110 offset0:95 offset1:96
	ds_read2_b64 v[115:118], v110 offset0:97 offset1:98
	buffer_load_dword v136, off, s[0:3], 0 offset:412
	v_cmp_lt_u32_e32 vcc, 39, v0
	s_waitcnt vmcnt(20) lgkmcnt(1)
	v_fma_f64 v[111:112], v[119:120], v[111:112], 0
	s_waitcnt vmcnt(18)
	v_fma_f64 v[111:112], v[121:122], v[113:114], v[111:112]
	buffer_load_dword v120, off, s[0:3], 0 offset:420
	buffer_load_dword v121, off, s[0:3], 0 offset:424
	;; [unrolled: 1-line block ×4, first 2 shown]
	s_waitcnt vmcnt(20) lgkmcnt(0)
	v_fma_f64 v[111:112], v[123:124], v[115:116], v[111:112]
	buffer_load_dword v123, off, s[0:3], 0 offset:320
	buffer_load_dword v124, off, s[0:3], 0 offset:324
	s_waitcnt vmcnt(20)
	v_fma_f64 v[125:126], v[125:126], v[117:118], v[111:112]
	ds_read2_b64 v[111:114], v110 offset0:99 offset1:100
	ds_read2_b64 v[115:118], v110 offset0:101 offset1:102
	s_waitcnt vmcnt(18) lgkmcnt(1)
	v_fma_f64 v[111:112], v[127:128], v[111:112], v[125:126]
	s_waitcnt vmcnt(16)
	v_fma_f64 v[111:112], v[129:130], v[113:114], v[111:112]
	s_waitcnt vmcnt(14) lgkmcnt(0)
	v_fma_f64 v[111:112], v[131:132], v[115:116], v[111:112]
	s_waitcnt vmcnt(9)
	v_fma_f64 v[125:126], v[133:134], v[117:118], v[111:112]
	ds_read2_b64 v[111:114], v110 offset0:103 offset1:104
	ds_read2_b64 v[115:118], v110 offset0:105 offset1:106
	s_waitcnt vmcnt(8) lgkmcnt(1)
	v_fma_f64 v[111:112], v[139:140], v[111:112], v[125:126]
	s_waitcnt vmcnt(7)
	v_fma_f64 v[111:112], v[137:138], v[113:114], v[111:112]
	ds_read_b64 v[113:114], v110 offset:856
	s_waitcnt vmcnt(6) lgkmcnt(1)
	v_fma_f64 v[111:112], v[135:136], v[115:116], v[111:112]
	s_waitcnt vmcnt(3)
	v_fma_f64 v[111:112], v[119:120], v[117:118], v[111:112]
	s_waitcnt vmcnt(2) lgkmcnt(0)
	v_fma_f64 v[111:112], v[121:122], v[113:114], v[111:112]
	s_waitcnt vmcnt(0)
	v_add_f64 v[111:112], v[123:124], -v[111:112]
	buffer_store_dword v112, off, s[0:3], 0 offset:324
	buffer_store_dword v111, off, s[0:3], 0 offset:320
	s_and_saveexec_b64 s[4:5], vcc
	s_cbranch_execz .LBB53_253
; %bb.252:
	buffer_load_dword v111, off, s[0:3], 0 offset:312
	buffer_load_dword v112, off, s[0:3], 0 offset:316
	s_waitcnt vmcnt(0)
	ds_write_b64 v109, v[111:112]
	buffer_store_dword v110, off, s[0:3], 0 offset:312
	buffer_store_dword v110, off, s[0:3], 0 offset:316
.LBB53_253:
	s_or_b64 exec, exec, s[4:5]
	s_waitcnt lgkmcnt(0)
	; wave barrier
	buffer_load_dword v119, off, s[0:3], 0 offset:320
	buffer_load_dword v120, off, s[0:3], 0 offset:324
	;; [unrolled: 1-line block ×22, first 2 shown]
	ds_read_b128 v[111:114], v110 offset:752
	ds_read_b128 v[115:118], v110 offset:768
	v_cmp_lt_u32_e32 vcc, 38, v0
	s_waitcnt vmcnt(20) lgkmcnt(1)
	v_fma_f64 v[111:112], v[119:120], v[111:112], 0
	s_waitcnt vmcnt(18)
	v_fma_f64 v[111:112], v[121:122], v[113:114], v[111:112]
	buffer_load_dword v120, off, s[0:3], 0 offset:412
	buffer_load_dword v121, off, s[0:3], 0 offset:424
	;; [unrolled: 1-line block ×6, first 2 shown]
	s_waitcnt vmcnt(22) lgkmcnt(0)
	v_fma_f64 v[111:112], v[123:124], v[115:116], v[111:112]
	s_waitcnt vmcnt(20)
	v_fma_f64 v[123:124], v[125:126], v[117:118], v[111:112]
	ds_read_b128 v[111:114], v110 offset:784
	buffer_load_dword v125, off, s[0:3], 0 offset:312
	buffer_load_dword v126, off, s[0:3], 0 offset:316
	ds_read_b128 v[115:118], v110 offset:800
	s_waitcnt vmcnt(20) lgkmcnt(1)
	v_fma_f64 v[111:112], v[127:128], v[111:112], v[123:124]
	s_waitcnt vmcnt(18)
	v_fma_f64 v[111:112], v[129:130], v[113:114], v[111:112]
	s_waitcnt vmcnt(16) lgkmcnt(0)
	v_fma_f64 v[111:112], v[131:132], v[115:116], v[111:112]
	s_waitcnt vmcnt(11)
	v_fma_f64 v[123:124], v[133:134], v[117:118], v[111:112]
	ds_read_b128 v[111:114], v110 offset:816
	ds_read_b128 v[115:118], v110 offset:832
	s_waitcnt vmcnt(10) lgkmcnt(1)
	v_fma_f64 v[111:112], v[139:140], v[111:112], v[123:124]
	s_waitcnt vmcnt(9)
	v_fma_f64 v[111:112], v[137:138], v[113:114], v[111:112]
	s_waitcnt vmcnt(8) lgkmcnt(0)
	v_fma_f64 v[111:112], v[135:136], v[115:116], v[111:112]
	s_waitcnt vmcnt(4)
	v_fma_f64 v[114:115], v[119:120], v[117:118], v[111:112]
	ds_read_b128 v[110:113], v110 offset:848
	s_waitcnt vmcnt(3) lgkmcnt(0)
	v_fma_f64 v[110:111], v[141:142], v[110:111], v[114:115]
	s_waitcnt vmcnt(2)
	v_fma_f64 v[110:111], v[121:122], v[112:113], v[110:111]
	s_waitcnt vmcnt(0)
	v_add_f64 v[110:111], v[125:126], -v[110:111]
	buffer_store_dword v111, off, s[0:3], 0 offset:316
	buffer_store_dword v110, off, s[0:3], 0 offset:312
	s_and_saveexec_b64 s[4:5], vcc
	s_cbranch_execz .LBB53_255
; %bb.254:
	buffer_load_dword v110, off, s[0:3], 0 offset:304
	buffer_load_dword v111, off, s[0:3], 0 offset:308
	v_mov_b32_e32 v112, 0
	buffer_store_dword v112, off, s[0:3], 0 offset:304
	buffer_store_dword v112, off, s[0:3], 0 offset:308
	s_waitcnt vmcnt(2)
	ds_write_b64 v109, v[110:111]
.LBB53_255:
	s_or_b64 exec, exec, s[4:5]
	s_waitcnt lgkmcnt(0)
	; wave barrier
	buffer_load_dword v119, off, s[0:3], 0 offset:312
	buffer_load_dword v120, off, s[0:3], 0 offset:316
	;; [unrolled: 1-line block ×22, first 2 shown]
	v_mov_b32_e32 v110, 0
	ds_read2_b64 v[111:114], v110 offset0:93 offset1:94
	ds_read2_b64 v[115:118], v110 offset0:95 offset1:96
	v_cmp_lt_u32_e32 vcc, 37, v0
	s_waitcnt vmcnt(20) lgkmcnt(1)
	v_fma_f64 v[111:112], v[119:120], v[111:112], 0
	s_waitcnt vmcnt(18)
	v_fma_f64 v[111:112], v[121:122], v[113:114], v[111:112]
	buffer_load_dword v120, off, s[0:3], 0 offset:404
	buffer_load_dword v121, off, s[0:3], 0 offset:424
	buffer_load_dword v141, off, s[0:3], 0 offset:416
	buffer_load_dword v143, off, s[0:3], 0 offset:408
	buffer_load_dword v119, off, s[0:3], 0 offset:400
	buffer_load_dword v144, off, s[0:3], 0 offset:412
	buffer_load_dword v142, off, s[0:3], 0 offset:420
	buffer_load_dword v122, off, s[0:3], 0 offset:428
	s_waitcnt vmcnt(24) lgkmcnt(0)
	v_fma_f64 v[111:112], v[123:124], v[115:116], v[111:112]
	s_waitcnt vmcnt(22)
	v_fma_f64 v[123:124], v[125:126], v[117:118], v[111:112]
	ds_read2_b64 v[111:114], v110 offset0:97 offset1:98
	ds_read2_b64 v[115:118], v110 offset0:99 offset1:100
	s_waitcnt vmcnt(20) lgkmcnt(1)
	v_fma_f64 v[111:112], v[127:128], v[111:112], v[123:124]
	buffer_load_dword v123, off, s[0:3], 0 offset:304
	buffer_load_dword v124, off, s[0:3], 0 offset:308
	s_waitcnt vmcnt(20)
	v_fma_f64 v[111:112], v[129:130], v[113:114], v[111:112]
	s_waitcnt vmcnt(18) lgkmcnt(0)
	v_fma_f64 v[111:112], v[131:132], v[115:116], v[111:112]
	s_waitcnt vmcnt(13)
	v_fma_f64 v[125:126], v[133:134], v[117:118], v[111:112]
	ds_read2_b64 v[111:114], v110 offset0:101 offset1:102
	ds_read2_b64 v[115:118], v110 offset0:103 offset1:104
	s_waitcnt vmcnt(12) lgkmcnt(1)
	v_fma_f64 v[111:112], v[139:140], v[111:112], v[125:126]
	s_waitcnt vmcnt(11)
	v_fma_f64 v[111:112], v[137:138], v[113:114], v[111:112]
	s_waitcnt vmcnt(10) lgkmcnt(0)
	v_fma_f64 v[111:112], v[135:136], v[115:116], v[111:112]
	s_waitcnt vmcnt(5)
	v_fma_f64 v[115:116], v[119:120], v[117:118], v[111:112]
	ds_read2_b64 v[111:114], v110 offset0:105 offset1:106
	ds_read_b64 v[117:118], v110 offset:856
	s_waitcnt vmcnt(4) lgkmcnt(1)
	v_fma_f64 v[111:112], v[143:144], v[111:112], v[115:116]
	s_waitcnt vmcnt(3)
	v_fma_f64 v[111:112], v[141:142], v[113:114], v[111:112]
	s_waitcnt vmcnt(2) lgkmcnt(0)
	v_fma_f64 v[111:112], v[121:122], v[117:118], v[111:112]
	s_waitcnt vmcnt(0)
	v_add_f64 v[111:112], v[123:124], -v[111:112]
	buffer_store_dword v112, off, s[0:3], 0 offset:308
	buffer_store_dword v111, off, s[0:3], 0 offset:304
	s_and_saveexec_b64 s[4:5], vcc
	s_cbranch_execz .LBB53_257
; %bb.256:
	buffer_load_dword v111, off, s[0:3], 0 offset:296
	buffer_load_dword v112, off, s[0:3], 0 offset:300
	s_waitcnt vmcnt(0)
	ds_write_b64 v109, v[111:112]
	buffer_store_dword v110, off, s[0:3], 0 offset:296
	buffer_store_dword v110, off, s[0:3], 0 offset:300
.LBB53_257:
	s_or_b64 exec, exec, s[4:5]
	s_waitcnt lgkmcnt(0)
	; wave barrier
	buffer_load_dword v119, off, s[0:3], 0 offset:304
	buffer_load_dword v120, off, s[0:3], 0 offset:308
	;; [unrolled: 1-line block ×22, first 2 shown]
	ds_read_b128 v[111:114], v110 offset:736
	ds_read_b128 v[115:118], v110 offset:752
	v_cmp_lt_u32_e32 vcc, 36, v0
	s_waitcnt vmcnt(20) lgkmcnt(1)
	v_fma_f64 v[111:112], v[119:120], v[111:112], 0
	s_waitcnt vmcnt(18)
	v_fma_f64 v[111:112], v[121:122], v[113:114], v[111:112]
	buffer_load_dword v120, off, s[0:3], 0 offset:396
	buffer_load_dword v121, off, s[0:3], 0 offset:416
	;; [unrolled: 1-line block ×8, first 2 shown]
	s_waitcnt vmcnt(24) lgkmcnt(0)
	v_fma_f64 v[111:112], v[123:124], v[115:116], v[111:112]
	s_waitcnt vmcnt(22)
	v_fma_f64 v[123:124], v[125:126], v[117:118], v[111:112]
	ds_read_b128 v[111:114], v110 offset:768
	ds_read_b128 v[115:118], v110 offset:784
	s_waitcnt vmcnt(20) lgkmcnt(1)
	v_fma_f64 v[111:112], v[127:128], v[111:112], v[123:124]
	buffer_load_dword v124, off, s[0:3], 0 offset:428
	buffer_load_dword v123, off, s[0:3], 0 offset:424
	;; [unrolled: 1-line block ×4, first 2 shown]
	s_waitcnt vmcnt(22)
	v_fma_f64 v[111:112], v[129:130], v[113:114], v[111:112]
	s_waitcnt vmcnt(20) lgkmcnt(0)
	v_fma_f64 v[111:112], v[131:132], v[115:116], v[111:112]
	s_waitcnt vmcnt(15)
	v_fma_f64 v[127:128], v[133:134], v[117:118], v[111:112]
	ds_read_b128 v[111:114], v110 offset:800
	ds_read_b128 v[115:118], v110 offset:816
	s_waitcnt vmcnt(14) lgkmcnt(1)
	v_fma_f64 v[111:112], v[139:140], v[111:112], v[127:128]
	s_waitcnt vmcnt(13)
	v_fma_f64 v[111:112], v[137:138], v[113:114], v[111:112]
	s_waitcnt vmcnt(12) lgkmcnt(0)
	v_fma_f64 v[111:112], v[135:136], v[115:116], v[111:112]
	s_waitcnt vmcnt(7)
	v_fma_f64 v[119:120], v[119:120], v[117:118], v[111:112]
	ds_read_b128 v[111:114], v110 offset:832
	ds_read_b128 v[115:118], v110 offset:848
	s_waitcnt vmcnt(6) lgkmcnt(1)
	v_fma_f64 v[110:111], v[143:144], v[111:112], v[119:120]
	s_waitcnt vmcnt(5)
	v_fma_f64 v[110:111], v[141:142], v[113:114], v[110:111]
	s_waitcnt vmcnt(4) lgkmcnt(0)
	v_fma_f64 v[110:111], v[121:122], v[115:116], v[110:111]
	s_waitcnt vmcnt(2)
	v_fma_f64 v[110:111], v[123:124], v[117:118], v[110:111]
	s_waitcnt vmcnt(0)
	v_add_f64 v[110:111], v[125:126], -v[110:111]
	buffer_store_dword v111, off, s[0:3], 0 offset:300
	buffer_store_dword v110, off, s[0:3], 0 offset:296
	s_and_saveexec_b64 s[4:5], vcc
	s_cbranch_execz .LBB53_259
; %bb.258:
	buffer_load_dword v110, off, s[0:3], 0 offset:288
	buffer_load_dword v111, off, s[0:3], 0 offset:292
	v_mov_b32_e32 v112, 0
	buffer_store_dword v112, off, s[0:3], 0 offset:288
	buffer_store_dword v112, off, s[0:3], 0 offset:292
	s_waitcnt vmcnt(2)
	ds_write_b64 v109, v[110:111]
.LBB53_259:
	s_or_b64 exec, exec, s[4:5]
	s_waitcnt lgkmcnt(0)
	; wave barrier
	buffer_load_dword v119, off, s[0:3], 0 offset:296
	buffer_load_dword v120, off, s[0:3], 0 offset:300
	;; [unrolled: 1-line block ×22, first 2 shown]
	v_mov_b32_e32 v110, 0
	ds_read2_b64 v[111:114], v110 offset0:91 offset1:92
	ds_read2_b64 v[115:118], v110 offset0:93 offset1:94
	v_cmp_lt_u32_e32 vcc, 35, v0
	s_waitcnt vmcnt(20) lgkmcnt(1)
	v_fma_f64 v[111:112], v[119:120], v[111:112], 0
	s_waitcnt vmcnt(18)
	v_fma_f64 v[111:112], v[121:122], v[113:114], v[111:112]
	buffer_load_dword v120, off, s[0:3], 0 offset:388
	buffer_load_dword v121, off, s[0:3], 0 offset:408
	;; [unrolled: 1-line block ×7, first 2 shown]
	s_waitcnt vmcnt(23) lgkmcnt(0)
	v_fma_f64 v[111:112], v[123:124], v[115:116], v[111:112]
	s_waitcnt vmcnt(21)
	v_fma_f64 v[122:123], v[125:126], v[117:118], v[111:112]
	ds_read2_b64 v[111:114], v110 offset0:95 offset1:96
	ds_read2_b64 v[115:118], v110 offset0:97 offset1:98
	s_waitcnt vmcnt(19) lgkmcnt(1)
	v_fma_f64 v[111:112], v[127:128], v[111:112], v[122:123]
	buffer_load_dword v122, off, s[0:3], 0 offset:412
	buffer_load_dword v124, off, s[0:3], 0 offset:420
	;; [unrolled: 1-line block ×7, first 2 shown]
	s_waitcnt vmcnt(24)
	v_fma_f64 v[111:112], v[129:130], v[113:114], v[111:112]
	s_waitcnt vmcnt(22) lgkmcnt(0)
	v_fma_f64 v[111:112], v[131:132], v[115:116], v[111:112]
	s_waitcnt vmcnt(17)
	v_fma_f64 v[129:130], v[133:134], v[117:118], v[111:112]
	ds_read2_b64 v[111:114], v110 offset0:99 offset1:100
	ds_read2_b64 v[115:118], v110 offset0:101 offset1:102
	s_waitcnt vmcnt(16) lgkmcnt(1)
	v_fma_f64 v[111:112], v[139:140], v[111:112], v[129:130]
	s_waitcnt vmcnt(15)
	v_fma_f64 v[111:112], v[137:138], v[113:114], v[111:112]
	s_waitcnt vmcnt(14) lgkmcnt(0)
	v_fma_f64 v[111:112], v[135:136], v[115:116], v[111:112]
	s_waitcnt vmcnt(9)
	v_fma_f64 v[119:120], v[119:120], v[117:118], v[111:112]
	ds_read2_b64 v[111:114], v110 offset0:103 offset1:104
	ds_read2_b64 v[115:118], v110 offset0:105 offset1:106
	s_waitcnt vmcnt(8) lgkmcnt(1)
	v_fma_f64 v[111:112], v[143:144], v[111:112], v[119:120]
	s_waitcnt vmcnt(7)
	v_fma_f64 v[111:112], v[141:142], v[113:114], v[111:112]
	ds_read_b64 v[113:114], v110 offset:856
	s_waitcnt vmcnt(6) lgkmcnt(1)
	v_fma_f64 v[111:112], v[121:122], v[115:116], v[111:112]
	s_waitcnt vmcnt(3)
	v_fma_f64 v[111:112], v[123:124], v[117:118], v[111:112]
	s_waitcnt vmcnt(2) lgkmcnt(0)
	v_fma_f64 v[111:112], v[125:126], v[113:114], v[111:112]
	s_waitcnt vmcnt(0)
	v_add_f64 v[111:112], v[127:128], -v[111:112]
	buffer_store_dword v112, off, s[0:3], 0 offset:292
	buffer_store_dword v111, off, s[0:3], 0 offset:288
	s_and_saveexec_b64 s[4:5], vcc
	s_cbranch_execz .LBB53_261
; %bb.260:
	buffer_load_dword v111, off, s[0:3], 0 offset:280
	buffer_load_dword v112, off, s[0:3], 0 offset:284
	s_waitcnt vmcnt(0)
	ds_write_b64 v109, v[111:112]
	buffer_store_dword v110, off, s[0:3], 0 offset:280
	buffer_store_dword v110, off, s[0:3], 0 offset:284
.LBB53_261:
	s_or_b64 exec, exec, s[4:5]
	s_waitcnt lgkmcnt(0)
	; wave barrier
	buffer_load_dword v119, off, s[0:3], 0 offset:288
	buffer_load_dword v120, off, s[0:3], 0 offset:292
	;; [unrolled: 1-line block ×22, first 2 shown]
	ds_read_b128 v[111:114], v110 offset:720
	ds_read_b128 v[115:118], v110 offset:736
	v_cmp_lt_u32_e32 vcc, 34, v0
	s_waitcnt vmcnt(20) lgkmcnt(1)
	v_fma_f64 v[111:112], v[119:120], v[111:112], 0
	s_waitcnt vmcnt(18)
	v_fma_f64 v[111:112], v[121:122], v[113:114], v[111:112]
	buffer_load_dword v120, off, s[0:3], 0 offset:380
	buffer_load_dword v121, off, s[0:3], 0 offset:400
	;; [unrolled: 1-line block ×7, first 2 shown]
	s_waitcnt vmcnt(23) lgkmcnt(0)
	v_fma_f64 v[111:112], v[123:124], v[115:116], v[111:112]
	s_waitcnt vmcnt(21)
	v_fma_f64 v[122:123], v[125:126], v[117:118], v[111:112]
	ds_read_b128 v[111:114], v110 offset:752
	ds_read_b128 v[115:118], v110 offset:768
	s_waitcnt vmcnt(19) lgkmcnt(1)
	v_fma_f64 v[111:112], v[127:128], v[111:112], v[122:123]
	buffer_load_dword v122, off, s[0:3], 0 offset:404
	buffer_load_dword v124, off, s[0:3], 0 offset:412
	buffer_load_dword v125, off, s[0:3], 0 offset:424
	buffer_load_dword v127, off, s[0:3], 0 offset:416
	buffer_load_dword v123, off, s[0:3], 0 offset:408
	buffer_load_dword v128, off, s[0:3], 0 offset:420
	buffer_load_dword v126, off, s[0:3], 0 offset:428
	s_waitcnt vmcnt(24)
	v_fma_f64 v[111:112], v[129:130], v[113:114], v[111:112]
	s_waitcnt vmcnt(22) lgkmcnt(0)
	v_fma_f64 v[111:112], v[131:132], v[115:116], v[111:112]
	s_waitcnt vmcnt(17)
	v_fma_f64 v[129:130], v[133:134], v[117:118], v[111:112]
	ds_read_b128 v[111:114], v110 offset:784
	buffer_load_dword v131, off, s[0:3], 0 offset:280
	buffer_load_dword v132, off, s[0:3], 0 offset:284
	ds_read_b128 v[115:118], v110 offset:800
	s_waitcnt vmcnt(18) lgkmcnt(1)
	v_fma_f64 v[111:112], v[139:140], v[111:112], v[129:130]
	s_waitcnt vmcnt(17)
	v_fma_f64 v[111:112], v[137:138], v[113:114], v[111:112]
	s_waitcnt vmcnt(16) lgkmcnt(0)
	v_fma_f64 v[111:112], v[135:136], v[115:116], v[111:112]
	s_waitcnt vmcnt(11)
	v_fma_f64 v[119:120], v[119:120], v[117:118], v[111:112]
	ds_read_b128 v[111:114], v110 offset:816
	ds_read_b128 v[115:118], v110 offset:832
	s_waitcnt vmcnt(10) lgkmcnt(1)
	v_fma_f64 v[111:112], v[143:144], v[111:112], v[119:120]
	s_waitcnt vmcnt(9)
	v_fma_f64 v[111:112], v[141:142], v[113:114], v[111:112]
	s_waitcnt vmcnt(8) lgkmcnt(0)
	v_fma_f64 v[111:112], v[121:122], v[115:116], v[111:112]
	s_waitcnt vmcnt(4)
	v_fma_f64 v[114:115], v[123:124], v[117:118], v[111:112]
	ds_read_b128 v[110:113], v110 offset:848
	s_waitcnt vmcnt(3) lgkmcnt(0)
	v_fma_f64 v[110:111], v[127:128], v[110:111], v[114:115]
	s_waitcnt vmcnt(2)
	v_fma_f64 v[110:111], v[125:126], v[112:113], v[110:111]
	s_waitcnt vmcnt(0)
	v_add_f64 v[110:111], v[131:132], -v[110:111]
	buffer_store_dword v111, off, s[0:3], 0 offset:284
	buffer_store_dword v110, off, s[0:3], 0 offset:280
	s_and_saveexec_b64 s[4:5], vcc
	s_cbranch_execz .LBB53_263
; %bb.262:
	buffer_load_dword v110, off, s[0:3], 0 offset:272
	buffer_load_dword v111, off, s[0:3], 0 offset:276
	v_mov_b32_e32 v112, 0
	buffer_store_dword v112, off, s[0:3], 0 offset:272
	buffer_store_dword v112, off, s[0:3], 0 offset:276
	s_waitcnt vmcnt(2)
	ds_write_b64 v109, v[110:111]
.LBB53_263:
	s_or_b64 exec, exec, s[4:5]
	s_waitcnt lgkmcnt(0)
	; wave barrier
	buffer_load_dword v119, off, s[0:3], 0 offset:280
	buffer_load_dword v120, off, s[0:3], 0 offset:284
	;; [unrolled: 1-line block ×22, first 2 shown]
	v_mov_b32_e32 v110, 0
	ds_read2_b64 v[111:114], v110 offset0:89 offset1:90
	ds_read2_b64 v[115:118], v110 offset0:91 offset1:92
	v_cmp_lt_u32_e32 vcc, 33, v0
	s_waitcnt vmcnt(20) lgkmcnt(1)
	v_fma_f64 v[111:112], v[119:120], v[111:112], 0
	s_waitcnt vmcnt(18)
	v_fma_f64 v[111:112], v[121:122], v[113:114], v[111:112]
	buffer_load_dword v120, off, s[0:3], 0 offset:372
	buffer_load_dword v121, off, s[0:3], 0 offset:392
	;; [unrolled: 1-line block ×7, first 2 shown]
	s_waitcnt vmcnt(23) lgkmcnt(0)
	v_fma_f64 v[111:112], v[123:124], v[115:116], v[111:112]
	s_waitcnt vmcnt(21)
	v_fma_f64 v[122:123], v[125:126], v[117:118], v[111:112]
	ds_read2_b64 v[111:114], v110 offset0:93 offset1:94
	ds_read2_b64 v[115:118], v110 offset0:95 offset1:96
	s_waitcnt vmcnt(19) lgkmcnt(1)
	v_fma_f64 v[111:112], v[127:128], v[111:112], v[122:123]
	buffer_load_dword v122, off, s[0:3], 0 offset:396
	s_waitcnt vmcnt(18)
	v_fma_f64 v[111:112], v[129:130], v[113:114], v[111:112]
	buffer_load_dword v124, off, s[0:3], 0 offset:404
	buffer_load_dword v125, off, s[0:3], 0 offset:424
	;; [unrolled: 1-line block ×8, first 2 shown]
	s_waitcnt vmcnt(24) lgkmcnt(0)
	v_fma_f64 v[111:112], v[131:132], v[115:116], v[111:112]
	s_waitcnt vmcnt(19)
	v_fma_f64 v[131:132], v[133:134], v[117:118], v[111:112]
	ds_read2_b64 v[111:114], v110 offset0:97 offset1:98
	ds_read2_b64 v[115:118], v110 offset0:99 offset1:100
	s_waitcnt vmcnt(18) lgkmcnt(1)
	v_fma_f64 v[111:112], v[139:140], v[111:112], v[131:132]
	buffer_load_dword v131, off, s[0:3], 0 offset:272
	buffer_load_dword v132, off, s[0:3], 0 offset:276
	s_waitcnt vmcnt(19)
	v_fma_f64 v[111:112], v[137:138], v[113:114], v[111:112]
	s_waitcnt vmcnt(18) lgkmcnt(0)
	v_fma_f64 v[111:112], v[135:136], v[115:116], v[111:112]
	s_waitcnt vmcnt(13)
	v_fma_f64 v[119:120], v[119:120], v[117:118], v[111:112]
	ds_read2_b64 v[111:114], v110 offset0:101 offset1:102
	ds_read2_b64 v[115:118], v110 offset0:103 offset1:104
	s_waitcnt vmcnt(12) lgkmcnt(1)
	v_fma_f64 v[111:112], v[143:144], v[111:112], v[119:120]
	s_waitcnt vmcnt(11)
	v_fma_f64 v[111:112], v[141:142], v[113:114], v[111:112]
	s_waitcnt vmcnt(10) lgkmcnt(0)
	v_fma_f64 v[111:112], v[121:122], v[115:116], v[111:112]
	s_waitcnt vmcnt(5)
	v_fma_f64 v[115:116], v[123:124], v[117:118], v[111:112]
	ds_read2_b64 v[111:114], v110 offset0:105 offset1:106
	ds_read_b64 v[117:118], v110 offset:856
	s_waitcnt vmcnt(4) lgkmcnt(1)
	v_fma_f64 v[111:112], v[129:130], v[111:112], v[115:116]
	s_waitcnt vmcnt(3)
	v_fma_f64 v[111:112], v[127:128], v[113:114], v[111:112]
	s_waitcnt vmcnt(2) lgkmcnt(0)
	v_fma_f64 v[111:112], v[125:126], v[117:118], v[111:112]
	s_waitcnt vmcnt(0)
	v_add_f64 v[111:112], v[131:132], -v[111:112]
	buffer_store_dword v112, off, s[0:3], 0 offset:276
	buffer_store_dword v111, off, s[0:3], 0 offset:272
	s_and_saveexec_b64 s[4:5], vcc
	s_cbranch_execz .LBB53_265
; %bb.264:
	buffer_load_dword v111, off, s[0:3], 0 offset:264
	buffer_load_dword v112, off, s[0:3], 0 offset:268
	s_waitcnt vmcnt(0)
	ds_write_b64 v109, v[111:112]
	buffer_store_dword v110, off, s[0:3], 0 offset:264
	buffer_store_dword v110, off, s[0:3], 0 offset:268
.LBB53_265:
	s_or_b64 exec, exec, s[4:5]
	s_waitcnt lgkmcnt(0)
	; wave barrier
	buffer_load_dword v119, off, s[0:3], 0 offset:272
	buffer_load_dword v120, off, s[0:3], 0 offset:276
	buffer_load_dword v121, off, s[0:3], 0 offset:280
	buffer_load_dword v122, off, s[0:3], 0 offset:284
	buffer_load_dword v123, off, s[0:3], 0 offset:288
	buffer_load_dword v124, off, s[0:3], 0 offset:292
	buffer_load_dword v125, off, s[0:3], 0 offset:296
	buffer_load_dword v126, off, s[0:3], 0 offset:300
	buffer_load_dword v127, off, s[0:3], 0 offset:304
	buffer_load_dword v128, off, s[0:3], 0 offset:308
	buffer_load_dword v129, off, s[0:3], 0 offset:312
	buffer_load_dword v130, off, s[0:3], 0 offset:316
	buffer_load_dword v131, off, s[0:3], 0 offset:320
	buffer_load_dword v132, off, s[0:3], 0 offset:324
	buffer_load_dword v134, off, s[0:3], 0 offset:332
	buffer_load_dword v135, off, s[0:3], 0 offset:352
	buffer_load_dword v137, off, s[0:3], 0 offset:344
	buffer_load_dword v139, off, s[0:3], 0 offset:336
	buffer_load_dword v133, off, s[0:3], 0 offset:328
	buffer_load_dword v140, off, s[0:3], 0 offset:340
	buffer_load_dword v138, off, s[0:3], 0 offset:348
	buffer_load_dword v136, off, s[0:3], 0 offset:356
	ds_read_b128 v[111:114], v110 offset:704
	ds_read_b128 v[115:118], v110 offset:720
	v_cmp_lt_u32_e32 vcc, 32, v0
	s_waitcnt vmcnt(20) lgkmcnt(1)
	v_fma_f64 v[111:112], v[119:120], v[111:112], 0
	s_waitcnt vmcnt(18)
	v_fma_f64 v[111:112], v[121:122], v[113:114], v[111:112]
	buffer_load_dword v120, off, s[0:3], 0 offset:364
	buffer_load_dword v121, off, s[0:3], 0 offset:384
	;; [unrolled: 1-line block ×7, first 2 shown]
	s_waitcnt vmcnt(23) lgkmcnt(0)
	v_fma_f64 v[111:112], v[123:124], v[115:116], v[111:112]
	s_waitcnt vmcnt(21)
	v_fma_f64 v[122:123], v[125:126], v[117:118], v[111:112]
	ds_read_b128 v[111:114], v110 offset:736
	ds_read_b128 v[115:118], v110 offset:752
	s_waitcnt vmcnt(19) lgkmcnt(1)
	v_fma_f64 v[111:112], v[127:128], v[111:112], v[122:123]
	buffer_load_dword v122, off, s[0:3], 0 offset:388
	s_waitcnt vmcnt(18)
	v_fma_f64 v[111:112], v[129:130], v[113:114], v[111:112]
	buffer_load_dword v124, off, s[0:3], 0 offset:396
	buffer_load_dword v125, off, s[0:3], 0 offset:416
	;; [unrolled: 1-line block ×8, first 2 shown]
	s_waitcnt vmcnt(24) lgkmcnt(0)
	v_fma_f64 v[111:112], v[131:132], v[115:116], v[111:112]
	s_waitcnt vmcnt(19)
	v_fma_f64 v[131:132], v[133:134], v[117:118], v[111:112]
	ds_read_b128 v[111:114], v110 offset:768
	ds_read_b128 v[115:118], v110 offset:784
	s_waitcnt vmcnt(18) lgkmcnt(1)
	v_fma_f64 v[111:112], v[139:140], v[111:112], v[131:132]
	buffer_load_dword v132, off, s[0:3], 0 offset:428
	buffer_load_dword v131, off, s[0:3], 0 offset:424
	;; [unrolled: 1-line block ×4, first 2 shown]
	s_waitcnt vmcnt(21)
	v_fma_f64 v[111:112], v[137:138], v[113:114], v[111:112]
	s_waitcnt vmcnt(20) lgkmcnt(0)
	v_fma_f64 v[111:112], v[135:136], v[115:116], v[111:112]
	s_waitcnt vmcnt(15)
	v_fma_f64 v[119:120], v[119:120], v[117:118], v[111:112]
	ds_read_b128 v[111:114], v110 offset:800
	ds_read_b128 v[115:118], v110 offset:816
	s_waitcnt vmcnt(14) lgkmcnt(1)
	v_fma_f64 v[111:112], v[143:144], v[111:112], v[119:120]
	s_waitcnt vmcnt(13)
	v_fma_f64 v[111:112], v[141:142], v[113:114], v[111:112]
	s_waitcnt vmcnt(12) lgkmcnt(0)
	v_fma_f64 v[111:112], v[121:122], v[115:116], v[111:112]
	s_waitcnt vmcnt(7)
	v_fma_f64 v[119:120], v[123:124], v[117:118], v[111:112]
	ds_read_b128 v[111:114], v110 offset:832
	ds_read_b128 v[115:118], v110 offset:848
	s_waitcnt vmcnt(6) lgkmcnt(1)
	v_fma_f64 v[110:111], v[129:130], v[111:112], v[119:120]
	s_waitcnt vmcnt(5)
	v_fma_f64 v[110:111], v[127:128], v[113:114], v[110:111]
	s_waitcnt vmcnt(4) lgkmcnt(0)
	v_fma_f64 v[110:111], v[125:126], v[115:116], v[110:111]
	s_waitcnt vmcnt(2)
	v_fma_f64 v[110:111], v[131:132], v[117:118], v[110:111]
	s_waitcnt vmcnt(0)
	v_add_f64 v[110:111], v[133:134], -v[110:111]
	buffer_store_dword v111, off, s[0:3], 0 offset:268
	buffer_store_dword v110, off, s[0:3], 0 offset:264
	s_and_saveexec_b64 s[4:5], vcc
	s_cbranch_execz .LBB53_267
; %bb.266:
	buffer_load_dword v110, off, s[0:3], 0 offset:256
	buffer_load_dword v111, off, s[0:3], 0 offset:260
	v_mov_b32_e32 v112, 0
	buffer_store_dword v112, off, s[0:3], 0 offset:256
	buffer_store_dword v112, off, s[0:3], 0 offset:260
	s_waitcnt vmcnt(2)
	ds_write_b64 v109, v[110:111]
.LBB53_267:
	s_or_b64 exec, exec, s[4:5]
	s_waitcnt lgkmcnt(0)
	; wave barrier
	buffer_load_dword v119, off, s[0:3], 0 offset:264
	buffer_load_dword v120, off, s[0:3], 0 offset:268
	;; [unrolled: 1-line block ×21, first 2 shown]
	v_mov_b32_e32 v110, 0
	ds_read2_b64 v[111:114], v110 offset0:87 offset1:88
	ds_read2_b64 v[115:118], v110 offset0:89 offset1:90
	buffer_load_dword v136, off, s[0:3], 0 offset:348
	v_cmp_lt_u32_e32 vcc, 31, v0
	s_waitcnt vmcnt(20) lgkmcnt(1)
	v_fma_f64 v[111:112], v[119:120], v[111:112], 0
	s_waitcnt vmcnt(18)
	v_fma_f64 v[111:112], v[121:122], v[113:114], v[111:112]
	buffer_load_dword v120, off, s[0:3], 0 offset:356
	buffer_load_dword v121, off, s[0:3], 0 offset:376
	;; [unrolled: 1-line block ×7, first 2 shown]
	s_waitcnt vmcnt(23) lgkmcnt(0)
	v_fma_f64 v[111:112], v[123:124], v[115:116], v[111:112]
	s_waitcnt vmcnt(21)
	v_fma_f64 v[122:123], v[125:126], v[117:118], v[111:112]
	ds_read2_b64 v[111:114], v110 offset0:91 offset1:92
	ds_read2_b64 v[115:118], v110 offset0:93 offset1:94
	s_waitcnt vmcnt(19) lgkmcnt(1)
	v_fma_f64 v[111:112], v[127:128], v[111:112], v[122:123]
	buffer_load_dword v122, off, s[0:3], 0 offset:380
	s_waitcnt vmcnt(18)
	v_fma_f64 v[111:112], v[129:130], v[113:114], v[111:112]
	buffer_load_dword v124, off, s[0:3], 0 offset:388
	buffer_load_dword v125, off, s[0:3], 0 offset:408
	;; [unrolled: 1-line block ×7, first 2 shown]
	s_waitcnt vmcnt(23) lgkmcnt(0)
	v_fma_f64 v[111:112], v[131:132], v[115:116], v[111:112]
	s_waitcnt vmcnt(18)
	v_fma_f64 v[131:132], v[133:134], v[117:118], v[111:112]
	ds_read2_b64 v[111:114], v110 offset0:95 offset1:96
	ds_read2_b64 v[115:118], v110 offset0:97 offset1:98
	buffer_load_dword v126, off, s[0:3], 0 offset:412
	s_waitcnt vmcnt(18) lgkmcnt(1)
	v_fma_f64 v[111:112], v[139:140], v[111:112], v[131:132]
	buffer_load_dword v132, off, s[0:3], 0 offset:420
	buffer_load_dword v133, off, s[0:3], 0 offset:424
	;; [unrolled: 1-line block ×4, first 2 shown]
	s_waitcnt vmcnt(21)
	v_fma_f64 v[111:112], v[137:138], v[113:114], v[111:112]
	s_waitcnt vmcnt(20) lgkmcnt(0)
	v_fma_f64 v[111:112], v[135:136], v[115:116], v[111:112]
	buffer_load_dword v135, off, s[0:3], 0 offset:256
	buffer_load_dword v136, off, s[0:3], 0 offset:260
	s_waitcnt vmcnt(17)
	v_fma_f64 v[119:120], v[119:120], v[117:118], v[111:112]
	ds_read2_b64 v[111:114], v110 offset0:99 offset1:100
	ds_read2_b64 v[115:118], v110 offset0:101 offset1:102
	s_waitcnt vmcnt(16) lgkmcnt(1)
	v_fma_f64 v[111:112], v[143:144], v[111:112], v[119:120]
	s_waitcnt vmcnt(15)
	v_fma_f64 v[111:112], v[141:142], v[113:114], v[111:112]
	s_waitcnt vmcnt(14) lgkmcnt(0)
	v_fma_f64 v[111:112], v[121:122], v[115:116], v[111:112]
	s_waitcnt vmcnt(9)
	v_fma_f64 v[119:120], v[123:124], v[117:118], v[111:112]
	ds_read2_b64 v[111:114], v110 offset0:103 offset1:104
	ds_read2_b64 v[115:118], v110 offset0:105 offset1:106
	s_waitcnt vmcnt(8) lgkmcnt(1)
	v_fma_f64 v[111:112], v[129:130], v[111:112], v[119:120]
	s_waitcnt vmcnt(7)
	v_fma_f64 v[111:112], v[127:128], v[113:114], v[111:112]
	ds_read_b64 v[113:114], v110 offset:856
	s_waitcnt vmcnt(6) lgkmcnt(1)
	v_fma_f64 v[111:112], v[125:126], v[115:116], v[111:112]
	s_waitcnt vmcnt(3)
	v_fma_f64 v[111:112], v[131:132], v[117:118], v[111:112]
	s_waitcnt vmcnt(2) lgkmcnt(0)
	v_fma_f64 v[111:112], v[133:134], v[113:114], v[111:112]
	s_waitcnt vmcnt(0)
	v_add_f64 v[111:112], v[135:136], -v[111:112]
	buffer_store_dword v112, off, s[0:3], 0 offset:260
	buffer_store_dword v111, off, s[0:3], 0 offset:256
	s_and_saveexec_b64 s[4:5], vcc
	s_cbranch_execz .LBB53_269
; %bb.268:
	buffer_load_dword v111, off, s[0:3], 0 offset:248
	buffer_load_dword v112, off, s[0:3], 0 offset:252
	s_waitcnt vmcnt(0)
	ds_write_b64 v109, v[111:112]
	buffer_store_dword v110, off, s[0:3], 0 offset:248
	buffer_store_dword v110, off, s[0:3], 0 offset:252
.LBB53_269:
	s_or_b64 exec, exec, s[4:5]
	s_waitcnt lgkmcnt(0)
	; wave barrier
	buffer_load_dword v119, off, s[0:3], 0 offset:256
	buffer_load_dword v120, off, s[0:3], 0 offset:260
	;; [unrolled: 1-line block ×21, first 2 shown]
	ds_read_b128 v[111:114], v110 offset:688
	ds_read_b128 v[115:118], v110 offset:704
	buffer_load_dword v136, off, s[0:3], 0 offset:340
	v_cmp_lt_u32_e32 vcc, 30, v0
	s_waitcnt vmcnt(20) lgkmcnt(1)
	v_fma_f64 v[111:112], v[119:120], v[111:112], 0
	s_waitcnt vmcnt(18)
	v_fma_f64 v[111:112], v[121:122], v[113:114], v[111:112]
	buffer_load_dword v120, off, s[0:3], 0 offset:348
	buffer_load_dword v121, off, s[0:3], 0 offset:368
	;; [unrolled: 1-line block ×7, first 2 shown]
	s_waitcnt vmcnt(23) lgkmcnt(0)
	v_fma_f64 v[111:112], v[123:124], v[115:116], v[111:112]
	s_waitcnt vmcnt(21)
	v_fma_f64 v[122:123], v[125:126], v[117:118], v[111:112]
	ds_read_b128 v[111:114], v110 offset:720
	ds_read_b128 v[115:118], v110 offset:736
	s_waitcnt vmcnt(19) lgkmcnt(1)
	v_fma_f64 v[111:112], v[127:128], v[111:112], v[122:123]
	buffer_load_dword v122, off, s[0:3], 0 offset:372
	s_waitcnt vmcnt(18)
	v_fma_f64 v[111:112], v[129:130], v[113:114], v[111:112]
	buffer_load_dword v124, off, s[0:3], 0 offset:380
	buffer_load_dword v125, off, s[0:3], 0 offset:400
	;; [unrolled: 1-line block ×8, first 2 shown]
	s_waitcnt vmcnt(24) lgkmcnt(0)
	v_fma_f64 v[111:112], v[131:132], v[115:116], v[111:112]
	s_waitcnt vmcnt(19)
	v_fma_f64 v[131:132], v[133:134], v[117:118], v[111:112]
	ds_read_b128 v[111:114], v110 offset:752
	ds_read_b128 v[115:118], v110 offset:768
	s_waitcnt vmcnt(18) lgkmcnt(1)
	v_fma_f64 v[111:112], v[139:140], v[111:112], v[131:132]
	s_waitcnt vmcnt(17)
	v_fma_f64 v[111:112], v[137:138], v[113:114], v[111:112]
	buffer_load_dword v132, off, s[0:3], 0 offset:412
	buffer_load_dword v133, off, s[0:3], 0 offset:424
	;; [unrolled: 1-line block ×6, first 2 shown]
	s_waitcnt vmcnt(22) lgkmcnt(0)
	v_fma_f64 v[111:112], v[135:136], v[115:116], v[111:112]
	s_waitcnt vmcnt(17)
	v_fma_f64 v[119:120], v[119:120], v[117:118], v[111:112]
	ds_read_b128 v[111:114], v110 offset:784
	buffer_load_dword v135, off, s[0:3], 0 offset:248
	buffer_load_dword v136, off, s[0:3], 0 offset:252
	ds_read_b128 v[115:118], v110 offset:800
	s_waitcnt vmcnt(18) lgkmcnt(1)
	v_fma_f64 v[111:112], v[143:144], v[111:112], v[119:120]
	s_waitcnt vmcnt(17)
	v_fma_f64 v[111:112], v[141:142], v[113:114], v[111:112]
	s_waitcnt vmcnt(16) lgkmcnt(0)
	v_fma_f64 v[111:112], v[121:122], v[115:116], v[111:112]
	s_waitcnt vmcnt(11)
	v_fma_f64 v[119:120], v[123:124], v[117:118], v[111:112]
	ds_read_b128 v[111:114], v110 offset:816
	ds_read_b128 v[115:118], v110 offset:832
	s_waitcnt vmcnt(10) lgkmcnt(1)
	v_fma_f64 v[111:112], v[129:130], v[111:112], v[119:120]
	s_waitcnt vmcnt(9)
	v_fma_f64 v[111:112], v[127:128], v[113:114], v[111:112]
	s_waitcnt vmcnt(8) lgkmcnt(0)
	v_fma_f64 v[111:112], v[125:126], v[115:116], v[111:112]
	s_waitcnt vmcnt(4)
	v_fma_f64 v[114:115], v[131:132], v[117:118], v[111:112]
	ds_read_b128 v[110:113], v110 offset:848
	s_waitcnt vmcnt(3) lgkmcnt(0)
	v_fma_f64 v[110:111], v[137:138], v[110:111], v[114:115]
	s_waitcnt vmcnt(2)
	v_fma_f64 v[110:111], v[133:134], v[112:113], v[110:111]
	s_waitcnt vmcnt(0)
	v_add_f64 v[110:111], v[135:136], -v[110:111]
	buffer_store_dword v111, off, s[0:3], 0 offset:252
	buffer_store_dword v110, off, s[0:3], 0 offset:248
	s_and_saveexec_b64 s[4:5], vcc
	s_cbranch_execz .LBB53_271
; %bb.270:
	buffer_load_dword v110, off, s[0:3], 0 offset:240
	buffer_load_dword v111, off, s[0:3], 0 offset:244
	v_mov_b32_e32 v112, 0
	buffer_store_dword v112, off, s[0:3], 0 offset:240
	buffer_store_dword v112, off, s[0:3], 0 offset:244
	s_waitcnt vmcnt(2)
	ds_write_b64 v109, v[110:111]
.LBB53_271:
	s_or_b64 exec, exec, s[4:5]
	s_waitcnt lgkmcnt(0)
	; wave barrier
	buffer_load_dword v119, off, s[0:3], 0 offset:248
	buffer_load_dword v120, off, s[0:3], 0 offset:252
	buffer_load_dword v121, off, s[0:3], 0 offset:256
	buffer_load_dword v122, off, s[0:3], 0 offset:260
	buffer_load_dword v123, off, s[0:3], 0 offset:264
	buffer_load_dword v124, off, s[0:3], 0 offset:268
	buffer_load_dword v125, off, s[0:3], 0 offset:272
	buffer_load_dword v126, off, s[0:3], 0 offset:276
	buffer_load_dword v127, off, s[0:3], 0 offset:280
	buffer_load_dword v128, off, s[0:3], 0 offset:284
	buffer_load_dword v129, off, s[0:3], 0 offset:288
	buffer_load_dword v130, off, s[0:3], 0 offset:292
	buffer_load_dword v131, off, s[0:3], 0 offset:296
	buffer_load_dword v132, off, s[0:3], 0 offset:300
	buffer_load_dword v134, off, s[0:3], 0 offset:308
	buffer_load_dword v135, off, s[0:3], 0 offset:328
	buffer_load_dword v137, off, s[0:3], 0 offset:320
	buffer_load_dword v139, off, s[0:3], 0 offset:312
	buffer_load_dword v133, off, s[0:3], 0 offset:304
	buffer_load_dword v140, off, s[0:3], 0 offset:316
	buffer_load_dword v138, off, s[0:3], 0 offset:324
	v_mov_b32_e32 v110, 0
	ds_read2_b64 v[111:114], v110 offset0:85 offset1:86
	ds_read2_b64 v[115:118], v110 offset0:87 offset1:88
	buffer_load_dword v136, off, s[0:3], 0 offset:332
	v_cmp_lt_u32_e32 vcc, 29, v0
	s_waitcnt vmcnt(20) lgkmcnt(1)
	v_fma_f64 v[111:112], v[119:120], v[111:112], 0
	s_waitcnt vmcnt(18)
	v_fma_f64 v[111:112], v[121:122], v[113:114], v[111:112]
	buffer_load_dword v120, off, s[0:3], 0 offset:340
	buffer_load_dword v121, off, s[0:3], 0 offset:360
	;; [unrolled: 1-line block ×7, first 2 shown]
	s_waitcnt vmcnt(23) lgkmcnt(0)
	v_fma_f64 v[111:112], v[123:124], v[115:116], v[111:112]
	s_waitcnt vmcnt(21)
	v_fma_f64 v[122:123], v[125:126], v[117:118], v[111:112]
	ds_read2_b64 v[111:114], v110 offset0:89 offset1:90
	ds_read2_b64 v[115:118], v110 offset0:91 offset1:92
	s_waitcnt vmcnt(19) lgkmcnt(1)
	v_fma_f64 v[111:112], v[127:128], v[111:112], v[122:123]
	buffer_load_dword v122, off, s[0:3], 0 offset:364
	s_waitcnt vmcnt(18)
	v_fma_f64 v[111:112], v[129:130], v[113:114], v[111:112]
	buffer_load_dword v124, off, s[0:3], 0 offset:372
	buffer_load_dword v125, off, s[0:3], 0 offset:392
	;; [unrolled: 1-line block ×8, first 2 shown]
	s_waitcnt vmcnt(24) lgkmcnt(0)
	v_fma_f64 v[111:112], v[131:132], v[115:116], v[111:112]
	s_waitcnt vmcnt(19)
	v_fma_f64 v[131:132], v[133:134], v[117:118], v[111:112]
	ds_read2_b64 v[111:114], v110 offset0:93 offset1:94
	ds_read2_b64 v[115:118], v110 offset0:95 offset1:96
	s_waitcnt vmcnt(18) lgkmcnt(1)
	v_fma_f64 v[111:112], v[139:140], v[111:112], v[131:132]
	s_waitcnt vmcnt(17)
	v_fma_f64 v[111:112], v[137:138], v[113:114], v[111:112]
	buffer_load_dword v132, off, s[0:3], 0 offset:404
	buffer_load_dword v133, off, s[0:3], 0 offset:424
	;; [unrolled: 1-line block ×8, first 2 shown]
	s_waitcnt vmcnt(24) lgkmcnt(0)
	v_fma_f64 v[111:112], v[135:136], v[115:116], v[111:112]
	s_waitcnt vmcnt(19)
	v_fma_f64 v[119:120], v[119:120], v[117:118], v[111:112]
	ds_read2_b64 v[111:114], v110 offset0:97 offset1:98
	ds_read2_b64 v[115:118], v110 offset0:99 offset1:100
	s_waitcnt vmcnt(18) lgkmcnt(1)
	v_fma_f64 v[111:112], v[143:144], v[111:112], v[119:120]
	buffer_load_dword v119, off, s[0:3], 0 offset:240
	buffer_load_dword v120, off, s[0:3], 0 offset:244
	s_waitcnt vmcnt(19)
	v_fma_f64 v[111:112], v[141:142], v[113:114], v[111:112]
	s_waitcnt vmcnt(18) lgkmcnt(0)
	v_fma_f64 v[111:112], v[121:122], v[115:116], v[111:112]
	s_waitcnt vmcnt(13)
	v_fma_f64 v[121:122], v[123:124], v[117:118], v[111:112]
	ds_read2_b64 v[111:114], v110 offset0:101 offset1:102
	ds_read2_b64 v[115:118], v110 offset0:103 offset1:104
	s_waitcnt vmcnt(12) lgkmcnt(1)
	v_fma_f64 v[111:112], v[129:130], v[111:112], v[121:122]
	s_waitcnt vmcnt(11)
	v_fma_f64 v[111:112], v[127:128], v[113:114], v[111:112]
	s_waitcnt vmcnt(10) lgkmcnt(0)
	v_fma_f64 v[111:112], v[125:126], v[115:116], v[111:112]
	s_waitcnt vmcnt(5)
	v_fma_f64 v[115:116], v[131:132], v[117:118], v[111:112]
	ds_read2_b64 v[111:114], v110 offset0:105 offset1:106
	ds_read_b64 v[117:118], v110 offset:856
	s_waitcnt vmcnt(4) lgkmcnt(1)
	v_fma_f64 v[111:112], v[139:140], v[111:112], v[115:116]
	s_waitcnt vmcnt(3)
	v_fma_f64 v[111:112], v[137:138], v[113:114], v[111:112]
	s_waitcnt vmcnt(2) lgkmcnt(0)
	v_fma_f64 v[111:112], v[133:134], v[117:118], v[111:112]
	s_waitcnt vmcnt(0)
	v_add_f64 v[111:112], v[119:120], -v[111:112]
	buffer_store_dword v112, off, s[0:3], 0 offset:244
	buffer_store_dword v111, off, s[0:3], 0 offset:240
	s_and_saveexec_b64 s[4:5], vcc
	s_cbranch_execz .LBB53_273
; %bb.272:
	buffer_load_dword v111, off, s[0:3], 0 offset:232
	buffer_load_dword v112, off, s[0:3], 0 offset:236
	s_waitcnt vmcnt(0)
	ds_write_b64 v109, v[111:112]
	buffer_store_dword v110, off, s[0:3], 0 offset:232
	buffer_store_dword v110, off, s[0:3], 0 offset:236
.LBB53_273:
	s_or_b64 exec, exec, s[4:5]
	s_waitcnt lgkmcnt(0)
	; wave barrier
	buffer_load_dword v119, off, s[0:3], 0 offset:240
	buffer_load_dword v120, off, s[0:3], 0 offset:244
	;; [unrolled: 1-line block ×21, first 2 shown]
	ds_read_b128 v[111:114], v110 offset:672
	ds_read_b128 v[115:118], v110 offset:688
	buffer_load_dword v136, off, s[0:3], 0 offset:324
	v_cmp_lt_u32_e32 vcc, 28, v0
	s_waitcnt vmcnt(20) lgkmcnt(1)
	v_fma_f64 v[111:112], v[119:120], v[111:112], 0
	s_waitcnt vmcnt(18)
	v_fma_f64 v[111:112], v[121:122], v[113:114], v[111:112]
	buffer_load_dword v120, off, s[0:3], 0 offset:332
	buffer_load_dword v121, off, s[0:3], 0 offset:352
	;; [unrolled: 1-line block ×7, first 2 shown]
	s_waitcnt vmcnt(23) lgkmcnt(0)
	v_fma_f64 v[111:112], v[123:124], v[115:116], v[111:112]
	s_waitcnt vmcnt(21)
	v_fma_f64 v[122:123], v[125:126], v[117:118], v[111:112]
	ds_read_b128 v[111:114], v110 offset:704
	ds_read_b128 v[115:118], v110 offset:720
	s_waitcnt vmcnt(19) lgkmcnt(1)
	v_fma_f64 v[111:112], v[127:128], v[111:112], v[122:123]
	buffer_load_dword v122, off, s[0:3], 0 offset:356
	s_waitcnt vmcnt(18)
	v_fma_f64 v[111:112], v[129:130], v[113:114], v[111:112]
	buffer_load_dword v124, off, s[0:3], 0 offset:364
	buffer_load_dword v125, off, s[0:3], 0 offset:384
	;; [unrolled: 1-line block ×8, first 2 shown]
	s_waitcnt vmcnt(24) lgkmcnt(0)
	v_fma_f64 v[111:112], v[131:132], v[115:116], v[111:112]
	s_waitcnt vmcnt(19)
	v_fma_f64 v[131:132], v[133:134], v[117:118], v[111:112]
	ds_read_b128 v[111:114], v110 offset:736
	ds_read_b128 v[115:118], v110 offset:752
	s_waitcnt vmcnt(18) lgkmcnt(1)
	v_fma_f64 v[111:112], v[139:140], v[111:112], v[131:132]
	s_waitcnt vmcnt(17)
	v_fma_f64 v[111:112], v[137:138], v[113:114], v[111:112]
	buffer_load_dword v132, off, s[0:3], 0 offset:396
	buffer_load_dword v133, off, s[0:3], 0 offset:416
	;; [unrolled: 1-line block ×8, first 2 shown]
	s_waitcnt vmcnt(24) lgkmcnt(0)
	v_fma_f64 v[111:112], v[135:136], v[115:116], v[111:112]
	s_waitcnt vmcnt(19)
	v_fma_f64 v[119:120], v[119:120], v[117:118], v[111:112]
	ds_read_b128 v[111:114], v110 offset:768
	ds_read_b128 v[115:118], v110 offset:784
	s_waitcnt vmcnt(18) lgkmcnt(1)
	v_fma_f64 v[111:112], v[143:144], v[111:112], v[119:120]
	buffer_load_dword v120, off, s[0:3], 0 offset:428
	buffer_load_dword v119, off, s[0:3], 0 offset:424
	;; [unrolled: 1-line block ×4, first 2 shown]
	s_waitcnt vmcnt(21)
	v_fma_f64 v[111:112], v[141:142], v[113:114], v[111:112]
	s_waitcnt vmcnt(20) lgkmcnt(0)
	v_fma_f64 v[111:112], v[121:122], v[115:116], v[111:112]
	s_waitcnt vmcnt(15)
	v_fma_f64 v[121:122], v[123:124], v[117:118], v[111:112]
	ds_read_b128 v[111:114], v110 offset:800
	ds_read_b128 v[115:118], v110 offset:816
	s_waitcnt vmcnt(14) lgkmcnt(1)
	v_fma_f64 v[111:112], v[129:130], v[111:112], v[121:122]
	s_waitcnt vmcnt(13)
	v_fma_f64 v[111:112], v[127:128], v[113:114], v[111:112]
	s_waitcnt vmcnt(12) lgkmcnt(0)
	v_fma_f64 v[111:112], v[125:126], v[115:116], v[111:112]
	s_waitcnt vmcnt(7)
	v_fma_f64 v[121:122], v[131:132], v[117:118], v[111:112]
	ds_read_b128 v[111:114], v110 offset:832
	ds_read_b128 v[115:118], v110 offset:848
	s_waitcnt vmcnt(6) lgkmcnt(1)
	v_fma_f64 v[110:111], v[139:140], v[111:112], v[121:122]
	s_waitcnt vmcnt(5)
	v_fma_f64 v[110:111], v[137:138], v[113:114], v[110:111]
	s_waitcnt vmcnt(4) lgkmcnt(0)
	v_fma_f64 v[110:111], v[133:134], v[115:116], v[110:111]
	s_waitcnt vmcnt(2)
	v_fma_f64 v[110:111], v[119:120], v[117:118], v[110:111]
	s_waitcnt vmcnt(0)
	v_add_f64 v[110:111], v[135:136], -v[110:111]
	buffer_store_dword v111, off, s[0:3], 0 offset:236
	buffer_store_dword v110, off, s[0:3], 0 offset:232
	s_and_saveexec_b64 s[4:5], vcc
	s_cbranch_execz .LBB53_275
; %bb.274:
	buffer_load_dword v110, off, s[0:3], 0 offset:224
	buffer_load_dword v111, off, s[0:3], 0 offset:228
	v_mov_b32_e32 v112, 0
	buffer_store_dword v112, off, s[0:3], 0 offset:224
	buffer_store_dword v112, off, s[0:3], 0 offset:228
	s_waitcnt vmcnt(2)
	ds_write_b64 v109, v[110:111]
.LBB53_275:
	s_or_b64 exec, exec, s[4:5]
	s_waitcnt lgkmcnt(0)
	; wave barrier
	buffer_load_dword v119, off, s[0:3], 0 offset:232
	buffer_load_dword v120, off, s[0:3], 0 offset:236
	;; [unrolled: 1-line block ×21, first 2 shown]
	v_mov_b32_e32 v110, 0
	ds_read2_b64 v[111:114], v110 offset0:83 offset1:84
	ds_read2_b64 v[115:118], v110 offset0:85 offset1:86
	buffer_load_dword v136, off, s[0:3], 0 offset:316
	v_cmp_lt_u32_e32 vcc, 27, v0
	s_waitcnt vmcnt(20) lgkmcnt(1)
	v_fma_f64 v[111:112], v[119:120], v[111:112], 0
	s_waitcnt vmcnt(18)
	v_fma_f64 v[111:112], v[121:122], v[113:114], v[111:112]
	buffer_load_dword v120, off, s[0:3], 0 offset:324
	buffer_load_dword v121, off, s[0:3], 0 offset:344
	;; [unrolled: 1-line block ×7, first 2 shown]
	s_waitcnt vmcnt(23) lgkmcnt(0)
	v_fma_f64 v[111:112], v[123:124], v[115:116], v[111:112]
	s_waitcnt vmcnt(21)
	v_fma_f64 v[122:123], v[125:126], v[117:118], v[111:112]
	ds_read2_b64 v[111:114], v110 offset0:87 offset1:88
	ds_read2_b64 v[115:118], v110 offset0:89 offset1:90
	s_waitcnt vmcnt(19) lgkmcnt(1)
	v_fma_f64 v[111:112], v[127:128], v[111:112], v[122:123]
	buffer_load_dword v122, off, s[0:3], 0 offset:348
	s_waitcnt vmcnt(18)
	v_fma_f64 v[111:112], v[129:130], v[113:114], v[111:112]
	buffer_load_dword v124, off, s[0:3], 0 offset:356
	buffer_load_dword v125, off, s[0:3], 0 offset:376
	;; [unrolled: 1-line block ×8, first 2 shown]
	s_waitcnt vmcnt(24) lgkmcnt(0)
	v_fma_f64 v[111:112], v[131:132], v[115:116], v[111:112]
	s_waitcnt vmcnt(19)
	v_fma_f64 v[131:132], v[133:134], v[117:118], v[111:112]
	ds_read2_b64 v[111:114], v110 offset0:91 offset1:92
	ds_read2_b64 v[115:118], v110 offset0:93 offset1:94
	s_waitcnt vmcnt(18) lgkmcnt(1)
	v_fma_f64 v[111:112], v[139:140], v[111:112], v[131:132]
	s_waitcnt vmcnt(17)
	v_fma_f64 v[111:112], v[137:138], v[113:114], v[111:112]
	buffer_load_dword v132, off, s[0:3], 0 offset:388
	buffer_load_dword v133, off, s[0:3], 0 offset:408
	;; [unrolled: 1-line block ×7, first 2 shown]
	s_waitcnt vmcnt(23) lgkmcnt(0)
	v_fma_f64 v[111:112], v[135:136], v[115:116], v[111:112]
	s_waitcnt vmcnt(18)
	v_fma_f64 v[119:120], v[119:120], v[117:118], v[111:112]
	ds_read2_b64 v[111:114], v110 offset0:95 offset1:96
	ds_read2_b64 v[115:118], v110 offset0:97 offset1:98
	buffer_load_dword v134, off, s[0:3], 0 offset:412
	s_waitcnt vmcnt(18) lgkmcnt(1)
	v_fma_f64 v[111:112], v[143:144], v[111:112], v[119:120]
	buffer_load_dword v120, off, s[0:3], 0 offset:420
	buffer_load_dword v135, off, s[0:3], 0 offset:424
	;; [unrolled: 1-line block ×4, first 2 shown]
	s_waitcnt vmcnt(21)
	v_fma_f64 v[111:112], v[141:142], v[113:114], v[111:112]
	s_waitcnt vmcnt(20) lgkmcnt(0)
	v_fma_f64 v[111:112], v[121:122], v[115:116], v[111:112]
	buffer_load_dword v121, off, s[0:3], 0 offset:224
	buffer_load_dword v122, off, s[0:3], 0 offset:228
	s_waitcnt vmcnt(17)
	v_fma_f64 v[123:124], v[123:124], v[117:118], v[111:112]
	ds_read2_b64 v[111:114], v110 offset0:99 offset1:100
	ds_read2_b64 v[115:118], v110 offset0:101 offset1:102
	s_waitcnt vmcnt(16) lgkmcnt(1)
	v_fma_f64 v[111:112], v[129:130], v[111:112], v[123:124]
	s_waitcnt vmcnt(15)
	v_fma_f64 v[111:112], v[127:128], v[113:114], v[111:112]
	s_waitcnt vmcnt(14) lgkmcnt(0)
	v_fma_f64 v[111:112], v[125:126], v[115:116], v[111:112]
	s_waitcnt vmcnt(9)
	v_fma_f64 v[123:124], v[131:132], v[117:118], v[111:112]
	ds_read2_b64 v[111:114], v110 offset0:103 offset1:104
	ds_read2_b64 v[115:118], v110 offset0:105 offset1:106
	s_waitcnt vmcnt(8) lgkmcnt(1)
	v_fma_f64 v[111:112], v[139:140], v[111:112], v[123:124]
	s_waitcnt vmcnt(7)
	v_fma_f64 v[111:112], v[137:138], v[113:114], v[111:112]
	ds_read_b64 v[113:114], v110 offset:856
	s_waitcnt vmcnt(6) lgkmcnt(1)
	v_fma_f64 v[111:112], v[133:134], v[115:116], v[111:112]
	s_waitcnt vmcnt(3)
	v_fma_f64 v[111:112], v[119:120], v[117:118], v[111:112]
	s_waitcnt vmcnt(2) lgkmcnt(0)
	v_fma_f64 v[111:112], v[135:136], v[113:114], v[111:112]
	s_waitcnt vmcnt(0)
	v_add_f64 v[111:112], v[121:122], -v[111:112]
	buffer_store_dword v112, off, s[0:3], 0 offset:228
	buffer_store_dword v111, off, s[0:3], 0 offset:224
	s_and_saveexec_b64 s[4:5], vcc
	s_cbranch_execz .LBB53_277
; %bb.276:
	buffer_load_dword v111, off, s[0:3], 0 offset:216
	buffer_load_dword v112, off, s[0:3], 0 offset:220
	s_waitcnt vmcnt(0)
	ds_write_b64 v109, v[111:112]
	buffer_store_dword v110, off, s[0:3], 0 offset:216
	buffer_store_dword v110, off, s[0:3], 0 offset:220
.LBB53_277:
	s_or_b64 exec, exec, s[4:5]
	s_waitcnt lgkmcnt(0)
	; wave barrier
	buffer_load_dword v119, off, s[0:3], 0 offset:224
	buffer_load_dword v120, off, s[0:3], 0 offset:228
	;; [unrolled: 1-line block ×22, first 2 shown]
	ds_read_b128 v[111:114], v110 offset:656
	ds_read_b128 v[115:118], v110 offset:672
	v_cmp_lt_u32_e32 vcc, 26, v0
	s_waitcnt vmcnt(20) lgkmcnt(1)
	v_fma_f64 v[111:112], v[119:120], v[111:112], 0
	s_waitcnt vmcnt(18)
	v_fma_f64 v[111:112], v[121:122], v[113:114], v[111:112]
	buffer_load_dword v120, off, s[0:3], 0 offset:316
	buffer_load_dword v121, off, s[0:3], 0 offset:336
	;; [unrolled: 1-line block ×7, first 2 shown]
	s_waitcnt vmcnt(23) lgkmcnt(0)
	v_fma_f64 v[111:112], v[123:124], v[115:116], v[111:112]
	s_waitcnt vmcnt(21)
	v_fma_f64 v[122:123], v[125:126], v[117:118], v[111:112]
	ds_read_b128 v[111:114], v110 offset:688
	ds_read_b128 v[115:118], v110 offset:704
	s_waitcnt vmcnt(19) lgkmcnt(1)
	v_fma_f64 v[111:112], v[127:128], v[111:112], v[122:123]
	buffer_load_dword v122, off, s[0:3], 0 offset:340
	s_waitcnt vmcnt(18)
	v_fma_f64 v[111:112], v[129:130], v[113:114], v[111:112]
	buffer_load_dword v124, off, s[0:3], 0 offset:348
	buffer_load_dword v125, off, s[0:3], 0 offset:368
	;; [unrolled: 1-line block ×8, first 2 shown]
	s_waitcnt vmcnt(24) lgkmcnt(0)
	v_fma_f64 v[111:112], v[131:132], v[115:116], v[111:112]
	s_waitcnt vmcnt(19)
	v_fma_f64 v[131:132], v[133:134], v[117:118], v[111:112]
	ds_read_b128 v[111:114], v110 offset:720
	ds_read_b128 v[115:118], v110 offset:736
	s_waitcnt vmcnt(18) lgkmcnt(1)
	v_fma_f64 v[111:112], v[139:140], v[111:112], v[131:132]
	s_waitcnt vmcnt(17)
	v_fma_f64 v[111:112], v[137:138], v[113:114], v[111:112]
	buffer_load_dword v132, off, s[0:3], 0 offset:380
	buffer_load_dword v133, off, s[0:3], 0 offset:400
	buffer_load_dword v137, off, s[0:3], 0 offset:392
	buffer_load_dword v139, off, s[0:3], 0 offset:384
	buffer_load_dword v131, off, s[0:3], 0 offset:376
	buffer_load_dword v140, off, s[0:3], 0 offset:388
	buffer_load_dword v138, off, s[0:3], 0 offset:396
	buffer_load_dword v134, off, s[0:3], 0 offset:404
	s_waitcnt vmcnt(24) lgkmcnt(0)
	v_fma_f64 v[111:112], v[135:136], v[115:116], v[111:112]
	s_waitcnt vmcnt(19)
	v_fma_f64 v[119:120], v[119:120], v[117:118], v[111:112]
	ds_read_b128 v[111:114], v110 offset:752
	ds_read_b128 v[115:118], v110 offset:768
	s_waitcnt vmcnt(18) lgkmcnt(1)
	v_fma_f64 v[111:112], v[143:144], v[111:112], v[119:120]
	s_waitcnt vmcnt(17)
	v_fma_f64 v[111:112], v[141:142], v[113:114], v[111:112]
	buffer_load_dword v120, off, s[0:3], 0 offset:412
	buffer_load_dword v135, off, s[0:3], 0 offset:424
	;; [unrolled: 1-line block ×6, first 2 shown]
	s_waitcnt vmcnt(22) lgkmcnt(0)
	v_fma_f64 v[111:112], v[121:122], v[115:116], v[111:112]
	s_waitcnt vmcnt(17)
	v_fma_f64 v[121:122], v[123:124], v[117:118], v[111:112]
	ds_read_b128 v[111:114], v110 offset:784
	buffer_load_dword v123, off, s[0:3], 0 offset:216
	buffer_load_dword v124, off, s[0:3], 0 offset:220
	ds_read_b128 v[115:118], v110 offset:800
	s_waitcnt vmcnt(18) lgkmcnt(1)
	v_fma_f64 v[111:112], v[129:130], v[111:112], v[121:122]
	s_waitcnt vmcnt(17)
	v_fma_f64 v[111:112], v[127:128], v[113:114], v[111:112]
	s_waitcnt vmcnt(16) lgkmcnt(0)
	v_fma_f64 v[111:112], v[125:126], v[115:116], v[111:112]
	s_waitcnt vmcnt(11)
	v_fma_f64 v[121:122], v[131:132], v[117:118], v[111:112]
	ds_read_b128 v[111:114], v110 offset:816
	ds_read_b128 v[115:118], v110 offset:832
	s_waitcnt vmcnt(10) lgkmcnt(1)
	v_fma_f64 v[111:112], v[139:140], v[111:112], v[121:122]
	s_waitcnt vmcnt(9)
	v_fma_f64 v[111:112], v[137:138], v[113:114], v[111:112]
	s_waitcnt vmcnt(8) lgkmcnt(0)
	v_fma_f64 v[111:112], v[133:134], v[115:116], v[111:112]
	s_waitcnt vmcnt(4)
	v_fma_f64 v[114:115], v[119:120], v[117:118], v[111:112]
	ds_read_b128 v[110:113], v110 offset:848
	s_waitcnt vmcnt(3) lgkmcnt(0)
	v_fma_f64 v[110:111], v[141:142], v[110:111], v[114:115]
	s_waitcnt vmcnt(2)
	v_fma_f64 v[110:111], v[135:136], v[112:113], v[110:111]
	s_waitcnt vmcnt(0)
	v_add_f64 v[110:111], v[123:124], -v[110:111]
	buffer_store_dword v111, off, s[0:3], 0 offset:220
	buffer_store_dword v110, off, s[0:3], 0 offset:216
	s_and_saveexec_b64 s[4:5], vcc
	s_cbranch_execz .LBB53_279
; %bb.278:
	buffer_load_dword v110, off, s[0:3], 0 offset:208
	buffer_load_dword v111, off, s[0:3], 0 offset:212
	v_mov_b32_e32 v112, 0
	buffer_store_dword v112, off, s[0:3], 0 offset:208
	buffer_store_dword v112, off, s[0:3], 0 offset:212
	s_waitcnt vmcnt(2)
	ds_write_b64 v109, v[110:111]
.LBB53_279:
	s_or_b64 exec, exec, s[4:5]
	s_waitcnt lgkmcnt(0)
	; wave barrier
	buffer_load_dword v119, off, s[0:3], 0 offset:216
	buffer_load_dword v120, off, s[0:3], 0 offset:220
	;; [unrolled: 1-line block ×22, first 2 shown]
	v_mov_b32_e32 v110, 0
	ds_read2_b64 v[111:114], v110 offset0:81 offset1:82
	ds_read2_b64 v[115:118], v110 offset0:83 offset1:84
	v_cmp_lt_u32_e32 vcc, 25, v0
	s_waitcnt vmcnt(20) lgkmcnt(1)
	v_fma_f64 v[111:112], v[119:120], v[111:112], 0
	s_waitcnt vmcnt(18)
	v_fma_f64 v[111:112], v[121:122], v[113:114], v[111:112]
	buffer_load_dword v120, off, s[0:3], 0 offset:308
	buffer_load_dword v121, off, s[0:3], 0 offset:328
	;; [unrolled: 1-line block ×7, first 2 shown]
	s_waitcnt vmcnt(23) lgkmcnt(0)
	v_fma_f64 v[111:112], v[123:124], v[115:116], v[111:112]
	s_waitcnt vmcnt(21)
	v_fma_f64 v[122:123], v[125:126], v[117:118], v[111:112]
	ds_read2_b64 v[111:114], v110 offset0:85 offset1:86
	ds_read2_b64 v[115:118], v110 offset0:87 offset1:88
	s_waitcnt vmcnt(19) lgkmcnt(1)
	v_fma_f64 v[111:112], v[127:128], v[111:112], v[122:123]
	buffer_load_dword v122, off, s[0:3], 0 offset:332
	s_waitcnt vmcnt(18)
	v_fma_f64 v[111:112], v[129:130], v[113:114], v[111:112]
	buffer_load_dword v124, off, s[0:3], 0 offset:340
	buffer_load_dword v125, off, s[0:3], 0 offset:360
	buffer_load_dword v127, off, s[0:3], 0 offset:352
	buffer_load_dword v129, off, s[0:3], 0 offset:344
	buffer_load_dword v123, off, s[0:3], 0 offset:336
	buffer_load_dword v130, off, s[0:3], 0 offset:348
	buffer_load_dword v128, off, s[0:3], 0 offset:356
	buffer_load_dword v126, off, s[0:3], 0 offset:364
	s_waitcnt vmcnt(24) lgkmcnt(0)
	v_fma_f64 v[111:112], v[131:132], v[115:116], v[111:112]
	s_waitcnt vmcnt(19)
	v_fma_f64 v[131:132], v[133:134], v[117:118], v[111:112]
	ds_read2_b64 v[111:114], v110 offset0:89 offset1:90
	ds_read2_b64 v[115:118], v110 offset0:91 offset1:92
	s_waitcnt vmcnt(18) lgkmcnt(1)
	v_fma_f64 v[111:112], v[139:140], v[111:112], v[131:132]
	s_waitcnt vmcnt(17)
	v_fma_f64 v[111:112], v[137:138], v[113:114], v[111:112]
	buffer_load_dword v132, off, s[0:3], 0 offset:372
	buffer_load_dword v133, off, s[0:3], 0 offset:392
	buffer_load_dword v137, off, s[0:3], 0 offset:384
	buffer_load_dword v139, off, s[0:3], 0 offset:376
	buffer_load_dword v131, off, s[0:3], 0 offset:368
	buffer_load_dword v140, off, s[0:3], 0 offset:380
	buffer_load_dword v138, off, s[0:3], 0 offset:388
	buffer_load_dword v134, off, s[0:3], 0 offset:396
	s_waitcnt vmcnt(24) lgkmcnt(0)
	v_fma_f64 v[111:112], v[135:136], v[115:116], v[111:112]
	s_waitcnt vmcnt(19)
	v_fma_f64 v[119:120], v[119:120], v[117:118], v[111:112]
	ds_read2_b64 v[111:114], v110 offset0:93 offset1:94
	ds_read2_b64 v[115:118], v110 offset0:95 offset1:96
	s_waitcnt vmcnt(18) lgkmcnt(1)
	v_fma_f64 v[111:112], v[143:144], v[111:112], v[119:120]
	;; [unrolled: 18-line block ×3, first 2 shown]
	buffer_load_dword v121, off, s[0:3], 0 offset:208
	buffer_load_dword v122, off, s[0:3], 0 offset:212
	s_waitcnt vmcnt(19)
	v_fma_f64 v[111:112], v[127:128], v[113:114], v[111:112]
	s_waitcnt vmcnt(18) lgkmcnt(0)
	v_fma_f64 v[111:112], v[125:126], v[115:116], v[111:112]
	s_waitcnt vmcnt(13)
	v_fma_f64 v[123:124], v[131:132], v[117:118], v[111:112]
	ds_read2_b64 v[111:114], v110 offset0:101 offset1:102
	ds_read2_b64 v[115:118], v110 offset0:103 offset1:104
	s_waitcnt vmcnt(12) lgkmcnt(1)
	v_fma_f64 v[111:112], v[139:140], v[111:112], v[123:124]
	s_waitcnt vmcnt(11)
	v_fma_f64 v[111:112], v[137:138], v[113:114], v[111:112]
	s_waitcnt vmcnt(10) lgkmcnt(0)
	v_fma_f64 v[111:112], v[133:134], v[115:116], v[111:112]
	s_waitcnt vmcnt(5)
	v_fma_f64 v[115:116], v[119:120], v[117:118], v[111:112]
	ds_read2_b64 v[111:114], v110 offset0:105 offset1:106
	ds_read_b64 v[117:118], v110 offset:856
	s_waitcnt vmcnt(4) lgkmcnt(1)
	v_fma_f64 v[111:112], v[143:144], v[111:112], v[115:116]
	s_waitcnt vmcnt(3)
	v_fma_f64 v[111:112], v[141:142], v[113:114], v[111:112]
	s_waitcnt vmcnt(2) lgkmcnt(0)
	v_fma_f64 v[111:112], v[135:136], v[117:118], v[111:112]
	s_waitcnt vmcnt(0)
	v_add_f64 v[111:112], v[121:122], -v[111:112]
	buffer_store_dword v112, off, s[0:3], 0 offset:212
	buffer_store_dword v111, off, s[0:3], 0 offset:208
	s_and_saveexec_b64 s[4:5], vcc
	s_cbranch_execz .LBB53_281
; %bb.280:
	buffer_load_dword v111, off, s[0:3], 0 offset:200
	buffer_load_dword v112, off, s[0:3], 0 offset:204
	s_waitcnt vmcnt(0)
	ds_write_b64 v109, v[111:112]
	buffer_store_dword v110, off, s[0:3], 0 offset:200
	buffer_store_dword v110, off, s[0:3], 0 offset:204
.LBB53_281:
	s_or_b64 exec, exec, s[4:5]
	s_waitcnt lgkmcnt(0)
	; wave barrier
	buffer_load_dword v119, off, s[0:3], 0 offset:208
	buffer_load_dword v120, off, s[0:3], 0 offset:212
	;; [unrolled: 1-line block ×22, first 2 shown]
	ds_read_b128 v[111:114], v110 offset:640
	ds_read_b128 v[115:118], v110 offset:656
	v_cmp_lt_u32_e32 vcc, 24, v0
	s_waitcnt vmcnt(20) lgkmcnt(1)
	v_fma_f64 v[111:112], v[119:120], v[111:112], 0
	s_waitcnt vmcnt(18)
	v_fma_f64 v[111:112], v[121:122], v[113:114], v[111:112]
	buffer_load_dword v120, off, s[0:3], 0 offset:300
	buffer_load_dword v121, off, s[0:3], 0 offset:320
	;; [unrolled: 1-line block ×7, first 2 shown]
	s_waitcnt vmcnt(23) lgkmcnt(0)
	v_fma_f64 v[111:112], v[123:124], v[115:116], v[111:112]
	s_waitcnt vmcnt(21)
	v_fma_f64 v[122:123], v[125:126], v[117:118], v[111:112]
	ds_read_b128 v[111:114], v110 offset:672
	ds_read_b128 v[115:118], v110 offset:688
	s_waitcnt vmcnt(19) lgkmcnt(1)
	v_fma_f64 v[111:112], v[127:128], v[111:112], v[122:123]
	buffer_load_dword v122, off, s[0:3], 0 offset:324
	s_waitcnt vmcnt(18)
	v_fma_f64 v[111:112], v[129:130], v[113:114], v[111:112]
	buffer_load_dword v124, off, s[0:3], 0 offset:332
	buffer_load_dword v125, off, s[0:3], 0 offset:352
	buffer_load_dword v127, off, s[0:3], 0 offset:344
	buffer_load_dword v129, off, s[0:3], 0 offset:336
	buffer_load_dword v123, off, s[0:3], 0 offset:328
	buffer_load_dword v130, off, s[0:3], 0 offset:340
	buffer_load_dword v128, off, s[0:3], 0 offset:348
	buffer_load_dword v126, off, s[0:3], 0 offset:356
	s_waitcnt vmcnt(24) lgkmcnt(0)
	v_fma_f64 v[111:112], v[131:132], v[115:116], v[111:112]
	s_waitcnt vmcnt(19)
	v_fma_f64 v[131:132], v[133:134], v[117:118], v[111:112]
	ds_read_b128 v[111:114], v110 offset:704
	ds_read_b128 v[115:118], v110 offset:720
	s_waitcnt vmcnt(18) lgkmcnt(1)
	v_fma_f64 v[111:112], v[139:140], v[111:112], v[131:132]
	s_waitcnt vmcnt(17)
	v_fma_f64 v[111:112], v[137:138], v[113:114], v[111:112]
	buffer_load_dword v132, off, s[0:3], 0 offset:364
	buffer_load_dword v133, off, s[0:3], 0 offset:384
	buffer_load_dword v137, off, s[0:3], 0 offset:376
	buffer_load_dword v139, off, s[0:3], 0 offset:368
	buffer_load_dword v131, off, s[0:3], 0 offset:360
	buffer_load_dword v140, off, s[0:3], 0 offset:372
	buffer_load_dword v138, off, s[0:3], 0 offset:380
	buffer_load_dword v134, off, s[0:3], 0 offset:388
	s_waitcnt vmcnt(24) lgkmcnt(0)
	v_fma_f64 v[111:112], v[135:136], v[115:116], v[111:112]
	s_waitcnt vmcnt(19)
	v_fma_f64 v[119:120], v[119:120], v[117:118], v[111:112]
	ds_read_b128 v[111:114], v110 offset:736
	ds_read_b128 v[115:118], v110 offset:752
	s_waitcnt vmcnt(18) lgkmcnt(1)
	v_fma_f64 v[111:112], v[143:144], v[111:112], v[119:120]
	;; [unrolled: 18-line block ×3, first 2 shown]
	buffer_load_dword v122, off, s[0:3], 0 offset:428
	buffer_load_dword v121, off, s[0:3], 0 offset:424
	;; [unrolled: 1-line block ×4, first 2 shown]
	s_waitcnt vmcnt(21)
	v_fma_f64 v[111:112], v[127:128], v[113:114], v[111:112]
	s_waitcnt vmcnt(20) lgkmcnt(0)
	v_fma_f64 v[111:112], v[125:126], v[115:116], v[111:112]
	s_waitcnt vmcnt(15)
	v_fma_f64 v[125:126], v[131:132], v[117:118], v[111:112]
	ds_read_b128 v[111:114], v110 offset:800
	ds_read_b128 v[115:118], v110 offset:816
	s_waitcnt vmcnt(14) lgkmcnt(1)
	v_fma_f64 v[111:112], v[139:140], v[111:112], v[125:126]
	s_waitcnt vmcnt(13)
	v_fma_f64 v[111:112], v[137:138], v[113:114], v[111:112]
	s_waitcnt vmcnt(12) lgkmcnt(0)
	v_fma_f64 v[111:112], v[133:134], v[115:116], v[111:112]
	s_waitcnt vmcnt(7)
	v_fma_f64 v[119:120], v[119:120], v[117:118], v[111:112]
	ds_read_b128 v[111:114], v110 offset:832
	ds_read_b128 v[115:118], v110 offset:848
	s_waitcnt vmcnt(6) lgkmcnt(1)
	v_fma_f64 v[110:111], v[143:144], v[111:112], v[119:120]
	s_waitcnt vmcnt(5)
	v_fma_f64 v[110:111], v[141:142], v[113:114], v[110:111]
	s_waitcnt vmcnt(4) lgkmcnt(0)
	v_fma_f64 v[110:111], v[135:136], v[115:116], v[110:111]
	s_waitcnt vmcnt(2)
	v_fma_f64 v[110:111], v[121:122], v[117:118], v[110:111]
	s_waitcnt vmcnt(0)
	v_add_f64 v[110:111], v[123:124], -v[110:111]
	buffer_store_dword v111, off, s[0:3], 0 offset:204
	buffer_store_dword v110, off, s[0:3], 0 offset:200
	s_and_saveexec_b64 s[4:5], vcc
	s_cbranch_execz .LBB53_283
; %bb.282:
	buffer_load_dword v110, off, s[0:3], 0 offset:192
	buffer_load_dword v111, off, s[0:3], 0 offset:196
	v_mov_b32_e32 v112, 0
	buffer_store_dword v112, off, s[0:3], 0 offset:192
	buffer_store_dword v112, off, s[0:3], 0 offset:196
	s_waitcnt vmcnt(2)
	ds_write_b64 v109, v[110:111]
.LBB53_283:
	s_or_b64 exec, exec, s[4:5]
	s_waitcnt lgkmcnt(0)
	; wave barrier
	buffer_load_dword v119, off, s[0:3], 0 offset:200
	buffer_load_dword v120, off, s[0:3], 0 offset:204
	;; [unrolled: 1-line block ×22, first 2 shown]
	v_mov_b32_e32 v110, 0
	ds_read2_b64 v[111:114], v110 offset0:79 offset1:80
	ds_read2_b64 v[115:118], v110 offset0:81 offset1:82
	v_cmp_lt_u32_e32 vcc, 23, v0
	s_waitcnt vmcnt(20) lgkmcnt(1)
	v_fma_f64 v[111:112], v[119:120], v[111:112], 0
	s_waitcnt vmcnt(18)
	v_fma_f64 v[111:112], v[121:122], v[113:114], v[111:112]
	buffer_load_dword v120, off, s[0:3], 0 offset:292
	buffer_load_dword v121, off, s[0:3], 0 offset:312
	;; [unrolled: 1-line block ×7, first 2 shown]
	s_waitcnt vmcnt(23) lgkmcnt(0)
	v_fma_f64 v[111:112], v[123:124], v[115:116], v[111:112]
	s_waitcnt vmcnt(21)
	v_fma_f64 v[122:123], v[125:126], v[117:118], v[111:112]
	ds_read2_b64 v[111:114], v110 offset0:83 offset1:84
	ds_read2_b64 v[115:118], v110 offset0:85 offset1:86
	s_waitcnt vmcnt(19) lgkmcnt(1)
	v_fma_f64 v[111:112], v[127:128], v[111:112], v[122:123]
	buffer_load_dword v122, off, s[0:3], 0 offset:316
	s_waitcnt vmcnt(18)
	v_fma_f64 v[111:112], v[129:130], v[113:114], v[111:112]
	buffer_load_dword v124, off, s[0:3], 0 offset:324
	buffer_load_dword v125, off, s[0:3], 0 offset:344
	;; [unrolled: 1-line block ×7, first 2 shown]
	s_waitcnt vmcnt(23) lgkmcnt(0)
	v_fma_f64 v[111:112], v[131:132], v[115:116], v[111:112]
	s_waitcnt vmcnt(18)
	v_fma_f64 v[131:132], v[133:134], v[117:118], v[111:112]
	ds_read2_b64 v[111:114], v110 offset0:87 offset1:88
	ds_read2_b64 v[115:118], v110 offset0:89 offset1:90
	buffer_load_dword v126, off, s[0:3], 0 offset:348
	s_waitcnt vmcnt(18) lgkmcnt(1)
	v_fma_f64 v[111:112], v[139:140], v[111:112], v[131:132]
	s_waitcnt vmcnt(17)
	v_fma_f64 v[111:112], v[137:138], v[113:114], v[111:112]
	buffer_load_dword v132, off, s[0:3], 0 offset:356
	buffer_load_dword v133, off, s[0:3], 0 offset:376
	;; [unrolled: 1-line block ×8, first 2 shown]
	s_waitcnt vmcnt(24) lgkmcnt(0)
	v_fma_f64 v[111:112], v[135:136], v[115:116], v[111:112]
	s_waitcnt vmcnt(19)
	v_fma_f64 v[119:120], v[119:120], v[117:118], v[111:112]
	ds_read2_b64 v[111:114], v110 offset0:91 offset1:92
	ds_read2_b64 v[115:118], v110 offset0:93 offset1:94
	s_waitcnt vmcnt(18) lgkmcnt(1)
	v_fma_f64 v[111:112], v[143:144], v[111:112], v[119:120]
	s_waitcnt vmcnt(17)
	v_fma_f64 v[111:112], v[141:142], v[113:114], v[111:112]
	buffer_load_dword v120, off, s[0:3], 0 offset:388
	buffer_load_dword v135, off, s[0:3], 0 offset:408
	;; [unrolled: 1-line block ×7, first 2 shown]
	s_waitcnt vmcnt(23) lgkmcnt(0)
	v_fma_f64 v[111:112], v[121:122], v[115:116], v[111:112]
	s_waitcnt vmcnt(18)
	v_fma_f64 v[121:122], v[123:124], v[117:118], v[111:112]
	ds_read2_b64 v[111:114], v110 offset0:95 offset1:96
	ds_read2_b64 v[115:118], v110 offset0:97 offset1:98
	buffer_load_dword v136, off, s[0:3], 0 offset:412
	s_waitcnt vmcnt(18) lgkmcnt(1)
	v_fma_f64 v[111:112], v[129:130], v[111:112], v[121:122]
	buffer_load_dword v122, off, s[0:3], 0 offset:420
	buffer_load_dword v123, off, s[0:3], 0 offset:424
	;; [unrolled: 1-line block ×4, first 2 shown]
	s_waitcnt vmcnt(21)
	v_fma_f64 v[111:112], v[127:128], v[113:114], v[111:112]
	s_waitcnt vmcnt(20) lgkmcnt(0)
	v_fma_f64 v[111:112], v[125:126], v[115:116], v[111:112]
	buffer_load_dword v125, off, s[0:3], 0 offset:192
	buffer_load_dword v126, off, s[0:3], 0 offset:196
	s_waitcnt vmcnt(17)
	v_fma_f64 v[127:128], v[131:132], v[117:118], v[111:112]
	ds_read2_b64 v[111:114], v110 offset0:99 offset1:100
	ds_read2_b64 v[115:118], v110 offset0:101 offset1:102
	s_waitcnt vmcnt(16) lgkmcnt(1)
	v_fma_f64 v[111:112], v[139:140], v[111:112], v[127:128]
	s_waitcnt vmcnt(15)
	v_fma_f64 v[111:112], v[137:138], v[113:114], v[111:112]
	s_waitcnt vmcnt(14) lgkmcnt(0)
	v_fma_f64 v[111:112], v[133:134], v[115:116], v[111:112]
	s_waitcnt vmcnt(9)
	v_fma_f64 v[119:120], v[119:120], v[117:118], v[111:112]
	ds_read2_b64 v[111:114], v110 offset0:103 offset1:104
	ds_read2_b64 v[115:118], v110 offset0:105 offset1:106
	s_waitcnt vmcnt(8) lgkmcnt(1)
	v_fma_f64 v[111:112], v[143:144], v[111:112], v[119:120]
	s_waitcnt vmcnt(7)
	v_fma_f64 v[111:112], v[141:142], v[113:114], v[111:112]
	ds_read_b64 v[113:114], v110 offset:856
	s_waitcnt vmcnt(6) lgkmcnt(1)
	v_fma_f64 v[111:112], v[135:136], v[115:116], v[111:112]
	s_waitcnt vmcnt(3)
	v_fma_f64 v[111:112], v[121:122], v[117:118], v[111:112]
	s_waitcnt vmcnt(2) lgkmcnt(0)
	v_fma_f64 v[111:112], v[123:124], v[113:114], v[111:112]
	s_waitcnt vmcnt(0)
	v_add_f64 v[111:112], v[125:126], -v[111:112]
	buffer_store_dword v112, off, s[0:3], 0 offset:196
	buffer_store_dword v111, off, s[0:3], 0 offset:192
	s_and_saveexec_b64 s[4:5], vcc
	s_cbranch_execz .LBB53_285
; %bb.284:
	buffer_load_dword v111, off, s[0:3], 0 offset:184
	buffer_load_dword v112, off, s[0:3], 0 offset:188
	s_waitcnt vmcnt(0)
	ds_write_b64 v109, v[111:112]
	buffer_store_dword v110, off, s[0:3], 0 offset:184
	buffer_store_dword v110, off, s[0:3], 0 offset:188
.LBB53_285:
	s_or_b64 exec, exec, s[4:5]
	s_waitcnt lgkmcnt(0)
	; wave barrier
	buffer_load_dword v119, off, s[0:3], 0 offset:192
	buffer_load_dword v120, off, s[0:3], 0 offset:196
	;; [unrolled: 1-line block ×22, first 2 shown]
	ds_read_b128 v[111:114], v110 offset:624
	ds_read_b128 v[115:118], v110 offset:640
	v_cmp_lt_u32_e32 vcc, 22, v0
	s_waitcnt vmcnt(20) lgkmcnt(1)
	v_fma_f64 v[111:112], v[119:120], v[111:112], 0
	s_waitcnt vmcnt(18)
	v_fma_f64 v[111:112], v[121:122], v[113:114], v[111:112]
	buffer_load_dword v120, off, s[0:3], 0 offset:284
	buffer_load_dword v121, off, s[0:3], 0 offset:304
	;; [unrolled: 1-line block ×7, first 2 shown]
	s_waitcnt vmcnt(23) lgkmcnt(0)
	v_fma_f64 v[111:112], v[123:124], v[115:116], v[111:112]
	s_waitcnt vmcnt(21)
	v_fma_f64 v[122:123], v[125:126], v[117:118], v[111:112]
	ds_read_b128 v[111:114], v110 offset:656
	ds_read_b128 v[115:118], v110 offset:672
	s_waitcnt vmcnt(19) lgkmcnt(1)
	v_fma_f64 v[111:112], v[127:128], v[111:112], v[122:123]
	buffer_load_dword v122, off, s[0:3], 0 offset:308
	s_waitcnt vmcnt(18)
	v_fma_f64 v[111:112], v[129:130], v[113:114], v[111:112]
	buffer_load_dword v124, off, s[0:3], 0 offset:316
	buffer_load_dword v125, off, s[0:3], 0 offset:336
	;; [unrolled: 1-line block ×7, first 2 shown]
	s_waitcnt vmcnt(23) lgkmcnt(0)
	v_fma_f64 v[111:112], v[131:132], v[115:116], v[111:112]
	s_waitcnt vmcnt(18)
	v_fma_f64 v[131:132], v[133:134], v[117:118], v[111:112]
	ds_read_b128 v[111:114], v110 offset:688
	ds_read_b128 v[115:118], v110 offset:704
	buffer_load_dword v126, off, s[0:3], 0 offset:340
	s_waitcnt vmcnt(18) lgkmcnt(1)
	v_fma_f64 v[111:112], v[139:140], v[111:112], v[131:132]
	s_waitcnt vmcnt(17)
	v_fma_f64 v[111:112], v[137:138], v[113:114], v[111:112]
	buffer_load_dword v132, off, s[0:3], 0 offset:348
	buffer_load_dword v133, off, s[0:3], 0 offset:368
	;; [unrolled: 1-line block ×8, first 2 shown]
	s_waitcnt vmcnt(24) lgkmcnt(0)
	v_fma_f64 v[111:112], v[135:136], v[115:116], v[111:112]
	s_waitcnt vmcnt(19)
	v_fma_f64 v[119:120], v[119:120], v[117:118], v[111:112]
	ds_read_b128 v[111:114], v110 offset:720
	ds_read_b128 v[115:118], v110 offset:736
	s_waitcnt vmcnt(18) lgkmcnt(1)
	v_fma_f64 v[111:112], v[143:144], v[111:112], v[119:120]
	s_waitcnt vmcnt(17)
	v_fma_f64 v[111:112], v[141:142], v[113:114], v[111:112]
	buffer_load_dword v120, off, s[0:3], 0 offset:380
	buffer_load_dword v135, off, s[0:3], 0 offset:400
	;; [unrolled: 1-line block ×8, first 2 shown]
	s_waitcnt vmcnt(24) lgkmcnt(0)
	v_fma_f64 v[111:112], v[121:122], v[115:116], v[111:112]
	s_waitcnt vmcnt(19)
	v_fma_f64 v[121:122], v[123:124], v[117:118], v[111:112]
	ds_read_b128 v[111:114], v110 offset:752
	ds_read_b128 v[115:118], v110 offset:768
	s_waitcnt vmcnt(18) lgkmcnt(1)
	v_fma_f64 v[111:112], v[129:130], v[111:112], v[121:122]
	s_waitcnt vmcnt(17)
	v_fma_f64 v[111:112], v[127:128], v[113:114], v[111:112]
	buffer_load_dword v122, off, s[0:3], 0 offset:412
	buffer_load_dword v123, off, s[0:3], 0 offset:424
	;; [unrolled: 1-line block ×6, first 2 shown]
	s_waitcnt vmcnt(22) lgkmcnt(0)
	v_fma_f64 v[111:112], v[125:126], v[115:116], v[111:112]
	s_waitcnt vmcnt(17)
	v_fma_f64 v[125:126], v[131:132], v[117:118], v[111:112]
	ds_read_b128 v[111:114], v110 offset:784
	buffer_load_dword v129, off, s[0:3], 0 offset:184
	buffer_load_dword v130, off, s[0:3], 0 offset:188
	ds_read_b128 v[115:118], v110 offset:800
	s_waitcnt vmcnt(18) lgkmcnt(1)
	v_fma_f64 v[111:112], v[139:140], v[111:112], v[125:126]
	s_waitcnt vmcnt(17)
	v_fma_f64 v[111:112], v[137:138], v[113:114], v[111:112]
	s_waitcnt vmcnt(16) lgkmcnt(0)
	v_fma_f64 v[111:112], v[133:134], v[115:116], v[111:112]
	s_waitcnt vmcnt(11)
	v_fma_f64 v[119:120], v[119:120], v[117:118], v[111:112]
	ds_read_b128 v[111:114], v110 offset:816
	ds_read_b128 v[115:118], v110 offset:832
	s_waitcnt vmcnt(10) lgkmcnt(1)
	v_fma_f64 v[111:112], v[143:144], v[111:112], v[119:120]
	s_waitcnt vmcnt(9)
	v_fma_f64 v[111:112], v[141:142], v[113:114], v[111:112]
	s_waitcnt vmcnt(8) lgkmcnt(0)
	v_fma_f64 v[111:112], v[135:136], v[115:116], v[111:112]
	s_waitcnt vmcnt(4)
	v_fma_f64 v[114:115], v[121:122], v[117:118], v[111:112]
	ds_read_b128 v[110:113], v110 offset:848
	s_waitcnt vmcnt(3) lgkmcnt(0)
	v_fma_f64 v[110:111], v[127:128], v[110:111], v[114:115]
	s_waitcnt vmcnt(2)
	v_fma_f64 v[110:111], v[123:124], v[112:113], v[110:111]
	s_waitcnt vmcnt(0)
	v_add_f64 v[110:111], v[129:130], -v[110:111]
	buffer_store_dword v111, off, s[0:3], 0 offset:188
	buffer_store_dword v110, off, s[0:3], 0 offset:184
	s_and_saveexec_b64 s[4:5], vcc
	s_cbranch_execz .LBB53_287
; %bb.286:
	buffer_load_dword v110, off, s[0:3], 0 offset:176
	buffer_load_dword v111, off, s[0:3], 0 offset:180
	v_mov_b32_e32 v112, 0
	buffer_store_dword v112, off, s[0:3], 0 offset:176
	buffer_store_dword v112, off, s[0:3], 0 offset:180
	s_waitcnt vmcnt(2)
	ds_write_b64 v109, v[110:111]
.LBB53_287:
	s_or_b64 exec, exec, s[4:5]
	s_waitcnt lgkmcnt(0)
	; wave barrier
	buffer_load_dword v119, off, s[0:3], 0 offset:184
	buffer_load_dword v120, off, s[0:3], 0 offset:188
	;; [unrolled: 1-line block ×22, first 2 shown]
	v_mov_b32_e32 v110, 0
	ds_read2_b64 v[111:114], v110 offset0:77 offset1:78
	ds_read2_b64 v[115:118], v110 offset0:79 offset1:80
	v_cmp_lt_u32_e32 vcc, 21, v0
	s_waitcnt vmcnt(20) lgkmcnt(1)
	v_fma_f64 v[111:112], v[119:120], v[111:112], 0
	s_waitcnt vmcnt(18)
	v_fma_f64 v[111:112], v[121:122], v[113:114], v[111:112]
	buffer_load_dword v120, off, s[0:3], 0 offset:276
	buffer_load_dword v121, off, s[0:3], 0 offset:296
	;; [unrolled: 1-line block ×7, first 2 shown]
	s_waitcnt vmcnt(23) lgkmcnt(0)
	v_fma_f64 v[111:112], v[123:124], v[115:116], v[111:112]
	s_waitcnt vmcnt(21)
	v_fma_f64 v[122:123], v[125:126], v[117:118], v[111:112]
	ds_read2_b64 v[111:114], v110 offset0:81 offset1:82
	ds_read2_b64 v[115:118], v110 offset0:83 offset1:84
	s_waitcnt vmcnt(19) lgkmcnt(1)
	v_fma_f64 v[111:112], v[127:128], v[111:112], v[122:123]
	buffer_load_dword v122, off, s[0:3], 0 offset:300
	s_waitcnt vmcnt(18)
	v_fma_f64 v[111:112], v[129:130], v[113:114], v[111:112]
	buffer_load_dword v124, off, s[0:3], 0 offset:308
	buffer_load_dword v125, off, s[0:3], 0 offset:328
	;; [unrolled: 1-line block ×7, first 2 shown]
	s_waitcnt vmcnt(23) lgkmcnt(0)
	v_fma_f64 v[111:112], v[131:132], v[115:116], v[111:112]
	s_waitcnt vmcnt(18)
	v_fma_f64 v[131:132], v[133:134], v[117:118], v[111:112]
	ds_read2_b64 v[111:114], v110 offset0:85 offset1:86
	ds_read2_b64 v[115:118], v110 offset0:87 offset1:88
	buffer_load_dword v126, off, s[0:3], 0 offset:332
	s_waitcnt vmcnt(18) lgkmcnt(1)
	v_fma_f64 v[111:112], v[139:140], v[111:112], v[131:132]
	s_waitcnt vmcnt(17)
	v_fma_f64 v[111:112], v[137:138], v[113:114], v[111:112]
	buffer_load_dword v132, off, s[0:3], 0 offset:340
	buffer_load_dword v133, off, s[0:3], 0 offset:360
	buffer_load_dword v137, off, s[0:3], 0 offset:352
	buffer_load_dword v139, off, s[0:3], 0 offset:344
	buffer_load_dword v131, off, s[0:3], 0 offset:336
	buffer_load_dword v140, off, s[0:3], 0 offset:348
	buffer_load_dword v138, off, s[0:3], 0 offset:356
	buffer_load_dword v134, off, s[0:3], 0 offset:364
	s_waitcnt vmcnt(24) lgkmcnt(0)
	v_fma_f64 v[111:112], v[135:136], v[115:116], v[111:112]
	s_waitcnt vmcnt(19)
	v_fma_f64 v[119:120], v[119:120], v[117:118], v[111:112]
	ds_read2_b64 v[111:114], v110 offset0:89 offset1:90
	ds_read2_b64 v[115:118], v110 offset0:91 offset1:92
	s_waitcnt vmcnt(18) lgkmcnt(1)
	v_fma_f64 v[111:112], v[143:144], v[111:112], v[119:120]
	s_waitcnt vmcnt(17)
	v_fma_f64 v[111:112], v[141:142], v[113:114], v[111:112]
	buffer_load_dword v120, off, s[0:3], 0 offset:372
	buffer_load_dword v135, off, s[0:3], 0 offset:392
	buffer_load_dword v141, off, s[0:3], 0 offset:384
	buffer_load_dword v143, off, s[0:3], 0 offset:376
	buffer_load_dword v119, off, s[0:3], 0 offset:368
	buffer_load_dword v144, off, s[0:3], 0 offset:380
	buffer_load_dword v142, off, s[0:3], 0 offset:388
	buffer_load_dword v136, off, s[0:3], 0 offset:396
	s_waitcnt vmcnt(24) lgkmcnt(0)
	v_fma_f64 v[111:112], v[121:122], v[115:116], v[111:112]
	s_waitcnt vmcnt(19)
	v_fma_f64 v[121:122], v[123:124], v[117:118], v[111:112]
	ds_read2_b64 v[111:114], v110 offset0:93 offset1:94
	ds_read2_b64 v[115:118], v110 offset0:95 offset1:96
	;; [unrolled: 18-line block ×3, first 2 shown]
	s_waitcnt vmcnt(18) lgkmcnt(1)
	v_fma_f64 v[111:112], v[139:140], v[111:112], v[125:126]
	buffer_load_dword v125, off, s[0:3], 0 offset:176
	buffer_load_dword v126, off, s[0:3], 0 offset:180
	s_waitcnt vmcnt(19)
	v_fma_f64 v[111:112], v[137:138], v[113:114], v[111:112]
	s_waitcnt vmcnt(18) lgkmcnt(0)
	v_fma_f64 v[111:112], v[133:134], v[115:116], v[111:112]
	s_waitcnt vmcnt(13)
	v_fma_f64 v[119:120], v[119:120], v[117:118], v[111:112]
	ds_read2_b64 v[111:114], v110 offset0:101 offset1:102
	ds_read2_b64 v[115:118], v110 offset0:103 offset1:104
	s_waitcnt vmcnt(12) lgkmcnt(1)
	v_fma_f64 v[111:112], v[143:144], v[111:112], v[119:120]
	s_waitcnt vmcnt(11)
	v_fma_f64 v[111:112], v[141:142], v[113:114], v[111:112]
	s_waitcnt vmcnt(10) lgkmcnt(0)
	v_fma_f64 v[111:112], v[135:136], v[115:116], v[111:112]
	s_waitcnt vmcnt(5)
	v_fma_f64 v[115:116], v[121:122], v[117:118], v[111:112]
	ds_read2_b64 v[111:114], v110 offset0:105 offset1:106
	ds_read_b64 v[117:118], v110 offset:856
	s_waitcnt vmcnt(4) lgkmcnt(1)
	v_fma_f64 v[111:112], v[129:130], v[111:112], v[115:116]
	s_waitcnt vmcnt(3)
	v_fma_f64 v[111:112], v[127:128], v[113:114], v[111:112]
	s_waitcnt vmcnt(2) lgkmcnt(0)
	v_fma_f64 v[111:112], v[123:124], v[117:118], v[111:112]
	s_waitcnt vmcnt(0)
	v_add_f64 v[111:112], v[125:126], -v[111:112]
	buffer_store_dword v112, off, s[0:3], 0 offset:180
	buffer_store_dword v111, off, s[0:3], 0 offset:176
	s_and_saveexec_b64 s[4:5], vcc
	s_cbranch_execz .LBB53_289
; %bb.288:
	buffer_load_dword v111, off, s[0:3], 0 offset:168
	buffer_load_dword v112, off, s[0:3], 0 offset:172
	s_waitcnt vmcnt(0)
	ds_write_b64 v109, v[111:112]
	buffer_store_dword v110, off, s[0:3], 0 offset:168
	buffer_store_dword v110, off, s[0:3], 0 offset:172
.LBB53_289:
	s_or_b64 exec, exec, s[4:5]
	s_waitcnt lgkmcnt(0)
	; wave barrier
	buffer_load_dword v119, off, s[0:3], 0 offset:176
	buffer_load_dword v120, off, s[0:3], 0 offset:180
	;; [unrolled: 1-line block ×22, first 2 shown]
	ds_read_b128 v[111:114], v110 offset:608
	ds_read_b128 v[115:118], v110 offset:624
	v_cmp_lt_u32_e32 vcc, 20, v0
	s_waitcnt vmcnt(20) lgkmcnt(1)
	v_fma_f64 v[111:112], v[119:120], v[111:112], 0
	s_waitcnt vmcnt(18)
	v_fma_f64 v[111:112], v[121:122], v[113:114], v[111:112]
	buffer_load_dword v120, off, s[0:3], 0 offset:268
	buffer_load_dword v121, off, s[0:3], 0 offset:288
	;; [unrolled: 1-line block ×7, first 2 shown]
	s_waitcnt vmcnt(23) lgkmcnt(0)
	v_fma_f64 v[111:112], v[123:124], v[115:116], v[111:112]
	s_waitcnt vmcnt(21)
	v_fma_f64 v[122:123], v[125:126], v[117:118], v[111:112]
	ds_read_b128 v[111:114], v110 offset:640
	ds_read_b128 v[115:118], v110 offset:656
	s_waitcnt vmcnt(19) lgkmcnt(1)
	v_fma_f64 v[111:112], v[127:128], v[111:112], v[122:123]
	buffer_load_dword v122, off, s[0:3], 0 offset:292
	s_waitcnt vmcnt(18)
	v_fma_f64 v[111:112], v[129:130], v[113:114], v[111:112]
	buffer_load_dword v124, off, s[0:3], 0 offset:300
	buffer_load_dword v125, off, s[0:3], 0 offset:320
	buffer_load_dword v127, off, s[0:3], 0 offset:312
	buffer_load_dword v129, off, s[0:3], 0 offset:304
	buffer_load_dword v123, off, s[0:3], 0 offset:296
	buffer_load_dword v130, off, s[0:3], 0 offset:308
	buffer_load_dword v128, off, s[0:3], 0 offset:316
	s_waitcnt vmcnt(23) lgkmcnt(0)
	v_fma_f64 v[111:112], v[131:132], v[115:116], v[111:112]
	s_waitcnt vmcnt(18)
	v_fma_f64 v[131:132], v[133:134], v[117:118], v[111:112]
	ds_read_b128 v[111:114], v110 offset:672
	ds_read_b128 v[115:118], v110 offset:688
	buffer_load_dword v126, off, s[0:3], 0 offset:324
	s_waitcnt vmcnt(18) lgkmcnt(1)
	v_fma_f64 v[111:112], v[139:140], v[111:112], v[131:132]
	s_waitcnt vmcnt(17)
	v_fma_f64 v[111:112], v[137:138], v[113:114], v[111:112]
	buffer_load_dword v132, off, s[0:3], 0 offset:332
	buffer_load_dword v133, off, s[0:3], 0 offset:352
	buffer_load_dword v137, off, s[0:3], 0 offset:344
	buffer_load_dword v139, off, s[0:3], 0 offset:336
	buffer_load_dword v131, off, s[0:3], 0 offset:328
	buffer_load_dword v140, off, s[0:3], 0 offset:340
	buffer_load_dword v138, off, s[0:3], 0 offset:348
	buffer_load_dword v134, off, s[0:3], 0 offset:356
	s_waitcnt vmcnt(24) lgkmcnt(0)
	v_fma_f64 v[111:112], v[135:136], v[115:116], v[111:112]
	s_waitcnt vmcnt(19)
	v_fma_f64 v[119:120], v[119:120], v[117:118], v[111:112]
	ds_read_b128 v[111:114], v110 offset:704
	ds_read_b128 v[115:118], v110 offset:720
	s_waitcnt vmcnt(18) lgkmcnt(1)
	v_fma_f64 v[111:112], v[143:144], v[111:112], v[119:120]
	s_waitcnt vmcnt(17)
	v_fma_f64 v[111:112], v[141:142], v[113:114], v[111:112]
	buffer_load_dword v120, off, s[0:3], 0 offset:364
	buffer_load_dword v135, off, s[0:3], 0 offset:384
	buffer_load_dword v141, off, s[0:3], 0 offset:376
	buffer_load_dword v143, off, s[0:3], 0 offset:368
	buffer_load_dword v119, off, s[0:3], 0 offset:360
	buffer_load_dword v144, off, s[0:3], 0 offset:372
	buffer_load_dword v142, off, s[0:3], 0 offset:380
	buffer_load_dword v136, off, s[0:3], 0 offset:388
	s_waitcnt vmcnt(24) lgkmcnt(0)
	v_fma_f64 v[111:112], v[121:122], v[115:116], v[111:112]
	s_waitcnt vmcnt(19)
	v_fma_f64 v[121:122], v[123:124], v[117:118], v[111:112]
	ds_read_b128 v[111:114], v110 offset:736
	ds_read_b128 v[115:118], v110 offset:752
	s_waitcnt vmcnt(18) lgkmcnt(1)
	v_fma_f64 v[111:112], v[129:130], v[111:112], v[121:122]
	s_waitcnt vmcnt(17)
	v_fma_f64 v[111:112], v[127:128], v[113:114], v[111:112]
	buffer_load_dword v122, off, s[0:3], 0 offset:396
	buffer_load_dword v123, off, s[0:3], 0 offset:416
	buffer_load_dword v127, off, s[0:3], 0 offset:408
	buffer_load_dword v129, off, s[0:3], 0 offset:400
	buffer_load_dword v121, off, s[0:3], 0 offset:392
	buffer_load_dword v130, off, s[0:3], 0 offset:404
	buffer_load_dword v128, off, s[0:3], 0 offset:412
	buffer_load_dword v124, off, s[0:3], 0 offset:420
	s_waitcnt vmcnt(24) lgkmcnt(0)
	v_fma_f64 v[111:112], v[125:126], v[115:116], v[111:112]
	s_waitcnt vmcnt(19)
	v_fma_f64 v[125:126], v[131:132], v[117:118], v[111:112]
	ds_read_b128 v[111:114], v110 offset:768
	ds_read_b128 v[115:118], v110 offset:784
	s_waitcnt vmcnt(18) lgkmcnt(1)
	v_fma_f64 v[111:112], v[139:140], v[111:112], v[125:126]
	buffer_load_dword v126, off, s[0:3], 0 offset:428
	buffer_load_dword v125, off, s[0:3], 0 offset:424
	;; [unrolled: 1-line block ×4, first 2 shown]
	s_waitcnt vmcnt(21)
	v_fma_f64 v[111:112], v[137:138], v[113:114], v[111:112]
	s_waitcnt vmcnt(20) lgkmcnt(0)
	v_fma_f64 v[111:112], v[133:134], v[115:116], v[111:112]
	s_waitcnt vmcnt(15)
	v_fma_f64 v[119:120], v[119:120], v[117:118], v[111:112]
	ds_read_b128 v[111:114], v110 offset:800
	ds_read_b128 v[115:118], v110 offset:816
	s_waitcnt vmcnt(14) lgkmcnt(1)
	v_fma_f64 v[111:112], v[143:144], v[111:112], v[119:120]
	s_waitcnt vmcnt(13)
	v_fma_f64 v[111:112], v[141:142], v[113:114], v[111:112]
	s_waitcnt vmcnt(12) lgkmcnt(0)
	v_fma_f64 v[111:112], v[135:136], v[115:116], v[111:112]
	s_waitcnt vmcnt(7)
	v_fma_f64 v[119:120], v[121:122], v[117:118], v[111:112]
	ds_read_b128 v[111:114], v110 offset:832
	ds_read_b128 v[115:118], v110 offset:848
	s_waitcnt vmcnt(6) lgkmcnt(1)
	v_fma_f64 v[110:111], v[129:130], v[111:112], v[119:120]
	s_waitcnt vmcnt(5)
	v_fma_f64 v[110:111], v[127:128], v[113:114], v[110:111]
	s_waitcnt vmcnt(4) lgkmcnt(0)
	v_fma_f64 v[110:111], v[123:124], v[115:116], v[110:111]
	s_waitcnt vmcnt(2)
	v_fma_f64 v[110:111], v[125:126], v[117:118], v[110:111]
	s_waitcnt vmcnt(0)
	v_add_f64 v[110:111], v[131:132], -v[110:111]
	buffer_store_dword v111, off, s[0:3], 0 offset:172
	buffer_store_dword v110, off, s[0:3], 0 offset:168
	s_and_saveexec_b64 s[4:5], vcc
	s_cbranch_execz .LBB53_291
; %bb.290:
	buffer_load_dword v110, off, s[0:3], 0 offset:160
	buffer_load_dword v111, off, s[0:3], 0 offset:164
	v_mov_b32_e32 v112, 0
	buffer_store_dword v112, off, s[0:3], 0 offset:160
	buffer_store_dword v112, off, s[0:3], 0 offset:164
	s_waitcnt vmcnt(2)
	ds_write_b64 v109, v[110:111]
.LBB53_291:
	s_or_b64 exec, exec, s[4:5]
	s_waitcnt lgkmcnt(0)
	; wave barrier
	buffer_load_dword v119, off, s[0:3], 0 offset:168
	buffer_load_dword v120, off, s[0:3], 0 offset:172
	;; [unrolled: 1-line block ×21, first 2 shown]
	v_mov_b32_e32 v110, 0
	ds_read2_b64 v[111:114], v110 offset0:75 offset1:76
	ds_read2_b64 v[115:118], v110 offset0:77 offset1:78
	buffer_load_dword v136, off, s[0:3], 0 offset:252
	v_cmp_lt_u32_e32 vcc, 19, v0
	s_waitcnt vmcnt(20) lgkmcnt(1)
	v_fma_f64 v[111:112], v[119:120], v[111:112], 0
	s_waitcnt vmcnt(18)
	v_fma_f64 v[111:112], v[121:122], v[113:114], v[111:112]
	buffer_load_dword v120, off, s[0:3], 0 offset:260
	buffer_load_dword v121, off, s[0:3], 0 offset:280
	;; [unrolled: 1-line block ×7, first 2 shown]
	s_waitcnt vmcnt(23) lgkmcnt(0)
	v_fma_f64 v[111:112], v[123:124], v[115:116], v[111:112]
	s_waitcnt vmcnt(21)
	v_fma_f64 v[122:123], v[125:126], v[117:118], v[111:112]
	ds_read2_b64 v[111:114], v110 offset0:79 offset1:80
	ds_read2_b64 v[115:118], v110 offset0:81 offset1:82
	s_waitcnt vmcnt(19) lgkmcnt(1)
	v_fma_f64 v[111:112], v[127:128], v[111:112], v[122:123]
	buffer_load_dword v122, off, s[0:3], 0 offset:284
	s_waitcnt vmcnt(18)
	v_fma_f64 v[111:112], v[129:130], v[113:114], v[111:112]
	buffer_load_dword v124, off, s[0:3], 0 offset:292
	buffer_load_dword v125, off, s[0:3], 0 offset:312
	;; [unrolled: 1-line block ×7, first 2 shown]
	s_waitcnt vmcnt(23) lgkmcnt(0)
	v_fma_f64 v[111:112], v[131:132], v[115:116], v[111:112]
	s_waitcnt vmcnt(18)
	v_fma_f64 v[131:132], v[133:134], v[117:118], v[111:112]
	ds_read2_b64 v[111:114], v110 offset0:83 offset1:84
	ds_read2_b64 v[115:118], v110 offset0:85 offset1:86
	buffer_load_dword v126, off, s[0:3], 0 offset:316
	s_waitcnt vmcnt(18) lgkmcnt(1)
	v_fma_f64 v[111:112], v[139:140], v[111:112], v[131:132]
	s_waitcnt vmcnt(17)
	v_fma_f64 v[111:112], v[137:138], v[113:114], v[111:112]
	buffer_load_dword v132, off, s[0:3], 0 offset:324
	buffer_load_dword v133, off, s[0:3], 0 offset:344
	;; [unrolled: 1-line block ×7, first 2 shown]
	s_waitcnt vmcnt(23) lgkmcnt(0)
	v_fma_f64 v[111:112], v[135:136], v[115:116], v[111:112]
	s_waitcnt vmcnt(18)
	v_fma_f64 v[119:120], v[119:120], v[117:118], v[111:112]
	ds_read2_b64 v[111:114], v110 offset0:87 offset1:88
	ds_read2_b64 v[115:118], v110 offset0:89 offset1:90
	buffer_load_dword v134, off, s[0:3], 0 offset:348
	s_waitcnt vmcnt(18) lgkmcnt(1)
	v_fma_f64 v[111:112], v[143:144], v[111:112], v[119:120]
	s_waitcnt vmcnt(17)
	v_fma_f64 v[111:112], v[141:142], v[113:114], v[111:112]
	buffer_load_dword v120, off, s[0:3], 0 offset:356
	buffer_load_dword v135, off, s[0:3], 0 offset:376
	;; [unrolled: 1-line block ×8, first 2 shown]
	s_waitcnt vmcnt(24) lgkmcnt(0)
	v_fma_f64 v[111:112], v[121:122], v[115:116], v[111:112]
	s_waitcnt vmcnt(19)
	v_fma_f64 v[121:122], v[123:124], v[117:118], v[111:112]
	ds_read2_b64 v[111:114], v110 offset0:91 offset1:92
	ds_read2_b64 v[115:118], v110 offset0:93 offset1:94
	s_waitcnt vmcnt(18) lgkmcnt(1)
	v_fma_f64 v[111:112], v[129:130], v[111:112], v[121:122]
	s_waitcnt vmcnt(17)
	v_fma_f64 v[111:112], v[127:128], v[113:114], v[111:112]
	buffer_load_dword v122, off, s[0:3], 0 offset:388
	buffer_load_dword v123, off, s[0:3], 0 offset:408
	;; [unrolled: 1-line block ×7, first 2 shown]
	s_waitcnt vmcnt(23) lgkmcnt(0)
	v_fma_f64 v[111:112], v[125:126], v[115:116], v[111:112]
	s_waitcnt vmcnt(18)
	v_fma_f64 v[124:125], v[131:132], v[117:118], v[111:112]
	ds_read2_b64 v[111:114], v110 offset0:95 offset1:96
	ds_read2_b64 v[115:118], v110 offset0:97 offset1:98
	s_waitcnt vmcnt(17) lgkmcnt(1)
	v_fma_f64 v[111:112], v[139:140], v[111:112], v[124:125]
	buffer_load_dword v124, off, s[0:3], 0 offset:412
	buffer_load_dword v126, off, s[0:3], 0 offset:420
	;; [unrolled: 1-line block ×5, first 2 shown]
	s_waitcnt vmcnt(21)
	v_fma_f64 v[111:112], v[137:138], v[113:114], v[111:112]
	s_waitcnt vmcnt(20) lgkmcnt(0)
	v_fma_f64 v[111:112], v[133:134], v[115:116], v[111:112]
	buffer_load_dword v133, off, s[0:3], 0 offset:160
	buffer_load_dword v134, off, s[0:3], 0 offset:164
	s_waitcnt vmcnt(17)
	v_fma_f64 v[119:120], v[119:120], v[117:118], v[111:112]
	ds_read2_b64 v[111:114], v110 offset0:99 offset1:100
	ds_read2_b64 v[115:118], v110 offset0:101 offset1:102
	s_waitcnt vmcnt(16) lgkmcnt(1)
	v_fma_f64 v[111:112], v[143:144], v[111:112], v[119:120]
	s_waitcnt vmcnt(15)
	v_fma_f64 v[111:112], v[141:142], v[113:114], v[111:112]
	s_waitcnt vmcnt(14) lgkmcnt(0)
	v_fma_f64 v[111:112], v[135:136], v[115:116], v[111:112]
	s_waitcnt vmcnt(9)
	v_fma_f64 v[119:120], v[121:122], v[117:118], v[111:112]
	ds_read2_b64 v[111:114], v110 offset0:103 offset1:104
	ds_read2_b64 v[115:118], v110 offset0:105 offset1:106
	s_waitcnt vmcnt(8) lgkmcnt(1)
	v_fma_f64 v[111:112], v[129:130], v[111:112], v[119:120]
	s_waitcnt vmcnt(7)
	v_fma_f64 v[111:112], v[127:128], v[113:114], v[111:112]
	ds_read_b64 v[113:114], v110 offset:856
	s_waitcnt vmcnt(6) lgkmcnt(1)
	v_fma_f64 v[111:112], v[123:124], v[115:116], v[111:112]
	s_waitcnt vmcnt(3)
	v_fma_f64 v[111:112], v[125:126], v[117:118], v[111:112]
	s_waitcnt vmcnt(2) lgkmcnt(0)
	v_fma_f64 v[111:112], v[131:132], v[113:114], v[111:112]
	s_waitcnt vmcnt(0)
	v_add_f64 v[111:112], v[133:134], -v[111:112]
	buffer_store_dword v112, off, s[0:3], 0 offset:164
	buffer_store_dword v111, off, s[0:3], 0 offset:160
	s_and_saveexec_b64 s[4:5], vcc
	s_cbranch_execz .LBB53_293
; %bb.292:
	buffer_load_dword v111, off, s[0:3], 0 offset:152
	buffer_load_dword v112, off, s[0:3], 0 offset:156
	s_waitcnt vmcnt(0)
	ds_write_b64 v109, v[111:112]
	buffer_store_dword v110, off, s[0:3], 0 offset:152
	buffer_store_dword v110, off, s[0:3], 0 offset:156
.LBB53_293:
	s_or_b64 exec, exec, s[4:5]
	s_waitcnt lgkmcnt(0)
	; wave barrier
	buffer_load_dword v119, off, s[0:3], 0 offset:160
	buffer_load_dword v120, off, s[0:3], 0 offset:164
	;; [unrolled: 1-line block ×21, first 2 shown]
	ds_read_b128 v[111:114], v110 offset:592
	ds_read_b128 v[115:118], v110 offset:608
	buffer_load_dword v136, off, s[0:3], 0 offset:244
	v_cmp_lt_u32_e32 vcc, 18, v0
	s_waitcnt vmcnt(20) lgkmcnt(1)
	v_fma_f64 v[111:112], v[119:120], v[111:112], 0
	s_waitcnt vmcnt(18)
	v_fma_f64 v[111:112], v[121:122], v[113:114], v[111:112]
	buffer_load_dword v120, off, s[0:3], 0 offset:252
	buffer_load_dword v121, off, s[0:3], 0 offset:272
	;; [unrolled: 1-line block ×7, first 2 shown]
	s_waitcnt vmcnt(23) lgkmcnt(0)
	v_fma_f64 v[111:112], v[123:124], v[115:116], v[111:112]
	s_waitcnt vmcnt(21)
	v_fma_f64 v[122:123], v[125:126], v[117:118], v[111:112]
	ds_read_b128 v[111:114], v110 offset:624
	ds_read_b128 v[115:118], v110 offset:640
	s_waitcnt vmcnt(19) lgkmcnt(1)
	v_fma_f64 v[111:112], v[127:128], v[111:112], v[122:123]
	buffer_load_dword v122, off, s[0:3], 0 offset:276
	s_waitcnt vmcnt(18)
	v_fma_f64 v[111:112], v[129:130], v[113:114], v[111:112]
	buffer_load_dword v124, off, s[0:3], 0 offset:284
	buffer_load_dword v125, off, s[0:3], 0 offset:304
	;; [unrolled: 1-line block ×8, first 2 shown]
	s_waitcnt vmcnt(24) lgkmcnt(0)
	v_fma_f64 v[111:112], v[131:132], v[115:116], v[111:112]
	s_waitcnt vmcnt(19)
	v_fma_f64 v[131:132], v[133:134], v[117:118], v[111:112]
	ds_read_b128 v[111:114], v110 offset:656
	ds_read_b128 v[115:118], v110 offset:672
	s_waitcnt vmcnt(18) lgkmcnt(1)
	v_fma_f64 v[111:112], v[139:140], v[111:112], v[131:132]
	s_waitcnt vmcnt(17)
	v_fma_f64 v[111:112], v[137:138], v[113:114], v[111:112]
	buffer_load_dword v132, off, s[0:3], 0 offset:316
	buffer_load_dword v133, off, s[0:3], 0 offset:336
	;; [unrolled: 1-line block ×7, first 2 shown]
	s_waitcnt vmcnt(23) lgkmcnt(0)
	v_fma_f64 v[111:112], v[135:136], v[115:116], v[111:112]
	s_waitcnt vmcnt(18)
	v_fma_f64 v[119:120], v[119:120], v[117:118], v[111:112]
	ds_read_b128 v[111:114], v110 offset:688
	ds_read_b128 v[115:118], v110 offset:704
	buffer_load_dword v134, off, s[0:3], 0 offset:340
	s_waitcnt vmcnt(18) lgkmcnt(1)
	v_fma_f64 v[111:112], v[143:144], v[111:112], v[119:120]
	s_waitcnt vmcnt(17)
	v_fma_f64 v[111:112], v[141:142], v[113:114], v[111:112]
	buffer_load_dword v120, off, s[0:3], 0 offset:348
	buffer_load_dword v135, off, s[0:3], 0 offset:368
	;; [unrolled: 1-line block ×8, first 2 shown]
	s_waitcnt vmcnt(24) lgkmcnt(0)
	v_fma_f64 v[111:112], v[121:122], v[115:116], v[111:112]
	s_waitcnt vmcnt(19)
	v_fma_f64 v[121:122], v[123:124], v[117:118], v[111:112]
	ds_read_b128 v[111:114], v110 offset:720
	ds_read_b128 v[115:118], v110 offset:736
	s_waitcnt vmcnt(18) lgkmcnt(1)
	v_fma_f64 v[111:112], v[129:130], v[111:112], v[121:122]
	s_waitcnt vmcnt(17)
	v_fma_f64 v[111:112], v[127:128], v[113:114], v[111:112]
	buffer_load_dword v122, off, s[0:3], 0 offset:380
	buffer_load_dword v123, off, s[0:3], 0 offset:400
	;; [unrolled: 1-line block ×7, first 2 shown]
	s_waitcnt vmcnt(23) lgkmcnt(0)
	v_fma_f64 v[111:112], v[125:126], v[115:116], v[111:112]
	s_waitcnt vmcnt(18)
	v_fma_f64 v[124:125], v[131:132], v[117:118], v[111:112]
	ds_read_b128 v[111:114], v110 offset:752
	ds_read_b128 v[115:118], v110 offset:768
	s_waitcnt vmcnt(17) lgkmcnt(1)
	v_fma_f64 v[111:112], v[139:140], v[111:112], v[124:125]
	buffer_load_dword v124, off, s[0:3], 0 offset:404
	s_waitcnt vmcnt(17)
	v_fma_f64 v[111:112], v[137:138], v[113:114], v[111:112]
	buffer_load_dword v126, off, s[0:3], 0 offset:412
	buffer_load_dword v131, off, s[0:3], 0 offset:424
	;; [unrolled: 1-line block ×6, first 2 shown]
	s_waitcnt vmcnt(22) lgkmcnt(0)
	v_fma_f64 v[111:112], v[133:134], v[115:116], v[111:112]
	s_waitcnt vmcnt(17)
	v_fma_f64 v[119:120], v[119:120], v[117:118], v[111:112]
	ds_read_b128 v[111:114], v110 offset:784
	buffer_load_dword v133, off, s[0:3], 0 offset:152
	buffer_load_dword v134, off, s[0:3], 0 offset:156
	ds_read_b128 v[115:118], v110 offset:800
	s_waitcnt vmcnt(18) lgkmcnt(1)
	v_fma_f64 v[111:112], v[143:144], v[111:112], v[119:120]
	s_waitcnt vmcnt(17)
	v_fma_f64 v[111:112], v[141:142], v[113:114], v[111:112]
	s_waitcnt vmcnt(16) lgkmcnt(0)
	v_fma_f64 v[111:112], v[135:136], v[115:116], v[111:112]
	s_waitcnt vmcnt(11)
	v_fma_f64 v[119:120], v[121:122], v[117:118], v[111:112]
	ds_read_b128 v[111:114], v110 offset:816
	ds_read_b128 v[115:118], v110 offset:832
	s_waitcnt vmcnt(10) lgkmcnt(1)
	v_fma_f64 v[111:112], v[129:130], v[111:112], v[119:120]
	s_waitcnt vmcnt(9)
	v_fma_f64 v[111:112], v[127:128], v[113:114], v[111:112]
	s_waitcnt vmcnt(8) lgkmcnt(0)
	v_fma_f64 v[111:112], v[123:124], v[115:116], v[111:112]
	s_waitcnt vmcnt(4)
	v_fma_f64 v[114:115], v[125:126], v[117:118], v[111:112]
	ds_read_b128 v[110:113], v110 offset:848
	s_waitcnt vmcnt(3) lgkmcnt(0)
	v_fma_f64 v[110:111], v[137:138], v[110:111], v[114:115]
	s_waitcnt vmcnt(2)
	v_fma_f64 v[110:111], v[131:132], v[112:113], v[110:111]
	s_waitcnt vmcnt(0)
	v_add_f64 v[110:111], v[133:134], -v[110:111]
	buffer_store_dword v111, off, s[0:3], 0 offset:156
	buffer_store_dword v110, off, s[0:3], 0 offset:152
	s_and_saveexec_b64 s[4:5], vcc
	s_cbranch_execz .LBB53_295
; %bb.294:
	buffer_load_dword v110, off, s[0:3], 0 offset:144
	buffer_load_dword v111, off, s[0:3], 0 offset:148
	v_mov_b32_e32 v112, 0
	buffer_store_dword v112, off, s[0:3], 0 offset:144
	buffer_store_dword v112, off, s[0:3], 0 offset:148
	s_waitcnt vmcnt(2)
	ds_write_b64 v109, v[110:111]
.LBB53_295:
	s_or_b64 exec, exec, s[4:5]
	s_waitcnt lgkmcnt(0)
	; wave barrier
	buffer_load_dword v119, off, s[0:3], 0 offset:152
	buffer_load_dword v120, off, s[0:3], 0 offset:156
	;; [unrolled: 1-line block ×21, first 2 shown]
	v_mov_b32_e32 v110, 0
	ds_read2_b64 v[111:114], v110 offset0:73 offset1:74
	ds_read2_b64 v[115:118], v110 offset0:75 offset1:76
	buffer_load_dword v136, off, s[0:3], 0 offset:236
	v_cmp_lt_u32_e32 vcc, 17, v0
	s_waitcnt vmcnt(20) lgkmcnt(1)
	v_fma_f64 v[111:112], v[119:120], v[111:112], 0
	s_waitcnt vmcnt(18)
	v_fma_f64 v[111:112], v[121:122], v[113:114], v[111:112]
	buffer_load_dword v120, off, s[0:3], 0 offset:244
	buffer_load_dword v121, off, s[0:3], 0 offset:264
	;; [unrolled: 1-line block ×7, first 2 shown]
	s_waitcnt vmcnt(23) lgkmcnt(0)
	v_fma_f64 v[111:112], v[123:124], v[115:116], v[111:112]
	s_waitcnt vmcnt(21)
	v_fma_f64 v[122:123], v[125:126], v[117:118], v[111:112]
	ds_read2_b64 v[111:114], v110 offset0:77 offset1:78
	ds_read2_b64 v[115:118], v110 offset0:79 offset1:80
	s_waitcnt vmcnt(19) lgkmcnt(1)
	v_fma_f64 v[111:112], v[127:128], v[111:112], v[122:123]
	buffer_load_dword v122, off, s[0:3], 0 offset:268
	s_waitcnt vmcnt(18)
	v_fma_f64 v[111:112], v[129:130], v[113:114], v[111:112]
	buffer_load_dword v124, off, s[0:3], 0 offset:276
	buffer_load_dword v125, off, s[0:3], 0 offset:296
	;; [unrolled: 1-line block ×8, first 2 shown]
	s_waitcnt vmcnt(24) lgkmcnt(0)
	v_fma_f64 v[111:112], v[131:132], v[115:116], v[111:112]
	s_waitcnt vmcnt(19)
	v_fma_f64 v[131:132], v[133:134], v[117:118], v[111:112]
	ds_read2_b64 v[111:114], v110 offset0:81 offset1:82
	ds_read2_b64 v[115:118], v110 offset0:83 offset1:84
	s_waitcnt vmcnt(18) lgkmcnt(1)
	v_fma_f64 v[111:112], v[139:140], v[111:112], v[131:132]
	s_waitcnt vmcnt(17)
	v_fma_f64 v[111:112], v[137:138], v[113:114], v[111:112]
	buffer_load_dword v132, off, s[0:3], 0 offset:308
	buffer_load_dword v133, off, s[0:3], 0 offset:328
	buffer_load_dword v137, off, s[0:3], 0 offset:320
	buffer_load_dword v139, off, s[0:3], 0 offset:312
	buffer_load_dword v131, off, s[0:3], 0 offset:304
	buffer_load_dword v140, off, s[0:3], 0 offset:316
	buffer_load_dword v138, off, s[0:3], 0 offset:324
	s_waitcnt vmcnt(23) lgkmcnt(0)
	v_fma_f64 v[111:112], v[135:136], v[115:116], v[111:112]
	s_waitcnt vmcnt(18)
	v_fma_f64 v[119:120], v[119:120], v[117:118], v[111:112]
	ds_read2_b64 v[111:114], v110 offset0:85 offset1:86
	ds_read2_b64 v[115:118], v110 offset0:87 offset1:88
	buffer_load_dword v134, off, s[0:3], 0 offset:332
	s_waitcnt vmcnt(18) lgkmcnt(1)
	v_fma_f64 v[111:112], v[143:144], v[111:112], v[119:120]
	s_waitcnt vmcnt(17)
	v_fma_f64 v[111:112], v[141:142], v[113:114], v[111:112]
	buffer_load_dword v120, off, s[0:3], 0 offset:340
	buffer_load_dword v135, off, s[0:3], 0 offset:360
	;; [unrolled: 1-line block ×8, first 2 shown]
	s_waitcnt vmcnt(24) lgkmcnt(0)
	v_fma_f64 v[111:112], v[121:122], v[115:116], v[111:112]
	s_waitcnt vmcnt(19)
	v_fma_f64 v[121:122], v[123:124], v[117:118], v[111:112]
	ds_read2_b64 v[111:114], v110 offset0:89 offset1:90
	ds_read2_b64 v[115:118], v110 offset0:91 offset1:92
	s_waitcnt vmcnt(18) lgkmcnt(1)
	v_fma_f64 v[111:112], v[129:130], v[111:112], v[121:122]
	s_waitcnt vmcnt(17)
	v_fma_f64 v[111:112], v[127:128], v[113:114], v[111:112]
	buffer_load_dword v122, off, s[0:3], 0 offset:372
	buffer_load_dword v123, off, s[0:3], 0 offset:392
	buffer_load_dword v127, off, s[0:3], 0 offset:384
	buffer_load_dword v129, off, s[0:3], 0 offset:376
	buffer_load_dword v121, off, s[0:3], 0 offset:368
	buffer_load_dword v130, off, s[0:3], 0 offset:380
	buffer_load_dword v128, off, s[0:3], 0 offset:388
	s_waitcnt vmcnt(23) lgkmcnt(0)
	v_fma_f64 v[111:112], v[125:126], v[115:116], v[111:112]
	s_waitcnt vmcnt(18)
	v_fma_f64 v[124:125], v[131:132], v[117:118], v[111:112]
	ds_read2_b64 v[111:114], v110 offset0:93 offset1:94
	ds_read2_b64 v[115:118], v110 offset0:95 offset1:96
	s_waitcnt vmcnt(17) lgkmcnt(1)
	v_fma_f64 v[111:112], v[139:140], v[111:112], v[124:125]
	buffer_load_dword v124, off, s[0:3], 0 offset:396
	s_waitcnt vmcnt(17)
	v_fma_f64 v[111:112], v[137:138], v[113:114], v[111:112]
	buffer_load_dword v126, off, s[0:3], 0 offset:404
	buffer_load_dword v131, off, s[0:3], 0 offset:424
	;; [unrolled: 1-line block ×8, first 2 shown]
	s_waitcnt vmcnt(24) lgkmcnt(0)
	v_fma_f64 v[111:112], v[133:134], v[115:116], v[111:112]
	s_waitcnt vmcnt(19)
	v_fma_f64 v[119:120], v[119:120], v[117:118], v[111:112]
	ds_read2_b64 v[111:114], v110 offset0:97 offset1:98
	ds_read2_b64 v[115:118], v110 offset0:99 offset1:100
	s_waitcnt vmcnt(18) lgkmcnt(1)
	v_fma_f64 v[111:112], v[143:144], v[111:112], v[119:120]
	buffer_load_dword v119, off, s[0:3], 0 offset:144
	buffer_load_dword v120, off, s[0:3], 0 offset:148
	s_waitcnt vmcnt(19)
	v_fma_f64 v[111:112], v[141:142], v[113:114], v[111:112]
	s_waitcnt vmcnt(18) lgkmcnt(0)
	v_fma_f64 v[111:112], v[135:136], v[115:116], v[111:112]
	s_waitcnt vmcnt(13)
	v_fma_f64 v[121:122], v[121:122], v[117:118], v[111:112]
	ds_read2_b64 v[111:114], v110 offset0:101 offset1:102
	ds_read2_b64 v[115:118], v110 offset0:103 offset1:104
	s_waitcnt vmcnt(12) lgkmcnt(1)
	v_fma_f64 v[111:112], v[129:130], v[111:112], v[121:122]
	s_waitcnt vmcnt(11)
	v_fma_f64 v[111:112], v[127:128], v[113:114], v[111:112]
	s_waitcnt vmcnt(10) lgkmcnt(0)
	v_fma_f64 v[111:112], v[123:124], v[115:116], v[111:112]
	s_waitcnt vmcnt(5)
	v_fma_f64 v[115:116], v[125:126], v[117:118], v[111:112]
	ds_read2_b64 v[111:114], v110 offset0:105 offset1:106
	ds_read_b64 v[117:118], v110 offset:856
	s_waitcnt vmcnt(4) lgkmcnt(1)
	v_fma_f64 v[111:112], v[139:140], v[111:112], v[115:116]
	s_waitcnt vmcnt(3)
	v_fma_f64 v[111:112], v[137:138], v[113:114], v[111:112]
	s_waitcnt vmcnt(2) lgkmcnt(0)
	v_fma_f64 v[111:112], v[131:132], v[117:118], v[111:112]
	s_waitcnt vmcnt(0)
	v_add_f64 v[111:112], v[119:120], -v[111:112]
	buffer_store_dword v112, off, s[0:3], 0 offset:148
	buffer_store_dword v111, off, s[0:3], 0 offset:144
	s_and_saveexec_b64 s[4:5], vcc
	s_cbranch_execz .LBB53_297
; %bb.296:
	buffer_load_dword v111, off, s[0:3], 0 offset:136
	buffer_load_dword v112, off, s[0:3], 0 offset:140
	s_waitcnt vmcnt(0)
	ds_write_b64 v109, v[111:112]
	buffer_store_dword v110, off, s[0:3], 0 offset:136
	buffer_store_dword v110, off, s[0:3], 0 offset:140
.LBB53_297:
	s_or_b64 exec, exec, s[4:5]
	s_waitcnt lgkmcnt(0)
	; wave barrier
	buffer_load_dword v119, off, s[0:3], 0 offset:144
	buffer_load_dword v120, off, s[0:3], 0 offset:148
	buffer_load_dword v121, off, s[0:3], 0 offset:152
	buffer_load_dword v122, off, s[0:3], 0 offset:156
	buffer_load_dword v123, off, s[0:3], 0 offset:160
	buffer_load_dword v124, off, s[0:3], 0 offset:164
	buffer_load_dword v125, off, s[0:3], 0 offset:168
	buffer_load_dword v126, off, s[0:3], 0 offset:172
	buffer_load_dword v127, off, s[0:3], 0 offset:176
	buffer_load_dword v128, off, s[0:3], 0 offset:180
	buffer_load_dword v129, off, s[0:3], 0 offset:184
	buffer_load_dword v130, off, s[0:3], 0 offset:188
	buffer_load_dword v131, off, s[0:3], 0 offset:192
	buffer_load_dword v132, off, s[0:3], 0 offset:196
	buffer_load_dword v134, off, s[0:3], 0 offset:204
	buffer_load_dword v135, off, s[0:3], 0 offset:224
	buffer_load_dword v137, off, s[0:3], 0 offset:216
	buffer_load_dword v139, off, s[0:3], 0 offset:208
	buffer_load_dword v133, off, s[0:3], 0 offset:200
	buffer_load_dword v140, off, s[0:3], 0 offset:212
	buffer_load_dword v138, off, s[0:3], 0 offset:220
	ds_read_b128 v[111:114], v110 offset:576
	ds_read_b128 v[115:118], v110 offset:592
	buffer_load_dword v136, off, s[0:3], 0 offset:228
	v_cmp_lt_u32_e32 vcc, 16, v0
	s_waitcnt vmcnt(20) lgkmcnt(1)
	v_fma_f64 v[111:112], v[119:120], v[111:112], 0
	s_waitcnt vmcnt(18)
	v_fma_f64 v[111:112], v[121:122], v[113:114], v[111:112]
	buffer_load_dword v120, off, s[0:3], 0 offset:236
	buffer_load_dword v121, off, s[0:3], 0 offset:256
	;; [unrolled: 1-line block ×7, first 2 shown]
	s_waitcnt vmcnt(23) lgkmcnt(0)
	v_fma_f64 v[111:112], v[123:124], v[115:116], v[111:112]
	s_waitcnt vmcnt(21)
	v_fma_f64 v[122:123], v[125:126], v[117:118], v[111:112]
	ds_read_b128 v[111:114], v110 offset:608
	ds_read_b128 v[115:118], v110 offset:624
	s_waitcnt vmcnt(19) lgkmcnt(1)
	v_fma_f64 v[111:112], v[127:128], v[111:112], v[122:123]
	buffer_load_dword v122, off, s[0:3], 0 offset:260
	s_waitcnt vmcnt(18)
	v_fma_f64 v[111:112], v[129:130], v[113:114], v[111:112]
	buffer_load_dword v124, off, s[0:3], 0 offset:268
	buffer_load_dword v125, off, s[0:3], 0 offset:288
	;; [unrolled: 1-line block ×8, first 2 shown]
	s_waitcnt vmcnt(24) lgkmcnt(0)
	v_fma_f64 v[111:112], v[131:132], v[115:116], v[111:112]
	s_waitcnt vmcnt(19)
	v_fma_f64 v[131:132], v[133:134], v[117:118], v[111:112]
	ds_read_b128 v[111:114], v110 offset:640
	ds_read_b128 v[115:118], v110 offset:656
	s_waitcnt vmcnt(18) lgkmcnt(1)
	v_fma_f64 v[111:112], v[139:140], v[111:112], v[131:132]
	s_waitcnt vmcnt(17)
	v_fma_f64 v[111:112], v[137:138], v[113:114], v[111:112]
	buffer_load_dword v132, off, s[0:3], 0 offset:300
	buffer_load_dword v133, off, s[0:3], 0 offset:320
	;; [unrolled: 1-line block ×7, first 2 shown]
	s_waitcnt vmcnt(23) lgkmcnt(0)
	v_fma_f64 v[111:112], v[135:136], v[115:116], v[111:112]
	s_waitcnt vmcnt(18)
	v_fma_f64 v[119:120], v[119:120], v[117:118], v[111:112]
	ds_read_b128 v[111:114], v110 offset:672
	ds_read_b128 v[115:118], v110 offset:688
	buffer_load_dword v134, off, s[0:3], 0 offset:324
	s_waitcnt vmcnt(18) lgkmcnt(1)
	v_fma_f64 v[111:112], v[143:144], v[111:112], v[119:120]
	s_waitcnt vmcnt(17)
	v_fma_f64 v[111:112], v[141:142], v[113:114], v[111:112]
	buffer_load_dword v120, off, s[0:3], 0 offset:332
	buffer_load_dword v135, off, s[0:3], 0 offset:352
	;; [unrolled: 1-line block ×8, first 2 shown]
	s_waitcnt vmcnt(24) lgkmcnt(0)
	v_fma_f64 v[111:112], v[121:122], v[115:116], v[111:112]
	s_waitcnt vmcnt(19)
	v_fma_f64 v[121:122], v[123:124], v[117:118], v[111:112]
	ds_read_b128 v[111:114], v110 offset:704
	ds_read_b128 v[115:118], v110 offset:720
	s_waitcnt vmcnt(18) lgkmcnt(1)
	v_fma_f64 v[111:112], v[129:130], v[111:112], v[121:122]
	s_waitcnt vmcnt(17)
	v_fma_f64 v[111:112], v[127:128], v[113:114], v[111:112]
	buffer_load_dword v122, off, s[0:3], 0 offset:364
	buffer_load_dword v123, off, s[0:3], 0 offset:384
	;; [unrolled: 1-line block ×7, first 2 shown]
	s_waitcnt vmcnt(23) lgkmcnt(0)
	v_fma_f64 v[111:112], v[125:126], v[115:116], v[111:112]
	s_waitcnt vmcnt(18)
	v_fma_f64 v[124:125], v[131:132], v[117:118], v[111:112]
	ds_read_b128 v[111:114], v110 offset:736
	ds_read_b128 v[115:118], v110 offset:752
	s_waitcnt vmcnt(17) lgkmcnt(1)
	v_fma_f64 v[111:112], v[139:140], v[111:112], v[124:125]
	buffer_load_dword v124, off, s[0:3], 0 offset:388
	s_waitcnt vmcnt(17)
	v_fma_f64 v[111:112], v[137:138], v[113:114], v[111:112]
	buffer_load_dword v126, off, s[0:3], 0 offset:396
	buffer_load_dword v131, off, s[0:3], 0 offset:416
	;; [unrolled: 1-line block ×8, first 2 shown]
	s_waitcnt vmcnt(24) lgkmcnt(0)
	v_fma_f64 v[111:112], v[133:134], v[115:116], v[111:112]
	s_waitcnt vmcnt(19)
	v_fma_f64 v[119:120], v[119:120], v[117:118], v[111:112]
	ds_read_b128 v[111:114], v110 offset:768
	ds_read_b128 v[115:118], v110 offset:784
	s_waitcnt vmcnt(18) lgkmcnt(1)
	v_fma_f64 v[111:112], v[143:144], v[111:112], v[119:120]
	buffer_load_dword v120, off, s[0:3], 0 offset:428
	buffer_load_dword v119, off, s[0:3], 0 offset:424
	;; [unrolled: 1-line block ×4, first 2 shown]
	s_waitcnt vmcnt(21)
	v_fma_f64 v[111:112], v[141:142], v[113:114], v[111:112]
	s_waitcnt vmcnt(20) lgkmcnt(0)
	v_fma_f64 v[111:112], v[135:136], v[115:116], v[111:112]
	s_waitcnt vmcnt(15)
	v_fma_f64 v[121:122], v[121:122], v[117:118], v[111:112]
	ds_read_b128 v[111:114], v110 offset:800
	ds_read_b128 v[115:118], v110 offset:816
	s_waitcnt vmcnt(14) lgkmcnt(1)
	v_fma_f64 v[111:112], v[129:130], v[111:112], v[121:122]
	s_waitcnt vmcnt(13)
	v_fma_f64 v[111:112], v[127:128], v[113:114], v[111:112]
	s_waitcnt vmcnt(12) lgkmcnt(0)
	v_fma_f64 v[111:112], v[123:124], v[115:116], v[111:112]
	s_waitcnt vmcnt(7)
	v_fma_f64 v[121:122], v[125:126], v[117:118], v[111:112]
	ds_read_b128 v[111:114], v110 offset:832
	ds_read_b128 v[115:118], v110 offset:848
	s_waitcnt vmcnt(6) lgkmcnt(1)
	v_fma_f64 v[110:111], v[139:140], v[111:112], v[121:122]
	s_waitcnt vmcnt(5)
	v_fma_f64 v[110:111], v[137:138], v[113:114], v[110:111]
	s_waitcnt vmcnt(4) lgkmcnt(0)
	v_fma_f64 v[110:111], v[131:132], v[115:116], v[110:111]
	s_waitcnt vmcnt(2)
	v_fma_f64 v[110:111], v[119:120], v[117:118], v[110:111]
	s_waitcnt vmcnt(0)
	v_add_f64 v[110:111], v[133:134], -v[110:111]
	buffer_store_dword v111, off, s[0:3], 0 offset:140
	buffer_store_dword v110, off, s[0:3], 0 offset:136
	s_and_saveexec_b64 s[4:5], vcc
	s_cbranch_execz .LBB53_299
; %bb.298:
	buffer_load_dword v110, off, s[0:3], 0 offset:128
	buffer_load_dword v111, off, s[0:3], 0 offset:132
	v_mov_b32_e32 v112, 0
	buffer_store_dword v112, off, s[0:3], 0 offset:128
	buffer_store_dword v112, off, s[0:3], 0 offset:132
	s_waitcnt vmcnt(2)
	ds_write_b64 v109, v[110:111]
.LBB53_299:
	s_or_b64 exec, exec, s[4:5]
	s_waitcnt lgkmcnt(0)
	; wave barrier
	buffer_load_dword v119, off, s[0:3], 0 offset:136
	buffer_load_dword v120, off, s[0:3], 0 offset:140
	;; [unrolled: 1-line block ×21, first 2 shown]
	v_mov_b32_e32 v110, 0
	ds_read2_b64 v[111:114], v110 offset0:71 offset1:72
	ds_read2_b64 v[115:118], v110 offset0:73 offset1:74
	buffer_load_dword v136, off, s[0:3], 0 offset:220
	v_cmp_lt_u32_e32 vcc, 15, v0
	s_waitcnt vmcnt(20) lgkmcnt(1)
	v_fma_f64 v[111:112], v[119:120], v[111:112], 0
	s_waitcnt vmcnt(18)
	v_fma_f64 v[111:112], v[121:122], v[113:114], v[111:112]
	buffer_load_dword v120, off, s[0:3], 0 offset:228
	buffer_load_dword v121, off, s[0:3], 0 offset:248
	;; [unrolled: 1-line block ×7, first 2 shown]
	s_waitcnt vmcnt(23) lgkmcnt(0)
	v_fma_f64 v[111:112], v[123:124], v[115:116], v[111:112]
	s_waitcnt vmcnt(21)
	v_fma_f64 v[122:123], v[125:126], v[117:118], v[111:112]
	ds_read2_b64 v[111:114], v110 offset0:75 offset1:76
	ds_read2_b64 v[115:118], v110 offset0:77 offset1:78
	s_waitcnt vmcnt(19) lgkmcnt(1)
	v_fma_f64 v[111:112], v[127:128], v[111:112], v[122:123]
	buffer_load_dword v122, off, s[0:3], 0 offset:252
	s_waitcnt vmcnt(18)
	v_fma_f64 v[111:112], v[129:130], v[113:114], v[111:112]
	buffer_load_dword v124, off, s[0:3], 0 offset:260
	buffer_load_dword v125, off, s[0:3], 0 offset:280
	;; [unrolled: 1-line block ×8, first 2 shown]
	s_waitcnt vmcnt(24) lgkmcnt(0)
	v_fma_f64 v[111:112], v[131:132], v[115:116], v[111:112]
	s_waitcnt vmcnt(19)
	v_fma_f64 v[131:132], v[133:134], v[117:118], v[111:112]
	ds_read2_b64 v[111:114], v110 offset0:79 offset1:80
	ds_read2_b64 v[115:118], v110 offset0:81 offset1:82
	s_waitcnt vmcnt(18) lgkmcnt(1)
	v_fma_f64 v[111:112], v[139:140], v[111:112], v[131:132]
	s_waitcnt vmcnt(17)
	v_fma_f64 v[111:112], v[137:138], v[113:114], v[111:112]
	buffer_load_dword v132, off, s[0:3], 0 offset:292
	buffer_load_dword v133, off, s[0:3], 0 offset:312
	;; [unrolled: 1-line block ×7, first 2 shown]
	s_waitcnt vmcnt(23) lgkmcnt(0)
	v_fma_f64 v[111:112], v[135:136], v[115:116], v[111:112]
	s_waitcnt vmcnt(18)
	v_fma_f64 v[119:120], v[119:120], v[117:118], v[111:112]
	ds_read2_b64 v[111:114], v110 offset0:83 offset1:84
	ds_read2_b64 v[115:118], v110 offset0:85 offset1:86
	buffer_load_dword v134, off, s[0:3], 0 offset:316
	s_waitcnt vmcnt(18) lgkmcnt(1)
	v_fma_f64 v[111:112], v[143:144], v[111:112], v[119:120]
	s_waitcnt vmcnt(17)
	v_fma_f64 v[111:112], v[141:142], v[113:114], v[111:112]
	buffer_load_dword v120, off, s[0:3], 0 offset:324
	buffer_load_dword v135, off, s[0:3], 0 offset:344
	;; [unrolled: 1-line block ×7, first 2 shown]
	s_waitcnt vmcnt(23) lgkmcnt(0)
	v_fma_f64 v[111:112], v[121:122], v[115:116], v[111:112]
	s_waitcnt vmcnt(18)
	v_fma_f64 v[121:122], v[123:124], v[117:118], v[111:112]
	ds_read2_b64 v[111:114], v110 offset0:87 offset1:88
	ds_read2_b64 v[115:118], v110 offset0:89 offset1:90
	buffer_load_dword v136, off, s[0:3], 0 offset:348
	s_waitcnt vmcnt(18) lgkmcnt(1)
	v_fma_f64 v[111:112], v[129:130], v[111:112], v[121:122]
	s_waitcnt vmcnt(17)
	v_fma_f64 v[111:112], v[127:128], v[113:114], v[111:112]
	buffer_load_dword v122, off, s[0:3], 0 offset:356
	buffer_load_dword v123, off, s[0:3], 0 offset:376
	;; [unrolled: 1-line block ×7, first 2 shown]
	s_waitcnt vmcnt(23) lgkmcnt(0)
	v_fma_f64 v[111:112], v[125:126], v[115:116], v[111:112]
	s_waitcnt vmcnt(18)
	v_fma_f64 v[124:125], v[131:132], v[117:118], v[111:112]
	ds_read2_b64 v[111:114], v110 offset0:91 offset1:92
	ds_read2_b64 v[115:118], v110 offset0:93 offset1:94
	s_waitcnt vmcnt(17) lgkmcnt(1)
	v_fma_f64 v[111:112], v[139:140], v[111:112], v[124:125]
	buffer_load_dword v124, off, s[0:3], 0 offset:380
	s_waitcnt vmcnt(17)
	v_fma_f64 v[111:112], v[137:138], v[113:114], v[111:112]
	buffer_load_dword v126, off, s[0:3], 0 offset:388
	buffer_load_dword v131, off, s[0:3], 0 offset:408
	;; [unrolled: 1-line block ×7, first 2 shown]
	s_waitcnt vmcnt(23) lgkmcnt(0)
	v_fma_f64 v[111:112], v[133:134], v[115:116], v[111:112]
	s_waitcnt vmcnt(18)
	v_fma_f64 v[119:120], v[119:120], v[117:118], v[111:112]
	ds_read2_b64 v[111:114], v110 offset0:95 offset1:96
	ds_read2_b64 v[115:118], v110 offset0:97 offset1:98
	buffer_load_dword v132, off, s[0:3], 0 offset:412
	s_waitcnt vmcnt(18) lgkmcnt(1)
	v_fma_f64 v[111:112], v[143:144], v[111:112], v[119:120]
	buffer_load_dword v120, off, s[0:3], 0 offset:420
	buffer_load_dword v133, off, s[0:3], 0 offset:424
	;; [unrolled: 1-line block ×4, first 2 shown]
	s_waitcnt vmcnt(21)
	v_fma_f64 v[111:112], v[141:142], v[113:114], v[111:112]
	s_waitcnt vmcnt(20) lgkmcnt(0)
	v_fma_f64 v[111:112], v[135:136], v[115:116], v[111:112]
	buffer_load_dword v135, off, s[0:3], 0 offset:128
	buffer_load_dword v136, off, s[0:3], 0 offset:132
	s_waitcnt vmcnt(17)
	v_fma_f64 v[121:122], v[121:122], v[117:118], v[111:112]
	ds_read2_b64 v[111:114], v110 offset0:99 offset1:100
	ds_read2_b64 v[115:118], v110 offset0:101 offset1:102
	s_waitcnt vmcnt(16) lgkmcnt(1)
	v_fma_f64 v[111:112], v[129:130], v[111:112], v[121:122]
	s_waitcnt vmcnt(15)
	v_fma_f64 v[111:112], v[127:128], v[113:114], v[111:112]
	s_waitcnt vmcnt(14) lgkmcnt(0)
	v_fma_f64 v[111:112], v[123:124], v[115:116], v[111:112]
	s_waitcnt vmcnt(9)
	v_fma_f64 v[121:122], v[125:126], v[117:118], v[111:112]
	ds_read2_b64 v[111:114], v110 offset0:103 offset1:104
	ds_read2_b64 v[115:118], v110 offset0:105 offset1:106
	s_waitcnt vmcnt(8) lgkmcnt(1)
	v_fma_f64 v[111:112], v[139:140], v[111:112], v[121:122]
	s_waitcnt vmcnt(7)
	v_fma_f64 v[111:112], v[137:138], v[113:114], v[111:112]
	ds_read_b64 v[113:114], v110 offset:856
	s_waitcnt vmcnt(6) lgkmcnt(1)
	v_fma_f64 v[111:112], v[131:132], v[115:116], v[111:112]
	s_waitcnt vmcnt(3)
	v_fma_f64 v[111:112], v[119:120], v[117:118], v[111:112]
	s_waitcnt vmcnt(2) lgkmcnt(0)
	v_fma_f64 v[111:112], v[133:134], v[113:114], v[111:112]
	s_waitcnt vmcnt(0)
	v_add_f64 v[111:112], v[135:136], -v[111:112]
	buffer_store_dword v112, off, s[0:3], 0 offset:132
	buffer_store_dword v111, off, s[0:3], 0 offset:128
	s_and_saveexec_b64 s[4:5], vcc
	s_cbranch_execz .LBB53_301
; %bb.300:
	buffer_load_dword v111, off, s[0:3], 0 offset:120
	buffer_load_dword v112, off, s[0:3], 0 offset:124
	s_waitcnt vmcnt(0)
	ds_write_b64 v109, v[111:112]
	buffer_store_dword v110, off, s[0:3], 0 offset:120
	buffer_store_dword v110, off, s[0:3], 0 offset:124
.LBB53_301:
	s_or_b64 exec, exec, s[4:5]
	s_waitcnt lgkmcnt(0)
	; wave barrier
	buffer_load_dword v119, off, s[0:3], 0 offset:128
	buffer_load_dword v120, off, s[0:3], 0 offset:132
	;; [unrolled: 1-line block ×22, first 2 shown]
	ds_read_b128 v[111:114], v110 offset:560
	ds_read_b128 v[115:118], v110 offset:576
	v_cmp_lt_u32_e32 vcc, 14, v0
	s_waitcnt vmcnt(20) lgkmcnt(1)
	v_fma_f64 v[111:112], v[119:120], v[111:112], 0
	s_waitcnt vmcnt(18)
	v_fma_f64 v[111:112], v[121:122], v[113:114], v[111:112]
	buffer_load_dword v120, off, s[0:3], 0 offset:220
	buffer_load_dword v121, off, s[0:3], 0 offset:240
	;; [unrolled: 1-line block ×7, first 2 shown]
	s_waitcnt vmcnt(23) lgkmcnt(0)
	v_fma_f64 v[111:112], v[123:124], v[115:116], v[111:112]
	s_waitcnt vmcnt(21)
	v_fma_f64 v[122:123], v[125:126], v[117:118], v[111:112]
	ds_read_b128 v[111:114], v110 offset:592
	ds_read_b128 v[115:118], v110 offset:608
	s_waitcnt vmcnt(19) lgkmcnt(1)
	v_fma_f64 v[111:112], v[127:128], v[111:112], v[122:123]
	buffer_load_dword v122, off, s[0:3], 0 offset:244
	s_waitcnt vmcnt(18)
	v_fma_f64 v[111:112], v[129:130], v[113:114], v[111:112]
	buffer_load_dword v124, off, s[0:3], 0 offset:252
	buffer_load_dword v125, off, s[0:3], 0 offset:272
	;; [unrolled: 1-line block ×8, first 2 shown]
	s_waitcnt vmcnt(24) lgkmcnt(0)
	v_fma_f64 v[111:112], v[131:132], v[115:116], v[111:112]
	s_waitcnt vmcnt(19)
	v_fma_f64 v[131:132], v[133:134], v[117:118], v[111:112]
	ds_read_b128 v[111:114], v110 offset:624
	ds_read_b128 v[115:118], v110 offset:640
	s_waitcnt vmcnt(18) lgkmcnt(1)
	v_fma_f64 v[111:112], v[139:140], v[111:112], v[131:132]
	s_waitcnt vmcnt(17)
	v_fma_f64 v[111:112], v[137:138], v[113:114], v[111:112]
	buffer_load_dword v132, off, s[0:3], 0 offset:284
	buffer_load_dword v133, off, s[0:3], 0 offset:304
	;; [unrolled: 1-line block ×8, first 2 shown]
	s_waitcnt vmcnt(24) lgkmcnt(0)
	v_fma_f64 v[111:112], v[135:136], v[115:116], v[111:112]
	s_waitcnt vmcnt(19)
	v_fma_f64 v[119:120], v[119:120], v[117:118], v[111:112]
	ds_read_b128 v[111:114], v110 offset:656
	ds_read_b128 v[115:118], v110 offset:672
	s_waitcnt vmcnt(18) lgkmcnt(1)
	v_fma_f64 v[111:112], v[143:144], v[111:112], v[119:120]
	s_waitcnt vmcnt(17)
	v_fma_f64 v[111:112], v[141:142], v[113:114], v[111:112]
	buffer_load_dword v120, off, s[0:3], 0 offset:316
	buffer_load_dword v135, off, s[0:3], 0 offset:336
	;; [unrolled: 1-line block ×7, first 2 shown]
	s_waitcnt vmcnt(23) lgkmcnt(0)
	v_fma_f64 v[111:112], v[121:122], v[115:116], v[111:112]
	s_waitcnt vmcnt(18)
	v_fma_f64 v[121:122], v[123:124], v[117:118], v[111:112]
	ds_read_b128 v[111:114], v110 offset:688
	ds_read_b128 v[115:118], v110 offset:704
	buffer_load_dword v136, off, s[0:3], 0 offset:340
	s_waitcnt vmcnt(18) lgkmcnt(1)
	v_fma_f64 v[111:112], v[129:130], v[111:112], v[121:122]
	s_waitcnt vmcnt(17)
	v_fma_f64 v[111:112], v[127:128], v[113:114], v[111:112]
	buffer_load_dword v122, off, s[0:3], 0 offset:348
	buffer_load_dword v123, off, s[0:3], 0 offset:368
	;; [unrolled: 1-line block ×7, first 2 shown]
	s_waitcnt vmcnt(23) lgkmcnt(0)
	v_fma_f64 v[111:112], v[125:126], v[115:116], v[111:112]
	s_waitcnt vmcnt(18)
	v_fma_f64 v[124:125], v[131:132], v[117:118], v[111:112]
	ds_read_b128 v[111:114], v110 offset:720
	ds_read_b128 v[115:118], v110 offset:736
	s_waitcnt vmcnt(17) lgkmcnt(1)
	v_fma_f64 v[111:112], v[139:140], v[111:112], v[124:125]
	buffer_load_dword v124, off, s[0:3], 0 offset:372
	s_waitcnt vmcnt(17)
	v_fma_f64 v[111:112], v[137:138], v[113:114], v[111:112]
	buffer_load_dword v126, off, s[0:3], 0 offset:380
	buffer_load_dword v131, off, s[0:3], 0 offset:400
	;; [unrolled: 1-line block ×8, first 2 shown]
	s_waitcnt vmcnt(24) lgkmcnt(0)
	v_fma_f64 v[111:112], v[133:134], v[115:116], v[111:112]
	s_waitcnt vmcnt(19)
	v_fma_f64 v[119:120], v[119:120], v[117:118], v[111:112]
	ds_read_b128 v[111:114], v110 offset:752
	ds_read_b128 v[115:118], v110 offset:768
	s_waitcnt vmcnt(18) lgkmcnt(1)
	v_fma_f64 v[111:112], v[143:144], v[111:112], v[119:120]
	s_waitcnt vmcnt(17)
	v_fma_f64 v[111:112], v[141:142], v[113:114], v[111:112]
	buffer_load_dword v120, off, s[0:3], 0 offset:412
	buffer_load_dword v133, off, s[0:3], 0 offset:424
	;; [unrolled: 1-line block ×6, first 2 shown]
	s_waitcnt vmcnt(22) lgkmcnt(0)
	v_fma_f64 v[111:112], v[135:136], v[115:116], v[111:112]
	s_waitcnt vmcnt(17)
	v_fma_f64 v[121:122], v[121:122], v[117:118], v[111:112]
	ds_read_b128 v[111:114], v110 offset:784
	buffer_load_dword v135, off, s[0:3], 0 offset:120
	buffer_load_dword v136, off, s[0:3], 0 offset:124
	ds_read_b128 v[115:118], v110 offset:800
	s_waitcnt vmcnt(18) lgkmcnt(1)
	v_fma_f64 v[111:112], v[129:130], v[111:112], v[121:122]
	s_waitcnt vmcnt(17)
	v_fma_f64 v[111:112], v[127:128], v[113:114], v[111:112]
	s_waitcnt vmcnt(16) lgkmcnt(0)
	v_fma_f64 v[111:112], v[123:124], v[115:116], v[111:112]
	s_waitcnt vmcnt(11)
	v_fma_f64 v[121:122], v[125:126], v[117:118], v[111:112]
	ds_read_b128 v[111:114], v110 offset:816
	ds_read_b128 v[115:118], v110 offset:832
	s_waitcnt vmcnt(10) lgkmcnt(1)
	v_fma_f64 v[111:112], v[139:140], v[111:112], v[121:122]
	s_waitcnt vmcnt(9)
	v_fma_f64 v[111:112], v[137:138], v[113:114], v[111:112]
	s_waitcnt vmcnt(8) lgkmcnt(0)
	v_fma_f64 v[111:112], v[131:132], v[115:116], v[111:112]
	s_waitcnt vmcnt(4)
	v_fma_f64 v[114:115], v[119:120], v[117:118], v[111:112]
	ds_read_b128 v[110:113], v110 offset:848
	s_waitcnt vmcnt(3) lgkmcnt(0)
	v_fma_f64 v[110:111], v[141:142], v[110:111], v[114:115]
	s_waitcnt vmcnt(2)
	v_fma_f64 v[110:111], v[133:134], v[112:113], v[110:111]
	s_waitcnt vmcnt(0)
	v_add_f64 v[110:111], v[135:136], -v[110:111]
	buffer_store_dword v111, off, s[0:3], 0 offset:124
	buffer_store_dword v110, off, s[0:3], 0 offset:120
	s_and_saveexec_b64 s[4:5], vcc
	s_cbranch_execz .LBB53_303
; %bb.302:
	buffer_load_dword v110, off, s[0:3], 0 offset:112
	buffer_load_dword v111, off, s[0:3], 0 offset:116
	v_mov_b32_e32 v112, 0
	buffer_store_dword v112, off, s[0:3], 0 offset:112
	buffer_store_dword v112, off, s[0:3], 0 offset:116
	s_waitcnt vmcnt(2)
	ds_write_b64 v109, v[110:111]
.LBB53_303:
	s_or_b64 exec, exec, s[4:5]
	s_waitcnt lgkmcnt(0)
	; wave barrier
	buffer_load_dword v119, off, s[0:3], 0 offset:120
	buffer_load_dword v120, off, s[0:3], 0 offset:124
	;; [unrolled: 1-line block ×22, first 2 shown]
	v_mov_b32_e32 v110, 0
	ds_read2_b64 v[111:114], v110 offset0:69 offset1:70
	ds_read2_b64 v[115:118], v110 offset0:71 offset1:72
	v_cmp_lt_u32_e32 vcc, 13, v0
	s_waitcnt vmcnt(20) lgkmcnt(1)
	v_fma_f64 v[111:112], v[119:120], v[111:112], 0
	s_waitcnt vmcnt(18)
	v_fma_f64 v[111:112], v[121:122], v[113:114], v[111:112]
	buffer_load_dword v120, off, s[0:3], 0 offset:212
	buffer_load_dword v121, off, s[0:3], 0 offset:232
	;; [unrolled: 1-line block ×7, first 2 shown]
	s_waitcnt vmcnt(23) lgkmcnt(0)
	v_fma_f64 v[111:112], v[123:124], v[115:116], v[111:112]
	s_waitcnt vmcnt(21)
	v_fma_f64 v[122:123], v[125:126], v[117:118], v[111:112]
	ds_read2_b64 v[111:114], v110 offset0:73 offset1:74
	ds_read2_b64 v[115:118], v110 offset0:75 offset1:76
	s_waitcnt vmcnt(19) lgkmcnt(1)
	v_fma_f64 v[111:112], v[127:128], v[111:112], v[122:123]
	buffer_load_dword v122, off, s[0:3], 0 offset:236
	s_waitcnt vmcnt(18)
	v_fma_f64 v[111:112], v[129:130], v[113:114], v[111:112]
	buffer_load_dword v124, off, s[0:3], 0 offset:244
	buffer_load_dword v125, off, s[0:3], 0 offset:264
	;; [unrolled: 1-line block ×8, first 2 shown]
	s_waitcnt vmcnt(24) lgkmcnt(0)
	v_fma_f64 v[111:112], v[131:132], v[115:116], v[111:112]
	s_waitcnt vmcnt(19)
	v_fma_f64 v[131:132], v[133:134], v[117:118], v[111:112]
	ds_read2_b64 v[111:114], v110 offset0:77 offset1:78
	ds_read2_b64 v[115:118], v110 offset0:79 offset1:80
	s_waitcnt vmcnt(18) lgkmcnt(1)
	v_fma_f64 v[111:112], v[139:140], v[111:112], v[131:132]
	s_waitcnt vmcnt(17)
	v_fma_f64 v[111:112], v[137:138], v[113:114], v[111:112]
	buffer_load_dword v132, off, s[0:3], 0 offset:276
	buffer_load_dword v133, off, s[0:3], 0 offset:296
	buffer_load_dword v137, off, s[0:3], 0 offset:288
	buffer_load_dword v139, off, s[0:3], 0 offset:280
	buffer_load_dword v131, off, s[0:3], 0 offset:272
	buffer_load_dword v140, off, s[0:3], 0 offset:284
	buffer_load_dword v138, off, s[0:3], 0 offset:292
	buffer_load_dword v134, off, s[0:3], 0 offset:300
	s_waitcnt vmcnt(24) lgkmcnt(0)
	v_fma_f64 v[111:112], v[135:136], v[115:116], v[111:112]
	s_waitcnt vmcnt(19)
	v_fma_f64 v[119:120], v[119:120], v[117:118], v[111:112]
	ds_read2_b64 v[111:114], v110 offset0:81 offset1:82
	ds_read2_b64 v[115:118], v110 offset0:83 offset1:84
	s_waitcnt vmcnt(18) lgkmcnt(1)
	v_fma_f64 v[111:112], v[143:144], v[111:112], v[119:120]
	s_waitcnt vmcnt(17)
	v_fma_f64 v[111:112], v[141:142], v[113:114], v[111:112]
	buffer_load_dword v120, off, s[0:3], 0 offset:308
	buffer_load_dword v135, off, s[0:3], 0 offset:328
	;; [unrolled: 1-line block ×7, first 2 shown]
	s_waitcnt vmcnt(23) lgkmcnt(0)
	v_fma_f64 v[111:112], v[121:122], v[115:116], v[111:112]
	s_waitcnt vmcnt(18)
	v_fma_f64 v[121:122], v[123:124], v[117:118], v[111:112]
	ds_read2_b64 v[111:114], v110 offset0:85 offset1:86
	ds_read2_b64 v[115:118], v110 offset0:87 offset1:88
	buffer_load_dword v136, off, s[0:3], 0 offset:332
	s_waitcnt vmcnt(18) lgkmcnt(1)
	v_fma_f64 v[111:112], v[129:130], v[111:112], v[121:122]
	s_waitcnt vmcnt(17)
	v_fma_f64 v[111:112], v[127:128], v[113:114], v[111:112]
	buffer_load_dword v122, off, s[0:3], 0 offset:340
	buffer_load_dword v123, off, s[0:3], 0 offset:360
	;; [unrolled: 1-line block ×7, first 2 shown]
	s_waitcnt vmcnt(23) lgkmcnt(0)
	v_fma_f64 v[111:112], v[125:126], v[115:116], v[111:112]
	s_waitcnt vmcnt(18)
	v_fma_f64 v[124:125], v[131:132], v[117:118], v[111:112]
	ds_read2_b64 v[111:114], v110 offset0:89 offset1:90
	ds_read2_b64 v[115:118], v110 offset0:91 offset1:92
	s_waitcnt vmcnt(17) lgkmcnt(1)
	v_fma_f64 v[111:112], v[139:140], v[111:112], v[124:125]
	buffer_load_dword v124, off, s[0:3], 0 offset:364
	s_waitcnt vmcnt(17)
	v_fma_f64 v[111:112], v[137:138], v[113:114], v[111:112]
	buffer_load_dword v126, off, s[0:3], 0 offset:372
	buffer_load_dword v131, off, s[0:3], 0 offset:392
	;; [unrolled: 1-line block ×8, first 2 shown]
	s_waitcnt vmcnt(24) lgkmcnt(0)
	v_fma_f64 v[111:112], v[133:134], v[115:116], v[111:112]
	s_waitcnt vmcnt(19)
	v_fma_f64 v[119:120], v[119:120], v[117:118], v[111:112]
	ds_read2_b64 v[111:114], v110 offset0:93 offset1:94
	ds_read2_b64 v[115:118], v110 offset0:95 offset1:96
	s_waitcnt vmcnt(18) lgkmcnt(1)
	v_fma_f64 v[111:112], v[143:144], v[111:112], v[119:120]
	s_waitcnt vmcnt(17)
	v_fma_f64 v[111:112], v[141:142], v[113:114], v[111:112]
	buffer_load_dword v120, off, s[0:3], 0 offset:404
	buffer_load_dword v133, off, s[0:3], 0 offset:424
	;; [unrolled: 1-line block ×8, first 2 shown]
	s_waitcnt vmcnt(24) lgkmcnt(0)
	v_fma_f64 v[111:112], v[135:136], v[115:116], v[111:112]
	s_waitcnt vmcnt(19)
	v_fma_f64 v[121:122], v[121:122], v[117:118], v[111:112]
	ds_read2_b64 v[111:114], v110 offset0:97 offset1:98
	ds_read2_b64 v[115:118], v110 offset0:99 offset1:100
	s_waitcnt vmcnt(18) lgkmcnt(1)
	v_fma_f64 v[111:112], v[129:130], v[111:112], v[121:122]
	buffer_load_dword v121, off, s[0:3], 0 offset:112
	buffer_load_dword v122, off, s[0:3], 0 offset:116
	s_waitcnt vmcnt(19)
	v_fma_f64 v[111:112], v[127:128], v[113:114], v[111:112]
	s_waitcnt vmcnt(18) lgkmcnt(0)
	v_fma_f64 v[111:112], v[123:124], v[115:116], v[111:112]
	s_waitcnt vmcnt(13)
	v_fma_f64 v[123:124], v[125:126], v[117:118], v[111:112]
	ds_read2_b64 v[111:114], v110 offset0:101 offset1:102
	ds_read2_b64 v[115:118], v110 offset0:103 offset1:104
	s_waitcnt vmcnt(12) lgkmcnt(1)
	v_fma_f64 v[111:112], v[139:140], v[111:112], v[123:124]
	s_waitcnt vmcnt(11)
	v_fma_f64 v[111:112], v[137:138], v[113:114], v[111:112]
	s_waitcnt vmcnt(10) lgkmcnt(0)
	v_fma_f64 v[111:112], v[131:132], v[115:116], v[111:112]
	s_waitcnt vmcnt(5)
	v_fma_f64 v[115:116], v[119:120], v[117:118], v[111:112]
	ds_read2_b64 v[111:114], v110 offset0:105 offset1:106
	ds_read_b64 v[117:118], v110 offset:856
	s_waitcnt vmcnt(4) lgkmcnt(1)
	v_fma_f64 v[111:112], v[143:144], v[111:112], v[115:116]
	s_waitcnt vmcnt(3)
	v_fma_f64 v[111:112], v[141:142], v[113:114], v[111:112]
	s_waitcnt vmcnt(2) lgkmcnt(0)
	v_fma_f64 v[111:112], v[133:134], v[117:118], v[111:112]
	s_waitcnt vmcnt(0)
	v_add_f64 v[111:112], v[121:122], -v[111:112]
	buffer_store_dword v112, off, s[0:3], 0 offset:116
	buffer_store_dword v111, off, s[0:3], 0 offset:112
	s_and_saveexec_b64 s[4:5], vcc
	s_cbranch_execz .LBB53_305
; %bb.304:
	buffer_load_dword v111, off, s[0:3], 0 offset:104
	buffer_load_dword v112, off, s[0:3], 0 offset:108
	s_waitcnt vmcnt(0)
	ds_write_b64 v109, v[111:112]
	buffer_store_dword v110, off, s[0:3], 0 offset:104
	buffer_store_dword v110, off, s[0:3], 0 offset:108
.LBB53_305:
	s_or_b64 exec, exec, s[4:5]
	s_waitcnt lgkmcnt(0)
	; wave barrier
	buffer_load_dword v119, off, s[0:3], 0 offset:112
	buffer_load_dword v120, off, s[0:3], 0 offset:116
	;; [unrolled: 1-line block ×22, first 2 shown]
	ds_read_b128 v[111:114], v110 offset:544
	ds_read_b128 v[115:118], v110 offset:560
	v_cmp_lt_u32_e32 vcc, 12, v0
	s_waitcnt vmcnt(20) lgkmcnt(1)
	v_fma_f64 v[111:112], v[119:120], v[111:112], 0
	s_waitcnt vmcnt(18)
	v_fma_f64 v[111:112], v[121:122], v[113:114], v[111:112]
	buffer_load_dword v120, off, s[0:3], 0 offset:204
	buffer_load_dword v121, off, s[0:3], 0 offset:224
	;; [unrolled: 1-line block ×7, first 2 shown]
	s_waitcnt vmcnt(23) lgkmcnt(0)
	v_fma_f64 v[111:112], v[123:124], v[115:116], v[111:112]
	s_waitcnt vmcnt(21)
	v_fma_f64 v[122:123], v[125:126], v[117:118], v[111:112]
	ds_read_b128 v[111:114], v110 offset:576
	ds_read_b128 v[115:118], v110 offset:592
	s_waitcnt vmcnt(19) lgkmcnt(1)
	v_fma_f64 v[111:112], v[127:128], v[111:112], v[122:123]
	buffer_load_dword v122, off, s[0:3], 0 offset:228
	s_waitcnt vmcnt(18)
	v_fma_f64 v[111:112], v[129:130], v[113:114], v[111:112]
	buffer_load_dword v124, off, s[0:3], 0 offset:236
	buffer_load_dword v125, off, s[0:3], 0 offset:256
	buffer_load_dword v127, off, s[0:3], 0 offset:248
	buffer_load_dword v129, off, s[0:3], 0 offset:240
	buffer_load_dword v123, off, s[0:3], 0 offset:232
	buffer_load_dword v130, off, s[0:3], 0 offset:244
	buffer_load_dword v128, off, s[0:3], 0 offset:252
	buffer_load_dword v126, off, s[0:3], 0 offset:260
	s_waitcnt vmcnt(24) lgkmcnt(0)
	v_fma_f64 v[111:112], v[131:132], v[115:116], v[111:112]
	s_waitcnt vmcnt(19)
	v_fma_f64 v[131:132], v[133:134], v[117:118], v[111:112]
	ds_read_b128 v[111:114], v110 offset:608
	ds_read_b128 v[115:118], v110 offset:624
	s_waitcnt vmcnt(18) lgkmcnt(1)
	v_fma_f64 v[111:112], v[139:140], v[111:112], v[131:132]
	s_waitcnt vmcnt(17)
	v_fma_f64 v[111:112], v[137:138], v[113:114], v[111:112]
	buffer_load_dword v132, off, s[0:3], 0 offset:268
	buffer_load_dword v133, off, s[0:3], 0 offset:288
	;; [unrolled: 1-line block ×8, first 2 shown]
	s_waitcnt vmcnt(24) lgkmcnt(0)
	v_fma_f64 v[111:112], v[135:136], v[115:116], v[111:112]
	s_waitcnt vmcnt(19)
	v_fma_f64 v[119:120], v[119:120], v[117:118], v[111:112]
	ds_read_b128 v[111:114], v110 offset:640
	ds_read_b128 v[115:118], v110 offset:656
	s_waitcnt vmcnt(18) lgkmcnt(1)
	v_fma_f64 v[111:112], v[143:144], v[111:112], v[119:120]
	s_waitcnt vmcnt(17)
	v_fma_f64 v[111:112], v[141:142], v[113:114], v[111:112]
	buffer_load_dword v120, off, s[0:3], 0 offset:300
	buffer_load_dword v135, off, s[0:3], 0 offset:320
	;; [unrolled: 1-line block ×7, first 2 shown]
	s_waitcnt vmcnt(23) lgkmcnt(0)
	v_fma_f64 v[111:112], v[121:122], v[115:116], v[111:112]
	s_waitcnt vmcnt(18)
	v_fma_f64 v[121:122], v[123:124], v[117:118], v[111:112]
	ds_read_b128 v[111:114], v110 offset:672
	ds_read_b128 v[115:118], v110 offset:688
	buffer_load_dword v136, off, s[0:3], 0 offset:324
	s_waitcnt vmcnt(18) lgkmcnt(1)
	v_fma_f64 v[111:112], v[129:130], v[111:112], v[121:122]
	s_waitcnt vmcnt(17)
	v_fma_f64 v[111:112], v[127:128], v[113:114], v[111:112]
	buffer_load_dword v122, off, s[0:3], 0 offset:332
	buffer_load_dword v123, off, s[0:3], 0 offset:352
	;; [unrolled: 1-line block ×7, first 2 shown]
	s_waitcnt vmcnt(23) lgkmcnt(0)
	v_fma_f64 v[111:112], v[125:126], v[115:116], v[111:112]
	s_waitcnt vmcnt(18)
	v_fma_f64 v[124:125], v[131:132], v[117:118], v[111:112]
	ds_read_b128 v[111:114], v110 offset:704
	ds_read_b128 v[115:118], v110 offset:720
	s_waitcnt vmcnt(17) lgkmcnt(1)
	v_fma_f64 v[111:112], v[139:140], v[111:112], v[124:125]
	buffer_load_dword v124, off, s[0:3], 0 offset:356
	s_waitcnt vmcnt(17)
	v_fma_f64 v[111:112], v[137:138], v[113:114], v[111:112]
	buffer_load_dword v126, off, s[0:3], 0 offset:364
	buffer_load_dword v131, off, s[0:3], 0 offset:384
	;; [unrolled: 1-line block ×8, first 2 shown]
	s_waitcnt vmcnt(24) lgkmcnt(0)
	v_fma_f64 v[111:112], v[133:134], v[115:116], v[111:112]
	s_waitcnt vmcnt(19)
	v_fma_f64 v[119:120], v[119:120], v[117:118], v[111:112]
	ds_read_b128 v[111:114], v110 offset:736
	ds_read_b128 v[115:118], v110 offset:752
	s_waitcnt vmcnt(18) lgkmcnt(1)
	v_fma_f64 v[111:112], v[143:144], v[111:112], v[119:120]
	s_waitcnt vmcnt(17)
	v_fma_f64 v[111:112], v[141:142], v[113:114], v[111:112]
	buffer_load_dword v120, off, s[0:3], 0 offset:396
	buffer_load_dword v133, off, s[0:3], 0 offset:416
	;; [unrolled: 1-line block ×8, first 2 shown]
	s_waitcnt vmcnt(24) lgkmcnt(0)
	v_fma_f64 v[111:112], v[135:136], v[115:116], v[111:112]
	s_waitcnt vmcnt(19)
	v_fma_f64 v[121:122], v[121:122], v[117:118], v[111:112]
	ds_read_b128 v[111:114], v110 offset:768
	ds_read_b128 v[115:118], v110 offset:784
	s_waitcnt vmcnt(18) lgkmcnt(1)
	v_fma_f64 v[111:112], v[129:130], v[111:112], v[121:122]
	buffer_load_dword v122, off, s[0:3], 0 offset:428
	buffer_load_dword v121, off, s[0:3], 0 offset:424
	s_waitcnt vmcnt(19)
	v_fma_f64 v[111:112], v[127:128], v[113:114], v[111:112]
	buffer_load_dword v127, off, s[0:3], 0 offset:104
	buffer_load_dword v128, off, s[0:3], 0 offset:108
	s_waitcnt vmcnt(20) lgkmcnt(0)
	v_fma_f64 v[111:112], v[123:124], v[115:116], v[111:112]
	s_waitcnt vmcnt(15)
	v_fma_f64 v[123:124], v[125:126], v[117:118], v[111:112]
	ds_read_b128 v[111:114], v110 offset:800
	ds_read_b128 v[115:118], v110 offset:816
	s_waitcnt vmcnt(14) lgkmcnt(1)
	v_fma_f64 v[111:112], v[139:140], v[111:112], v[123:124]
	s_waitcnt vmcnt(13)
	v_fma_f64 v[111:112], v[137:138], v[113:114], v[111:112]
	s_waitcnt vmcnt(12) lgkmcnt(0)
	v_fma_f64 v[111:112], v[131:132], v[115:116], v[111:112]
	s_waitcnt vmcnt(7)
	v_fma_f64 v[119:120], v[119:120], v[117:118], v[111:112]
	ds_read_b128 v[111:114], v110 offset:832
	ds_read_b128 v[115:118], v110 offset:848
	s_waitcnt vmcnt(6) lgkmcnt(1)
	v_fma_f64 v[110:111], v[143:144], v[111:112], v[119:120]
	s_waitcnt vmcnt(5)
	v_fma_f64 v[110:111], v[141:142], v[113:114], v[110:111]
	s_waitcnt vmcnt(4) lgkmcnt(0)
	v_fma_f64 v[110:111], v[133:134], v[115:116], v[110:111]
	s_waitcnt vmcnt(2)
	v_fma_f64 v[110:111], v[121:122], v[117:118], v[110:111]
	s_waitcnt vmcnt(0)
	v_add_f64 v[110:111], v[127:128], -v[110:111]
	buffer_store_dword v111, off, s[0:3], 0 offset:108
	buffer_store_dword v110, off, s[0:3], 0 offset:104
	s_and_saveexec_b64 s[4:5], vcc
	s_cbranch_execz .LBB53_307
; %bb.306:
	buffer_load_dword v110, off, s[0:3], 0 offset:96
	buffer_load_dword v111, off, s[0:3], 0 offset:100
	v_mov_b32_e32 v112, 0
	buffer_store_dword v112, off, s[0:3], 0 offset:96
	buffer_store_dword v112, off, s[0:3], 0 offset:100
	s_waitcnt vmcnt(2)
	ds_write_b64 v109, v[110:111]
.LBB53_307:
	s_or_b64 exec, exec, s[4:5]
	s_waitcnt lgkmcnt(0)
	; wave barrier
	buffer_load_dword v119, off, s[0:3], 0 offset:104
	buffer_load_dword v120, off, s[0:3], 0 offset:108
	;; [unrolled: 1-line block ×22, first 2 shown]
	v_mov_b32_e32 v110, 0
	ds_read2_b64 v[111:114], v110 offset0:67 offset1:68
	ds_read2_b64 v[115:118], v110 offset0:69 offset1:70
	v_cmp_lt_u32_e32 vcc, 11, v0
	s_waitcnt vmcnt(20) lgkmcnt(1)
	v_fma_f64 v[111:112], v[119:120], v[111:112], 0
	s_waitcnt vmcnt(18)
	v_fma_f64 v[111:112], v[121:122], v[113:114], v[111:112]
	buffer_load_dword v120, off, s[0:3], 0 offset:196
	buffer_load_dword v121, off, s[0:3], 0 offset:216
	;; [unrolled: 1-line block ×7, first 2 shown]
	s_waitcnt vmcnt(23) lgkmcnt(0)
	v_fma_f64 v[111:112], v[123:124], v[115:116], v[111:112]
	s_waitcnt vmcnt(21)
	v_fma_f64 v[122:123], v[125:126], v[117:118], v[111:112]
	ds_read2_b64 v[111:114], v110 offset0:71 offset1:72
	ds_read2_b64 v[115:118], v110 offset0:73 offset1:74
	s_waitcnt vmcnt(19) lgkmcnt(1)
	v_fma_f64 v[111:112], v[127:128], v[111:112], v[122:123]
	buffer_load_dword v122, off, s[0:3], 0 offset:220
	s_waitcnt vmcnt(18)
	v_fma_f64 v[111:112], v[129:130], v[113:114], v[111:112]
	buffer_load_dword v124, off, s[0:3], 0 offset:228
	buffer_load_dword v125, off, s[0:3], 0 offset:248
	;; [unrolled: 1-line block ×7, first 2 shown]
	s_waitcnt vmcnt(23) lgkmcnt(0)
	v_fma_f64 v[111:112], v[131:132], v[115:116], v[111:112]
	s_waitcnt vmcnt(18)
	v_fma_f64 v[131:132], v[133:134], v[117:118], v[111:112]
	ds_read2_b64 v[111:114], v110 offset0:75 offset1:76
	ds_read2_b64 v[115:118], v110 offset0:77 offset1:78
	buffer_load_dword v126, off, s[0:3], 0 offset:252
	s_waitcnt vmcnt(18) lgkmcnt(1)
	v_fma_f64 v[111:112], v[139:140], v[111:112], v[131:132]
	s_waitcnt vmcnt(17)
	v_fma_f64 v[111:112], v[137:138], v[113:114], v[111:112]
	buffer_load_dword v132, off, s[0:3], 0 offset:260
	buffer_load_dword v133, off, s[0:3], 0 offset:280
	;; [unrolled: 1-line block ×8, first 2 shown]
	s_waitcnt vmcnt(24) lgkmcnt(0)
	v_fma_f64 v[111:112], v[135:136], v[115:116], v[111:112]
	s_waitcnt vmcnt(19)
	v_fma_f64 v[119:120], v[119:120], v[117:118], v[111:112]
	ds_read2_b64 v[111:114], v110 offset0:79 offset1:80
	ds_read2_b64 v[115:118], v110 offset0:81 offset1:82
	s_waitcnt vmcnt(18) lgkmcnt(1)
	v_fma_f64 v[111:112], v[143:144], v[111:112], v[119:120]
	s_waitcnt vmcnt(17)
	v_fma_f64 v[111:112], v[141:142], v[113:114], v[111:112]
	buffer_load_dword v120, off, s[0:3], 0 offset:292
	buffer_load_dword v135, off, s[0:3], 0 offset:312
	;; [unrolled: 1-line block ×7, first 2 shown]
	s_waitcnt vmcnt(23) lgkmcnt(0)
	v_fma_f64 v[111:112], v[121:122], v[115:116], v[111:112]
	s_waitcnt vmcnt(18)
	v_fma_f64 v[121:122], v[123:124], v[117:118], v[111:112]
	ds_read2_b64 v[111:114], v110 offset0:83 offset1:84
	ds_read2_b64 v[115:118], v110 offset0:85 offset1:86
	buffer_load_dword v136, off, s[0:3], 0 offset:316
	s_waitcnt vmcnt(18) lgkmcnt(1)
	v_fma_f64 v[111:112], v[129:130], v[111:112], v[121:122]
	s_waitcnt vmcnt(17)
	v_fma_f64 v[111:112], v[127:128], v[113:114], v[111:112]
	buffer_load_dword v122, off, s[0:3], 0 offset:324
	buffer_load_dword v123, off, s[0:3], 0 offset:344
	;; [unrolled: 1-line block ×7, first 2 shown]
	s_waitcnt vmcnt(23) lgkmcnt(0)
	v_fma_f64 v[111:112], v[125:126], v[115:116], v[111:112]
	s_waitcnt vmcnt(18)
	v_fma_f64 v[124:125], v[131:132], v[117:118], v[111:112]
	ds_read2_b64 v[111:114], v110 offset0:87 offset1:88
	ds_read2_b64 v[115:118], v110 offset0:89 offset1:90
	s_waitcnt vmcnt(17) lgkmcnt(1)
	v_fma_f64 v[111:112], v[139:140], v[111:112], v[124:125]
	buffer_load_dword v124, off, s[0:3], 0 offset:348
	s_waitcnt vmcnt(17)
	v_fma_f64 v[111:112], v[137:138], v[113:114], v[111:112]
	buffer_load_dword v126, off, s[0:3], 0 offset:356
	buffer_load_dword v131, off, s[0:3], 0 offset:376
	;; [unrolled: 1-line block ×8, first 2 shown]
	s_waitcnt vmcnt(24) lgkmcnt(0)
	v_fma_f64 v[111:112], v[133:134], v[115:116], v[111:112]
	s_waitcnt vmcnt(19)
	v_fma_f64 v[119:120], v[119:120], v[117:118], v[111:112]
	ds_read2_b64 v[111:114], v110 offset0:91 offset1:92
	ds_read2_b64 v[115:118], v110 offset0:93 offset1:94
	s_waitcnt vmcnt(18) lgkmcnt(1)
	v_fma_f64 v[111:112], v[143:144], v[111:112], v[119:120]
	s_waitcnt vmcnt(17)
	v_fma_f64 v[111:112], v[141:142], v[113:114], v[111:112]
	buffer_load_dword v120, off, s[0:3], 0 offset:388
	buffer_load_dword v133, off, s[0:3], 0 offset:408
	;; [unrolled: 1-line block ×7, first 2 shown]
	s_waitcnt vmcnt(23) lgkmcnt(0)
	v_fma_f64 v[111:112], v[135:136], v[115:116], v[111:112]
	s_waitcnt vmcnt(18)
	v_fma_f64 v[121:122], v[121:122], v[117:118], v[111:112]
	ds_read2_b64 v[111:114], v110 offset0:95 offset1:96
	ds_read2_b64 v[115:118], v110 offset0:97 offset1:98
	buffer_load_dword v134, off, s[0:3], 0 offset:412
	s_waitcnt vmcnt(18) lgkmcnt(1)
	v_fma_f64 v[111:112], v[129:130], v[111:112], v[121:122]
	s_waitcnt vmcnt(17)
	v_fma_f64 v[111:112], v[127:128], v[113:114], v[111:112]
	buffer_load_dword v122, off, s[0:3], 0 offset:420
	buffer_load_dword v127, off, s[0:3], 0 offset:424
	;; [unrolled: 1-line block ×4, first 2 shown]
	s_waitcnt vmcnt(20) lgkmcnt(0)
	v_fma_f64 v[111:112], v[123:124], v[115:116], v[111:112]
	buffer_load_dword v123, off, s[0:3], 0 offset:96
	buffer_load_dword v124, off, s[0:3], 0 offset:100
	s_waitcnt vmcnt(17)
	v_fma_f64 v[125:126], v[125:126], v[117:118], v[111:112]
	ds_read2_b64 v[111:114], v110 offset0:99 offset1:100
	ds_read2_b64 v[115:118], v110 offset0:101 offset1:102
	s_waitcnt vmcnt(16) lgkmcnt(1)
	v_fma_f64 v[111:112], v[139:140], v[111:112], v[125:126]
	s_waitcnt vmcnt(15)
	v_fma_f64 v[111:112], v[137:138], v[113:114], v[111:112]
	s_waitcnt vmcnt(14) lgkmcnt(0)
	v_fma_f64 v[111:112], v[131:132], v[115:116], v[111:112]
	s_waitcnt vmcnt(9)
	v_fma_f64 v[119:120], v[119:120], v[117:118], v[111:112]
	ds_read2_b64 v[111:114], v110 offset0:103 offset1:104
	ds_read2_b64 v[115:118], v110 offset0:105 offset1:106
	s_waitcnt vmcnt(8) lgkmcnt(1)
	v_fma_f64 v[111:112], v[143:144], v[111:112], v[119:120]
	s_waitcnt vmcnt(7)
	v_fma_f64 v[111:112], v[141:142], v[113:114], v[111:112]
	ds_read_b64 v[113:114], v110 offset:856
	s_waitcnt vmcnt(6) lgkmcnt(1)
	v_fma_f64 v[111:112], v[133:134], v[115:116], v[111:112]
	s_waitcnt vmcnt(3)
	v_fma_f64 v[111:112], v[121:122], v[117:118], v[111:112]
	s_waitcnt vmcnt(2) lgkmcnt(0)
	v_fma_f64 v[111:112], v[127:128], v[113:114], v[111:112]
	s_waitcnt vmcnt(0)
	v_add_f64 v[111:112], v[123:124], -v[111:112]
	buffer_store_dword v112, off, s[0:3], 0 offset:100
	buffer_store_dword v111, off, s[0:3], 0 offset:96
	s_and_saveexec_b64 s[4:5], vcc
	s_cbranch_execz .LBB53_309
; %bb.308:
	buffer_load_dword v111, off, s[0:3], 0 offset:88
	buffer_load_dword v112, off, s[0:3], 0 offset:92
	s_waitcnt vmcnt(0)
	ds_write_b64 v109, v[111:112]
	buffer_store_dword v110, off, s[0:3], 0 offset:88
	buffer_store_dword v110, off, s[0:3], 0 offset:92
.LBB53_309:
	s_or_b64 exec, exec, s[4:5]
	s_waitcnt lgkmcnt(0)
	; wave barrier
	buffer_load_dword v119, off, s[0:3], 0 offset:96
	buffer_load_dword v120, off, s[0:3], 0 offset:100
	;; [unrolled: 1-line block ×22, first 2 shown]
	ds_read_b128 v[111:114], v110 offset:528
	ds_read_b128 v[115:118], v110 offset:544
	v_cmp_lt_u32_e32 vcc, 10, v0
	s_waitcnt vmcnt(20) lgkmcnt(1)
	v_fma_f64 v[111:112], v[119:120], v[111:112], 0
	s_waitcnt vmcnt(18)
	v_fma_f64 v[111:112], v[121:122], v[113:114], v[111:112]
	buffer_load_dword v120, off, s[0:3], 0 offset:188
	buffer_load_dword v121, off, s[0:3], 0 offset:208
	buffer_load_dword v141, off, s[0:3], 0 offset:200
	buffer_load_dword v143, off, s[0:3], 0 offset:192
	buffer_load_dword v119, off, s[0:3], 0 offset:184
	buffer_load_dword v144, off, s[0:3], 0 offset:196
	buffer_load_dword v142, off, s[0:3], 0 offset:204
	s_waitcnt vmcnt(23) lgkmcnt(0)
	v_fma_f64 v[111:112], v[123:124], v[115:116], v[111:112]
	s_waitcnt vmcnt(21)
	v_fma_f64 v[122:123], v[125:126], v[117:118], v[111:112]
	ds_read_b128 v[111:114], v110 offset:560
	ds_read_b128 v[115:118], v110 offset:576
	s_waitcnt vmcnt(19) lgkmcnt(1)
	v_fma_f64 v[111:112], v[127:128], v[111:112], v[122:123]
	buffer_load_dword v122, off, s[0:3], 0 offset:212
	s_waitcnt vmcnt(18)
	v_fma_f64 v[111:112], v[129:130], v[113:114], v[111:112]
	buffer_load_dword v124, off, s[0:3], 0 offset:220
	buffer_load_dword v125, off, s[0:3], 0 offset:240
	;; [unrolled: 1-line block ×7, first 2 shown]
	s_waitcnt vmcnt(23) lgkmcnt(0)
	v_fma_f64 v[111:112], v[131:132], v[115:116], v[111:112]
	s_waitcnt vmcnt(18)
	v_fma_f64 v[131:132], v[133:134], v[117:118], v[111:112]
	ds_read_b128 v[111:114], v110 offset:592
	ds_read_b128 v[115:118], v110 offset:608
	buffer_load_dword v126, off, s[0:3], 0 offset:244
	s_waitcnt vmcnt(18) lgkmcnt(1)
	v_fma_f64 v[111:112], v[139:140], v[111:112], v[131:132]
	s_waitcnt vmcnt(17)
	v_fma_f64 v[111:112], v[137:138], v[113:114], v[111:112]
	buffer_load_dword v132, off, s[0:3], 0 offset:252
	buffer_load_dword v133, off, s[0:3], 0 offset:272
	;; [unrolled: 1-line block ×8, first 2 shown]
	s_waitcnt vmcnt(24) lgkmcnt(0)
	v_fma_f64 v[111:112], v[135:136], v[115:116], v[111:112]
	s_waitcnt vmcnt(19)
	v_fma_f64 v[119:120], v[119:120], v[117:118], v[111:112]
	ds_read_b128 v[111:114], v110 offset:624
	ds_read_b128 v[115:118], v110 offset:640
	s_waitcnt vmcnt(18) lgkmcnt(1)
	v_fma_f64 v[111:112], v[143:144], v[111:112], v[119:120]
	s_waitcnt vmcnt(17)
	v_fma_f64 v[111:112], v[141:142], v[113:114], v[111:112]
	buffer_load_dword v120, off, s[0:3], 0 offset:284
	buffer_load_dword v135, off, s[0:3], 0 offset:304
	buffer_load_dword v141, off, s[0:3], 0 offset:296
	buffer_load_dword v143, off, s[0:3], 0 offset:288
	buffer_load_dword v119, off, s[0:3], 0 offset:280
	buffer_load_dword v144, off, s[0:3], 0 offset:292
	buffer_load_dword v142, off, s[0:3], 0 offset:300
	buffer_load_dword v136, off, s[0:3], 0 offset:308
	s_waitcnt vmcnt(24) lgkmcnt(0)
	v_fma_f64 v[111:112], v[121:122], v[115:116], v[111:112]
	s_waitcnt vmcnt(19)
	v_fma_f64 v[121:122], v[123:124], v[117:118], v[111:112]
	ds_read_b128 v[111:114], v110 offset:656
	ds_read_b128 v[115:118], v110 offset:672
	s_waitcnt vmcnt(18) lgkmcnt(1)
	v_fma_f64 v[111:112], v[129:130], v[111:112], v[121:122]
	s_waitcnt vmcnt(17)
	v_fma_f64 v[111:112], v[127:128], v[113:114], v[111:112]
	buffer_load_dword v122, off, s[0:3], 0 offset:316
	buffer_load_dword v123, off, s[0:3], 0 offset:336
	;; [unrolled: 1-line block ×7, first 2 shown]
	s_waitcnt vmcnt(23) lgkmcnt(0)
	v_fma_f64 v[111:112], v[125:126], v[115:116], v[111:112]
	s_waitcnt vmcnt(18)
	v_fma_f64 v[124:125], v[131:132], v[117:118], v[111:112]
	ds_read_b128 v[111:114], v110 offset:688
	ds_read_b128 v[115:118], v110 offset:704
	s_waitcnt vmcnt(17) lgkmcnt(1)
	v_fma_f64 v[111:112], v[139:140], v[111:112], v[124:125]
	buffer_load_dword v124, off, s[0:3], 0 offset:340
	s_waitcnt vmcnt(17)
	v_fma_f64 v[111:112], v[137:138], v[113:114], v[111:112]
	buffer_load_dword v126, off, s[0:3], 0 offset:348
	buffer_load_dword v131, off, s[0:3], 0 offset:368
	;; [unrolled: 1-line block ×8, first 2 shown]
	s_waitcnt vmcnt(24) lgkmcnt(0)
	v_fma_f64 v[111:112], v[133:134], v[115:116], v[111:112]
	s_waitcnt vmcnt(19)
	v_fma_f64 v[119:120], v[119:120], v[117:118], v[111:112]
	ds_read_b128 v[111:114], v110 offset:720
	ds_read_b128 v[115:118], v110 offset:736
	s_waitcnt vmcnt(18) lgkmcnt(1)
	v_fma_f64 v[111:112], v[143:144], v[111:112], v[119:120]
	s_waitcnt vmcnt(17)
	v_fma_f64 v[111:112], v[141:142], v[113:114], v[111:112]
	buffer_load_dword v120, off, s[0:3], 0 offset:380
	buffer_load_dword v133, off, s[0:3], 0 offset:400
	;; [unrolled: 1-line block ×8, first 2 shown]
	s_waitcnt vmcnt(24) lgkmcnt(0)
	v_fma_f64 v[111:112], v[135:136], v[115:116], v[111:112]
	s_waitcnt vmcnt(19)
	v_fma_f64 v[121:122], v[121:122], v[117:118], v[111:112]
	ds_read_b128 v[111:114], v110 offset:752
	ds_read_b128 v[115:118], v110 offset:768
	s_waitcnt vmcnt(18) lgkmcnt(1)
	v_fma_f64 v[111:112], v[129:130], v[111:112], v[121:122]
	s_waitcnt vmcnt(17)
	v_fma_f64 v[111:112], v[127:128], v[113:114], v[111:112]
	buffer_load_dword v122, off, s[0:3], 0 offset:412
	buffer_load_dword v127, off, s[0:3], 0 offset:424
	;; [unrolled: 1-line block ×6, first 2 shown]
	s_waitcnt vmcnt(22) lgkmcnt(0)
	v_fma_f64 v[111:112], v[123:124], v[115:116], v[111:112]
	s_waitcnt vmcnt(17)
	v_fma_f64 v[123:124], v[125:126], v[117:118], v[111:112]
	ds_read_b128 v[111:114], v110 offset:784
	buffer_load_dword v125, off, s[0:3], 0 offset:88
	buffer_load_dword v126, off, s[0:3], 0 offset:92
	ds_read_b128 v[115:118], v110 offset:800
	s_waitcnt vmcnt(18) lgkmcnt(1)
	v_fma_f64 v[111:112], v[139:140], v[111:112], v[123:124]
	s_waitcnt vmcnt(17)
	v_fma_f64 v[111:112], v[137:138], v[113:114], v[111:112]
	s_waitcnt vmcnt(16) lgkmcnt(0)
	v_fma_f64 v[111:112], v[131:132], v[115:116], v[111:112]
	s_waitcnt vmcnt(11)
	v_fma_f64 v[119:120], v[119:120], v[117:118], v[111:112]
	ds_read_b128 v[111:114], v110 offset:816
	ds_read_b128 v[115:118], v110 offset:832
	s_waitcnt vmcnt(10) lgkmcnt(1)
	v_fma_f64 v[111:112], v[143:144], v[111:112], v[119:120]
	s_waitcnt vmcnt(9)
	v_fma_f64 v[111:112], v[141:142], v[113:114], v[111:112]
	s_waitcnt vmcnt(8) lgkmcnt(0)
	v_fma_f64 v[111:112], v[133:134], v[115:116], v[111:112]
	s_waitcnt vmcnt(4)
	v_fma_f64 v[114:115], v[121:122], v[117:118], v[111:112]
	ds_read_b128 v[110:113], v110 offset:848
	s_waitcnt vmcnt(3) lgkmcnt(0)
	v_fma_f64 v[110:111], v[129:130], v[110:111], v[114:115]
	s_waitcnt vmcnt(2)
	v_fma_f64 v[110:111], v[127:128], v[112:113], v[110:111]
	s_waitcnt vmcnt(0)
	v_add_f64 v[110:111], v[125:126], -v[110:111]
	buffer_store_dword v111, off, s[0:3], 0 offset:92
	buffer_store_dword v110, off, s[0:3], 0 offset:88
	s_and_saveexec_b64 s[4:5], vcc
	s_cbranch_execz .LBB53_311
; %bb.310:
	buffer_load_dword v110, off, s[0:3], 0 offset:80
	buffer_load_dword v111, off, s[0:3], 0 offset:84
	v_mov_b32_e32 v112, 0
	buffer_store_dword v112, off, s[0:3], 0 offset:80
	buffer_store_dword v112, off, s[0:3], 0 offset:84
	s_waitcnt vmcnt(2)
	ds_write_b64 v109, v[110:111]
.LBB53_311:
	s_or_b64 exec, exec, s[4:5]
	s_waitcnt lgkmcnt(0)
	; wave barrier
	buffer_load_dword v119, off, s[0:3], 0 offset:88
	buffer_load_dword v120, off, s[0:3], 0 offset:92
	;; [unrolled: 1-line block ×22, first 2 shown]
	v_mov_b32_e32 v110, 0
	ds_read2_b64 v[111:114], v110 offset0:65 offset1:66
	ds_read2_b64 v[115:118], v110 offset0:67 offset1:68
	v_cmp_lt_u32_e32 vcc, 9, v0
	s_waitcnt vmcnt(20) lgkmcnt(1)
	v_fma_f64 v[111:112], v[119:120], v[111:112], 0
	s_waitcnt vmcnt(18)
	v_fma_f64 v[111:112], v[121:122], v[113:114], v[111:112]
	buffer_load_dword v120, off, s[0:3], 0 offset:180
	buffer_load_dword v121, off, s[0:3], 0 offset:200
	;; [unrolled: 1-line block ×7, first 2 shown]
	s_waitcnt vmcnt(23) lgkmcnt(0)
	v_fma_f64 v[111:112], v[123:124], v[115:116], v[111:112]
	s_waitcnt vmcnt(21)
	v_fma_f64 v[122:123], v[125:126], v[117:118], v[111:112]
	ds_read2_b64 v[111:114], v110 offset0:69 offset1:70
	ds_read2_b64 v[115:118], v110 offset0:71 offset1:72
	s_waitcnt vmcnt(19) lgkmcnt(1)
	v_fma_f64 v[111:112], v[127:128], v[111:112], v[122:123]
	buffer_load_dword v122, off, s[0:3], 0 offset:204
	s_waitcnt vmcnt(18)
	v_fma_f64 v[111:112], v[129:130], v[113:114], v[111:112]
	buffer_load_dword v124, off, s[0:3], 0 offset:212
	buffer_load_dword v125, off, s[0:3], 0 offset:232
	;; [unrolled: 1-line block ×7, first 2 shown]
	s_waitcnt vmcnt(23) lgkmcnt(0)
	v_fma_f64 v[111:112], v[131:132], v[115:116], v[111:112]
	s_waitcnt vmcnt(18)
	v_fma_f64 v[131:132], v[133:134], v[117:118], v[111:112]
	ds_read2_b64 v[111:114], v110 offset0:73 offset1:74
	ds_read2_b64 v[115:118], v110 offset0:75 offset1:76
	buffer_load_dword v126, off, s[0:3], 0 offset:236
	s_waitcnt vmcnt(18) lgkmcnt(1)
	v_fma_f64 v[111:112], v[139:140], v[111:112], v[131:132]
	s_waitcnt vmcnt(17)
	v_fma_f64 v[111:112], v[137:138], v[113:114], v[111:112]
	buffer_load_dword v132, off, s[0:3], 0 offset:244
	buffer_load_dword v133, off, s[0:3], 0 offset:264
	;; [unrolled: 1-line block ×8, first 2 shown]
	s_waitcnt vmcnt(24) lgkmcnt(0)
	v_fma_f64 v[111:112], v[135:136], v[115:116], v[111:112]
	s_waitcnt vmcnt(19)
	v_fma_f64 v[119:120], v[119:120], v[117:118], v[111:112]
	ds_read2_b64 v[111:114], v110 offset0:77 offset1:78
	ds_read2_b64 v[115:118], v110 offset0:79 offset1:80
	s_waitcnt vmcnt(18) lgkmcnt(1)
	v_fma_f64 v[111:112], v[143:144], v[111:112], v[119:120]
	s_waitcnt vmcnt(17)
	v_fma_f64 v[111:112], v[141:142], v[113:114], v[111:112]
	buffer_load_dword v120, off, s[0:3], 0 offset:276
	buffer_load_dword v135, off, s[0:3], 0 offset:296
	;; [unrolled: 1-line block ×8, first 2 shown]
	s_waitcnt vmcnt(24) lgkmcnt(0)
	v_fma_f64 v[111:112], v[121:122], v[115:116], v[111:112]
	s_waitcnt vmcnt(19)
	v_fma_f64 v[121:122], v[123:124], v[117:118], v[111:112]
	ds_read2_b64 v[111:114], v110 offset0:81 offset1:82
	ds_read2_b64 v[115:118], v110 offset0:83 offset1:84
	s_waitcnt vmcnt(18) lgkmcnt(1)
	v_fma_f64 v[111:112], v[129:130], v[111:112], v[121:122]
	s_waitcnt vmcnt(17)
	v_fma_f64 v[111:112], v[127:128], v[113:114], v[111:112]
	buffer_load_dword v122, off, s[0:3], 0 offset:308
	buffer_load_dword v123, off, s[0:3], 0 offset:328
	;; [unrolled: 1-line block ×7, first 2 shown]
	s_waitcnt vmcnt(23) lgkmcnt(0)
	v_fma_f64 v[111:112], v[125:126], v[115:116], v[111:112]
	s_waitcnt vmcnt(18)
	v_fma_f64 v[124:125], v[131:132], v[117:118], v[111:112]
	ds_read2_b64 v[111:114], v110 offset0:85 offset1:86
	ds_read2_b64 v[115:118], v110 offset0:87 offset1:88
	s_waitcnt vmcnt(17) lgkmcnt(1)
	v_fma_f64 v[111:112], v[139:140], v[111:112], v[124:125]
	buffer_load_dword v124, off, s[0:3], 0 offset:332
	s_waitcnt vmcnt(17)
	v_fma_f64 v[111:112], v[137:138], v[113:114], v[111:112]
	buffer_load_dword v126, off, s[0:3], 0 offset:340
	buffer_load_dword v131, off, s[0:3], 0 offset:360
	buffer_load_dword v137, off, s[0:3], 0 offset:352
	buffer_load_dword v139, off, s[0:3], 0 offset:344
	buffer_load_dword v125, off, s[0:3], 0 offset:336
	buffer_load_dword v140, off, s[0:3], 0 offset:348
	buffer_load_dword v138, off, s[0:3], 0 offset:356
	buffer_load_dword v132, off, s[0:3], 0 offset:364
	s_waitcnt vmcnt(24) lgkmcnt(0)
	v_fma_f64 v[111:112], v[133:134], v[115:116], v[111:112]
	s_waitcnt vmcnt(19)
	v_fma_f64 v[119:120], v[119:120], v[117:118], v[111:112]
	ds_read2_b64 v[111:114], v110 offset0:89 offset1:90
	ds_read2_b64 v[115:118], v110 offset0:91 offset1:92
	s_waitcnt vmcnt(18) lgkmcnt(1)
	v_fma_f64 v[111:112], v[143:144], v[111:112], v[119:120]
	s_waitcnt vmcnt(17)
	v_fma_f64 v[111:112], v[141:142], v[113:114], v[111:112]
	buffer_load_dword v120, off, s[0:3], 0 offset:372
	buffer_load_dword v133, off, s[0:3], 0 offset:392
	buffer_load_dword v141, off, s[0:3], 0 offset:384
	buffer_load_dword v143, off, s[0:3], 0 offset:376
	buffer_load_dword v119, off, s[0:3], 0 offset:368
	buffer_load_dword v144, off, s[0:3], 0 offset:380
	buffer_load_dword v142, off, s[0:3], 0 offset:388
	buffer_load_dword v134, off, s[0:3], 0 offset:396
	s_waitcnt vmcnt(24) lgkmcnt(0)
	v_fma_f64 v[111:112], v[135:136], v[115:116], v[111:112]
	s_waitcnt vmcnt(19)
	v_fma_f64 v[121:122], v[121:122], v[117:118], v[111:112]
	ds_read2_b64 v[111:114], v110 offset0:93 offset1:94
	ds_read2_b64 v[115:118], v110 offset0:95 offset1:96
	s_waitcnt vmcnt(18) lgkmcnt(1)
	v_fma_f64 v[111:112], v[129:130], v[111:112], v[121:122]
	;; [unrolled: 18-line block ×3, first 2 shown]
	buffer_load_dword v123, off, s[0:3], 0 offset:80
	buffer_load_dword v124, off, s[0:3], 0 offset:84
	s_waitcnt vmcnt(19)
	v_fma_f64 v[111:112], v[137:138], v[113:114], v[111:112]
	s_waitcnt vmcnt(18) lgkmcnt(0)
	v_fma_f64 v[111:112], v[131:132], v[115:116], v[111:112]
	s_waitcnt vmcnt(13)
	v_fma_f64 v[119:120], v[119:120], v[117:118], v[111:112]
	ds_read2_b64 v[111:114], v110 offset0:101 offset1:102
	ds_read2_b64 v[115:118], v110 offset0:103 offset1:104
	s_waitcnt vmcnt(12) lgkmcnt(1)
	v_fma_f64 v[111:112], v[143:144], v[111:112], v[119:120]
	s_waitcnt vmcnt(11)
	v_fma_f64 v[111:112], v[141:142], v[113:114], v[111:112]
	s_waitcnt vmcnt(10) lgkmcnt(0)
	v_fma_f64 v[111:112], v[133:134], v[115:116], v[111:112]
	s_waitcnt vmcnt(5)
	v_fma_f64 v[115:116], v[121:122], v[117:118], v[111:112]
	ds_read2_b64 v[111:114], v110 offset0:105 offset1:106
	ds_read_b64 v[117:118], v110 offset:856
	s_waitcnt vmcnt(4) lgkmcnt(1)
	v_fma_f64 v[111:112], v[135:136], v[111:112], v[115:116]
	s_waitcnt vmcnt(3)
	v_fma_f64 v[111:112], v[129:130], v[113:114], v[111:112]
	s_waitcnt vmcnt(2) lgkmcnt(0)
	v_fma_f64 v[111:112], v[127:128], v[117:118], v[111:112]
	s_waitcnt vmcnt(0)
	v_add_f64 v[111:112], v[123:124], -v[111:112]
	buffer_store_dword v112, off, s[0:3], 0 offset:84
	buffer_store_dword v111, off, s[0:3], 0 offset:80
	s_and_saveexec_b64 s[4:5], vcc
	s_cbranch_execz .LBB53_313
; %bb.312:
	buffer_load_dword v111, off, s[0:3], 0 offset:72
	buffer_load_dword v112, off, s[0:3], 0 offset:76
	s_waitcnt vmcnt(0)
	ds_write_b64 v109, v[111:112]
	buffer_store_dword v110, off, s[0:3], 0 offset:72
	buffer_store_dword v110, off, s[0:3], 0 offset:76
.LBB53_313:
	s_or_b64 exec, exec, s[4:5]
	s_waitcnt lgkmcnt(0)
	; wave barrier
	buffer_load_dword v119, off, s[0:3], 0 offset:80
	buffer_load_dword v120, off, s[0:3], 0 offset:84
	;; [unrolled: 1-line block ×22, first 2 shown]
	ds_read_b128 v[111:114], v110 offset:512
	ds_read_b128 v[115:118], v110 offset:528
	v_cmp_lt_u32_e32 vcc, 8, v0
	s_waitcnt vmcnt(20) lgkmcnt(1)
	v_fma_f64 v[111:112], v[119:120], v[111:112], 0
	s_waitcnt vmcnt(18)
	v_fma_f64 v[111:112], v[121:122], v[113:114], v[111:112]
	buffer_load_dword v120, off, s[0:3], 0 offset:172
	buffer_load_dword v121, off, s[0:3], 0 offset:192
	;; [unrolled: 1-line block ×7, first 2 shown]
	s_waitcnt vmcnt(23) lgkmcnt(0)
	v_fma_f64 v[111:112], v[123:124], v[115:116], v[111:112]
	s_waitcnt vmcnt(21)
	v_fma_f64 v[122:123], v[125:126], v[117:118], v[111:112]
	ds_read_b128 v[111:114], v110 offset:544
	ds_read_b128 v[115:118], v110 offset:560
	s_waitcnt vmcnt(19) lgkmcnt(1)
	v_fma_f64 v[111:112], v[127:128], v[111:112], v[122:123]
	buffer_load_dword v122, off, s[0:3], 0 offset:196
	s_waitcnt vmcnt(18)
	v_fma_f64 v[111:112], v[129:130], v[113:114], v[111:112]
	buffer_load_dword v124, off, s[0:3], 0 offset:204
	buffer_load_dword v125, off, s[0:3], 0 offset:224
	;; [unrolled: 1-line block ×7, first 2 shown]
	s_waitcnt vmcnt(23) lgkmcnt(0)
	v_fma_f64 v[111:112], v[131:132], v[115:116], v[111:112]
	s_waitcnt vmcnt(18)
	v_fma_f64 v[131:132], v[133:134], v[117:118], v[111:112]
	ds_read_b128 v[111:114], v110 offset:576
	ds_read_b128 v[115:118], v110 offset:592
	buffer_load_dword v126, off, s[0:3], 0 offset:228
	s_waitcnt vmcnt(18) lgkmcnt(1)
	v_fma_f64 v[111:112], v[139:140], v[111:112], v[131:132]
	s_waitcnt vmcnt(17)
	v_fma_f64 v[111:112], v[137:138], v[113:114], v[111:112]
	buffer_load_dword v132, off, s[0:3], 0 offset:236
	buffer_load_dword v133, off, s[0:3], 0 offset:256
	;; [unrolled: 1-line block ×8, first 2 shown]
	s_waitcnt vmcnt(24) lgkmcnt(0)
	v_fma_f64 v[111:112], v[135:136], v[115:116], v[111:112]
	s_waitcnt vmcnt(19)
	v_fma_f64 v[119:120], v[119:120], v[117:118], v[111:112]
	ds_read_b128 v[111:114], v110 offset:608
	ds_read_b128 v[115:118], v110 offset:624
	s_waitcnt vmcnt(18) lgkmcnt(1)
	v_fma_f64 v[111:112], v[143:144], v[111:112], v[119:120]
	s_waitcnt vmcnt(17)
	v_fma_f64 v[111:112], v[141:142], v[113:114], v[111:112]
	buffer_load_dword v120, off, s[0:3], 0 offset:268
	buffer_load_dword v135, off, s[0:3], 0 offset:288
	;; [unrolled: 1-line block ×8, first 2 shown]
	s_waitcnt vmcnt(24) lgkmcnt(0)
	v_fma_f64 v[111:112], v[121:122], v[115:116], v[111:112]
	s_waitcnt vmcnt(19)
	v_fma_f64 v[121:122], v[123:124], v[117:118], v[111:112]
	ds_read_b128 v[111:114], v110 offset:640
	ds_read_b128 v[115:118], v110 offset:656
	s_waitcnt vmcnt(18) lgkmcnt(1)
	v_fma_f64 v[111:112], v[129:130], v[111:112], v[121:122]
	s_waitcnt vmcnt(17)
	v_fma_f64 v[111:112], v[127:128], v[113:114], v[111:112]
	buffer_load_dword v122, off, s[0:3], 0 offset:300
	buffer_load_dword v123, off, s[0:3], 0 offset:320
	;; [unrolled: 1-line block ×7, first 2 shown]
	s_waitcnt vmcnt(23) lgkmcnt(0)
	v_fma_f64 v[111:112], v[125:126], v[115:116], v[111:112]
	s_waitcnt vmcnt(18)
	v_fma_f64 v[124:125], v[131:132], v[117:118], v[111:112]
	ds_read_b128 v[111:114], v110 offset:672
	ds_read_b128 v[115:118], v110 offset:688
	s_waitcnt vmcnt(17) lgkmcnt(1)
	v_fma_f64 v[111:112], v[139:140], v[111:112], v[124:125]
	buffer_load_dword v124, off, s[0:3], 0 offset:324
	s_waitcnt vmcnt(17)
	v_fma_f64 v[111:112], v[137:138], v[113:114], v[111:112]
	buffer_load_dword v126, off, s[0:3], 0 offset:332
	buffer_load_dword v131, off, s[0:3], 0 offset:352
	buffer_load_dword v137, off, s[0:3], 0 offset:344
	buffer_load_dword v139, off, s[0:3], 0 offset:336
	buffer_load_dword v125, off, s[0:3], 0 offset:328
	buffer_load_dword v140, off, s[0:3], 0 offset:340
	buffer_load_dword v138, off, s[0:3], 0 offset:348
	buffer_load_dword v132, off, s[0:3], 0 offset:356
	s_waitcnt vmcnt(24) lgkmcnt(0)
	v_fma_f64 v[111:112], v[133:134], v[115:116], v[111:112]
	s_waitcnt vmcnt(19)
	v_fma_f64 v[119:120], v[119:120], v[117:118], v[111:112]
	ds_read_b128 v[111:114], v110 offset:704
	ds_read_b128 v[115:118], v110 offset:720
	s_waitcnt vmcnt(18) lgkmcnt(1)
	v_fma_f64 v[111:112], v[143:144], v[111:112], v[119:120]
	s_waitcnt vmcnt(17)
	v_fma_f64 v[111:112], v[141:142], v[113:114], v[111:112]
	buffer_load_dword v120, off, s[0:3], 0 offset:364
	buffer_load_dword v133, off, s[0:3], 0 offset:384
	buffer_load_dword v141, off, s[0:3], 0 offset:376
	buffer_load_dword v143, off, s[0:3], 0 offset:368
	buffer_load_dword v119, off, s[0:3], 0 offset:360
	buffer_load_dword v144, off, s[0:3], 0 offset:372
	buffer_load_dword v142, off, s[0:3], 0 offset:380
	buffer_load_dword v134, off, s[0:3], 0 offset:388
	s_waitcnt vmcnt(24) lgkmcnt(0)
	v_fma_f64 v[111:112], v[135:136], v[115:116], v[111:112]
	s_waitcnt vmcnt(19)
	v_fma_f64 v[121:122], v[121:122], v[117:118], v[111:112]
	ds_read_b128 v[111:114], v110 offset:736
	ds_read_b128 v[115:118], v110 offset:752
	s_waitcnt vmcnt(18) lgkmcnt(1)
	v_fma_f64 v[111:112], v[129:130], v[111:112], v[121:122]
	s_waitcnt vmcnt(17)
	v_fma_f64 v[111:112], v[127:128], v[113:114], v[111:112]
	buffer_load_dword v122, off, s[0:3], 0 offset:396
	buffer_load_dword v127, off, s[0:3], 0 offset:416
	buffer_load_dword v129, off, s[0:3], 0 offset:408
	buffer_load_dword v135, off, s[0:3], 0 offset:400
	buffer_load_dword v121, off, s[0:3], 0 offset:392
	buffer_load_dword v136, off, s[0:3], 0 offset:404
	buffer_load_dword v130, off, s[0:3], 0 offset:412
	buffer_load_dword v128, off, s[0:3], 0 offset:420
	s_waitcnt vmcnt(24) lgkmcnt(0)
	v_fma_f64 v[111:112], v[123:124], v[115:116], v[111:112]
	s_waitcnt vmcnt(19)
	v_fma_f64 v[123:124], v[125:126], v[117:118], v[111:112]
	ds_read_b128 v[111:114], v110 offset:768
	ds_read_b128 v[115:118], v110 offset:784
	s_waitcnt vmcnt(18) lgkmcnt(1)
	v_fma_f64 v[111:112], v[139:140], v[111:112], v[123:124]
	buffer_load_dword v124, off, s[0:3], 0 offset:428
	buffer_load_dword v123, off, s[0:3], 0 offset:424
	;; [unrolled: 1-line block ×4, first 2 shown]
	s_waitcnt vmcnt(21)
	v_fma_f64 v[111:112], v[137:138], v[113:114], v[111:112]
	s_waitcnt vmcnt(20) lgkmcnt(0)
	v_fma_f64 v[111:112], v[131:132], v[115:116], v[111:112]
	s_waitcnt vmcnt(15)
	v_fma_f64 v[119:120], v[119:120], v[117:118], v[111:112]
	ds_read_b128 v[111:114], v110 offset:800
	ds_read_b128 v[115:118], v110 offset:816
	s_waitcnt vmcnt(14) lgkmcnt(1)
	v_fma_f64 v[111:112], v[143:144], v[111:112], v[119:120]
	s_waitcnt vmcnt(13)
	v_fma_f64 v[111:112], v[141:142], v[113:114], v[111:112]
	s_waitcnt vmcnt(12) lgkmcnt(0)
	v_fma_f64 v[111:112], v[133:134], v[115:116], v[111:112]
	s_waitcnt vmcnt(7)
	v_fma_f64 v[119:120], v[121:122], v[117:118], v[111:112]
	ds_read_b128 v[111:114], v110 offset:832
	ds_read_b128 v[115:118], v110 offset:848
	s_waitcnt vmcnt(6) lgkmcnt(1)
	v_fma_f64 v[110:111], v[135:136], v[111:112], v[119:120]
	s_waitcnt vmcnt(5)
	v_fma_f64 v[110:111], v[129:130], v[113:114], v[110:111]
	s_waitcnt vmcnt(4) lgkmcnt(0)
	v_fma_f64 v[110:111], v[127:128], v[115:116], v[110:111]
	s_waitcnt vmcnt(2)
	v_fma_f64 v[110:111], v[123:124], v[117:118], v[110:111]
	s_waitcnt vmcnt(0)
	v_add_f64 v[110:111], v[125:126], -v[110:111]
	buffer_store_dword v111, off, s[0:3], 0 offset:76
	buffer_store_dword v110, off, s[0:3], 0 offset:72
	s_and_saveexec_b64 s[4:5], vcc
	s_cbranch_execz .LBB53_315
; %bb.314:
	buffer_load_dword v110, off, s[0:3], 0 offset:64
	buffer_load_dword v111, off, s[0:3], 0 offset:68
	v_mov_b32_e32 v112, 0
	buffer_store_dword v112, off, s[0:3], 0 offset:64
	buffer_store_dword v112, off, s[0:3], 0 offset:68
	s_waitcnt vmcnt(2)
	ds_write_b64 v109, v[110:111]
.LBB53_315:
	s_or_b64 exec, exec, s[4:5]
	s_waitcnt lgkmcnt(0)
	; wave barrier
	buffer_load_dword v119, off, s[0:3], 0 offset:72
	buffer_load_dword v120, off, s[0:3], 0 offset:76
	;; [unrolled: 1-line block ×21, first 2 shown]
	v_mov_b32_e32 v110, 0
	ds_read2_b64 v[111:114], v110 offset0:63 offset1:64
	ds_read2_b64 v[115:118], v110 offset0:65 offset1:66
	buffer_load_dword v136, off, s[0:3], 0 offset:156
	v_cmp_lt_u32_e32 vcc, 7, v0
	s_waitcnt vmcnt(20) lgkmcnt(1)
	v_fma_f64 v[111:112], v[119:120], v[111:112], 0
	s_waitcnt vmcnt(18)
	v_fma_f64 v[111:112], v[121:122], v[113:114], v[111:112]
	buffer_load_dword v120, off, s[0:3], 0 offset:164
	buffer_load_dword v121, off, s[0:3], 0 offset:184
	;; [unrolled: 1-line block ×7, first 2 shown]
	s_waitcnt vmcnt(23) lgkmcnt(0)
	v_fma_f64 v[111:112], v[123:124], v[115:116], v[111:112]
	s_waitcnt vmcnt(21)
	v_fma_f64 v[122:123], v[125:126], v[117:118], v[111:112]
	ds_read2_b64 v[111:114], v110 offset0:67 offset1:68
	ds_read2_b64 v[115:118], v110 offset0:69 offset1:70
	s_waitcnt vmcnt(19) lgkmcnt(1)
	v_fma_f64 v[111:112], v[127:128], v[111:112], v[122:123]
	buffer_load_dword v122, off, s[0:3], 0 offset:188
	s_waitcnt vmcnt(18)
	v_fma_f64 v[111:112], v[129:130], v[113:114], v[111:112]
	buffer_load_dword v124, off, s[0:3], 0 offset:196
	buffer_load_dword v125, off, s[0:3], 0 offset:216
	;; [unrolled: 1-line block ×7, first 2 shown]
	s_waitcnt vmcnt(23) lgkmcnt(0)
	v_fma_f64 v[111:112], v[131:132], v[115:116], v[111:112]
	s_waitcnt vmcnt(18)
	v_fma_f64 v[131:132], v[133:134], v[117:118], v[111:112]
	ds_read2_b64 v[111:114], v110 offset0:71 offset1:72
	ds_read2_b64 v[115:118], v110 offset0:73 offset1:74
	buffer_load_dword v126, off, s[0:3], 0 offset:220
	s_waitcnt vmcnt(18) lgkmcnt(1)
	v_fma_f64 v[111:112], v[139:140], v[111:112], v[131:132]
	s_waitcnt vmcnt(17)
	v_fma_f64 v[111:112], v[137:138], v[113:114], v[111:112]
	buffer_load_dword v132, off, s[0:3], 0 offset:228
	buffer_load_dword v133, off, s[0:3], 0 offset:248
	;; [unrolled: 1-line block ×7, first 2 shown]
	s_waitcnt vmcnt(23) lgkmcnt(0)
	v_fma_f64 v[111:112], v[135:136], v[115:116], v[111:112]
	s_waitcnt vmcnt(18)
	v_fma_f64 v[119:120], v[119:120], v[117:118], v[111:112]
	ds_read2_b64 v[111:114], v110 offset0:75 offset1:76
	ds_read2_b64 v[115:118], v110 offset0:77 offset1:78
	buffer_load_dword v134, off, s[0:3], 0 offset:252
	s_waitcnt vmcnt(18) lgkmcnt(1)
	v_fma_f64 v[111:112], v[143:144], v[111:112], v[119:120]
	s_waitcnt vmcnt(17)
	v_fma_f64 v[111:112], v[141:142], v[113:114], v[111:112]
	buffer_load_dword v120, off, s[0:3], 0 offset:260
	buffer_load_dword v135, off, s[0:3], 0 offset:280
	;; [unrolled: 1-line block ×8, first 2 shown]
	s_waitcnt vmcnt(24) lgkmcnt(0)
	v_fma_f64 v[111:112], v[121:122], v[115:116], v[111:112]
	s_waitcnt vmcnt(19)
	v_fma_f64 v[121:122], v[123:124], v[117:118], v[111:112]
	ds_read2_b64 v[111:114], v110 offset0:79 offset1:80
	ds_read2_b64 v[115:118], v110 offset0:81 offset1:82
	s_waitcnt vmcnt(18) lgkmcnt(1)
	v_fma_f64 v[111:112], v[129:130], v[111:112], v[121:122]
	s_waitcnt vmcnt(17)
	v_fma_f64 v[111:112], v[127:128], v[113:114], v[111:112]
	buffer_load_dword v122, off, s[0:3], 0 offset:292
	buffer_load_dword v123, off, s[0:3], 0 offset:312
	;; [unrolled: 1-line block ×7, first 2 shown]
	s_waitcnt vmcnt(23) lgkmcnt(0)
	v_fma_f64 v[111:112], v[125:126], v[115:116], v[111:112]
	s_waitcnt vmcnt(18)
	v_fma_f64 v[124:125], v[131:132], v[117:118], v[111:112]
	ds_read2_b64 v[111:114], v110 offset0:83 offset1:84
	ds_read2_b64 v[115:118], v110 offset0:85 offset1:86
	s_waitcnt vmcnt(17) lgkmcnt(1)
	v_fma_f64 v[111:112], v[139:140], v[111:112], v[124:125]
	buffer_load_dword v124, off, s[0:3], 0 offset:316
	s_waitcnt vmcnt(17)
	v_fma_f64 v[111:112], v[137:138], v[113:114], v[111:112]
	buffer_load_dword v126, off, s[0:3], 0 offset:324
	buffer_load_dword v131, off, s[0:3], 0 offset:344
	;; [unrolled: 1-line block ×7, first 2 shown]
	s_waitcnt vmcnt(23) lgkmcnt(0)
	v_fma_f64 v[111:112], v[133:134], v[115:116], v[111:112]
	s_waitcnt vmcnt(18)
	v_fma_f64 v[119:120], v[119:120], v[117:118], v[111:112]
	ds_read2_b64 v[111:114], v110 offset0:87 offset1:88
	ds_read2_b64 v[115:118], v110 offset0:89 offset1:90
	buffer_load_dword v132, off, s[0:3], 0 offset:348
	s_waitcnt vmcnt(18) lgkmcnt(1)
	v_fma_f64 v[111:112], v[143:144], v[111:112], v[119:120]
	s_waitcnt vmcnt(17)
	v_fma_f64 v[111:112], v[141:142], v[113:114], v[111:112]
	buffer_load_dword v120, off, s[0:3], 0 offset:356
	buffer_load_dword v133, off, s[0:3], 0 offset:376
	;; [unrolled: 1-line block ×8, first 2 shown]
	s_waitcnt vmcnt(24) lgkmcnt(0)
	v_fma_f64 v[111:112], v[135:136], v[115:116], v[111:112]
	s_waitcnt vmcnt(19)
	v_fma_f64 v[121:122], v[121:122], v[117:118], v[111:112]
	ds_read2_b64 v[111:114], v110 offset0:91 offset1:92
	ds_read2_b64 v[115:118], v110 offset0:93 offset1:94
	s_waitcnt vmcnt(18) lgkmcnt(1)
	v_fma_f64 v[111:112], v[129:130], v[111:112], v[121:122]
	s_waitcnt vmcnt(17)
	v_fma_f64 v[111:112], v[127:128], v[113:114], v[111:112]
	buffer_load_dword v122, off, s[0:3], 0 offset:388
	buffer_load_dword v127, off, s[0:3], 0 offset:408
	;; [unrolled: 1-line block ×7, first 2 shown]
	s_waitcnt vmcnt(23) lgkmcnt(0)
	v_fma_f64 v[111:112], v[123:124], v[115:116], v[111:112]
	s_waitcnt vmcnt(18)
	v_fma_f64 v[123:124], v[125:126], v[117:118], v[111:112]
	ds_read2_b64 v[111:114], v110 offset0:95 offset1:96
	ds_read2_b64 v[115:118], v110 offset0:97 offset1:98
	buffer_load_dword v128, off, s[0:3], 0 offset:412
	s_waitcnt vmcnt(18) lgkmcnt(1)
	v_fma_f64 v[111:112], v[139:140], v[111:112], v[123:124]
	buffer_load_dword v124, off, s[0:3], 0 offset:420
	buffer_load_dword v125, off, s[0:3], 0 offset:424
	;; [unrolled: 1-line block ×4, first 2 shown]
	s_waitcnt vmcnt(21)
	v_fma_f64 v[111:112], v[137:138], v[113:114], v[111:112]
	s_waitcnt vmcnt(20) lgkmcnt(0)
	v_fma_f64 v[111:112], v[131:132], v[115:116], v[111:112]
	buffer_load_dword v131, off, s[0:3], 0 offset:64
	buffer_load_dword v132, off, s[0:3], 0 offset:68
	s_waitcnt vmcnt(17)
	v_fma_f64 v[119:120], v[119:120], v[117:118], v[111:112]
	ds_read2_b64 v[111:114], v110 offset0:99 offset1:100
	ds_read2_b64 v[115:118], v110 offset0:101 offset1:102
	s_waitcnt vmcnt(16) lgkmcnt(1)
	v_fma_f64 v[111:112], v[143:144], v[111:112], v[119:120]
	s_waitcnt vmcnt(15)
	v_fma_f64 v[111:112], v[141:142], v[113:114], v[111:112]
	s_waitcnt vmcnt(14) lgkmcnt(0)
	v_fma_f64 v[111:112], v[133:134], v[115:116], v[111:112]
	s_waitcnt vmcnt(9)
	v_fma_f64 v[119:120], v[121:122], v[117:118], v[111:112]
	ds_read2_b64 v[111:114], v110 offset0:103 offset1:104
	ds_read2_b64 v[115:118], v110 offset0:105 offset1:106
	s_waitcnt vmcnt(8) lgkmcnt(1)
	v_fma_f64 v[111:112], v[135:136], v[111:112], v[119:120]
	s_waitcnt vmcnt(7)
	v_fma_f64 v[111:112], v[129:130], v[113:114], v[111:112]
	ds_read_b64 v[113:114], v110 offset:856
	s_waitcnt vmcnt(6) lgkmcnt(1)
	v_fma_f64 v[111:112], v[127:128], v[115:116], v[111:112]
	s_waitcnt vmcnt(3)
	v_fma_f64 v[111:112], v[123:124], v[117:118], v[111:112]
	s_waitcnt vmcnt(2) lgkmcnt(0)
	v_fma_f64 v[111:112], v[125:126], v[113:114], v[111:112]
	s_waitcnt vmcnt(0)
	v_add_f64 v[111:112], v[131:132], -v[111:112]
	buffer_store_dword v112, off, s[0:3], 0 offset:68
	buffer_store_dword v111, off, s[0:3], 0 offset:64
	s_and_saveexec_b64 s[4:5], vcc
	s_cbranch_execz .LBB53_317
; %bb.316:
	buffer_load_dword v111, off, s[0:3], 0 offset:56
	buffer_load_dword v112, off, s[0:3], 0 offset:60
	s_waitcnt vmcnt(0)
	ds_write_b64 v109, v[111:112]
	buffer_store_dword v110, off, s[0:3], 0 offset:56
	buffer_store_dword v110, off, s[0:3], 0 offset:60
.LBB53_317:
	s_or_b64 exec, exec, s[4:5]
	s_waitcnt lgkmcnt(0)
	; wave barrier
	buffer_load_dword v119, off, s[0:3], 0 offset:64
	buffer_load_dword v120, off, s[0:3], 0 offset:68
	buffer_load_dword v121, off, s[0:3], 0 offset:72
	buffer_load_dword v122, off, s[0:3], 0 offset:76
	buffer_load_dword v123, off, s[0:3], 0 offset:80
	buffer_load_dword v124, off, s[0:3], 0 offset:84
	buffer_load_dword v125, off, s[0:3], 0 offset:88
	buffer_load_dword v126, off, s[0:3], 0 offset:92
	buffer_load_dword v127, off, s[0:3], 0 offset:96
	buffer_load_dword v128, off, s[0:3], 0 offset:100
	buffer_load_dword v129, off, s[0:3], 0 offset:104
	buffer_load_dword v130, off, s[0:3], 0 offset:108
	buffer_load_dword v131, off, s[0:3], 0 offset:112
	buffer_load_dword v132, off, s[0:3], 0 offset:116
	buffer_load_dword v134, off, s[0:3], 0 offset:124
	buffer_load_dword v135, off, s[0:3], 0 offset:144
	buffer_load_dword v137, off, s[0:3], 0 offset:136
	buffer_load_dword v139, off, s[0:3], 0 offset:128
	buffer_load_dword v133, off, s[0:3], 0 offset:120
	buffer_load_dword v140, off, s[0:3], 0 offset:132
	buffer_load_dword v138, off, s[0:3], 0 offset:140
	ds_read_b128 v[111:114], v110 offset:496
	ds_read_b128 v[115:118], v110 offset:512
	buffer_load_dword v136, off, s[0:3], 0 offset:148
	v_cmp_lt_u32_e32 vcc, 6, v0
	s_waitcnt vmcnt(20) lgkmcnt(1)
	v_fma_f64 v[111:112], v[119:120], v[111:112], 0
	s_waitcnt vmcnt(18)
	v_fma_f64 v[111:112], v[121:122], v[113:114], v[111:112]
	buffer_load_dword v120, off, s[0:3], 0 offset:156
	buffer_load_dword v121, off, s[0:3], 0 offset:176
	;; [unrolled: 1-line block ×7, first 2 shown]
	s_waitcnt vmcnt(23) lgkmcnt(0)
	v_fma_f64 v[111:112], v[123:124], v[115:116], v[111:112]
	s_waitcnt vmcnt(21)
	v_fma_f64 v[122:123], v[125:126], v[117:118], v[111:112]
	ds_read_b128 v[111:114], v110 offset:528
	ds_read_b128 v[115:118], v110 offset:544
	s_waitcnt vmcnt(19) lgkmcnt(1)
	v_fma_f64 v[111:112], v[127:128], v[111:112], v[122:123]
	buffer_load_dword v122, off, s[0:3], 0 offset:180
	s_waitcnt vmcnt(18)
	v_fma_f64 v[111:112], v[129:130], v[113:114], v[111:112]
	buffer_load_dword v124, off, s[0:3], 0 offset:188
	buffer_load_dword v125, off, s[0:3], 0 offset:208
	;; [unrolled: 1-line block ×8, first 2 shown]
	s_waitcnt vmcnt(24) lgkmcnt(0)
	v_fma_f64 v[111:112], v[131:132], v[115:116], v[111:112]
	s_waitcnt vmcnt(19)
	v_fma_f64 v[131:132], v[133:134], v[117:118], v[111:112]
	ds_read_b128 v[111:114], v110 offset:560
	ds_read_b128 v[115:118], v110 offset:576
	s_waitcnt vmcnt(18) lgkmcnt(1)
	v_fma_f64 v[111:112], v[139:140], v[111:112], v[131:132]
	s_waitcnt vmcnt(17)
	v_fma_f64 v[111:112], v[137:138], v[113:114], v[111:112]
	buffer_load_dword v132, off, s[0:3], 0 offset:220
	buffer_load_dword v133, off, s[0:3], 0 offset:240
	;; [unrolled: 1-line block ×7, first 2 shown]
	s_waitcnt vmcnt(23) lgkmcnt(0)
	v_fma_f64 v[111:112], v[135:136], v[115:116], v[111:112]
	s_waitcnt vmcnt(18)
	v_fma_f64 v[119:120], v[119:120], v[117:118], v[111:112]
	ds_read_b128 v[111:114], v110 offset:592
	ds_read_b128 v[115:118], v110 offset:608
	buffer_load_dword v134, off, s[0:3], 0 offset:244
	s_waitcnt vmcnt(18) lgkmcnt(1)
	v_fma_f64 v[111:112], v[143:144], v[111:112], v[119:120]
	s_waitcnt vmcnt(17)
	v_fma_f64 v[111:112], v[141:142], v[113:114], v[111:112]
	buffer_load_dword v120, off, s[0:3], 0 offset:252
	buffer_load_dword v135, off, s[0:3], 0 offset:272
	;; [unrolled: 1-line block ×8, first 2 shown]
	s_waitcnt vmcnt(24) lgkmcnt(0)
	v_fma_f64 v[111:112], v[121:122], v[115:116], v[111:112]
	s_waitcnt vmcnt(19)
	v_fma_f64 v[121:122], v[123:124], v[117:118], v[111:112]
	ds_read_b128 v[111:114], v110 offset:624
	ds_read_b128 v[115:118], v110 offset:640
	s_waitcnt vmcnt(18) lgkmcnt(1)
	v_fma_f64 v[111:112], v[129:130], v[111:112], v[121:122]
	s_waitcnt vmcnt(17)
	v_fma_f64 v[111:112], v[127:128], v[113:114], v[111:112]
	buffer_load_dword v122, off, s[0:3], 0 offset:284
	buffer_load_dword v123, off, s[0:3], 0 offset:304
	;; [unrolled: 1-line block ×7, first 2 shown]
	s_waitcnt vmcnt(23) lgkmcnt(0)
	v_fma_f64 v[111:112], v[125:126], v[115:116], v[111:112]
	s_waitcnt vmcnt(18)
	v_fma_f64 v[124:125], v[131:132], v[117:118], v[111:112]
	ds_read_b128 v[111:114], v110 offset:656
	ds_read_b128 v[115:118], v110 offset:672
	s_waitcnt vmcnt(17) lgkmcnt(1)
	v_fma_f64 v[111:112], v[139:140], v[111:112], v[124:125]
	buffer_load_dword v124, off, s[0:3], 0 offset:308
	s_waitcnt vmcnt(17)
	v_fma_f64 v[111:112], v[137:138], v[113:114], v[111:112]
	buffer_load_dword v126, off, s[0:3], 0 offset:316
	buffer_load_dword v131, off, s[0:3], 0 offset:336
	;; [unrolled: 1-line block ×7, first 2 shown]
	s_waitcnt vmcnt(23) lgkmcnt(0)
	v_fma_f64 v[111:112], v[133:134], v[115:116], v[111:112]
	s_waitcnt vmcnt(18)
	v_fma_f64 v[119:120], v[119:120], v[117:118], v[111:112]
	ds_read_b128 v[111:114], v110 offset:688
	ds_read_b128 v[115:118], v110 offset:704
	buffer_load_dword v132, off, s[0:3], 0 offset:340
	s_waitcnt vmcnt(18) lgkmcnt(1)
	v_fma_f64 v[111:112], v[143:144], v[111:112], v[119:120]
	s_waitcnt vmcnt(17)
	v_fma_f64 v[111:112], v[141:142], v[113:114], v[111:112]
	buffer_load_dword v120, off, s[0:3], 0 offset:348
	buffer_load_dword v133, off, s[0:3], 0 offset:368
	;; [unrolled: 1-line block ×8, first 2 shown]
	s_waitcnt vmcnt(24) lgkmcnt(0)
	v_fma_f64 v[111:112], v[135:136], v[115:116], v[111:112]
	s_waitcnt vmcnt(19)
	v_fma_f64 v[121:122], v[121:122], v[117:118], v[111:112]
	ds_read_b128 v[111:114], v110 offset:720
	ds_read_b128 v[115:118], v110 offset:736
	s_waitcnt vmcnt(18) lgkmcnt(1)
	v_fma_f64 v[111:112], v[129:130], v[111:112], v[121:122]
	s_waitcnt vmcnt(17)
	v_fma_f64 v[111:112], v[127:128], v[113:114], v[111:112]
	buffer_load_dword v122, off, s[0:3], 0 offset:380
	buffer_load_dword v127, off, s[0:3], 0 offset:400
	;; [unrolled: 1-line block ×8, first 2 shown]
	s_waitcnt vmcnt(24) lgkmcnt(0)
	v_fma_f64 v[111:112], v[123:124], v[115:116], v[111:112]
	s_waitcnt vmcnt(19)
	v_fma_f64 v[123:124], v[125:126], v[117:118], v[111:112]
	ds_read_b128 v[111:114], v110 offset:752
	ds_read_b128 v[115:118], v110 offset:768
	s_waitcnt vmcnt(18) lgkmcnt(1)
	v_fma_f64 v[111:112], v[139:140], v[111:112], v[123:124]
	s_waitcnt vmcnt(17)
	v_fma_f64 v[111:112], v[137:138], v[113:114], v[111:112]
	buffer_load_dword v124, off, s[0:3], 0 offset:412
	buffer_load_dword v125, off, s[0:3], 0 offset:424
	;; [unrolled: 1-line block ×6, first 2 shown]
	s_waitcnt vmcnt(22) lgkmcnt(0)
	v_fma_f64 v[111:112], v[131:132], v[115:116], v[111:112]
	s_waitcnt vmcnt(17)
	v_fma_f64 v[119:120], v[119:120], v[117:118], v[111:112]
	ds_read_b128 v[111:114], v110 offset:784
	buffer_load_dword v131, off, s[0:3], 0 offset:56
	buffer_load_dword v132, off, s[0:3], 0 offset:60
	ds_read_b128 v[115:118], v110 offset:800
	s_waitcnt vmcnt(18) lgkmcnt(1)
	v_fma_f64 v[111:112], v[143:144], v[111:112], v[119:120]
	s_waitcnt vmcnt(17)
	v_fma_f64 v[111:112], v[141:142], v[113:114], v[111:112]
	s_waitcnt vmcnt(16) lgkmcnt(0)
	v_fma_f64 v[111:112], v[133:134], v[115:116], v[111:112]
	s_waitcnt vmcnt(11)
	v_fma_f64 v[119:120], v[121:122], v[117:118], v[111:112]
	ds_read_b128 v[111:114], v110 offset:816
	ds_read_b128 v[115:118], v110 offset:832
	s_waitcnt vmcnt(10) lgkmcnt(1)
	v_fma_f64 v[111:112], v[135:136], v[111:112], v[119:120]
	s_waitcnt vmcnt(9)
	v_fma_f64 v[111:112], v[129:130], v[113:114], v[111:112]
	s_waitcnt vmcnt(8) lgkmcnt(0)
	v_fma_f64 v[111:112], v[127:128], v[115:116], v[111:112]
	s_waitcnt vmcnt(4)
	v_fma_f64 v[114:115], v[123:124], v[117:118], v[111:112]
	ds_read_b128 v[110:113], v110 offset:848
	s_waitcnt vmcnt(3) lgkmcnt(0)
	v_fma_f64 v[110:111], v[137:138], v[110:111], v[114:115]
	s_waitcnt vmcnt(2)
	v_fma_f64 v[110:111], v[125:126], v[112:113], v[110:111]
	s_waitcnt vmcnt(0)
	v_add_f64 v[110:111], v[131:132], -v[110:111]
	buffer_store_dword v111, off, s[0:3], 0 offset:60
	buffer_store_dword v110, off, s[0:3], 0 offset:56
	s_and_saveexec_b64 s[4:5], vcc
	s_cbranch_execz .LBB53_319
; %bb.318:
	buffer_load_dword v110, off, s[0:3], 0 offset:48
	buffer_load_dword v111, off, s[0:3], 0 offset:52
	v_mov_b32_e32 v112, 0
	buffer_store_dword v112, off, s[0:3], 0 offset:48
	buffer_store_dword v112, off, s[0:3], 0 offset:52
	s_waitcnt vmcnt(2)
	ds_write_b64 v109, v[110:111]
.LBB53_319:
	s_or_b64 exec, exec, s[4:5]
	s_waitcnt lgkmcnt(0)
	; wave barrier
	buffer_load_dword v119, off, s[0:3], 0 offset:56
	buffer_load_dword v120, off, s[0:3], 0 offset:60
	;; [unrolled: 1-line block ×21, first 2 shown]
	v_mov_b32_e32 v110, 0
	ds_read2_b64 v[111:114], v110 offset0:61 offset1:62
	ds_read2_b64 v[115:118], v110 offset0:63 offset1:64
	buffer_load_dword v136, off, s[0:3], 0 offset:140
	v_cmp_lt_u32_e32 vcc, 5, v0
	s_waitcnt vmcnt(20) lgkmcnt(1)
	v_fma_f64 v[111:112], v[119:120], v[111:112], 0
	s_waitcnt vmcnt(18)
	v_fma_f64 v[111:112], v[121:122], v[113:114], v[111:112]
	buffer_load_dword v120, off, s[0:3], 0 offset:148
	buffer_load_dword v121, off, s[0:3], 0 offset:168
	;; [unrolled: 1-line block ×7, first 2 shown]
	s_waitcnt vmcnt(23) lgkmcnt(0)
	v_fma_f64 v[111:112], v[123:124], v[115:116], v[111:112]
	s_waitcnt vmcnt(21)
	v_fma_f64 v[122:123], v[125:126], v[117:118], v[111:112]
	ds_read2_b64 v[111:114], v110 offset0:65 offset1:66
	ds_read2_b64 v[115:118], v110 offset0:67 offset1:68
	s_waitcnt vmcnt(19) lgkmcnt(1)
	v_fma_f64 v[111:112], v[127:128], v[111:112], v[122:123]
	buffer_load_dword v122, off, s[0:3], 0 offset:172
	s_waitcnt vmcnt(18)
	v_fma_f64 v[111:112], v[129:130], v[113:114], v[111:112]
	buffer_load_dword v124, off, s[0:3], 0 offset:180
	buffer_load_dword v125, off, s[0:3], 0 offset:200
	;; [unrolled: 1-line block ×8, first 2 shown]
	s_waitcnt vmcnt(24) lgkmcnt(0)
	v_fma_f64 v[111:112], v[131:132], v[115:116], v[111:112]
	s_waitcnt vmcnt(19)
	v_fma_f64 v[131:132], v[133:134], v[117:118], v[111:112]
	ds_read2_b64 v[111:114], v110 offset0:69 offset1:70
	ds_read2_b64 v[115:118], v110 offset0:71 offset1:72
	s_waitcnt vmcnt(18) lgkmcnt(1)
	v_fma_f64 v[111:112], v[139:140], v[111:112], v[131:132]
	s_waitcnt vmcnt(17)
	v_fma_f64 v[111:112], v[137:138], v[113:114], v[111:112]
	buffer_load_dword v132, off, s[0:3], 0 offset:212
	buffer_load_dword v133, off, s[0:3], 0 offset:232
	;; [unrolled: 1-line block ×7, first 2 shown]
	s_waitcnt vmcnt(23) lgkmcnt(0)
	v_fma_f64 v[111:112], v[135:136], v[115:116], v[111:112]
	s_waitcnt vmcnt(18)
	v_fma_f64 v[119:120], v[119:120], v[117:118], v[111:112]
	ds_read2_b64 v[111:114], v110 offset0:73 offset1:74
	ds_read2_b64 v[115:118], v110 offset0:75 offset1:76
	buffer_load_dword v134, off, s[0:3], 0 offset:236
	s_waitcnt vmcnt(18) lgkmcnt(1)
	v_fma_f64 v[111:112], v[143:144], v[111:112], v[119:120]
	s_waitcnt vmcnt(17)
	v_fma_f64 v[111:112], v[141:142], v[113:114], v[111:112]
	buffer_load_dword v120, off, s[0:3], 0 offset:244
	buffer_load_dword v135, off, s[0:3], 0 offset:264
	;; [unrolled: 1-line block ×8, first 2 shown]
	s_waitcnt vmcnt(24) lgkmcnt(0)
	v_fma_f64 v[111:112], v[121:122], v[115:116], v[111:112]
	s_waitcnt vmcnt(19)
	v_fma_f64 v[121:122], v[123:124], v[117:118], v[111:112]
	ds_read2_b64 v[111:114], v110 offset0:77 offset1:78
	ds_read2_b64 v[115:118], v110 offset0:79 offset1:80
	s_waitcnt vmcnt(18) lgkmcnt(1)
	v_fma_f64 v[111:112], v[129:130], v[111:112], v[121:122]
	s_waitcnt vmcnt(17)
	v_fma_f64 v[111:112], v[127:128], v[113:114], v[111:112]
	buffer_load_dword v122, off, s[0:3], 0 offset:276
	buffer_load_dword v123, off, s[0:3], 0 offset:296
	;; [unrolled: 1-line block ×7, first 2 shown]
	s_waitcnt vmcnt(23) lgkmcnt(0)
	v_fma_f64 v[111:112], v[125:126], v[115:116], v[111:112]
	s_waitcnt vmcnt(18)
	v_fma_f64 v[124:125], v[131:132], v[117:118], v[111:112]
	ds_read2_b64 v[111:114], v110 offset0:81 offset1:82
	ds_read2_b64 v[115:118], v110 offset0:83 offset1:84
	s_waitcnt vmcnt(17) lgkmcnt(1)
	v_fma_f64 v[111:112], v[139:140], v[111:112], v[124:125]
	buffer_load_dword v124, off, s[0:3], 0 offset:300
	s_waitcnt vmcnt(17)
	v_fma_f64 v[111:112], v[137:138], v[113:114], v[111:112]
	buffer_load_dword v126, off, s[0:3], 0 offset:308
	buffer_load_dword v131, off, s[0:3], 0 offset:328
	;; [unrolled: 1-line block ×7, first 2 shown]
	s_waitcnt vmcnt(23) lgkmcnt(0)
	v_fma_f64 v[111:112], v[133:134], v[115:116], v[111:112]
	s_waitcnt vmcnt(18)
	v_fma_f64 v[119:120], v[119:120], v[117:118], v[111:112]
	ds_read2_b64 v[111:114], v110 offset0:85 offset1:86
	ds_read2_b64 v[115:118], v110 offset0:87 offset1:88
	buffer_load_dword v132, off, s[0:3], 0 offset:332
	s_waitcnt vmcnt(18) lgkmcnt(1)
	v_fma_f64 v[111:112], v[143:144], v[111:112], v[119:120]
	s_waitcnt vmcnt(17)
	v_fma_f64 v[111:112], v[141:142], v[113:114], v[111:112]
	buffer_load_dword v120, off, s[0:3], 0 offset:340
	buffer_load_dword v133, off, s[0:3], 0 offset:360
	buffer_load_dword v141, off, s[0:3], 0 offset:352
	buffer_load_dword v143, off, s[0:3], 0 offset:344
	buffer_load_dword v119, off, s[0:3], 0 offset:336
	buffer_load_dword v144, off, s[0:3], 0 offset:348
	buffer_load_dword v142, off, s[0:3], 0 offset:356
	buffer_load_dword v134, off, s[0:3], 0 offset:364
	s_waitcnt vmcnt(24) lgkmcnt(0)
	v_fma_f64 v[111:112], v[135:136], v[115:116], v[111:112]
	s_waitcnt vmcnt(19)
	v_fma_f64 v[121:122], v[121:122], v[117:118], v[111:112]
	ds_read2_b64 v[111:114], v110 offset0:89 offset1:90
	ds_read2_b64 v[115:118], v110 offset0:91 offset1:92
	s_waitcnt vmcnt(18) lgkmcnt(1)
	v_fma_f64 v[111:112], v[129:130], v[111:112], v[121:122]
	s_waitcnt vmcnt(17)
	v_fma_f64 v[111:112], v[127:128], v[113:114], v[111:112]
	buffer_load_dword v122, off, s[0:3], 0 offset:372
	buffer_load_dword v127, off, s[0:3], 0 offset:392
	buffer_load_dword v129, off, s[0:3], 0 offset:384
	buffer_load_dword v135, off, s[0:3], 0 offset:376
	buffer_load_dword v121, off, s[0:3], 0 offset:368
	buffer_load_dword v136, off, s[0:3], 0 offset:380
	buffer_load_dword v130, off, s[0:3], 0 offset:388
	buffer_load_dword v128, off, s[0:3], 0 offset:396
	s_waitcnt vmcnt(24) lgkmcnt(0)
	v_fma_f64 v[111:112], v[123:124], v[115:116], v[111:112]
	s_waitcnt vmcnt(19)
	v_fma_f64 v[123:124], v[125:126], v[117:118], v[111:112]
	ds_read2_b64 v[111:114], v110 offset0:93 offset1:94
	ds_read2_b64 v[115:118], v110 offset0:95 offset1:96
	s_waitcnt vmcnt(18) lgkmcnt(1)
	v_fma_f64 v[111:112], v[139:140], v[111:112], v[123:124]
	s_waitcnt vmcnt(17)
	v_fma_f64 v[111:112], v[137:138], v[113:114], v[111:112]
	buffer_load_dword v124, off, s[0:3], 0 offset:404
	buffer_load_dword v125, off, s[0:3], 0 offset:424
	buffer_load_dword v137, off, s[0:3], 0 offset:416
	buffer_load_dword v139, off, s[0:3], 0 offset:408
	buffer_load_dword v123, off, s[0:3], 0 offset:400
	buffer_load_dword v140, off, s[0:3], 0 offset:412
	buffer_load_dword v138, off, s[0:3], 0 offset:420
	buffer_load_dword v126, off, s[0:3], 0 offset:428
	s_waitcnt vmcnt(24) lgkmcnt(0)
	v_fma_f64 v[111:112], v[131:132], v[115:116], v[111:112]
	s_waitcnt vmcnt(19)
	v_fma_f64 v[119:120], v[119:120], v[117:118], v[111:112]
	ds_read2_b64 v[111:114], v110 offset0:97 offset1:98
	ds_read2_b64 v[115:118], v110 offset0:99 offset1:100
	s_waitcnt vmcnt(18) lgkmcnt(1)
	v_fma_f64 v[111:112], v[143:144], v[111:112], v[119:120]
	buffer_load_dword v119, off, s[0:3], 0 offset:48
	buffer_load_dword v120, off, s[0:3], 0 offset:52
	s_waitcnt vmcnt(19)
	v_fma_f64 v[111:112], v[141:142], v[113:114], v[111:112]
	s_waitcnt vmcnt(18) lgkmcnt(0)
	v_fma_f64 v[111:112], v[133:134], v[115:116], v[111:112]
	s_waitcnt vmcnt(13)
	v_fma_f64 v[121:122], v[121:122], v[117:118], v[111:112]
	ds_read2_b64 v[111:114], v110 offset0:101 offset1:102
	ds_read2_b64 v[115:118], v110 offset0:103 offset1:104
	s_waitcnt vmcnt(12) lgkmcnt(1)
	v_fma_f64 v[111:112], v[135:136], v[111:112], v[121:122]
	s_waitcnt vmcnt(11)
	v_fma_f64 v[111:112], v[129:130], v[113:114], v[111:112]
	s_waitcnt vmcnt(10) lgkmcnt(0)
	v_fma_f64 v[111:112], v[127:128], v[115:116], v[111:112]
	s_waitcnt vmcnt(5)
	v_fma_f64 v[115:116], v[123:124], v[117:118], v[111:112]
	ds_read2_b64 v[111:114], v110 offset0:105 offset1:106
	ds_read_b64 v[117:118], v110 offset:856
	s_waitcnt vmcnt(4) lgkmcnt(1)
	v_fma_f64 v[111:112], v[139:140], v[111:112], v[115:116]
	s_waitcnt vmcnt(3)
	v_fma_f64 v[111:112], v[137:138], v[113:114], v[111:112]
	s_waitcnt vmcnt(2) lgkmcnt(0)
	v_fma_f64 v[111:112], v[125:126], v[117:118], v[111:112]
	s_waitcnt vmcnt(0)
	v_add_f64 v[111:112], v[119:120], -v[111:112]
	buffer_store_dword v112, off, s[0:3], 0 offset:52
	buffer_store_dword v111, off, s[0:3], 0 offset:48
	s_and_saveexec_b64 s[4:5], vcc
	s_cbranch_execz .LBB53_321
; %bb.320:
	buffer_load_dword v111, off, s[0:3], 0 offset:40
	buffer_load_dword v112, off, s[0:3], 0 offset:44
	s_waitcnt vmcnt(0)
	ds_write_b64 v109, v[111:112]
	buffer_store_dword v110, off, s[0:3], 0 offset:40
	buffer_store_dword v110, off, s[0:3], 0 offset:44
.LBB53_321:
	s_or_b64 exec, exec, s[4:5]
	s_waitcnt lgkmcnt(0)
	; wave barrier
	buffer_load_dword v119, off, s[0:3], 0 offset:48
	buffer_load_dword v120, off, s[0:3], 0 offset:52
	;; [unrolled: 1-line block ×21, first 2 shown]
	ds_read_b128 v[111:114], v110 offset:480
	ds_read_b128 v[115:118], v110 offset:496
	buffer_load_dword v136, off, s[0:3], 0 offset:132
	v_cmp_lt_u32_e32 vcc, 4, v0
	s_waitcnt vmcnt(20) lgkmcnt(1)
	v_fma_f64 v[111:112], v[119:120], v[111:112], 0
	s_waitcnt vmcnt(18)
	v_fma_f64 v[111:112], v[121:122], v[113:114], v[111:112]
	buffer_load_dword v120, off, s[0:3], 0 offset:140
	buffer_load_dword v121, off, s[0:3], 0 offset:160
	;; [unrolled: 1-line block ×7, first 2 shown]
	s_waitcnt vmcnt(23) lgkmcnt(0)
	v_fma_f64 v[111:112], v[123:124], v[115:116], v[111:112]
	s_waitcnt vmcnt(21)
	v_fma_f64 v[122:123], v[125:126], v[117:118], v[111:112]
	ds_read_b128 v[111:114], v110 offset:512
	ds_read_b128 v[115:118], v110 offset:528
	s_waitcnt vmcnt(19) lgkmcnt(1)
	v_fma_f64 v[111:112], v[127:128], v[111:112], v[122:123]
	buffer_load_dword v122, off, s[0:3], 0 offset:164
	s_waitcnt vmcnt(18)
	v_fma_f64 v[111:112], v[129:130], v[113:114], v[111:112]
	buffer_load_dword v124, off, s[0:3], 0 offset:172
	buffer_load_dword v125, off, s[0:3], 0 offset:192
	;; [unrolled: 1-line block ×8, first 2 shown]
	s_waitcnt vmcnt(24) lgkmcnt(0)
	v_fma_f64 v[111:112], v[131:132], v[115:116], v[111:112]
	s_waitcnt vmcnt(19)
	v_fma_f64 v[131:132], v[133:134], v[117:118], v[111:112]
	ds_read_b128 v[111:114], v110 offset:544
	ds_read_b128 v[115:118], v110 offset:560
	s_waitcnt vmcnt(18) lgkmcnt(1)
	v_fma_f64 v[111:112], v[139:140], v[111:112], v[131:132]
	s_waitcnt vmcnt(17)
	v_fma_f64 v[111:112], v[137:138], v[113:114], v[111:112]
	buffer_load_dword v132, off, s[0:3], 0 offset:204
	buffer_load_dword v133, off, s[0:3], 0 offset:224
	;; [unrolled: 1-line block ×7, first 2 shown]
	s_waitcnt vmcnt(23) lgkmcnt(0)
	v_fma_f64 v[111:112], v[135:136], v[115:116], v[111:112]
	s_waitcnt vmcnt(18)
	v_fma_f64 v[119:120], v[119:120], v[117:118], v[111:112]
	ds_read_b128 v[111:114], v110 offset:576
	ds_read_b128 v[115:118], v110 offset:592
	buffer_load_dword v134, off, s[0:3], 0 offset:228
	s_waitcnt vmcnt(18) lgkmcnt(1)
	v_fma_f64 v[111:112], v[143:144], v[111:112], v[119:120]
	s_waitcnt vmcnt(17)
	v_fma_f64 v[111:112], v[141:142], v[113:114], v[111:112]
	buffer_load_dword v120, off, s[0:3], 0 offset:236
	buffer_load_dword v135, off, s[0:3], 0 offset:256
	;; [unrolled: 1-line block ×8, first 2 shown]
	s_waitcnt vmcnt(24) lgkmcnt(0)
	v_fma_f64 v[111:112], v[121:122], v[115:116], v[111:112]
	s_waitcnt vmcnt(19)
	v_fma_f64 v[121:122], v[123:124], v[117:118], v[111:112]
	ds_read_b128 v[111:114], v110 offset:608
	ds_read_b128 v[115:118], v110 offset:624
	s_waitcnt vmcnt(18) lgkmcnt(1)
	v_fma_f64 v[111:112], v[129:130], v[111:112], v[121:122]
	s_waitcnt vmcnt(17)
	v_fma_f64 v[111:112], v[127:128], v[113:114], v[111:112]
	buffer_load_dword v122, off, s[0:3], 0 offset:268
	buffer_load_dword v123, off, s[0:3], 0 offset:288
	;; [unrolled: 1-line block ×7, first 2 shown]
	s_waitcnt vmcnt(23) lgkmcnt(0)
	v_fma_f64 v[111:112], v[125:126], v[115:116], v[111:112]
	s_waitcnt vmcnt(18)
	v_fma_f64 v[124:125], v[131:132], v[117:118], v[111:112]
	ds_read_b128 v[111:114], v110 offset:640
	ds_read_b128 v[115:118], v110 offset:656
	s_waitcnt vmcnt(17) lgkmcnt(1)
	v_fma_f64 v[111:112], v[139:140], v[111:112], v[124:125]
	buffer_load_dword v124, off, s[0:3], 0 offset:292
	s_waitcnt vmcnt(17)
	v_fma_f64 v[111:112], v[137:138], v[113:114], v[111:112]
	buffer_load_dword v126, off, s[0:3], 0 offset:300
	buffer_load_dword v131, off, s[0:3], 0 offset:320
	;; [unrolled: 1-line block ×7, first 2 shown]
	s_waitcnt vmcnt(23) lgkmcnt(0)
	v_fma_f64 v[111:112], v[133:134], v[115:116], v[111:112]
	s_waitcnt vmcnt(18)
	v_fma_f64 v[119:120], v[119:120], v[117:118], v[111:112]
	ds_read_b128 v[111:114], v110 offset:672
	ds_read_b128 v[115:118], v110 offset:688
	buffer_load_dword v132, off, s[0:3], 0 offset:324
	s_waitcnt vmcnt(18) lgkmcnt(1)
	v_fma_f64 v[111:112], v[143:144], v[111:112], v[119:120]
	s_waitcnt vmcnt(17)
	v_fma_f64 v[111:112], v[141:142], v[113:114], v[111:112]
	buffer_load_dword v120, off, s[0:3], 0 offset:332
	buffer_load_dword v133, off, s[0:3], 0 offset:352
	buffer_load_dword v141, off, s[0:3], 0 offset:344
	buffer_load_dword v143, off, s[0:3], 0 offset:336
	buffer_load_dword v119, off, s[0:3], 0 offset:328
	buffer_load_dword v144, off, s[0:3], 0 offset:340
	buffer_load_dword v142, off, s[0:3], 0 offset:348
	buffer_load_dword v134, off, s[0:3], 0 offset:356
	s_waitcnt vmcnt(24) lgkmcnt(0)
	v_fma_f64 v[111:112], v[135:136], v[115:116], v[111:112]
	s_waitcnt vmcnt(19)
	v_fma_f64 v[121:122], v[121:122], v[117:118], v[111:112]
	ds_read_b128 v[111:114], v110 offset:704
	ds_read_b128 v[115:118], v110 offset:720
	s_waitcnt vmcnt(18) lgkmcnt(1)
	v_fma_f64 v[111:112], v[129:130], v[111:112], v[121:122]
	s_waitcnt vmcnt(17)
	v_fma_f64 v[111:112], v[127:128], v[113:114], v[111:112]
	buffer_load_dword v122, off, s[0:3], 0 offset:364
	buffer_load_dword v127, off, s[0:3], 0 offset:384
	buffer_load_dword v129, off, s[0:3], 0 offset:376
	buffer_load_dword v135, off, s[0:3], 0 offset:368
	buffer_load_dword v121, off, s[0:3], 0 offset:360
	buffer_load_dword v136, off, s[0:3], 0 offset:372
	buffer_load_dword v130, off, s[0:3], 0 offset:380
	buffer_load_dword v128, off, s[0:3], 0 offset:388
	s_waitcnt vmcnt(24) lgkmcnt(0)
	v_fma_f64 v[111:112], v[123:124], v[115:116], v[111:112]
	s_waitcnt vmcnt(19)
	v_fma_f64 v[123:124], v[125:126], v[117:118], v[111:112]
	ds_read_b128 v[111:114], v110 offset:736
	ds_read_b128 v[115:118], v110 offset:752
	;; [unrolled: 18-line block ×3, first 2 shown]
	s_waitcnt vmcnt(18) lgkmcnt(1)
	v_fma_f64 v[111:112], v[143:144], v[111:112], v[119:120]
	buffer_load_dword v120, off, s[0:3], 0 offset:428
	buffer_load_dword v119, off, s[0:3], 0 offset:424
	;; [unrolled: 1-line block ×4, first 2 shown]
	s_waitcnt vmcnt(21)
	v_fma_f64 v[111:112], v[141:142], v[113:114], v[111:112]
	s_waitcnt vmcnt(20) lgkmcnt(0)
	v_fma_f64 v[111:112], v[133:134], v[115:116], v[111:112]
	s_waitcnt vmcnt(15)
	v_fma_f64 v[121:122], v[121:122], v[117:118], v[111:112]
	ds_read_b128 v[111:114], v110 offset:800
	ds_read_b128 v[115:118], v110 offset:816
	s_waitcnt vmcnt(14) lgkmcnt(1)
	v_fma_f64 v[111:112], v[135:136], v[111:112], v[121:122]
	s_waitcnt vmcnt(13)
	v_fma_f64 v[111:112], v[129:130], v[113:114], v[111:112]
	s_waitcnt vmcnt(12) lgkmcnt(0)
	v_fma_f64 v[111:112], v[127:128], v[115:116], v[111:112]
	s_waitcnt vmcnt(7)
	v_fma_f64 v[121:122], v[123:124], v[117:118], v[111:112]
	ds_read_b128 v[111:114], v110 offset:832
	ds_read_b128 v[115:118], v110 offset:848
	s_waitcnt vmcnt(6) lgkmcnt(1)
	v_fma_f64 v[110:111], v[139:140], v[111:112], v[121:122]
	s_waitcnt vmcnt(5)
	v_fma_f64 v[110:111], v[137:138], v[113:114], v[110:111]
	s_waitcnt vmcnt(4) lgkmcnt(0)
	v_fma_f64 v[110:111], v[125:126], v[115:116], v[110:111]
	s_waitcnt vmcnt(2)
	v_fma_f64 v[110:111], v[119:120], v[117:118], v[110:111]
	s_waitcnt vmcnt(0)
	v_add_f64 v[110:111], v[131:132], -v[110:111]
	buffer_store_dword v111, off, s[0:3], 0 offset:44
	buffer_store_dword v110, off, s[0:3], 0 offset:40
	s_and_saveexec_b64 s[4:5], vcc
	s_cbranch_execz .LBB53_323
; %bb.322:
	buffer_load_dword v110, off, s[0:3], 0 offset:32
	buffer_load_dword v111, off, s[0:3], 0 offset:36
	v_mov_b32_e32 v112, 0
	buffer_store_dword v112, off, s[0:3], 0 offset:32
	buffer_store_dword v112, off, s[0:3], 0 offset:36
	s_waitcnt vmcnt(2)
	ds_write_b64 v109, v[110:111]
.LBB53_323:
	s_or_b64 exec, exec, s[4:5]
	s_waitcnt lgkmcnt(0)
	; wave barrier
	buffer_load_dword v119, off, s[0:3], 0 offset:40
	buffer_load_dword v120, off, s[0:3], 0 offset:44
	;; [unrolled: 1-line block ×21, first 2 shown]
	v_mov_b32_e32 v110, 0
	ds_read2_b64 v[111:114], v110 offset0:59 offset1:60
	ds_read2_b64 v[115:118], v110 offset0:61 offset1:62
	buffer_load_dword v136, off, s[0:3], 0 offset:124
	v_cmp_lt_u32_e32 vcc, 3, v0
	s_waitcnt vmcnt(20) lgkmcnt(1)
	v_fma_f64 v[111:112], v[119:120], v[111:112], 0
	s_waitcnt vmcnt(18)
	v_fma_f64 v[111:112], v[121:122], v[113:114], v[111:112]
	buffer_load_dword v120, off, s[0:3], 0 offset:132
	buffer_load_dword v121, off, s[0:3], 0 offset:152
	;; [unrolled: 1-line block ×7, first 2 shown]
	s_waitcnt vmcnt(23) lgkmcnt(0)
	v_fma_f64 v[111:112], v[123:124], v[115:116], v[111:112]
	s_waitcnt vmcnt(21)
	v_fma_f64 v[122:123], v[125:126], v[117:118], v[111:112]
	ds_read2_b64 v[111:114], v110 offset0:63 offset1:64
	ds_read2_b64 v[115:118], v110 offset0:65 offset1:66
	s_waitcnt vmcnt(19) lgkmcnt(1)
	v_fma_f64 v[111:112], v[127:128], v[111:112], v[122:123]
	buffer_load_dword v122, off, s[0:3], 0 offset:156
	s_waitcnt vmcnt(18)
	v_fma_f64 v[111:112], v[129:130], v[113:114], v[111:112]
	buffer_load_dword v124, off, s[0:3], 0 offset:164
	buffer_load_dword v125, off, s[0:3], 0 offset:184
	;; [unrolled: 1-line block ×8, first 2 shown]
	s_waitcnt vmcnt(24) lgkmcnt(0)
	v_fma_f64 v[111:112], v[131:132], v[115:116], v[111:112]
	s_waitcnt vmcnt(19)
	v_fma_f64 v[131:132], v[133:134], v[117:118], v[111:112]
	ds_read2_b64 v[111:114], v110 offset0:67 offset1:68
	ds_read2_b64 v[115:118], v110 offset0:69 offset1:70
	s_waitcnt vmcnt(18) lgkmcnt(1)
	v_fma_f64 v[111:112], v[139:140], v[111:112], v[131:132]
	s_waitcnt vmcnt(17)
	v_fma_f64 v[111:112], v[137:138], v[113:114], v[111:112]
	buffer_load_dword v132, off, s[0:3], 0 offset:196
	buffer_load_dword v133, off, s[0:3], 0 offset:216
	;; [unrolled: 1-line block ×7, first 2 shown]
	s_waitcnt vmcnt(23) lgkmcnt(0)
	v_fma_f64 v[111:112], v[135:136], v[115:116], v[111:112]
	s_waitcnt vmcnt(18)
	v_fma_f64 v[119:120], v[119:120], v[117:118], v[111:112]
	ds_read2_b64 v[111:114], v110 offset0:71 offset1:72
	ds_read2_b64 v[115:118], v110 offset0:73 offset1:74
	buffer_load_dword v134, off, s[0:3], 0 offset:220
	s_waitcnt vmcnt(18) lgkmcnt(1)
	v_fma_f64 v[111:112], v[143:144], v[111:112], v[119:120]
	s_waitcnt vmcnt(17)
	v_fma_f64 v[111:112], v[141:142], v[113:114], v[111:112]
	buffer_load_dword v120, off, s[0:3], 0 offset:228
	buffer_load_dword v135, off, s[0:3], 0 offset:248
	;; [unrolled: 1-line block ×7, first 2 shown]
	s_waitcnt vmcnt(23) lgkmcnt(0)
	v_fma_f64 v[111:112], v[121:122], v[115:116], v[111:112]
	s_waitcnt vmcnt(18)
	v_fma_f64 v[121:122], v[123:124], v[117:118], v[111:112]
	ds_read2_b64 v[111:114], v110 offset0:75 offset1:76
	ds_read2_b64 v[115:118], v110 offset0:77 offset1:78
	buffer_load_dword v136, off, s[0:3], 0 offset:252
	s_waitcnt vmcnt(18) lgkmcnt(1)
	v_fma_f64 v[111:112], v[129:130], v[111:112], v[121:122]
	s_waitcnt vmcnt(17)
	v_fma_f64 v[111:112], v[127:128], v[113:114], v[111:112]
	buffer_load_dword v122, off, s[0:3], 0 offset:260
	buffer_load_dword v123, off, s[0:3], 0 offset:280
	;; [unrolled: 1-line block ×7, first 2 shown]
	s_waitcnt vmcnt(23) lgkmcnt(0)
	v_fma_f64 v[111:112], v[125:126], v[115:116], v[111:112]
	s_waitcnt vmcnt(18)
	v_fma_f64 v[124:125], v[131:132], v[117:118], v[111:112]
	ds_read2_b64 v[111:114], v110 offset0:79 offset1:80
	ds_read2_b64 v[115:118], v110 offset0:81 offset1:82
	s_waitcnt vmcnt(17) lgkmcnt(1)
	v_fma_f64 v[111:112], v[139:140], v[111:112], v[124:125]
	buffer_load_dword v124, off, s[0:3], 0 offset:284
	s_waitcnt vmcnt(17)
	v_fma_f64 v[111:112], v[137:138], v[113:114], v[111:112]
	buffer_load_dword v126, off, s[0:3], 0 offset:292
	buffer_load_dword v131, off, s[0:3], 0 offset:312
	;; [unrolled: 1-line block ×7, first 2 shown]
	s_waitcnt vmcnt(23) lgkmcnt(0)
	v_fma_f64 v[111:112], v[133:134], v[115:116], v[111:112]
	s_waitcnt vmcnt(18)
	v_fma_f64 v[119:120], v[119:120], v[117:118], v[111:112]
	ds_read2_b64 v[111:114], v110 offset0:83 offset1:84
	ds_read2_b64 v[115:118], v110 offset0:85 offset1:86
	buffer_load_dword v132, off, s[0:3], 0 offset:316
	s_waitcnt vmcnt(18) lgkmcnt(1)
	v_fma_f64 v[111:112], v[143:144], v[111:112], v[119:120]
	s_waitcnt vmcnt(17)
	v_fma_f64 v[111:112], v[141:142], v[113:114], v[111:112]
	buffer_load_dword v120, off, s[0:3], 0 offset:324
	buffer_load_dword v133, off, s[0:3], 0 offset:344
	;; [unrolled: 1-line block ×7, first 2 shown]
	s_waitcnt vmcnt(23) lgkmcnt(0)
	v_fma_f64 v[111:112], v[135:136], v[115:116], v[111:112]
	s_waitcnt vmcnt(18)
	v_fma_f64 v[121:122], v[121:122], v[117:118], v[111:112]
	ds_read2_b64 v[111:114], v110 offset0:87 offset1:88
	ds_read2_b64 v[115:118], v110 offset0:89 offset1:90
	buffer_load_dword v134, off, s[0:3], 0 offset:348
	s_waitcnt vmcnt(18) lgkmcnt(1)
	v_fma_f64 v[111:112], v[129:130], v[111:112], v[121:122]
	s_waitcnt vmcnt(17)
	v_fma_f64 v[111:112], v[127:128], v[113:114], v[111:112]
	buffer_load_dword v122, off, s[0:3], 0 offset:356
	buffer_load_dword v127, off, s[0:3], 0 offset:376
	;; [unrolled: 1-line block ×8, first 2 shown]
	s_waitcnt vmcnt(24) lgkmcnt(0)
	v_fma_f64 v[111:112], v[123:124], v[115:116], v[111:112]
	s_waitcnt vmcnt(19)
	v_fma_f64 v[123:124], v[125:126], v[117:118], v[111:112]
	ds_read2_b64 v[111:114], v110 offset0:91 offset1:92
	ds_read2_b64 v[115:118], v110 offset0:93 offset1:94
	s_waitcnt vmcnt(18) lgkmcnt(1)
	v_fma_f64 v[111:112], v[139:140], v[111:112], v[123:124]
	s_waitcnt vmcnt(17)
	v_fma_f64 v[111:112], v[137:138], v[113:114], v[111:112]
	buffer_load_dword v124, off, s[0:3], 0 offset:388
	buffer_load_dword v125, off, s[0:3], 0 offset:408
	;; [unrolled: 1-line block ×7, first 2 shown]
	s_waitcnt vmcnt(23) lgkmcnt(0)
	v_fma_f64 v[111:112], v[131:132], v[115:116], v[111:112]
	s_waitcnt vmcnt(18)
	v_fma_f64 v[119:120], v[119:120], v[117:118], v[111:112]
	ds_read2_b64 v[111:114], v110 offset0:95 offset1:96
	ds_read2_b64 v[115:118], v110 offset0:97 offset1:98
	buffer_load_dword v126, off, s[0:3], 0 offset:412
	s_waitcnt vmcnt(18) lgkmcnt(1)
	v_fma_f64 v[111:112], v[143:144], v[111:112], v[119:120]
	buffer_load_dword v120, off, s[0:3], 0 offset:420
	buffer_load_dword v131, off, s[0:3], 0 offset:424
	;; [unrolled: 1-line block ×4, first 2 shown]
	s_waitcnt vmcnt(21)
	v_fma_f64 v[111:112], v[141:142], v[113:114], v[111:112]
	s_waitcnt vmcnt(20) lgkmcnt(0)
	v_fma_f64 v[111:112], v[133:134], v[115:116], v[111:112]
	buffer_load_dword v133, off, s[0:3], 0 offset:32
	buffer_load_dword v134, off, s[0:3], 0 offset:36
	s_waitcnt vmcnt(17)
	v_fma_f64 v[121:122], v[121:122], v[117:118], v[111:112]
	ds_read2_b64 v[111:114], v110 offset0:99 offset1:100
	ds_read2_b64 v[115:118], v110 offset0:101 offset1:102
	s_waitcnt vmcnt(16) lgkmcnt(1)
	v_fma_f64 v[111:112], v[135:136], v[111:112], v[121:122]
	s_waitcnt vmcnt(15)
	v_fma_f64 v[111:112], v[129:130], v[113:114], v[111:112]
	s_waitcnt vmcnt(14) lgkmcnt(0)
	v_fma_f64 v[111:112], v[127:128], v[115:116], v[111:112]
	s_waitcnt vmcnt(9)
	v_fma_f64 v[121:122], v[123:124], v[117:118], v[111:112]
	ds_read2_b64 v[111:114], v110 offset0:103 offset1:104
	ds_read2_b64 v[115:118], v110 offset0:105 offset1:106
	s_waitcnt vmcnt(8) lgkmcnt(1)
	v_fma_f64 v[111:112], v[139:140], v[111:112], v[121:122]
	s_waitcnt vmcnt(7)
	v_fma_f64 v[111:112], v[137:138], v[113:114], v[111:112]
	ds_read_b64 v[113:114], v110 offset:856
	s_waitcnt vmcnt(6) lgkmcnt(1)
	v_fma_f64 v[111:112], v[125:126], v[115:116], v[111:112]
	s_waitcnt vmcnt(3)
	v_fma_f64 v[111:112], v[119:120], v[117:118], v[111:112]
	s_waitcnt vmcnt(2) lgkmcnt(0)
	v_fma_f64 v[111:112], v[131:132], v[113:114], v[111:112]
	s_waitcnt vmcnt(0)
	v_add_f64 v[111:112], v[133:134], -v[111:112]
	buffer_store_dword v112, off, s[0:3], 0 offset:36
	buffer_store_dword v111, off, s[0:3], 0 offset:32
	s_and_saveexec_b64 s[4:5], vcc
	s_cbranch_execz .LBB53_325
; %bb.324:
	buffer_load_dword v111, off, s[0:3], 0 offset:24
	buffer_load_dword v112, off, s[0:3], 0 offset:28
	s_waitcnt vmcnt(0)
	ds_write_b64 v109, v[111:112]
	buffer_store_dword v110, off, s[0:3], 0 offset:24
	buffer_store_dword v110, off, s[0:3], 0 offset:28
.LBB53_325:
	s_or_b64 exec, exec, s[4:5]
	s_waitcnt lgkmcnt(0)
	; wave barrier
	buffer_load_dword v119, off, s[0:3], 0 offset:32
	buffer_load_dword v120, off, s[0:3], 0 offset:36
	;; [unrolled: 1-line block ×22, first 2 shown]
	ds_read_b128 v[111:114], v110 offset:464
	ds_read_b128 v[115:118], v110 offset:480
	v_cmp_lt_u32_e32 vcc, 2, v0
	s_waitcnt vmcnt(20) lgkmcnt(1)
	v_fma_f64 v[111:112], v[119:120], v[111:112], 0
	s_waitcnt vmcnt(18)
	v_fma_f64 v[111:112], v[121:122], v[113:114], v[111:112]
	buffer_load_dword v120, off, s[0:3], 0 offset:124
	buffer_load_dword v121, off, s[0:3], 0 offset:144
	;; [unrolled: 1-line block ×7, first 2 shown]
	s_waitcnt vmcnt(23) lgkmcnt(0)
	v_fma_f64 v[111:112], v[123:124], v[115:116], v[111:112]
	s_waitcnt vmcnt(21)
	v_fma_f64 v[122:123], v[125:126], v[117:118], v[111:112]
	ds_read_b128 v[111:114], v110 offset:496
	ds_read_b128 v[115:118], v110 offset:512
	s_waitcnt vmcnt(19) lgkmcnt(1)
	v_fma_f64 v[111:112], v[127:128], v[111:112], v[122:123]
	buffer_load_dword v122, off, s[0:3], 0 offset:148
	s_waitcnt vmcnt(18)
	v_fma_f64 v[111:112], v[129:130], v[113:114], v[111:112]
	buffer_load_dword v124, off, s[0:3], 0 offset:156
	buffer_load_dword v125, off, s[0:3], 0 offset:176
	;; [unrolled: 1-line block ×8, first 2 shown]
	s_waitcnt vmcnt(24) lgkmcnt(0)
	v_fma_f64 v[111:112], v[131:132], v[115:116], v[111:112]
	s_waitcnt vmcnt(19)
	v_fma_f64 v[131:132], v[133:134], v[117:118], v[111:112]
	ds_read_b128 v[111:114], v110 offset:528
	ds_read_b128 v[115:118], v110 offset:544
	s_waitcnt vmcnt(18) lgkmcnt(1)
	v_fma_f64 v[111:112], v[139:140], v[111:112], v[131:132]
	s_waitcnt vmcnt(17)
	v_fma_f64 v[111:112], v[137:138], v[113:114], v[111:112]
	buffer_load_dword v132, off, s[0:3], 0 offset:188
	buffer_load_dword v133, off, s[0:3], 0 offset:208
	;; [unrolled: 1-line block ×8, first 2 shown]
	s_waitcnt vmcnt(24) lgkmcnt(0)
	v_fma_f64 v[111:112], v[135:136], v[115:116], v[111:112]
	s_waitcnt vmcnt(19)
	v_fma_f64 v[119:120], v[119:120], v[117:118], v[111:112]
	ds_read_b128 v[111:114], v110 offset:560
	ds_read_b128 v[115:118], v110 offset:576
	s_waitcnt vmcnt(18) lgkmcnt(1)
	v_fma_f64 v[111:112], v[143:144], v[111:112], v[119:120]
	s_waitcnt vmcnt(17)
	v_fma_f64 v[111:112], v[141:142], v[113:114], v[111:112]
	buffer_load_dword v120, off, s[0:3], 0 offset:220
	buffer_load_dword v135, off, s[0:3], 0 offset:240
	buffer_load_dword v141, off, s[0:3], 0 offset:232
	buffer_load_dword v143, off, s[0:3], 0 offset:224
	buffer_load_dword v119, off, s[0:3], 0 offset:216
	buffer_load_dword v144, off, s[0:3], 0 offset:228
	buffer_load_dword v142, off, s[0:3], 0 offset:236
	s_waitcnt vmcnt(23) lgkmcnt(0)
	v_fma_f64 v[111:112], v[121:122], v[115:116], v[111:112]
	s_waitcnt vmcnt(18)
	v_fma_f64 v[121:122], v[123:124], v[117:118], v[111:112]
	ds_read_b128 v[111:114], v110 offset:592
	ds_read_b128 v[115:118], v110 offset:608
	buffer_load_dword v136, off, s[0:3], 0 offset:244
	s_waitcnt vmcnt(18) lgkmcnt(1)
	v_fma_f64 v[111:112], v[129:130], v[111:112], v[121:122]
	s_waitcnt vmcnt(17)
	v_fma_f64 v[111:112], v[127:128], v[113:114], v[111:112]
	buffer_load_dword v122, off, s[0:3], 0 offset:252
	buffer_load_dword v123, off, s[0:3], 0 offset:272
	;; [unrolled: 1-line block ×7, first 2 shown]
	s_waitcnt vmcnt(23) lgkmcnt(0)
	v_fma_f64 v[111:112], v[125:126], v[115:116], v[111:112]
	s_waitcnt vmcnt(18)
	v_fma_f64 v[124:125], v[131:132], v[117:118], v[111:112]
	ds_read_b128 v[111:114], v110 offset:624
	ds_read_b128 v[115:118], v110 offset:640
	s_waitcnt vmcnt(17) lgkmcnt(1)
	v_fma_f64 v[111:112], v[139:140], v[111:112], v[124:125]
	buffer_load_dword v124, off, s[0:3], 0 offset:276
	s_waitcnt vmcnt(17)
	v_fma_f64 v[111:112], v[137:138], v[113:114], v[111:112]
	buffer_load_dword v126, off, s[0:3], 0 offset:284
	buffer_load_dword v131, off, s[0:3], 0 offset:304
	;; [unrolled: 1-line block ×8, first 2 shown]
	s_waitcnt vmcnt(24) lgkmcnt(0)
	v_fma_f64 v[111:112], v[133:134], v[115:116], v[111:112]
	s_waitcnt vmcnt(19)
	v_fma_f64 v[119:120], v[119:120], v[117:118], v[111:112]
	ds_read_b128 v[111:114], v110 offset:656
	ds_read_b128 v[115:118], v110 offset:672
	s_waitcnt vmcnt(18) lgkmcnt(1)
	v_fma_f64 v[111:112], v[143:144], v[111:112], v[119:120]
	s_waitcnt vmcnt(17)
	v_fma_f64 v[111:112], v[141:142], v[113:114], v[111:112]
	buffer_load_dword v120, off, s[0:3], 0 offset:316
	buffer_load_dword v133, off, s[0:3], 0 offset:336
	;; [unrolled: 1-line block ×7, first 2 shown]
	s_waitcnt vmcnt(23) lgkmcnt(0)
	v_fma_f64 v[111:112], v[135:136], v[115:116], v[111:112]
	s_waitcnt vmcnt(18)
	v_fma_f64 v[121:122], v[121:122], v[117:118], v[111:112]
	ds_read_b128 v[111:114], v110 offset:688
	ds_read_b128 v[115:118], v110 offset:704
	buffer_load_dword v134, off, s[0:3], 0 offset:340
	s_waitcnt vmcnt(18) lgkmcnt(1)
	v_fma_f64 v[111:112], v[129:130], v[111:112], v[121:122]
	s_waitcnt vmcnt(17)
	v_fma_f64 v[111:112], v[127:128], v[113:114], v[111:112]
	buffer_load_dword v122, off, s[0:3], 0 offset:348
	buffer_load_dword v127, off, s[0:3], 0 offset:368
	;; [unrolled: 1-line block ×8, first 2 shown]
	s_waitcnt vmcnt(24) lgkmcnt(0)
	v_fma_f64 v[111:112], v[123:124], v[115:116], v[111:112]
	s_waitcnt vmcnt(19)
	v_fma_f64 v[123:124], v[125:126], v[117:118], v[111:112]
	ds_read_b128 v[111:114], v110 offset:720
	ds_read_b128 v[115:118], v110 offset:736
	s_waitcnt vmcnt(18) lgkmcnt(1)
	v_fma_f64 v[111:112], v[139:140], v[111:112], v[123:124]
	s_waitcnt vmcnt(17)
	v_fma_f64 v[111:112], v[137:138], v[113:114], v[111:112]
	buffer_load_dword v124, off, s[0:3], 0 offset:380
	buffer_load_dword v125, off, s[0:3], 0 offset:400
	;; [unrolled: 1-line block ×8, first 2 shown]
	s_waitcnt vmcnt(24) lgkmcnt(0)
	v_fma_f64 v[111:112], v[131:132], v[115:116], v[111:112]
	s_waitcnt vmcnt(19)
	v_fma_f64 v[119:120], v[119:120], v[117:118], v[111:112]
	ds_read_b128 v[111:114], v110 offset:752
	ds_read_b128 v[115:118], v110 offset:768
	s_waitcnt vmcnt(18) lgkmcnt(1)
	v_fma_f64 v[111:112], v[143:144], v[111:112], v[119:120]
	s_waitcnt vmcnt(17)
	v_fma_f64 v[111:112], v[141:142], v[113:114], v[111:112]
	buffer_load_dword v120, off, s[0:3], 0 offset:412
	buffer_load_dword v131, off, s[0:3], 0 offset:424
	;; [unrolled: 1-line block ×6, first 2 shown]
	s_waitcnt vmcnt(22) lgkmcnt(0)
	v_fma_f64 v[111:112], v[133:134], v[115:116], v[111:112]
	s_waitcnt vmcnt(17)
	v_fma_f64 v[121:122], v[121:122], v[117:118], v[111:112]
	ds_read_b128 v[111:114], v110 offset:784
	buffer_load_dword v133, off, s[0:3], 0 offset:24
	buffer_load_dword v134, off, s[0:3], 0 offset:28
	ds_read_b128 v[115:118], v110 offset:800
	s_waitcnt vmcnt(18) lgkmcnt(1)
	v_fma_f64 v[111:112], v[135:136], v[111:112], v[121:122]
	s_waitcnt vmcnt(17)
	v_fma_f64 v[111:112], v[129:130], v[113:114], v[111:112]
	s_waitcnt vmcnt(16) lgkmcnt(0)
	v_fma_f64 v[111:112], v[127:128], v[115:116], v[111:112]
	s_waitcnt vmcnt(11)
	v_fma_f64 v[121:122], v[123:124], v[117:118], v[111:112]
	ds_read_b128 v[111:114], v110 offset:816
	ds_read_b128 v[115:118], v110 offset:832
	s_waitcnt vmcnt(10) lgkmcnt(1)
	v_fma_f64 v[111:112], v[139:140], v[111:112], v[121:122]
	s_waitcnt vmcnt(9)
	v_fma_f64 v[111:112], v[137:138], v[113:114], v[111:112]
	s_waitcnt vmcnt(8) lgkmcnt(0)
	v_fma_f64 v[111:112], v[125:126], v[115:116], v[111:112]
	s_waitcnt vmcnt(4)
	v_fma_f64 v[114:115], v[119:120], v[117:118], v[111:112]
	ds_read_b128 v[110:113], v110 offset:848
	s_waitcnt vmcnt(3) lgkmcnt(0)
	v_fma_f64 v[110:111], v[141:142], v[110:111], v[114:115]
	s_waitcnt vmcnt(2)
	v_fma_f64 v[110:111], v[131:132], v[112:113], v[110:111]
	s_waitcnt vmcnt(0)
	v_add_f64 v[110:111], v[133:134], -v[110:111]
	buffer_store_dword v111, off, s[0:3], 0 offset:28
	buffer_store_dword v110, off, s[0:3], 0 offset:24
	s_and_saveexec_b64 s[4:5], vcc
	s_cbranch_execz .LBB53_327
; %bb.326:
	buffer_load_dword v110, off, s[0:3], 0 offset:16
	buffer_load_dword v111, off, s[0:3], 0 offset:20
	v_mov_b32_e32 v112, 0
	buffer_store_dword v112, off, s[0:3], 0 offset:16
	buffer_store_dword v112, off, s[0:3], 0 offset:20
	s_waitcnt vmcnt(2)
	ds_write_b64 v109, v[110:111]
.LBB53_327:
	s_or_b64 exec, exec, s[4:5]
	s_waitcnt lgkmcnt(0)
	; wave barrier
	buffer_load_dword v119, off, s[0:3], 0 offset:24
	buffer_load_dword v120, off, s[0:3], 0 offset:28
	;; [unrolled: 1-line block ×22, first 2 shown]
	v_mov_b32_e32 v110, 0
	ds_read2_b64 v[111:114], v110 offset0:57 offset1:58
	ds_read2_b64 v[115:118], v110 offset0:59 offset1:60
	v_cmp_lt_u32_e32 vcc, 1, v0
	s_waitcnt vmcnt(20) lgkmcnt(1)
	v_fma_f64 v[111:112], v[119:120], v[111:112], 0
	s_waitcnt vmcnt(18)
	v_fma_f64 v[111:112], v[121:122], v[113:114], v[111:112]
	buffer_load_dword v120, off, s[0:3], 0 offset:116
	buffer_load_dword v121, off, s[0:3], 0 offset:136
	;; [unrolled: 1-line block ×7, first 2 shown]
	s_waitcnt vmcnt(23) lgkmcnt(0)
	v_fma_f64 v[111:112], v[123:124], v[115:116], v[111:112]
	s_waitcnt vmcnt(21)
	v_fma_f64 v[122:123], v[125:126], v[117:118], v[111:112]
	ds_read2_b64 v[111:114], v110 offset0:61 offset1:62
	ds_read2_b64 v[115:118], v110 offset0:63 offset1:64
	s_waitcnt vmcnt(19) lgkmcnt(1)
	v_fma_f64 v[111:112], v[127:128], v[111:112], v[122:123]
	buffer_load_dword v122, off, s[0:3], 0 offset:140
	s_waitcnt vmcnt(18)
	v_fma_f64 v[111:112], v[129:130], v[113:114], v[111:112]
	buffer_load_dword v124, off, s[0:3], 0 offset:148
	buffer_load_dword v125, off, s[0:3], 0 offset:168
	;; [unrolled: 1-line block ×8, first 2 shown]
	s_waitcnt vmcnt(24) lgkmcnt(0)
	v_fma_f64 v[111:112], v[131:132], v[115:116], v[111:112]
	s_waitcnt vmcnt(19)
	v_fma_f64 v[131:132], v[133:134], v[117:118], v[111:112]
	ds_read2_b64 v[111:114], v110 offset0:65 offset1:66
	ds_read2_b64 v[115:118], v110 offset0:67 offset1:68
	s_waitcnt vmcnt(18) lgkmcnt(1)
	v_fma_f64 v[111:112], v[139:140], v[111:112], v[131:132]
	s_waitcnt vmcnt(17)
	v_fma_f64 v[111:112], v[137:138], v[113:114], v[111:112]
	buffer_load_dword v132, off, s[0:3], 0 offset:180
	buffer_load_dword v133, off, s[0:3], 0 offset:200
	;; [unrolled: 1-line block ×8, first 2 shown]
	s_waitcnt vmcnt(24) lgkmcnt(0)
	v_fma_f64 v[111:112], v[135:136], v[115:116], v[111:112]
	s_waitcnt vmcnt(19)
	v_fma_f64 v[119:120], v[119:120], v[117:118], v[111:112]
	ds_read2_b64 v[111:114], v110 offset0:69 offset1:70
	ds_read2_b64 v[115:118], v110 offset0:71 offset1:72
	s_waitcnt vmcnt(18) lgkmcnt(1)
	v_fma_f64 v[111:112], v[143:144], v[111:112], v[119:120]
	s_waitcnt vmcnt(17)
	v_fma_f64 v[111:112], v[141:142], v[113:114], v[111:112]
	buffer_load_dword v120, off, s[0:3], 0 offset:212
	buffer_load_dword v135, off, s[0:3], 0 offset:232
	;; [unrolled: 1-line block ×7, first 2 shown]
	s_waitcnt vmcnt(23) lgkmcnt(0)
	v_fma_f64 v[111:112], v[121:122], v[115:116], v[111:112]
	s_waitcnt vmcnt(18)
	v_fma_f64 v[121:122], v[123:124], v[117:118], v[111:112]
	ds_read2_b64 v[111:114], v110 offset0:73 offset1:74
	ds_read2_b64 v[115:118], v110 offset0:75 offset1:76
	buffer_load_dword v136, off, s[0:3], 0 offset:236
	s_waitcnt vmcnt(18) lgkmcnt(1)
	v_fma_f64 v[111:112], v[129:130], v[111:112], v[121:122]
	s_waitcnt vmcnt(17)
	v_fma_f64 v[111:112], v[127:128], v[113:114], v[111:112]
	buffer_load_dword v122, off, s[0:3], 0 offset:244
	buffer_load_dword v123, off, s[0:3], 0 offset:264
	buffer_load_dword v127, off, s[0:3], 0 offset:256
	buffer_load_dword v129, off, s[0:3], 0 offset:248
	buffer_load_dword v121, off, s[0:3], 0 offset:240
	buffer_load_dword v130, off, s[0:3], 0 offset:252
	buffer_load_dword v128, off, s[0:3], 0 offset:260
	s_waitcnt vmcnt(23) lgkmcnt(0)
	v_fma_f64 v[111:112], v[125:126], v[115:116], v[111:112]
	s_waitcnt vmcnt(18)
	v_fma_f64 v[124:125], v[131:132], v[117:118], v[111:112]
	ds_read2_b64 v[111:114], v110 offset0:77 offset1:78
	ds_read2_b64 v[115:118], v110 offset0:79 offset1:80
	s_waitcnt vmcnt(17) lgkmcnt(1)
	v_fma_f64 v[111:112], v[139:140], v[111:112], v[124:125]
	buffer_load_dword v124, off, s[0:3], 0 offset:268
	s_waitcnt vmcnt(17)
	v_fma_f64 v[111:112], v[137:138], v[113:114], v[111:112]
	buffer_load_dword v126, off, s[0:3], 0 offset:276
	buffer_load_dword v131, off, s[0:3], 0 offset:296
	;; [unrolled: 1-line block ×8, first 2 shown]
	s_waitcnt vmcnt(24) lgkmcnt(0)
	v_fma_f64 v[111:112], v[133:134], v[115:116], v[111:112]
	s_waitcnt vmcnt(19)
	v_fma_f64 v[119:120], v[119:120], v[117:118], v[111:112]
	ds_read2_b64 v[111:114], v110 offset0:81 offset1:82
	ds_read2_b64 v[115:118], v110 offset0:83 offset1:84
	s_waitcnt vmcnt(18) lgkmcnt(1)
	v_fma_f64 v[111:112], v[143:144], v[111:112], v[119:120]
	s_waitcnt vmcnt(17)
	v_fma_f64 v[111:112], v[141:142], v[113:114], v[111:112]
	buffer_load_dword v120, off, s[0:3], 0 offset:308
	buffer_load_dword v133, off, s[0:3], 0 offset:328
	;; [unrolled: 1-line block ×7, first 2 shown]
	s_waitcnt vmcnt(23) lgkmcnt(0)
	v_fma_f64 v[111:112], v[135:136], v[115:116], v[111:112]
	s_waitcnt vmcnt(18)
	v_fma_f64 v[121:122], v[121:122], v[117:118], v[111:112]
	ds_read2_b64 v[111:114], v110 offset0:85 offset1:86
	ds_read2_b64 v[115:118], v110 offset0:87 offset1:88
	buffer_load_dword v134, off, s[0:3], 0 offset:332
	s_waitcnt vmcnt(18) lgkmcnt(1)
	v_fma_f64 v[111:112], v[129:130], v[111:112], v[121:122]
	s_waitcnt vmcnt(17)
	v_fma_f64 v[111:112], v[127:128], v[113:114], v[111:112]
	buffer_load_dword v122, off, s[0:3], 0 offset:340
	buffer_load_dword v127, off, s[0:3], 0 offset:360
	buffer_load_dword v129, off, s[0:3], 0 offset:352
	buffer_load_dword v135, off, s[0:3], 0 offset:344
	buffer_load_dword v121, off, s[0:3], 0 offset:336
	buffer_load_dword v136, off, s[0:3], 0 offset:348
	buffer_load_dword v130, off, s[0:3], 0 offset:356
	buffer_load_dword v128, off, s[0:3], 0 offset:364
	s_waitcnt vmcnt(24) lgkmcnt(0)
	v_fma_f64 v[111:112], v[123:124], v[115:116], v[111:112]
	s_waitcnt vmcnt(19)
	v_fma_f64 v[123:124], v[125:126], v[117:118], v[111:112]
	ds_read2_b64 v[111:114], v110 offset0:89 offset1:90
	ds_read2_b64 v[115:118], v110 offset0:91 offset1:92
	s_waitcnt vmcnt(18) lgkmcnt(1)
	v_fma_f64 v[111:112], v[139:140], v[111:112], v[123:124]
	s_waitcnt vmcnt(17)
	v_fma_f64 v[111:112], v[137:138], v[113:114], v[111:112]
	buffer_load_dword v124, off, s[0:3], 0 offset:372
	buffer_load_dword v125, off, s[0:3], 0 offset:392
	buffer_load_dword v137, off, s[0:3], 0 offset:384
	buffer_load_dword v139, off, s[0:3], 0 offset:376
	buffer_load_dword v123, off, s[0:3], 0 offset:368
	buffer_load_dword v140, off, s[0:3], 0 offset:380
	buffer_load_dword v138, off, s[0:3], 0 offset:388
	buffer_load_dword v126, off, s[0:3], 0 offset:396
	s_waitcnt vmcnt(24) lgkmcnt(0)
	v_fma_f64 v[111:112], v[131:132], v[115:116], v[111:112]
	s_waitcnt vmcnt(19)
	v_fma_f64 v[119:120], v[119:120], v[117:118], v[111:112]
	ds_read2_b64 v[111:114], v110 offset0:93 offset1:94
	ds_read2_b64 v[115:118], v110 offset0:95 offset1:96
	;; [unrolled: 18-line block ×3, first 2 shown]
	s_waitcnt vmcnt(18) lgkmcnt(1)
	v_fma_f64 v[111:112], v[135:136], v[111:112], v[121:122]
	buffer_load_dword v121, off, s[0:3], 0 offset:16
	buffer_load_dword v122, off, s[0:3], 0 offset:20
	s_waitcnt vmcnt(19)
	v_fma_f64 v[111:112], v[129:130], v[113:114], v[111:112]
	s_waitcnt vmcnt(18) lgkmcnt(0)
	v_fma_f64 v[111:112], v[127:128], v[115:116], v[111:112]
	s_waitcnt vmcnt(13)
	v_fma_f64 v[123:124], v[123:124], v[117:118], v[111:112]
	ds_read2_b64 v[111:114], v110 offset0:101 offset1:102
	ds_read2_b64 v[115:118], v110 offset0:103 offset1:104
	s_waitcnt vmcnt(12) lgkmcnt(1)
	v_fma_f64 v[111:112], v[139:140], v[111:112], v[123:124]
	s_waitcnt vmcnt(11)
	v_fma_f64 v[111:112], v[137:138], v[113:114], v[111:112]
	s_waitcnt vmcnt(10) lgkmcnt(0)
	v_fma_f64 v[111:112], v[125:126], v[115:116], v[111:112]
	s_waitcnt vmcnt(5)
	v_fma_f64 v[115:116], v[119:120], v[117:118], v[111:112]
	ds_read2_b64 v[111:114], v110 offset0:105 offset1:106
	ds_read_b64 v[117:118], v110 offset:856
	s_waitcnt vmcnt(4) lgkmcnt(1)
	v_fma_f64 v[111:112], v[143:144], v[111:112], v[115:116]
	s_waitcnt vmcnt(3)
	v_fma_f64 v[111:112], v[141:142], v[113:114], v[111:112]
	s_waitcnt vmcnt(2) lgkmcnt(0)
	v_fma_f64 v[111:112], v[131:132], v[117:118], v[111:112]
	s_waitcnt vmcnt(0)
	v_add_f64 v[111:112], v[121:122], -v[111:112]
	buffer_store_dword v112, off, s[0:3], 0 offset:20
	buffer_store_dword v111, off, s[0:3], 0 offset:16
	s_and_saveexec_b64 s[4:5], vcc
	s_cbranch_execz .LBB53_329
; %bb.328:
	buffer_load_dword v111, off, s[0:3], 0 offset:8
	buffer_load_dword v112, off, s[0:3], 0 offset:12
	s_waitcnt vmcnt(0)
	ds_write_b64 v109, v[111:112]
	buffer_store_dword v110, off, s[0:3], 0 offset:8
	buffer_store_dword v110, off, s[0:3], 0 offset:12
.LBB53_329:
	s_or_b64 exec, exec, s[4:5]
	s_waitcnt lgkmcnt(0)
	; wave barrier
	buffer_load_dword v119, off, s[0:3], 0 offset:16
	buffer_load_dword v120, off, s[0:3], 0 offset:20
	;; [unrolled: 1-line block ×22, first 2 shown]
	ds_read_b128 v[111:114], v110 offset:448
	ds_read_b128 v[115:118], v110 offset:464
	v_cmp_ne_u32_e32 vcc, 0, v0
	s_waitcnt vmcnt(20) lgkmcnt(1)
	v_fma_f64 v[111:112], v[119:120], v[111:112], 0
	s_waitcnt vmcnt(18)
	v_fma_f64 v[111:112], v[121:122], v[113:114], v[111:112]
	buffer_load_dword v120, off, s[0:3], 0 offset:108
	buffer_load_dword v121, off, s[0:3], 0 offset:128
	;; [unrolled: 1-line block ×7, first 2 shown]
	s_waitcnt vmcnt(23) lgkmcnt(0)
	v_fma_f64 v[111:112], v[123:124], v[115:116], v[111:112]
	s_waitcnt vmcnt(21)
	v_fma_f64 v[122:123], v[125:126], v[117:118], v[111:112]
	ds_read_b128 v[111:114], v110 offset:480
	ds_read_b128 v[115:118], v110 offset:496
	s_waitcnt vmcnt(19) lgkmcnt(1)
	v_fma_f64 v[111:112], v[127:128], v[111:112], v[122:123]
	buffer_load_dword v122, off, s[0:3], 0 offset:132
	s_waitcnt vmcnt(18)
	v_fma_f64 v[111:112], v[129:130], v[113:114], v[111:112]
	buffer_load_dword v124, off, s[0:3], 0 offset:140
	buffer_load_dword v125, off, s[0:3], 0 offset:160
	;; [unrolled: 1-line block ×8, first 2 shown]
	s_waitcnt vmcnt(24) lgkmcnt(0)
	v_fma_f64 v[111:112], v[131:132], v[115:116], v[111:112]
	s_waitcnt vmcnt(19)
	v_fma_f64 v[131:132], v[133:134], v[117:118], v[111:112]
	ds_read_b128 v[111:114], v110 offset:512
	ds_read_b128 v[115:118], v110 offset:528
	s_waitcnt vmcnt(18) lgkmcnt(1)
	v_fma_f64 v[111:112], v[139:140], v[111:112], v[131:132]
	s_waitcnt vmcnt(17)
	v_fma_f64 v[111:112], v[137:138], v[113:114], v[111:112]
	buffer_load_dword v132, off, s[0:3], 0 offset:172
	buffer_load_dword v133, off, s[0:3], 0 offset:192
	;; [unrolled: 1-line block ×8, first 2 shown]
	s_waitcnt vmcnt(24) lgkmcnt(0)
	v_fma_f64 v[111:112], v[135:136], v[115:116], v[111:112]
	s_waitcnt vmcnt(19)
	v_fma_f64 v[119:120], v[119:120], v[117:118], v[111:112]
	ds_read_b128 v[111:114], v110 offset:544
	ds_read_b128 v[115:118], v110 offset:560
	s_waitcnt vmcnt(18) lgkmcnt(1)
	v_fma_f64 v[111:112], v[143:144], v[111:112], v[119:120]
	s_waitcnt vmcnt(17)
	v_fma_f64 v[111:112], v[141:142], v[113:114], v[111:112]
	buffer_load_dword v120, off, s[0:3], 0 offset:204
	buffer_load_dword v135, off, s[0:3], 0 offset:224
	;; [unrolled: 1-line block ×7, first 2 shown]
	s_waitcnt vmcnt(23) lgkmcnt(0)
	v_fma_f64 v[111:112], v[121:122], v[115:116], v[111:112]
	s_waitcnt vmcnt(18)
	v_fma_f64 v[121:122], v[123:124], v[117:118], v[111:112]
	ds_read_b128 v[111:114], v110 offset:576
	ds_read_b128 v[115:118], v110 offset:592
	buffer_load_dword v136, off, s[0:3], 0 offset:228
	s_waitcnt vmcnt(18) lgkmcnt(1)
	v_fma_f64 v[111:112], v[129:130], v[111:112], v[121:122]
	s_waitcnt vmcnt(17)
	v_fma_f64 v[111:112], v[127:128], v[113:114], v[111:112]
	buffer_load_dword v122, off, s[0:3], 0 offset:236
	buffer_load_dword v123, off, s[0:3], 0 offset:256
	;; [unrolled: 1-line block ×7, first 2 shown]
	s_waitcnt vmcnt(23) lgkmcnt(0)
	v_fma_f64 v[111:112], v[125:126], v[115:116], v[111:112]
	s_waitcnt vmcnt(18)
	v_fma_f64 v[124:125], v[131:132], v[117:118], v[111:112]
	ds_read_b128 v[111:114], v110 offset:608
	ds_read_b128 v[115:118], v110 offset:624
	s_waitcnt vmcnt(17) lgkmcnt(1)
	v_fma_f64 v[111:112], v[139:140], v[111:112], v[124:125]
	buffer_load_dword v124, off, s[0:3], 0 offset:260
	s_waitcnt vmcnt(17)
	v_fma_f64 v[111:112], v[137:138], v[113:114], v[111:112]
	buffer_load_dword v126, off, s[0:3], 0 offset:268
	buffer_load_dword v131, off, s[0:3], 0 offset:288
	buffer_load_dword v137, off, s[0:3], 0 offset:280
	buffer_load_dword v139, off, s[0:3], 0 offset:272
	buffer_load_dword v125, off, s[0:3], 0 offset:264
	buffer_load_dword v140, off, s[0:3], 0 offset:276
	buffer_load_dword v138, off, s[0:3], 0 offset:284
	buffer_load_dword v132, off, s[0:3], 0 offset:292
	s_waitcnt vmcnt(24) lgkmcnt(0)
	v_fma_f64 v[111:112], v[133:134], v[115:116], v[111:112]
	s_waitcnt vmcnt(19)
	v_fma_f64 v[119:120], v[119:120], v[117:118], v[111:112]
	ds_read_b128 v[111:114], v110 offset:640
	ds_read_b128 v[115:118], v110 offset:656
	s_waitcnt vmcnt(18) lgkmcnt(1)
	v_fma_f64 v[111:112], v[143:144], v[111:112], v[119:120]
	s_waitcnt vmcnt(17)
	v_fma_f64 v[111:112], v[141:142], v[113:114], v[111:112]
	buffer_load_dword v120, off, s[0:3], 0 offset:300
	buffer_load_dword v133, off, s[0:3], 0 offset:320
	;; [unrolled: 1-line block ×7, first 2 shown]
	s_waitcnt vmcnt(23) lgkmcnt(0)
	v_fma_f64 v[111:112], v[135:136], v[115:116], v[111:112]
	s_waitcnt vmcnt(18)
	v_fma_f64 v[121:122], v[121:122], v[117:118], v[111:112]
	ds_read_b128 v[111:114], v110 offset:672
	ds_read_b128 v[115:118], v110 offset:688
	buffer_load_dword v134, off, s[0:3], 0 offset:324
	s_waitcnt vmcnt(18) lgkmcnt(1)
	v_fma_f64 v[111:112], v[129:130], v[111:112], v[121:122]
	s_waitcnt vmcnt(17)
	v_fma_f64 v[111:112], v[127:128], v[113:114], v[111:112]
	buffer_load_dword v122, off, s[0:3], 0 offset:332
	buffer_load_dword v127, off, s[0:3], 0 offset:352
	buffer_load_dword v129, off, s[0:3], 0 offset:344
	buffer_load_dword v135, off, s[0:3], 0 offset:336
	buffer_load_dword v121, off, s[0:3], 0 offset:328
	buffer_load_dword v136, off, s[0:3], 0 offset:340
	buffer_load_dword v130, off, s[0:3], 0 offset:348
	buffer_load_dword v128, off, s[0:3], 0 offset:356
	s_waitcnt vmcnt(24) lgkmcnt(0)
	v_fma_f64 v[111:112], v[123:124], v[115:116], v[111:112]
	s_waitcnt vmcnt(19)
	v_fma_f64 v[123:124], v[125:126], v[117:118], v[111:112]
	ds_read_b128 v[111:114], v110 offset:704
	ds_read_b128 v[115:118], v110 offset:720
	s_waitcnt vmcnt(18) lgkmcnt(1)
	v_fma_f64 v[111:112], v[139:140], v[111:112], v[123:124]
	s_waitcnt vmcnt(17)
	v_fma_f64 v[111:112], v[137:138], v[113:114], v[111:112]
	buffer_load_dword v124, off, s[0:3], 0 offset:364
	buffer_load_dword v125, off, s[0:3], 0 offset:384
	buffer_load_dword v137, off, s[0:3], 0 offset:376
	buffer_load_dword v139, off, s[0:3], 0 offset:368
	buffer_load_dword v123, off, s[0:3], 0 offset:360
	buffer_load_dword v140, off, s[0:3], 0 offset:372
	buffer_load_dword v138, off, s[0:3], 0 offset:380
	buffer_load_dword v126, off, s[0:3], 0 offset:388
	s_waitcnt vmcnt(24) lgkmcnt(0)
	v_fma_f64 v[111:112], v[131:132], v[115:116], v[111:112]
	s_waitcnt vmcnt(19)
	v_fma_f64 v[119:120], v[119:120], v[117:118], v[111:112]
	ds_read_b128 v[111:114], v110 offset:736
	ds_read_b128 v[115:118], v110 offset:752
	;; [unrolled: 18-line block ×3, first 2 shown]
	s_waitcnt vmcnt(18) lgkmcnt(1)
	v_fma_f64 v[111:112], v[135:136], v[111:112], v[121:122]
	buffer_load_dword v122, off, s[0:3], 0 offset:428
	buffer_load_dword v121, off, s[0:3], 0 offset:424
	s_waitcnt vmcnt(19)
	v_fma_f64 v[111:112], v[129:130], v[113:114], v[111:112]
	buffer_load_dword v129, off, s[0:3], 0 offset:8
	buffer_load_dword v130, off, s[0:3], 0 offset:12
	s_waitcnt vmcnt(20) lgkmcnt(0)
	v_fma_f64 v[111:112], v[127:128], v[115:116], v[111:112]
	s_waitcnt vmcnt(15)
	v_fma_f64 v[123:124], v[123:124], v[117:118], v[111:112]
	ds_read_b128 v[111:114], v110 offset:800
	ds_read_b128 v[115:118], v110 offset:816
	s_waitcnt vmcnt(14) lgkmcnt(1)
	v_fma_f64 v[111:112], v[139:140], v[111:112], v[123:124]
	s_waitcnt vmcnt(13)
	v_fma_f64 v[111:112], v[137:138], v[113:114], v[111:112]
	s_waitcnt vmcnt(12) lgkmcnt(0)
	v_fma_f64 v[111:112], v[125:126], v[115:116], v[111:112]
	s_waitcnt vmcnt(7)
	v_fma_f64 v[119:120], v[119:120], v[117:118], v[111:112]
	ds_read_b128 v[111:114], v110 offset:832
	ds_read_b128 v[115:118], v110 offset:848
	s_waitcnt vmcnt(6) lgkmcnt(1)
	v_fma_f64 v[110:111], v[143:144], v[111:112], v[119:120]
	s_waitcnt vmcnt(5)
	v_fma_f64 v[110:111], v[141:142], v[113:114], v[110:111]
	s_waitcnt vmcnt(4) lgkmcnt(0)
	v_fma_f64 v[110:111], v[131:132], v[115:116], v[110:111]
	s_waitcnt vmcnt(2)
	v_fma_f64 v[110:111], v[121:122], v[117:118], v[110:111]
	s_waitcnt vmcnt(0)
	v_add_f64 v[110:111], v[129:130], -v[110:111]
	buffer_store_dword v111, off, s[0:3], 0 offset:12
	buffer_store_dword v110, off, s[0:3], 0 offset:8
	s_and_saveexec_b64 s[4:5], vcc
	s_cbranch_execz .LBB53_331
; %bb.330:
	buffer_load_dword v110, off, s[0:3], 0
	buffer_load_dword v111, off, s[0:3], 0 offset:4
	v_mov_b32_e32 v0, 0
	buffer_store_dword v0, off, s[0:3], 0
	buffer_store_dword v0, off, s[0:3], 0 offset:4
	s_waitcnt vmcnt(2)
	ds_write_b64 v109, v[110:111]
.LBB53_331:
	s_or_b64 exec, exec, s[4:5]
	s_waitcnt lgkmcnt(0)
	; wave barrier
	buffer_load_dword v117, off, s[0:3], 0 offset:8
	buffer_load_dword v118, off, s[0:3], 0 offset:12
	buffer_load_dword v119, off, s[0:3], 0 offset:16
	buffer_load_dword v120, off, s[0:3], 0 offset:20
	buffer_load_dword v121, off, s[0:3], 0 offset:24
	buffer_load_dword v122, off, s[0:3], 0 offset:28
	buffer_load_dword v123, off, s[0:3], 0 offset:32
	buffer_load_dword v124, off, s[0:3], 0 offset:36
	buffer_load_dword v125, off, s[0:3], 0 offset:40
	buffer_load_dword v126, off, s[0:3], 0 offset:44
	buffer_load_dword v127, off, s[0:3], 0 offset:48
	buffer_load_dword v128, off, s[0:3], 0 offset:52
	buffer_load_dword v129, off, s[0:3], 0 offset:56
	buffer_load_dword v130, off, s[0:3], 0 offset:60
	buffer_load_dword v132, off, s[0:3], 0 offset:68
	buffer_load_dword v133, off, s[0:3], 0 offset:88
	buffer_load_dword v135, off, s[0:3], 0 offset:80
	buffer_load_dword v137, off, s[0:3], 0 offset:72
	buffer_load_dword v131, off, s[0:3], 0 offset:64
	buffer_load_dword v138, off, s[0:3], 0 offset:76
	buffer_load_dword v136, off, s[0:3], 0 offset:84
	buffer_load_dword v134, off, s[0:3], 0 offset:92
	v_mov_b32_e32 v0, 0
	ds_read2_b64 v[109:112], v0 offset0:55 offset1:56
	ds_read2_b64 v[113:116], v0 offset0:57 offset1:58
	s_and_b64 vcc, exec, s[22:23]
	s_waitcnt vmcnt(20) lgkmcnt(1)
	v_fma_f64 v[109:110], v[117:118], v[109:110], 0
	s_waitcnt vmcnt(18)
	v_fma_f64 v[109:110], v[119:120], v[111:112], v[109:110]
	buffer_load_dword v118, off, s[0:3], 0 offset:100
	buffer_load_dword v119, off, s[0:3], 0 offset:120
	;; [unrolled: 1-line block ×7, first 2 shown]
	s_waitcnt vmcnt(23) lgkmcnt(0)
	v_fma_f64 v[109:110], v[121:122], v[113:114], v[109:110]
	s_waitcnt vmcnt(21)
	v_fma_f64 v[120:121], v[123:124], v[115:116], v[109:110]
	ds_read2_b64 v[109:112], v0 offset0:59 offset1:60
	ds_read2_b64 v[113:116], v0 offset0:61 offset1:62
	s_waitcnt vmcnt(19) lgkmcnt(1)
	v_fma_f64 v[109:110], v[125:126], v[109:110], v[120:121]
	buffer_load_dword v120, off, s[0:3], 0 offset:124
	s_waitcnt vmcnt(18)
	v_fma_f64 v[109:110], v[127:128], v[111:112], v[109:110]
	buffer_load_dword v122, off, s[0:3], 0 offset:132
	buffer_load_dword v123, off, s[0:3], 0 offset:152
	;; [unrolled: 1-line block ×7, first 2 shown]
	s_waitcnt vmcnt(23) lgkmcnt(0)
	v_fma_f64 v[109:110], v[129:130], v[113:114], v[109:110]
	s_waitcnt vmcnt(18)
	v_fma_f64 v[129:130], v[131:132], v[115:116], v[109:110]
	ds_read2_b64 v[109:112], v0 offset0:63 offset1:64
	ds_read2_b64 v[113:116], v0 offset0:65 offset1:66
	buffer_load_dword v124, off, s[0:3], 0 offset:156
	s_waitcnt vmcnt(18) lgkmcnt(1)
	v_fma_f64 v[109:110], v[137:138], v[109:110], v[129:130]
	s_waitcnt vmcnt(17)
	v_fma_f64 v[109:110], v[135:136], v[111:112], v[109:110]
	buffer_load_dword v130, off, s[0:3], 0 offset:164
	buffer_load_dword v131, off, s[0:3], 0 offset:184
	buffer_load_dword v135, off, s[0:3], 0 offset:176
	buffer_load_dword v137, off, s[0:3], 0 offset:168
	buffer_load_dword v129, off, s[0:3], 0 offset:160
	buffer_load_dword v138, off, s[0:3], 0 offset:172
	buffer_load_dword v136, off, s[0:3], 0 offset:180
	buffer_load_dword v132, off, s[0:3], 0 offset:188
	s_waitcnt vmcnt(24) lgkmcnt(0)
	v_fma_f64 v[109:110], v[133:134], v[113:114], v[109:110]
	s_waitcnt vmcnt(19)
	v_fma_f64 v[117:118], v[117:118], v[115:116], v[109:110]
	ds_read2_b64 v[109:112], v0 offset0:67 offset1:68
	ds_read2_b64 v[113:116], v0 offset0:69 offset1:70
	s_waitcnt vmcnt(18) lgkmcnt(1)
	v_fma_f64 v[109:110], v[141:142], v[109:110], v[117:118]
	s_waitcnt vmcnt(17)
	v_fma_f64 v[109:110], v[139:140], v[111:112], v[109:110]
	buffer_load_dword v118, off, s[0:3], 0 offset:196
	buffer_load_dword v133, off, s[0:3], 0 offset:216
	;; [unrolled: 1-line block ×7, first 2 shown]
	s_waitcnt vmcnt(23) lgkmcnt(0)
	v_fma_f64 v[109:110], v[119:120], v[113:114], v[109:110]
	s_waitcnt vmcnt(18)
	v_fma_f64 v[119:120], v[121:122], v[115:116], v[109:110]
	ds_read2_b64 v[109:112], v0 offset0:71 offset1:72
	ds_read2_b64 v[113:116], v0 offset0:73 offset1:74
	buffer_load_dword v134, off, s[0:3], 0 offset:220
	s_waitcnt vmcnt(18) lgkmcnt(1)
	v_fma_f64 v[109:110], v[127:128], v[109:110], v[119:120]
	s_waitcnt vmcnt(17)
	v_fma_f64 v[109:110], v[125:126], v[111:112], v[109:110]
	buffer_load_dword v120, off, s[0:3], 0 offset:228
	buffer_load_dword v121, off, s[0:3], 0 offset:248
	;; [unrolled: 1-line block ×7, first 2 shown]
	s_waitcnt vmcnt(23) lgkmcnt(0)
	v_fma_f64 v[109:110], v[123:124], v[113:114], v[109:110]
	s_waitcnt vmcnt(18)
	v_fma_f64 v[122:123], v[129:130], v[115:116], v[109:110]
	ds_read2_b64 v[109:112], v0 offset0:75 offset1:76
	ds_read2_b64 v[113:116], v0 offset0:77 offset1:78
	s_waitcnt vmcnt(17) lgkmcnt(1)
	v_fma_f64 v[109:110], v[137:138], v[109:110], v[122:123]
	buffer_load_dword v122, off, s[0:3], 0 offset:252
	s_waitcnt vmcnt(17)
	v_fma_f64 v[109:110], v[135:136], v[111:112], v[109:110]
	buffer_load_dword v124, off, s[0:3], 0 offset:260
	buffer_load_dword v129, off, s[0:3], 0 offset:280
	;; [unrolled: 1-line block ×8, first 2 shown]
	s_waitcnt vmcnt(24) lgkmcnt(0)
	v_fma_f64 v[109:110], v[131:132], v[113:114], v[109:110]
	s_waitcnt vmcnt(19)
	v_fma_f64 v[117:118], v[117:118], v[115:116], v[109:110]
	ds_read2_b64 v[109:112], v0 offset0:79 offset1:80
	ds_read2_b64 v[113:116], v0 offset0:81 offset1:82
	s_waitcnt vmcnt(18) lgkmcnt(1)
	v_fma_f64 v[109:110], v[141:142], v[109:110], v[117:118]
	s_waitcnt vmcnt(17)
	v_fma_f64 v[109:110], v[139:140], v[111:112], v[109:110]
	buffer_load_dword v118, off, s[0:3], 0 offset:292
	buffer_load_dword v131, off, s[0:3], 0 offset:312
	buffer_load_dword v139, off, s[0:3], 0 offset:304
	buffer_load_dword v141, off, s[0:3], 0 offset:296
	buffer_load_dword v117, off, s[0:3], 0 offset:288
	buffer_load_dword v142, off, s[0:3], 0 offset:300
	buffer_load_dword v140, off, s[0:3], 0 offset:308
	s_waitcnt vmcnt(23) lgkmcnt(0)
	v_fma_f64 v[109:110], v[133:134], v[113:114], v[109:110]
	s_waitcnt vmcnt(18)
	v_fma_f64 v[119:120], v[119:120], v[115:116], v[109:110]
	ds_read2_b64 v[109:112], v0 offset0:83 offset1:84
	ds_read2_b64 v[113:116], v0 offset0:85 offset1:86
	buffer_load_dword v132, off, s[0:3], 0 offset:316
	s_waitcnt vmcnt(18) lgkmcnt(1)
	v_fma_f64 v[109:110], v[127:128], v[109:110], v[119:120]
	s_waitcnt vmcnt(17)
	v_fma_f64 v[109:110], v[125:126], v[111:112], v[109:110]
	buffer_load_dword v120, off, s[0:3], 0 offset:324
	buffer_load_dword v125, off, s[0:3], 0 offset:344
	;; [unrolled: 1-line block ×7, first 2 shown]
	s_waitcnt vmcnt(23) lgkmcnt(0)
	v_fma_f64 v[109:110], v[121:122], v[113:114], v[109:110]
	s_waitcnt vmcnt(18)
	v_fma_f64 v[121:122], v[123:124], v[115:116], v[109:110]
	ds_read2_b64 v[109:112], v0 offset0:87 offset1:88
	ds_read2_b64 v[113:116], v0 offset0:89 offset1:90
	buffer_load_dword v126, off, s[0:3], 0 offset:348
	s_waitcnt vmcnt(18) lgkmcnt(1)
	v_fma_f64 v[109:110], v[137:138], v[109:110], v[121:122]
	s_waitcnt vmcnt(17)
	v_fma_f64 v[109:110], v[135:136], v[111:112], v[109:110]
	buffer_load_dword v122, off, s[0:3], 0 offset:356
	buffer_load_dword v123, off, s[0:3], 0 offset:376
	;; [unrolled: 1-line block ×8, first 2 shown]
	s_waitcnt vmcnt(24) lgkmcnt(0)
	v_fma_f64 v[109:110], v[129:130], v[113:114], v[109:110]
	s_waitcnt vmcnt(19)
	v_fma_f64 v[117:118], v[117:118], v[115:116], v[109:110]
	ds_read2_b64 v[109:112], v0 offset0:91 offset1:92
	ds_read2_b64 v[113:116], v0 offset0:93 offset1:94
	s_waitcnt vmcnt(18) lgkmcnt(1)
	v_fma_f64 v[109:110], v[141:142], v[109:110], v[117:118]
	s_waitcnt vmcnt(17)
	v_fma_f64 v[109:110], v[139:140], v[111:112], v[109:110]
	buffer_load_dword v130, off, s[0:3], 0 offset:388
	buffer_load_dword v139, off, s[0:3], 0 offset:408
	;; [unrolled: 1-line block ×7, first 2 shown]
	s_waitcnt vmcnt(23) lgkmcnt(0)
	v_fma_f64 v[109:110], v[131:132], v[113:114], v[109:110]
	s_waitcnt vmcnt(18)
	v_fma_f64 v[117:118], v[119:120], v[115:116], v[109:110]
	ds_read2_b64 v[109:112], v0 offset0:95 offset1:96
	ds_read2_b64 v[113:116], v0 offset0:97 offset1:98
	buffer_load_dword v140, off, s[0:3], 0 offset:412
	s_waitcnt vmcnt(18) lgkmcnt(1)
	v_fma_f64 v[109:110], v[133:134], v[109:110], v[117:118]
	s_waitcnt vmcnt(17)
	v_fma_f64 v[109:110], v[127:128], v[111:112], v[109:110]
	buffer_load_dword v112, off, s[0:3], 0 offset:420
	buffer_load_dword v127, off, s[0:3], 0 offset:424
	buffer_load_dword v111, off, s[0:3], 0 offset:416
	buffer_load_dword v128, off, s[0:3], 0 offset:428
	s_waitcnt vmcnt(20) lgkmcnt(0)
	v_fma_f64 v[109:110], v[125:126], v[113:114], v[109:110]
	buffer_load_dword v125, off, s[0:3], 0
	buffer_load_dword v126, off, s[0:3], 0 offset:4
	s_waitcnt vmcnt(17)
	v_fma_f64 v[109:110], v[121:122], v[115:116], v[109:110]
	ds_read2_b64 v[113:116], v0 offset0:99 offset1:100
	ds_read2_b64 v[117:120], v0 offset0:101 offset1:102
	s_waitcnt vmcnt(16) lgkmcnt(1)
	v_fma_f64 v[109:110], v[137:138], v[113:114], v[109:110]
	s_waitcnt vmcnt(15)
	v_fma_f64 v[109:110], v[135:136], v[115:116], v[109:110]
	s_waitcnt vmcnt(14) lgkmcnt(0)
	v_fma_f64 v[109:110], v[123:124], v[117:118], v[109:110]
	s_waitcnt vmcnt(9)
	v_fma_f64 v[109:110], v[129:130], v[119:120], v[109:110]
	ds_read2_b64 v[113:116], v0 offset0:103 offset1:104
	ds_read2_b64 v[117:120], v0 offset0:105 offset1:106
	s_waitcnt vmcnt(8) lgkmcnt(1)
	v_fma_f64 v[109:110], v[143:144], v[113:114], v[109:110]
	ds_read_b64 v[113:114], v0 offset:856
	s_waitcnt vmcnt(7)
	v_fma_f64 v[109:110], v[141:142], v[115:116], v[109:110]
	s_waitcnt vmcnt(6) lgkmcnt(1)
	v_fma_f64 v[109:110], v[139:140], v[117:118], v[109:110]
	s_waitcnt vmcnt(3)
	v_fma_f64 v[109:110], v[111:112], v[119:120], v[109:110]
	s_waitcnt vmcnt(2) lgkmcnt(0)
	v_fma_f64 v[109:110], v[127:128], v[113:114], v[109:110]
	s_waitcnt vmcnt(0)
	v_add_f64 v[109:110], v[125:126], -v[109:110]
	buffer_store_dword v110, off, s[0:3], 0 offset:4
	buffer_store_dword v109, off, s[0:3], 0
	s_cbranch_vccz .LBB53_438
; %bb.332:
	global_load_dword v0, v0, s[20:21] offset:208
	s_waitcnt vmcnt(0)
	v_add_u32_e32 v0, -1, v0
	v_cmp_ne_u32_e32 vcc, 52, v0
	s_cbranch_vccz .LBB53_334
; %bb.333:
	v_lshlrev_b32_e32 v0, 3, v0
	buffer_load_dword v109, v0, s[0:3], 0 offen offset:4
	buffer_load_dword v110, v0, s[0:3], 0 offen
	s_waitcnt vmcnt(1)
	buffer_store_dword v109, off, s[0:3], 0 offset:420
	s_waitcnt vmcnt(1)
	buffer_store_dword v110, off, s[0:3], 0 offset:416
	buffer_store_dword v112, v0, s[0:3], 0 offen offset:4
	buffer_store_dword v111, v0, s[0:3], 0 offen
.LBB53_334:
	v_mov_b32_e32 v0, 0
	global_load_dword v109, v0, s[20:21] offset:204
	s_waitcnt vmcnt(0)
	v_add_u32_e32 v109, -1, v109
	v_cmp_eq_u32_e32 vcc, 51, v109
	s_cbranch_vccnz .LBB53_336
; %bb.335:
	v_lshlrev_b32_e32 v109, 3, v109
	buffer_load_dword v110, v109, s[0:3], 0 offen
	buffer_load_dword v111, v109, s[0:3], 0 offen offset:4
	buffer_load_dword v112, off, s[0:3], 0 offset:408
	buffer_load_dword v113, off, s[0:3], 0 offset:412
	s_waitcnt vmcnt(3)
	buffer_store_dword v110, off, s[0:3], 0 offset:408
	s_waitcnt vmcnt(3)
	buffer_store_dword v111, off, s[0:3], 0 offset:412
	s_waitcnt vmcnt(3)
	buffer_store_dword v112, v109, s[0:3], 0 offen
	s_waitcnt vmcnt(3)
	buffer_store_dword v113, v109, s[0:3], 0 offen offset:4
.LBB53_336:
	global_load_dword v0, v0, s[20:21] offset:200
	s_waitcnt vmcnt(0)
	v_add_u32_e32 v0, -1, v0
	v_cmp_eq_u32_e32 vcc, 50, v0
	s_cbranch_vccnz .LBB53_338
; %bb.337:
	v_lshlrev_b32_e32 v0, 3, v0
	buffer_load_dword v109, v0, s[0:3], 0 offen
	buffer_load_dword v110, v0, s[0:3], 0 offen offset:4
	buffer_load_dword v111, off, s[0:3], 0 offset:404
	buffer_load_dword v112, off, s[0:3], 0 offset:400
	s_waitcnt vmcnt(3)
	buffer_store_dword v109, off, s[0:3], 0 offset:400
	s_waitcnt vmcnt(3)
	buffer_store_dword v110, off, s[0:3], 0 offset:404
	s_waitcnt vmcnt(3)
	buffer_store_dword v111, v0, s[0:3], 0 offen offset:4
	s_waitcnt vmcnt(3)
	buffer_store_dword v112, v0, s[0:3], 0 offen
.LBB53_338:
	v_mov_b32_e32 v0, 0
	global_load_dword v109, v0, s[20:21] offset:196
	s_waitcnt vmcnt(0)
	v_add_u32_e32 v109, -1, v109
	v_cmp_eq_u32_e32 vcc, 49, v109
	s_cbranch_vccnz .LBB53_340
; %bb.339:
	v_lshlrev_b32_e32 v109, 3, v109
	buffer_load_dword v110, v109, s[0:3], 0 offen
	buffer_load_dword v111, v109, s[0:3], 0 offen offset:4
	buffer_load_dword v112, off, s[0:3], 0 offset:392
	buffer_load_dword v113, off, s[0:3], 0 offset:396
	s_waitcnt vmcnt(3)
	buffer_store_dword v110, off, s[0:3], 0 offset:392
	s_waitcnt vmcnt(3)
	buffer_store_dword v111, off, s[0:3], 0 offset:396
	s_waitcnt vmcnt(3)
	buffer_store_dword v112, v109, s[0:3], 0 offen
	s_waitcnt vmcnt(3)
	buffer_store_dword v113, v109, s[0:3], 0 offen offset:4
.LBB53_340:
	global_load_dword v0, v0, s[20:21] offset:192
	s_waitcnt vmcnt(0)
	v_add_u32_e32 v0, -1, v0
	v_cmp_eq_u32_e32 vcc, 48, v0
	s_cbranch_vccnz .LBB53_342
; %bb.341:
	v_lshlrev_b32_e32 v0, 3, v0
	buffer_load_dword v109, v0, s[0:3], 0 offen
	buffer_load_dword v110, v0, s[0:3], 0 offen offset:4
	buffer_load_dword v111, off, s[0:3], 0 offset:388
	buffer_load_dword v112, off, s[0:3], 0 offset:384
	s_waitcnt vmcnt(3)
	buffer_store_dword v109, off, s[0:3], 0 offset:384
	s_waitcnt vmcnt(3)
	buffer_store_dword v110, off, s[0:3], 0 offset:388
	s_waitcnt vmcnt(3)
	buffer_store_dword v111, v0, s[0:3], 0 offen offset:4
	s_waitcnt vmcnt(3)
	buffer_store_dword v112, v0, s[0:3], 0 offen
.LBB53_342:
	;; [unrolled: 41-line block ×25, first 2 shown]
	v_mov_b32_e32 v0, 0
	global_load_dword v109, v0, s[20:21] offset:4
	s_waitcnt vmcnt(0)
	v_add_u32_e32 v109, -1, v109
	v_cmp_eq_u32_e32 vcc, 1, v109
	s_cbranch_vccnz .LBB53_436
; %bb.435:
	v_lshlrev_b32_e32 v109, 3, v109
	buffer_load_dword v110, v109, s[0:3], 0 offen
	buffer_load_dword v111, v109, s[0:3], 0 offen offset:4
	buffer_load_dword v112, off, s[0:3], 0 offset:8
	buffer_load_dword v113, off, s[0:3], 0 offset:12
	s_waitcnt vmcnt(3)
	buffer_store_dword v110, off, s[0:3], 0 offset:8
	s_waitcnt vmcnt(3)
	buffer_store_dword v111, off, s[0:3], 0 offset:12
	s_waitcnt vmcnt(3)
	buffer_store_dword v112, v109, s[0:3], 0 offen
	s_waitcnt vmcnt(3)
	buffer_store_dword v113, v109, s[0:3], 0 offen offset:4
.LBB53_436:
	global_load_dword v0, v0, s[20:21]
	s_nop 0
	buffer_load_dword v109, off, s[0:3], 0
	buffer_load_dword v110, off, s[0:3], 0 offset:4
	s_waitcnt vmcnt(2)
	v_add_u32_e32 v0, -1, v0
	v_cmp_eq_u32_e32 vcc, 0, v0
	s_cbranch_vccnz .LBB53_438
; %bb.437:
	v_lshlrev_b32_e32 v0, 3, v0
	buffer_load_dword v111, v0, s[0:3], 0 offen offset:4
	buffer_load_dword v112, v0, s[0:3], 0 offen
	s_waitcnt vmcnt(1)
	buffer_store_dword v111, off, s[0:3], 0 offset:4
	s_waitcnt vmcnt(1)
	buffer_store_dword v112, off, s[0:3], 0
	buffer_store_dword v110, v0, s[0:3], 0 offen offset:4
	buffer_store_dword v109, v0, s[0:3], 0 offen
	buffer_load_dword v109, off, s[0:3], 0
	s_nop 0
	buffer_load_dword v110, off, s[0:3], 0 offset:4
.LBB53_438:
	buffer_load_dword v111, off, s[0:3], 0 offset:8
	buffer_load_dword v112, off, s[0:3], 0 offset:12
	;; [unrolled: 1-line block ×106, first 2 shown]
	s_waitcnt vmcnt(62)
	global_store_dwordx2 v[97:98], v[109:110], off
	global_store_dwordx2 v[101:102], v[111:112], off
	;; [unrolled: 1-line block ×23, first 2 shown]
	s_waitcnt vmcnt(62)
	global_store_dwordx2 v[43:44], v[155:156], off
	global_store_dwordx2 v[45:46], v[157:158], off
	;; [unrolled: 1-line block ×11, first 2 shown]
	s_waitcnt vmcnt(62)
	global_store_dwordx2 v[65:66], v[177:178], off
	global_store_dwordx2 v[67:68], v[179:180], off
	;; [unrolled: 1-line block ×6, first 2 shown]
	s_waitcnt vmcnt(62)
	global_store_dwordx2 v[77:78], v[189:190], off
	global_store_dwordx2 v[79:80], v[191:192], off
	;; [unrolled: 1-line block ×3, first 2 shown]
	s_waitcnt vmcnt(62)
	global_store_dwordx2 v[83:84], v[195:196], off
	s_waitcnt vmcnt(62)
	global_store_dwordx2 v[85:86], v[197:198], off
	;; [unrolled: 2-line block ×11, first 2 shown]
	s_endpgm
	.section	.rodata,"a",@progbits
	.p2align	6, 0x0
	.amdhsa_kernel _ZN9rocsolver6v33100L18getri_kernel_smallILi54EdPdEEvT1_iilPiilS4_bb
		.amdhsa_group_segment_fixed_size 872
		.amdhsa_private_segment_fixed_size 448
		.amdhsa_kernarg_size 60
		.amdhsa_user_sgpr_count 6
		.amdhsa_user_sgpr_private_segment_buffer 1
		.amdhsa_user_sgpr_dispatch_ptr 0
		.amdhsa_user_sgpr_queue_ptr 0
		.amdhsa_user_sgpr_kernarg_segment_ptr 1
		.amdhsa_user_sgpr_dispatch_id 0
		.amdhsa_user_sgpr_flat_scratch_init 0
		.amdhsa_user_sgpr_private_segment_size 0
		.amdhsa_uses_dynamic_stack 0
		.amdhsa_system_sgpr_private_segment_wavefront_offset 1
		.amdhsa_system_sgpr_workgroup_id_x 1
		.amdhsa_system_sgpr_workgroup_id_y 0
		.amdhsa_system_sgpr_workgroup_id_z 0
		.amdhsa_system_sgpr_workgroup_info 0
		.amdhsa_system_vgpr_workitem_id 0
		.amdhsa_next_free_vgpr 217
		.amdhsa_next_free_sgpr 24
		.amdhsa_reserve_vcc 1
		.amdhsa_reserve_flat_scratch 0
		.amdhsa_float_round_mode_32 0
		.amdhsa_float_round_mode_16_64 0
		.amdhsa_float_denorm_mode_32 3
		.amdhsa_float_denorm_mode_16_64 3
		.amdhsa_dx10_clamp 1
		.amdhsa_ieee_mode 1
		.amdhsa_fp16_overflow 0
		.amdhsa_exception_fp_ieee_invalid_op 0
		.amdhsa_exception_fp_denorm_src 0
		.amdhsa_exception_fp_ieee_div_zero 0
		.amdhsa_exception_fp_ieee_overflow 0
		.amdhsa_exception_fp_ieee_underflow 0
		.amdhsa_exception_fp_ieee_inexact 0
		.amdhsa_exception_int_div_zero 0
	.end_amdhsa_kernel
	.section	.text._ZN9rocsolver6v33100L18getri_kernel_smallILi54EdPdEEvT1_iilPiilS4_bb,"axG",@progbits,_ZN9rocsolver6v33100L18getri_kernel_smallILi54EdPdEEvT1_iilPiilS4_bb,comdat
.Lfunc_end53:
	.size	_ZN9rocsolver6v33100L18getri_kernel_smallILi54EdPdEEvT1_iilPiilS4_bb, .Lfunc_end53-_ZN9rocsolver6v33100L18getri_kernel_smallILi54EdPdEEvT1_iilPiilS4_bb
                                        ; -- End function
	.set _ZN9rocsolver6v33100L18getri_kernel_smallILi54EdPdEEvT1_iilPiilS4_bb.num_vgpr, 217
	.set _ZN9rocsolver6v33100L18getri_kernel_smallILi54EdPdEEvT1_iilPiilS4_bb.num_agpr, 0
	.set _ZN9rocsolver6v33100L18getri_kernel_smallILi54EdPdEEvT1_iilPiilS4_bb.numbered_sgpr, 24
	.set _ZN9rocsolver6v33100L18getri_kernel_smallILi54EdPdEEvT1_iilPiilS4_bb.num_named_barrier, 0
	.set _ZN9rocsolver6v33100L18getri_kernel_smallILi54EdPdEEvT1_iilPiilS4_bb.private_seg_size, 448
	.set _ZN9rocsolver6v33100L18getri_kernel_smallILi54EdPdEEvT1_iilPiilS4_bb.uses_vcc, 1
	.set _ZN9rocsolver6v33100L18getri_kernel_smallILi54EdPdEEvT1_iilPiilS4_bb.uses_flat_scratch, 0
	.set _ZN9rocsolver6v33100L18getri_kernel_smallILi54EdPdEEvT1_iilPiilS4_bb.has_dyn_sized_stack, 0
	.set _ZN9rocsolver6v33100L18getri_kernel_smallILi54EdPdEEvT1_iilPiilS4_bb.has_recursion, 0
	.set _ZN9rocsolver6v33100L18getri_kernel_smallILi54EdPdEEvT1_iilPiilS4_bb.has_indirect_call, 0
	.section	.AMDGPU.csdata,"",@progbits
; Kernel info:
; codeLenInByte = 72232
; TotalNumSgprs: 28
; NumVgprs: 217
; ScratchSize: 448
; MemoryBound: 1
; FloatMode: 240
; IeeeMode: 1
; LDSByteSize: 872 bytes/workgroup (compile time only)
; SGPRBlocks: 3
; VGPRBlocks: 54
; NumSGPRsForWavesPerEU: 28
; NumVGPRsForWavesPerEU: 217
; Occupancy: 1
; WaveLimiterHint : 1
; COMPUTE_PGM_RSRC2:SCRATCH_EN: 1
; COMPUTE_PGM_RSRC2:USER_SGPR: 6
; COMPUTE_PGM_RSRC2:TRAP_HANDLER: 0
; COMPUTE_PGM_RSRC2:TGID_X_EN: 1
; COMPUTE_PGM_RSRC2:TGID_Y_EN: 0
; COMPUTE_PGM_RSRC2:TGID_Z_EN: 0
; COMPUTE_PGM_RSRC2:TIDIG_COMP_CNT: 0
	.section	.text._ZN9rocsolver6v33100L18getri_kernel_smallILi55EdPdEEvT1_iilPiilS4_bb,"axG",@progbits,_ZN9rocsolver6v33100L18getri_kernel_smallILi55EdPdEEvT1_iilPiilS4_bb,comdat
	.globl	_ZN9rocsolver6v33100L18getri_kernel_smallILi55EdPdEEvT1_iilPiilS4_bb ; -- Begin function _ZN9rocsolver6v33100L18getri_kernel_smallILi55EdPdEEvT1_iilPiilS4_bb
	.p2align	8
	.type	_ZN9rocsolver6v33100L18getri_kernel_smallILi55EdPdEEvT1_iilPiilS4_bb,@function
_ZN9rocsolver6v33100L18getri_kernel_smallILi55EdPdEEvT1_iilPiilS4_bb: ; @_ZN9rocsolver6v33100L18getri_kernel_smallILi55EdPdEEvT1_iilPiilS4_bb
; %bb.0:
	s_add_u32 s0, s0, s7
	s_addc_u32 s1, s1, 0
	v_cmp_gt_u32_e32 vcc, 55, v0
	s_and_saveexec_b64 s[8:9], vcc
	s_cbranch_execz .LBB54_228
; %bb.1:
	s_load_dword s12, s[4:5], 0x38
	s_load_dwordx4 s[16:19], s[4:5], 0x10
	s_load_dwordx4 s[8:11], s[4:5], 0x28
                                        ; implicit-def: $sgpr20_sgpr21
	s_waitcnt lgkmcnt(0)
	s_bitcmp1_b32 s12, 8
	s_cselect_b64 s[22:23], -1, 0
	s_ashr_i32 s7, s6, 31
	s_bfe_u32 s12, s12, 0x10008
	s_cmp_eq_u32 s12, 0
	s_cbranch_scc1 .LBB54_3
; %bb.2:
	s_load_dword s12, s[4:5], 0x20
	s_mul_i32 s13, s8, s7
	s_mul_hi_u32 s14, s8, s6
	s_mul_i32 s9, s9, s6
	s_add_i32 s14, s14, s13
	s_add_i32 s9, s14, s9
	s_mul_i32 s8, s8, s6
	s_waitcnt lgkmcnt(0)
	s_ashr_i32 s13, s12, 31
	s_lshl_b64 s[8:9], s[8:9], 2
	s_add_u32 s14, s18, s8
	s_addc_u32 s15, s19, s9
	s_lshl_b64 s[8:9], s[12:13], 2
	s_add_u32 s20, s14, s8
	s_addc_u32 s21, s15, s9
.LBB54_3:
	s_load_dwordx4 s[12:15], s[4:5], 0x0
	s_load_dword s8, s[4:5], 0x38
	s_mul_i32 s9, s16, s7
	s_mul_hi_u32 s18, s16, s6
	s_add_i32 s9, s18, s9
	s_waitcnt lgkmcnt(0)
	s_ashr_i32 s5, s14, 31
	s_mov_b32 s4, s14
	s_mul_i32 s14, s17, s6
	s_add_i32 s17, s9, s14
	s_mul_i32 s16, s16, s6
	s_lshl_b64 s[16:17], s[16:17], 3
	s_add_u32 s9, s12, s16
	s_addc_u32 s12, s13, s17
	s_lshl_b64 s[4:5], s[4:5], 3
	s_add_u32 s4, s9, s4
	s_addc_u32 s5, s12, s5
	s_add_i32 s9, s15, s15
	v_add_u32_e32 v3, s9, v0
	v_ashrrev_i32_e32 v4, 31, v3
	v_lshlrev_b64 v[1:2], 3, v[3:4]
	v_add_u32_e32 v5, s15, v3
	v_mov_b32_e32 v4, s5
	v_add_co_u32_e32 v1, vcc, s4, v1
	v_ashrrev_i32_e32 v6, 31, v5
	v_addc_co_u32_e32 v2, vcc, v4, v2, vcc
	v_lshlrev_b64 v[3:4], 3, v[5:6]
	v_add_u32_e32 v7, s15, v5
	v_mov_b32_e32 v6, s5
	v_add_co_u32_e32 v3, vcc, s4, v3
	v_ashrrev_i32_e32 v8, 31, v7
	v_addc_co_u32_e32 v4, vcc, v6, v4, vcc
	;; [unrolled: 6-line block ×8, first 2 shown]
	v_lshlrev_b64 v[17:18], 3, v[19:20]
	v_mov_b32_e32 v21, s5
	v_add_co_u32_e32 v17, vcc, s4, v17
	v_addc_co_u32_e32 v18, vcc, v21, v18, vcc
	v_add_u32_e32 v21, s15, v19
	v_ashrrev_i32_e32 v22, 31, v21
	v_lshlrev_b64 v[19:20], 3, v[21:22]
	v_mov_b32_e32 v23, s5
	v_add_co_u32_e32 v19, vcc, s4, v19
	v_addc_co_u32_e32 v20, vcc, v23, v20, vcc
	v_add_u32_e32 v23, s15, v21
	v_ashrrev_i32_e32 v24, 31, v23
	;; [unrolled: 6-line block ×38, first 2 shown]
	v_lshlrev_b32_e32 v113, 3, v0
	v_lshlrev_b64 v[93:94], 3, v[95:96]
	global_load_dwordx2 v[111:112], v113, s[4:5]
	global_load_dwordx2 v[116:117], v[1:2], off
	global_load_dwordx2 v[118:119], v[3:4], off
	;; [unrolled: 1-line block ×3, first 2 shown]
	v_mov_b32_e32 v96, s5
	v_add_co_u32_e32 v99, vcc, s4, v113
	s_ashr_i32 s13, s15, 31
	s_mov_b32 s12, s15
	v_addc_co_u32_e32 v100, vcc, 0, v96, vcc
	s_lshl_b64 s[12:13], s[12:13], 3
	v_mov_b32_e32 v96, s13
	v_add_co_u32_e32 v103, vcc, s12, v99
	v_addc_co_u32_e32 v104, vcc, v100, v96, vcc
	global_load_dwordx2 v[114:115], v[103:104], off
	global_load_dwordx2 v[122:123], v[7:8], off
	;; [unrolled: 1-line block ×4, first 2 shown]
	v_mov_b32_e32 v97, s5
	v_add_co_u32_e32 v93, vcc, s4, v93
	v_addc_co_u32_e32 v94, vcc, v97, v94, vcc
	v_add_u32_e32 v97, s15, v95
	v_ashrrev_i32_e32 v98, 31, v97
	v_lshlrev_b64 v[95:96], 3, v[97:98]
	global_load_dwordx2 v[128:129], v[13:14], off
	global_load_dwordx2 v[130:131], v[15:16], off
	;; [unrolled: 1-line block ×4, first 2 shown]
	v_mov_b32_e32 v101, s5
	v_add_co_u32_e32 v95, vcc, s4, v95
	v_addc_co_u32_e32 v96, vcc, v101, v96, vcc
	v_add_u32_e32 v101, s15, v97
	v_ashrrev_i32_e32 v102, 31, v101
	v_lshlrev_b64 v[97:98], 3, v[101:102]
	v_mov_b32_e32 v105, s5
	v_add_co_u32_e32 v97, vcc, s4, v97
	v_addc_co_u32_e32 v98, vcc, v105, v98, vcc
	v_add_u32_e32 v105, s15, v101
	v_ashrrev_i32_e32 v106, 31, v105
	v_lshlrev_b64 v[101:102], 3, v[105:106]
	v_mov_b32_e32 v107, s5
	v_add_co_u32_e32 v101, vcc, s4, v101
	v_addc_co_u32_e32 v102, vcc, v107, v102, vcc
	v_add_u32_e32 v107, s15, v105
	v_ashrrev_i32_e32 v108, 31, v107
	v_lshlrev_b64 v[105:106], 3, v[107:108]
	global_load_dwordx2 v[136:137], v[21:22], off
	global_load_dwordx2 v[138:139], v[23:24], off
	v_mov_b32_e32 v109, s5
	v_add_co_u32_e32 v105, vcc, s4, v105
	v_addc_co_u32_e32 v106, vcc, v109, v106, vcc
	v_add_u32_e32 v109, s15, v107
	v_ashrrev_i32_e32 v110, 31, v109
	v_lshlrev_b64 v[107:108], 3, v[109:110]
	v_mov_b32_e32 v146, s5
	v_add_co_u32_e32 v107, vcc, s4, v107
	global_load_dwordx2 v[140:141], v[25:26], off
	global_load_dwordx2 v[142:143], v[27:28], off
	;; [unrolled: 1-line block ×3, first 2 shown]
	v_addc_co_u32_e32 v108, vcc, v146, v108, vcc
	global_load_dwordx2 v[146:147], v[31:32], off
	global_load_dwordx2 v[148:149], v[33:34], off
	;; [unrolled: 1-line block ×8, first 2 shown]
	v_add_u32_e32 v109, s15, v109
	v_ashrrev_i32_e32 v110, 31, v109
	v_lshlrev_b64 v[109:110], 3, v[109:110]
	v_mov_b32_e32 v162, s5
	v_add_co_u32_e32 v109, vcc, s4, v109
	v_addc_co_u32_e32 v110, vcc, v162, v110, vcc
	global_load_dwordx2 v[162:163], v[47:48], off
	global_load_dwordx2 v[164:165], v[49:50], off
	;; [unrolled: 1-line block ×16, first 2 shown]
	s_bitcmp0_b32 s8, 0
	s_waitcnt vmcnt(40)
	buffer_store_dword v112, off, s[0:3], 0 offset:4
	buffer_store_dword v111, off, s[0:3], 0
	global_load_dwordx2 v[111:112], v[51:52], off
	s_mov_b64 s[8:9], -1
	s_waitcnt vmcnt(39)
	buffer_store_dword v115, off, s[0:3], 0 offset:12
	buffer_store_dword v114, off, s[0:3], 0 offset:8
	global_load_dwordx2 v[114:115], v[55:56], off
	s_nop 0
	buffer_store_dword v117, off, s[0:3], 0 offset:20
	buffer_store_dword v116, off, s[0:3], 0 offset:16
	global_load_dwordx2 v[116:117], v[59:60], off
	s_nop 0
	;; [unrolled: 4-line block ×3, first 2 shown]
	buffer_store_dword v121, off, s[0:3], 0 offset:36
	buffer_store_dword v120, off, s[0:3], 0 offset:32
	global_load_dwordx2 v[120:121], v[67:68], off
	s_waitcnt vmcnt(50)
	buffer_store_dword v123, off, s[0:3], 0 offset:44
	buffer_store_dword v122, off, s[0:3], 0 offset:40
	global_load_dwordx2 v[122:123], v[71:72], off
	s_waitcnt vmcnt(52)
	;; [unrolled: 4-line block ×8, first 2 shown]
	buffer_store_dword v136, off, s[0:3], 0 offset:96
	buffer_store_dword v137, off, s[0:3], 0 offset:100
	global_load_dwordx2 v[136:137], v[101:102], off
	s_nop 0
	buffer_store_dword v138, off, s[0:3], 0 offset:104
	buffer_store_dword v139, off, s[0:3], 0 offset:108
	global_load_dwordx2 v[138:139], v[107:108], off
	s_nop 0
	buffer_store_dword v141, off, s[0:3], 0 offset:116
	buffer_store_dword v140, off, s[0:3], 0 offset:112
	s_waitcnt vmcnt(62)
	buffer_store_dword v142, off, s[0:3], 0 offset:120
	buffer_store_dword v143, off, s[0:3], 0 offset:124
	;; [unrolled: 1-line block ×16, first 2 shown]
	s_waitcnt vmcnt(62)
	buffer_store_dword v158, off, s[0:3], 0 offset:184
	buffer_store_dword v159, off, s[0:3], 0 offset:188
	buffer_store_dword v160, off, s[0:3], 0 offset:192
	buffer_store_dword v161, off, s[0:3], 0 offset:196
	buffer_store_dword v163, off, s[0:3], 0 offset:204
	buffer_store_dword v162, off, s[0:3], 0 offset:200
	buffer_store_dword v165, off, s[0:3], 0 offset:212
	buffer_store_dword v164, off, s[0:3], 0 offset:208
	s_waitcnt vmcnt(62)
	buffer_store_dword v111, off, s[0:3], 0 offset:216
	buffer_store_dword v112, off, s[0:3], 0 offset:220
	buffer_store_dword v166, off, s[0:3], 0 offset:224
	buffer_store_dword v167, off, s[0:3], 0 offset:228
	buffer_store_dword v114, off, s[0:3], 0 offset:232
	buffer_store_dword v115, off, s[0:3], 0 offset:236
	buffer_store_dword v168, off, s[0:3], 0 offset:240
	buffer_store_dword v169, off, s[0:3], 0 offset:244
	;; [unrolled: 9-line block ×4, first 2 shown]
	buffer_store_dword v124, off, s[0:3], 0 offset:312
	buffer_store_dword v125, off, s[0:3], 0 offset:316
	;; [unrolled: 1-line block ×4, first 2 shown]
	s_waitcnt vmcnt(62)
	buffer_store_dword v126, off, s[0:3], 0 offset:328
	buffer_store_dword v127, off, s[0:3], 0 offset:332
	;; [unrolled: 1-line block ×16, first 2 shown]
	s_waitcnt vmcnt(62)
	buffer_store_dword v135, off, s[0:3], 0 offset:396
	buffer_store_dword v134, off, s[0:3], 0 offset:392
	;; [unrolled: 1-line block ×12, first 2 shown]
	s_cbranch_scc1 .LBB54_226
; %bb.4:
	v_cmp_eq_u32_e64 s[4:5], 0, v0
	s_and_saveexec_b64 s[8:9], s[4:5]
; %bb.5:
	v_mov_b32_e32 v111, 0
	ds_write_b32 v111, v111 offset:440
; %bb.6:
	s_or_b64 exec, exec, s[8:9]
	v_mov_b32_e32 v111, 0
	v_lshl_add_u32 v111, v0, 3, v111
	s_waitcnt lgkmcnt(0)
	; wave barrier
	buffer_load_dword v114, v111, s[0:3], 0 offen
	buffer_load_dword v115, v111, s[0:3], 0 offen offset:4
	s_waitcnt vmcnt(0)
	v_cmp_eq_f64_e32 vcc, 0, v[114:115]
	s_and_saveexec_b64 s[12:13], vcc
	s_cbranch_execz .LBB54_10
; %bb.7:
	v_mov_b32_e32 v112, 0
	ds_read_b32 v115, v112 offset:440
	v_add_u32_e32 v114, 1, v0
	s_waitcnt lgkmcnt(0)
	v_readfirstlane_b32 s8, v115
	s_cmp_eq_u32 s8, 0
	s_cselect_b64 s[14:15], -1, 0
	v_cmp_gt_i32_e32 vcc, s8, v114
	s_or_b64 s[14:15], s[14:15], vcc
	s_and_b64 exec, exec, s[14:15]
	s_cbranch_execz .LBB54_10
; %bb.8:
	s_mov_b64 s[14:15], 0
	v_mov_b32_e32 v115, s8
.LBB54_9:                               ; =>This Inner Loop Header: Depth=1
	ds_cmpst_rtn_b32 v115, v112, v115, v114 offset:440
	s_waitcnt lgkmcnt(0)
	v_cmp_ne_u32_e32 vcc, 0, v115
	v_cmp_le_i32_e64 s[8:9], v115, v114
	s_and_b64 s[8:9], vcc, s[8:9]
	s_and_b64 s[8:9], exec, s[8:9]
	s_or_b64 s[14:15], s[8:9], s[14:15]
	s_andn2_b64 exec, exec, s[14:15]
	s_cbranch_execnz .LBB54_9
.LBB54_10:
	s_or_b64 exec, exec, s[12:13]
	v_mov_b32_e32 v114, 0
	; wave barrier
	ds_read_b32 v112, v114 offset:440
	s_and_saveexec_b64 s[8:9], s[4:5]
	s_cbranch_execz .LBB54_12
; %bb.11:
	s_lshl_b64 s[12:13], s[6:7], 2
	s_add_u32 s12, s10, s12
	s_addc_u32 s13, s11, s13
	s_waitcnt lgkmcnt(0)
	global_store_dword v114, v112, s[12:13]
.LBB54_12:
	s_or_b64 exec, exec, s[8:9]
	s_waitcnt lgkmcnt(0)
	v_cmp_ne_u32_e32 vcc, 0, v112
	s_mov_b64 s[8:9], 0
	s_cbranch_vccnz .LBB54_226
; %bb.13:
	buffer_load_dword v114, v111, s[0:3], 0 offen
	buffer_load_dword v115, v111, s[0:3], 0 offen offset:4
	s_waitcnt vmcnt(0)
	v_div_scale_f64 v[116:117], s[8:9], v[114:115], v[114:115], 1.0
	v_rcp_f64_e32 v[118:119], v[116:117]
	v_fma_f64 v[120:121], -v[116:117], v[118:119], 1.0
	v_fma_f64 v[118:119], v[118:119], v[120:121], v[118:119]
	v_div_scale_f64 v[120:121], vcc, 1.0, v[114:115], 1.0
	v_fma_f64 v[122:123], -v[116:117], v[118:119], 1.0
	v_fma_f64 v[118:119], v[118:119], v[122:123], v[118:119]
	v_mul_f64 v[122:123], v[120:121], v[118:119]
	v_fma_f64 v[116:117], -v[116:117], v[122:123], v[120:121]
	v_div_fmas_f64 v[116:117], v[116:117], v[118:119], v[122:123]
	v_div_fixup_f64 v[115:116], v[116:117], v[114:115], 1.0
	v_add_u32_e32 v114, 0x1c0, v113
	buffer_store_dword v116, v111, s[0:3], 0 offen offset:4
	buffer_store_dword v115, v111, s[0:3], 0 offen
	buffer_load_dword v118, off, s[0:3], 0 offset:12
	buffer_load_dword v117, off, s[0:3], 0 offset:8
	v_xor_b32_e32 v116, 0x80000000, v116
	s_waitcnt vmcnt(0)
	ds_write2_b64 v113, v[115:116], v[117:118] offset1:56
	s_waitcnt lgkmcnt(0)
	; wave barrier
	s_and_saveexec_b64 s[8:9], s[4:5]
	s_cbranch_execz .LBB54_15
; %bb.14:
	buffer_load_dword v115, v111, s[0:3], 0 offen
	buffer_load_dword v116, v111, s[0:3], 0 offen offset:4
	ds_read_b64 v[117:118], v114
	v_mov_b32_e32 v112, 0
	ds_read_b64 v[119:120], v112 offset:8
	s_waitcnt vmcnt(0) lgkmcnt(1)
	v_fma_f64 v[115:116], v[115:116], v[117:118], 0
	s_waitcnt lgkmcnt(0)
	v_mul_f64 v[115:116], v[115:116], v[119:120]
	buffer_store_dword v115, off, s[0:3], 0 offset:8
	buffer_store_dword v116, off, s[0:3], 0 offset:12
.LBB54_15:
	s_or_b64 exec, exec, s[8:9]
	; wave barrier
	buffer_load_dword v115, off, s[0:3], 0 offset:16
	buffer_load_dword v116, off, s[0:3], 0 offset:20
	v_cmp_gt_u32_e32 vcc, 2, v0
	s_waitcnt vmcnt(0)
	ds_write_b64 v114, v[115:116]
	s_waitcnt lgkmcnt(0)
	; wave barrier
	s_and_saveexec_b64 s[8:9], vcc
	s_cbranch_execz .LBB54_17
; %bb.16:
	buffer_load_dword v115, v111, s[0:3], 0 offen
	buffer_load_dword v116, v111, s[0:3], 0 offen offset:4
                                        ; kill: killed $vgpr111
	s_nop 0
	buffer_load_dword v111, off, s[0:3], 0 offset:8
	buffer_load_dword v112, off, s[0:3], 0 offset:12
	ds_read_b64 v[117:118], v114
	s_waitcnt vmcnt(2) lgkmcnt(0)
	v_fma_f64 v[119:120], v[115:116], v[117:118], 0
	v_mov_b32_e32 v115, 0
	ds_read2_b64 v[115:118], v115 offset0:2 offset1:57
	s_waitcnt vmcnt(0) lgkmcnt(0)
	v_fma_f64 v[111:112], v[111:112], v[117:118], v[119:120]
	v_cndmask_b32_e64 v112, v120, v112, s[4:5]
	v_cndmask_b32_e64 v111, v119, v111, s[4:5]
	v_mul_f64 v[111:112], v[111:112], v[115:116]
	buffer_store_dword v112, off, s[0:3], 0 offset:20
	buffer_store_dword v111, off, s[0:3], 0 offset:16
.LBB54_17:
	s_or_b64 exec, exec, s[8:9]
	; wave barrier
	buffer_load_dword v111, off, s[0:3], 0 offset:24
	buffer_load_dword v112, off, s[0:3], 0 offset:28
	v_cmp_gt_u32_e32 vcc, 3, v0
	v_add_u32_e32 v115, -1, v0
	s_waitcnt vmcnt(0)
	ds_write_b64 v114, v[111:112]
	s_waitcnt lgkmcnt(0)
	; wave barrier
	s_and_saveexec_b64 s[4:5], vcc
	s_cbranch_execz .LBB54_21
; %bb.18:
	v_mov_b32_e32 v111, 0
	v_add_u32_e32 v116, -1, v0
	v_add_u32_e32 v117, 0x1c0, v113
	v_mov_b32_e32 v118, v113
	v_mov_b32_e32 v112, 0
	s_mov_b64 s[8:9], 0
.LBB54_19:                              ; =>This Inner Loop Header: Depth=1
	buffer_load_dword v119, v118, s[0:3], 0 offen
	buffer_load_dword v120, v118, s[0:3], 0 offen offset:4
	ds_read_b64 v[121:122], v117
	v_add_u32_e32 v116, 1, v116
	v_cmp_lt_u32_e32 vcc, 1, v116
	v_add_u32_e32 v117, 8, v117
	s_or_b64 s[8:9], vcc, s[8:9]
	v_add_u32_e32 v118, 8, v118
	s_waitcnt vmcnt(0) lgkmcnt(0)
	v_fma_f64 v[111:112], v[119:120], v[121:122], v[111:112]
	s_andn2_b64 exec, exec, s[8:9]
	s_cbranch_execnz .LBB54_19
; %bb.20:
	s_or_b64 exec, exec, s[8:9]
	v_mov_b32_e32 v116, 0
	ds_read_b64 v[116:117], v116 offset:24
	s_waitcnt lgkmcnt(0)
	v_mul_f64 v[111:112], v[111:112], v[116:117]
	buffer_store_dword v112, off, s[0:3], 0 offset:28
	buffer_store_dword v111, off, s[0:3], 0 offset:24
.LBB54_21:
	s_or_b64 exec, exec, s[4:5]
	; wave barrier
	buffer_load_dword v111, off, s[0:3], 0 offset:32
	buffer_load_dword v112, off, s[0:3], 0 offset:36
	v_cmp_gt_u32_e32 vcc, 4, v0
	s_waitcnt vmcnt(0)
	ds_write_b64 v114, v[111:112]
	s_waitcnt lgkmcnt(0)
	; wave barrier
	s_and_saveexec_b64 s[4:5], vcc
	s_cbranch_execz .LBB54_25
; %bb.22:
	v_mov_b32_e32 v111, 0
	v_add_u32_e32 v116, -1, v0
	v_add_u32_e32 v117, 0x1c0, v113
	v_mov_b32_e32 v118, v113
	v_mov_b32_e32 v112, 0
	s_mov_b64 s[8:9], 0
.LBB54_23:                              ; =>This Inner Loop Header: Depth=1
	buffer_load_dword v119, v118, s[0:3], 0 offen
	buffer_load_dword v120, v118, s[0:3], 0 offen offset:4
	ds_read_b64 v[121:122], v117
	v_add_u32_e32 v116, 1, v116
	v_cmp_lt_u32_e32 vcc, 2, v116
	v_add_u32_e32 v117, 8, v117
	s_or_b64 s[8:9], vcc, s[8:9]
	v_add_u32_e32 v118, 8, v118
	s_waitcnt vmcnt(0) lgkmcnt(0)
	v_fma_f64 v[111:112], v[119:120], v[121:122], v[111:112]
	s_andn2_b64 exec, exec, s[8:9]
	s_cbranch_execnz .LBB54_23
; %bb.24:
	s_or_b64 exec, exec, s[8:9]
	v_mov_b32_e32 v116, 0
	ds_read_b64 v[116:117], v116 offset:32
	s_waitcnt lgkmcnt(0)
	v_mul_f64 v[111:112], v[111:112], v[116:117]
	buffer_store_dword v112, off, s[0:3], 0 offset:36
	buffer_store_dword v111, off, s[0:3], 0 offset:32
.LBB54_25:
	s_or_b64 exec, exec, s[4:5]
	; wave barrier
	buffer_load_dword v111, off, s[0:3], 0 offset:40
	buffer_load_dword v112, off, s[0:3], 0 offset:44
	v_cmp_gt_u32_e32 vcc, 5, v0
	;; [unrolled: 40-line block ×21, first 2 shown]
	s_waitcnt vmcnt(0)
	ds_write_b64 v114, v[111:112]
	s_waitcnt lgkmcnt(0)
	; wave barrier
	s_and_saveexec_b64 s[4:5], vcc
	s_cbranch_execz .LBB54_105
; %bb.102:
	v_mov_b32_e32 v111, 0
	v_add_u32_e32 v116, -1, v0
	v_add_u32_e32 v117, 0x1c0, v113
	v_mov_b32_e32 v118, v113
	v_mov_b32_e32 v112, 0
	s_mov_b64 s[8:9], 0
.LBB54_103:                             ; =>This Inner Loop Header: Depth=1
	buffer_load_dword v119, v118, s[0:3], 0 offen
	buffer_load_dword v120, v118, s[0:3], 0 offen offset:4
	ds_read_b64 v[121:122], v117
	v_add_u32_e32 v116, 1, v116
	v_cmp_lt_u32_e32 vcc, 22, v116
	v_add_u32_e32 v117, 8, v117
	s_or_b64 s[8:9], vcc, s[8:9]
	v_add_u32_e32 v118, 8, v118
	s_waitcnt vmcnt(0) lgkmcnt(0)
	v_fma_f64 v[111:112], v[119:120], v[121:122], v[111:112]
	s_andn2_b64 exec, exec, s[8:9]
	s_cbranch_execnz .LBB54_103
; %bb.104:
	s_or_b64 exec, exec, s[8:9]
	v_mov_b32_e32 v116, 0
	ds_read_b64 v[116:117], v116 offset:192
	s_waitcnt lgkmcnt(0)
	v_mul_f64 v[111:112], v[111:112], v[116:117]
	buffer_store_dword v112, off, s[0:3], 0 offset:196
	buffer_store_dword v111, off, s[0:3], 0 offset:192
.LBB54_105:
	s_or_b64 exec, exec, s[4:5]
	; wave barrier
	buffer_load_dword v111, off, s[0:3], 0 offset:200
	buffer_load_dword v112, off, s[0:3], 0 offset:204
	v_cmp_gt_u32_e32 vcc, 25, v0
	s_waitcnt vmcnt(0)
	ds_write_b64 v114, v[111:112]
	s_waitcnt lgkmcnt(0)
	; wave barrier
	s_and_saveexec_b64 s[4:5], vcc
	s_cbranch_execz .LBB54_109
; %bb.106:
	v_mov_b32_e32 v111, 0
	v_add_u32_e32 v116, -1, v0
	v_add_u32_e32 v117, 0x1c0, v113
	v_mov_b32_e32 v118, v113
	v_mov_b32_e32 v112, 0
	s_mov_b64 s[8:9], 0
.LBB54_107:                             ; =>This Inner Loop Header: Depth=1
	buffer_load_dword v119, v118, s[0:3], 0 offen
	buffer_load_dword v120, v118, s[0:3], 0 offen offset:4
	ds_read_b64 v[121:122], v117
	v_add_u32_e32 v116, 1, v116
	v_cmp_lt_u32_e32 vcc, 23, v116
	v_add_u32_e32 v117, 8, v117
	s_or_b64 s[8:9], vcc, s[8:9]
	v_add_u32_e32 v118, 8, v118
	s_waitcnt vmcnt(0) lgkmcnt(0)
	v_fma_f64 v[111:112], v[119:120], v[121:122], v[111:112]
	s_andn2_b64 exec, exec, s[8:9]
	s_cbranch_execnz .LBB54_107
; %bb.108:
	s_or_b64 exec, exec, s[8:9]
	v_mov_b32_e32 v116, 0
	ds_read_b64 v[116:117], v116 offset:200
	s_waitcnt lgkmcnt(0)
	v_mul_f64 v[111:112], v[111:112], v[116:117]
	buffer_store_dword v112, off, s[0:3], 0 offset:204
	buffer_store_dword v111, off, s[0:3], 0 offset:200
.LBB54_109:
	s_or_b64 exec, exec, s[4:5]
	; wave barrier
	buffer_load_dword v111, off, s[0:3], 0 offset:208
	buffer_load_dword v112, off, s[0:3], 0 offset:212
	v_cmp_gt_u32_e32 vcc, 26, v0
	;; [unrolled: 40-line block ×29, first 2 shown]
	s_waitcnt vmcnt(0)
	ds_write_b64 v114, v[111:112]
	s_waitcnt lgkmcnt(0)
	; wave barrier
	s_and_saveexec_b64 s[4:5], vcc
	s_cbranch_execz .LBB54_221
; %bb.218:
	v_mov_b32_e32 v111, 0
	v_add_u32_e32 v116, -1, v0
	v_add_u32_e32 v117, 0x1c0, v113
	v_mov_b32_e32 v118, v113
	v_mov_b32_e32 v112, 0
	s_mov_b64 s[8:9], 0
.LBB54_219:                             ; =>This Inner Loop Header: Depth=1
	buffer_load_dword v119, v118, s[0:3], 0 offen
	buffer_load_dword v120, v118, s[0:3], 0 offen offset:4
	ds_read_b64 v[121:122], v117
	v_add_u32_e32 v116, 1, v116
	v_cmp_lt_u32_e32 vcc, 51, v116
	v_add_u32_e32 v117, 8, v117
	s_or_b64 s[8:9], vcc, s[8:9]
	v_add_u32_e32 v118, 8, v118
	s_waitcnt vmcnt(0) lgkmcnt(0)
	v_fma_f64 v[111:112], v[119:120], v[121:122], v[111:112]
	s_andn2_b64 exec, exec, s[8:9]
	s_cbranch_execnz .LBB54_219
; %bb.220:
	s_or_b64 exec, exec, s[8:9]
	v_mov_b32_e32 v116, 0
	ds_read_b64 v[116:117], v116 offset:424
	s_waitcnt lgkmcnt(0)
	v_mul_f64 v[111:112], v[111:112], v[116:117]
	buffer_store_dword v112, off, s[0:3], 0 offset:428
	buffer_store_dword v111, off, s[0:3], 0 offset:424
.LBB54_221:
	s_or_b64 exec, exec, s[4:5]
	; wave barrier
	buffer_load_dword v111, off, s[0:3], 0 offset:432
	buffer_load_dword v112, off, s[0:3], 0 offset:436
	v_cmp_ne_u32_e32 vcc, 54, v0
	s_waitcnt vmcnt(0)
	ds_write_b64 v114, v[111:112]
	s_waitcnt lgkmcnt(0)
	; wave barrier
	s_and_saveexec_b64 s[4:5], vcc
	s_cbranch_execz .LBB54_225
; %bb.222:
	v_mov_b32_e32 v111, 0
	v_add_u32_e32 v114, 0x1c0, v113
	v_mov_b32_e32 v112, 0
	s_mov_b64 s[8:9], 0
.LBB54_223:                             ; =>This Inner Loop Header: Depth=1
	buffer_load_dword v116, v113, s[0:3], 0 offen
	buffer_load_dword v117, v113, s[0:3], 0 offen offset:4
	ds_read_b64 v[118:119], v114
	v_add_u32_e32 v115, 1, v115
	v_cmp_lt_u32_e32 vcc, 52, v115
	v_add_u32_e32 v114, 8, v114
	s_or_b64 s[8:9], vcc, s[8:9]
	v_add_u32_e32 v113, 8, v113
	s_waitcnt vmcnt(0) lgkmcnt(0)
	v_fma_f64 v[111:112], v[116:117], v[118:119], v[111:112]
	s_andn2_b64 exec, exec, s[8:9]
	s_cbranch_execnz .LBB54_223
; %bb.224:
	s_or_b64 exec, exec, s[8:9]
	v_mov_b32_e32 v113, 0
	ds_read_b64 v[113:114], v113 offset:432
	s_waitcnt lgkmcnt(0)
	v_mul_f64 v[111:112], v[111:112], v[113:114]
	buffer_store_dword v112, off, s[0:3], 0 offset:436
	buffer_store_dword v111, off, s[0:3], 0 offset:432
.LBB54_225:
	s_or_b64 exec, exec, s[4:5]
	s_mov_b64 s[8:9], -1
	; wave barrier
.LBB54_226:
	s_and_b64 vcc, exec, s[8:9]
	s_cbranch_vccz .LBB54_228
; %bb.227:
	s_lshl_b64 s[4:5], s[6:7], 2
	s_add_u32 s4, s10, s4
	s_addc_u32 s5, s11, s5
	v_mov_b32_e32 v111, 0
	global_load_dword v111, v111, s[4:5]
	s_waitcnt vmcnt(0)
	v_cmp_ne_u32_e32 vcc, 0, v111
	s_cbranch_vccz .LBB54_229
.LBB54_228:
	s_endpgm
.LBB54_229:
	v_mov_b32_e32 v111, 0x1c0
	v_lshl_add_u32 v111, v0, 3, v111
	v_cmp_eq_u32_e32 vcc, 54, v0
	s_and_saveexec_b64 s[4:5], vcc
	s_cbranch_execz .LBB54_231
; %bb.230:
	buffer_load_dword v112, off, s[0:3], 0 offset:424
	buffer_load_dword v113, off, s[0:3], 0 offset:428
	v_mov_b32_e32 v114, 0
	buffer_store_dword v114, off, s[0:3], 0 offset:424
	buffer_store_dword v114, off, s[0:3], 0 offset:428
	s_waitcnt vmcnt(2)
	ds_write_b64 v111, v[112:113]
.LBB54_231:
	s_or_b64 exec, exec, s[4:5]
	s_waitcnt lgkmcnt(0)
	; wave barrier
	buffer_load_dword v113, off, s[0:3], 0 offset:432
	buffer_load_dword v114, off, s[0:3], 0 offset:436
	;; [unrolled: 1-line block ×4, first 2 shown]
	v_mov_b32_e32 v112, 0
	ds_read_b64 v[117:118], v112 offset:880
	v_cmp_lt_u32_e32 vcc, 52, v0
	s_waitcnt vmcnt(2) lgkmcnt(0)
	v_fma_f64 v[113:114], v[113:114], v[117:118], 0
	s_waitcnt vmcnt(0)
	v_add_f64 v[113:114], v[115:116], -v[113:114]
	buffer_store_dword v113, off, s[0:3], 0 offset:424
	buffer_store_dword v114, off, s[0:3], 0 offset:428
	s_and_saveexec_b64 s[4:5], vcc
	s_cbranch_execz .LBB54_233
; %bb.232:
	buffer_load_dword v113, off, s[0:3], 0 offset:416
	buffer_load_dword v114, off, s[0:3], 0 offset:420
	s_waitcnt vmcnt(0)
	ds_write_b64 v111, v[113:114]
	buffer_store_dword v112, off, s[0:3], 0 offset:416
	buffer_store_dword v112, off, s[0:3], 0 offset:420
.LBB54_233:
	s_or_b64 exec, exec, s[4:5]
	s_waitcnt lgkmcnt(0)
	; wave barrier
	buffer_load_dword v116, off, s[0:3], 0 offset:424
	buffer_load_dword v117, off, s[0:3], 0 offset:428
	buffer_load_dword v118, off, s[0:3], 0 offset:432
	buffer_load_dword v119, off, s[0:3], 0 offset:436
	buffer_load_dword v120, off, s[0:3], 0 offset:416
	buffer_load_dword v121, off, s[0:3], 0 offset:420
	ds_read2_b64 v[112:115], v112 offset0:109 offset1:110
	v_cmp_lt_u32_e32 vcc, 51, v0
	s_waitcnt vmcnt(4) lgkmcnt(0)
	v_fma_f64 v[112:113], v[116:117], v[112:113], 0
	s_waitcnt vmcnt(2)
	v_fma_f64 v[112:113], v[118:119], v[114:115], v[112:113]
	s_waitcnt vmcnt(0)
	v_add_f64 v[112:113], v[120:121], -v[112:113]
	buffer_store_dword v112, off, s[0:3], 0 offset:416
	buffer_store_dword v113, off, s[0:3], 0 offset:420
	s_and_saveexec_b64 s[4:5], vcc
	s_cbranch_execz .LBB54_235
; %bb.234:
	buffer_load_dword v112, off, s[0:3], 0 offset:408
	buffer_load_dword v113, off, s[0:3], 0 offset:412
	v_mov_b32_e32 v114, 0
	buffer_store_dword v114, off, s[0:3], 0 offset:408
	buffer_store_dword v114, off, s[0:3], 0 offset:412
	s_waitcnt vmcnt(2)
	ds_write_b64 v111, v[112:113]
.LBB54_235:
	s_or_b64 exec, exec, s[4:5]
	s_waitcnt lgkmcnt(0)
	; wave barrier
	buffer_load_dword v117, off, s[0:3], 0 offset:416
	buffer_load_dword v118, off, s[0:3], 0 offset:420
	buffer_load_dword v119, off, s[0:3], 0 offset:424
	buffer_load_dword v120, off, s[0:3], 0 offset:428
	buffer_load_dword v121, off, s[0:3], 0 offset:432
	buffer_load_dword v122, off, s[0:3], 0 offset:436
	buffer_load_dword v123, off, s[0:3], 0 offset:408
	buffer_load_dword v124, off, s[0:3], 0 offset:412
	v_mov_b32_e32 v112, 0
	ds_read_b128 v[113:116], v112 offset:864
	v_cmp_lt_u32_e32 vcc, 50, v0
	s_waitcnt vmcnt(6) lgkmcnt(0)
	v_fma_f64 v[113:114], v[117:118], v[113:114], 0
	s_waitcnt vmcnt(4)
	v_fma_f64 v[113:114], v[119:120], v[115:116], v[113:114]
	ds_read_b64 v[115:116], v112 offset:880
	s_waitcnt vmcnt(2) lgkmcnt(0)
	v_fma_f64 v[113:114], v[121:122], v[115:116], v[113:114]
	s_waitcnt vmcnt(0)
	v_add_f64 v[113:114], v[123:124], -v[113:114]
	buffer_store_dword v113, off, s[0:3], 0 offset:408
	buffer_store_dword v114, off, s[0:3], 0 offset:412
	s_and_saveexec_b64 s[4:5], vcc
	s_cbranch_execz .LBB54_237
; %bb.236:
	buffer_load_dword v113, off, s[0:3], 0 offset:400
	buffer_load_dword v114, off, s[0:3], 0 offset:404
	s_waitcnt vmcnt(0)
	ds_write_b64 v111, v[113:114]
	buffer_store_dword v112, off, s[0:3], 0 offset:400
	buffer_store_dword v112, off, s[0:3], 0 offset:404
.LBB54_237:
	s_or_b64 exec, exec, s[4:5]
	s_waitcnt lgkmcnt(0)
	; wave barrier
	buffer_load_dword v117, off, s[0:3], 0 offset:408
	buffer_load_dword v118, off, s[0:3], 0 offset:412
	;; [unrolled: 1-line block ×10, first 2 shown]
	ds_read2_b64 v[113:116], v112 offset0:107 offset1:108
	v_cmp_lt_u32_e32 vcc, 49, v0
	s_waitcnt vmcnt(8) lgkmcnt(0)
	v_fma_f64 v[113:114], v[117:118], v[113:114], 0
	s_waitcnt vmcnt(6)
	v_fma_f64 v[116:117], v[119:120], v[115:116], v[113:114]
	ds_read2_b64 v[112:115], v112 offset0:109 offset1:110
	s_waitcnt vmcnt(4) lgkmcnt(0)
	v_fma_f64 v[112:113], v[121:122], v[112:113], v[116:117]
	s_waitcnt vmcnt(2)
	v_fma_f64 v[112:113], v[123:124], v[114:115], v[112:113]
	s_waitcnt vmcnt(0)
	v_add_f64 v[112:113], v[125:126], -v[112:113]
	buffer_store_dword v112, off, s[0:3], 0 offset:400
	buffer_store_dword v113, off, s[0:3], 0 offset:404
	s_and_saveexec_b64 s[4:5], vcc
	s_cbranch_execz .LBB54_239
; %bb.238:
	buffer_load_dword v112, off, s[0:3], 0 offset:392
	buffer_load_dword v113, off, s[0:3], 0 offset:396
	v_mov_b32_e32 v114, 0
	buffer_store_dword v114, off, s[0:3], 0 offset:392
	buffer_store_dword v114, off, s[0:3], 0 offset:396
	s_waitcnt vmcnt(2)
	ds_write_b64 v111, v[112:113]
.LBB54_239:
	s_or_b64 exec, exec, s[4:5]
	s_waitcnt lgkmcnt(0)
	; wave barrier
	buffer_load_dword v121, off, s[0:3], 0 offset:400
	buffer_load_dword v122, off, s[0:3], 0 offset:404
	;; [unrolled: 1-line block ×12, first 2 shown]
	v_mov_b32_e32 v112, 0
	ds_read_b128 v[113:116], v112 offset:848
	ds_read_b128 v[117:120], v112 offset:864
	v_cmp_lt_u32_e32 vcc, 48, v0
	s_waitcnt vmcnt(10) lgkmcnt(1)
	v_fma_f64 v[113:114], v[121:122], v[113:114], 0
	s_waitcnt vmcnt(8)
	v_fma_f64 v[113:114], v[123:124], v[115:116], v[113:114]
	ds_read_b64 v[115:116], v112 offset:880
	s_waitcnt vmcnt(6) lgkmcnt(1)
	v_fma_f64 v[113:114], v[125:126], v[117:118], v[113:114]
	s_waitcnt vmcnt(4)
	v_fma_f64 v[113:114], v[127:128], v[119:120], v[113:114]
	s_waitcnt vmcnt(2) lgkmcnt(0)
	v_fma_f64 v[113:114], v[129:130], v[115:116], v[113:114]
	s_waitcnt vmcnt(0)
	v_add_f64 v[113:114], v[131:132], -v[113:114]
	buffer_store_dword v113, off, s[0:3], 0 offset:392
	buffer_store_dword v114, off, s[0:3], 0 offset:396
	s_and_saveexec_b64 s[4:5], vcc
	s_cbranch_execz .LBB54_241
; %bb.240:
	buffer_load_dword v113, off, s[0:3], 0 offset:384
	buffer_load_dword v114, off, s[0:3], 0 offset:388
	s_waitcnt vmcnt(0)
	ds_write_b64 v111, v[113:114]
	buffer_store_dword v112, off, s[0:3], 0 offset:384
	buffer_store_dword v112, off, s[0:3], 0 offset:388
.LBB54_241:
	s_or_b64 exec, exec, s[4:5]
	s_waitcnt lgkmcnt(0)
	; wave barrier
	buffer_load_dword v121, off, s[0:3], 0 offset:392
	buffer_load_dword v122, off, s[0:3], 0 offset:396
	;; [unrolled: 1-line block ×14, first 2 shown]
	ds_read2_b64 v[113:116], v112 offset0:105 offset1:106
	ds_read2_b64 v[117:120], v112 offset0:107 offset1:108
	v_cmp_lt_u32_e32 vcc, 47, v0
	s_waitcnt vmcnt(12) lgkmcnt(1)
	v_fma_f64 v[113:114], v[121:122], v[113:114], 0
	s_waitcnt vmcnt(10)
	v_fma_f64 v[113:114], v[123:124], v[115:116], v[113:114]
	s_waitcnt vmcnt(8) lgkmcnt(0)
	v_fma_f64 v[113:114], v[125:126], v[117:118], v[113:114]
	s_waitcnt vmcnt(6)
	v_fma_f64 v[116:117], v[127:128], v[119:120], v[113:114]
	ds_read2_b64 v[112:115], v112 offset0:109 offset1:110
	s_waitcnt vmcnt(4) lgkmcnt(0)
	v_fma_f64 v[112:113], v[129:130], v[112:113], v[116:117]
	s_waitcnt vmcnt(2)
	v_fma_f64 v[112:113], v[131:132], v[114:115], v[112:113]
	s_waitcnt vmcnt(0)
	v_add_f64 v[112:113], v[133:134], -v[112:113]
	buffer_store_dword v112, off, s[0:3], 0 offset:384
	buffer_store_dword v113, off, s[0:3], 0 offset:388
	s_and_saveexec_b64 s[4:5], vcc
	s_cbranch_execz .LBB54_243
; %bb.242:
	buffer_load_dword v112, off, s[0:3], 0 offset:376
	buffer_load_dword v113, off, s[0:3], 0 offset:380
	v_mov_b32_e32 v114, 0
	buffer_store_dword v114, off, s[0:3], 0 offset:376
	buffer_store_dword v114, off, s[0:3], 0 offset:380
	s_waitcnt vmcnt(2)
	ds_write_b64 v111, v[112:113]
.LBB54_243:
	s_or_b64 exec, exec, s[4:5]
	s_waitcnt lgkmcnt(0)
	; wave barrier
	buffer_load_dword v121, off, s[0:3], 0 offset:384
	buffer_load_dword v122, off, s[0:3], 0 offset:388
	;; [unrolled: 1-line block ×16, first 2 shown]
	v_mov_b32_e32 v112, 0
	ds_read_b128 v[113:116], v112 offset:832
	ds_read_b128 v[117:120], v112 offset:848
	v_cmp_lt_u32_e32 vcc, 46, v0
	s_waitcnt vmcnt(14) lgkmcnt(1)
	v_fma_f64 v[113:114], v[121:122], v[113:114], 0
	s_waitcnt vmcnt(12)
	v_fma_f64 v[113:114], v[123:124], v[115:116], v[113:114]
	s_waitcnt vmcnt(10) lgkmcnt(0)
	v_fma_f64 v[113:114], v[125:126], v[117:118], v[113:114]
	s_waitcnt vmcnt(8)
	v_fma_f64 v[117:118], v[127:128], v[119:120], v[113:114]
	ds_read_b128 v[113:116], v112 offset:864
	ds_read_b64 v[119:120], v112 offset:880
	s_waitcnt vmcnt(6) lgkmcnt(1)
	v_fma_f64 v[113:114], v[129:130], v[113:114], v[117:118]
	s_waitcnt vmcnt(4)
	v_fma_f64 v[113:114], v[131:132], v[115:116], v[113:114]
	s_waitcnt vmcnt(2) lgkmcnt(0)
	v_fma_f64 v[113:114], v[133:134], v[119:120], v[113:114]
	s_waitcnt vmcnt(0)
	v_add_f64 v[113:114], v[135:136], -v[113:114]
	buffer_store_dword v113, off, s[0:3], 0 offset:376
	buffer_store_dword v114, off, s[0:3], 0 offset:380
	s_and_saveexec_b64 s[4:5], vcc
	s_cbranch_execz .LBB54_245
; %bb.244:
	buffer_load_dword v113, off, s[0:3], 0 offset:368
	buffer_load_dword v114, off, s[0:3], 0 offset:372
	s_waitcnt vmcnt(0)
	ds_write_b64 v111, v[113:114]
	buffer_store_dword v112, off, s[0:3], 0 offset:368
	buffer_store_dword v112, off, s[0:3], 0 offset:372
.LBB54_245:
	s_or_b64 exec, exec, s[4:5]
	s_waitcnt lgkmcnt(0)
	; wave barrier
	buffer_load_dword v121, off, s[0:3], 0 offset:376
	buffer_load_dword v122, off, s[0:3], 0 offset:380
	;; [unrolled: 1-line block ×18, first 2 shown]
	ds_read2_b64 v[113:116], v112 offset0:103 offset1:104
	ds_read2_b64 v[117:120], v112 offset0:105 offset1:106
	v_cmp_lt_u32_e32 vcc, 45, v0
	s_waitcnt vmcnt(16) lgkmcnt(1)
	v_fma_f64 v[113:114], v[121:122], v[113:114], 0
	s_waitcnt vmcnt(14)
	v_fma_f64 v[113:114], v[123:124], v[115:116], v[113:114]
	s_waitcnt vmcnt(12) lgkmcnt(0)
	v_fma_f64 v[113:114], v[125:126], v[117:118], v[113:114]
	s_waitcnt vmcnt(10)
	v_fma_f64 v[121:122], v[127:128], v[119:120], v[113:114]
	ds_read2_b64 v[113:116], v112 offset0:107 offset1:108
	ds_read2_b64 v[117:120], v112 offset0:109 offset1:110
	s_waitcnt vmcnt(8) lgkmcnt(1)
	v_fma_f64 v[112:113], v[129:130], v[113:114], v[121:122]
	s_waitcnt vmcnt(6)
	v_fma_f64 v[112:113], v[131:132], v[115:116], v[112:113]
	s_waitcnt vmcnt(4) lgkmcnt(0)
	v_fma_f64 v[112:113], v[133:134], v[117:118], v[112:113]
	s_waitcnt vmcnt(2)
	v_fma_f64 v[112:113], v[135:136], v[119:120], v[112:113]
	s_waitcnt vmcnt(0)
	v_add_f64 v[112:113], v[137:138], -v[112:113]
	buffer_store_dword v112, off, s[0:3], 0 offset:368
	buffer_store_dword v113, off, s[0:3], 0 offset:372
	s_and_saveexec_b64 s[4:5], vcc
	s_cbranch_execz .LBB54_247
; %bb.246:
	buffer_load_dword v112, off, s[0:3], 0 offset:360
	buffer_load_dword v113, off, s[0:3], 0 offset:364
	v_mov_b32_e32 v114, 0
	buffer_store_dword v114, off, s[0:3], 0 offset:360
	buffer_store_dword v114, off, s[0:3], 0 offset:364
	s_waitcnt vmcnt(2)
	ds_write_b64 v111, v[112:113]
.LBB54_247:
	s_or_b64 exec, exec, s[4:5]
	s_waitcnt lgkmcnt(0)
	; wave barrier
	buffer_load_dword v121, off, s[0:3], 0 offset:368
	buffer_load_dword v122, off, s[0:3], 0 offset:372
	;; [unrolled: 1-line block ×20, first 2 shown]
	v_mov_b32_e32 v112, 0
	ds_read_b128 v[113:116], v112 offset:816
	ds_read_b128 v[117:120], v112 offset:832
	v_cmp_lt_u32_e32 vcc, 44, v0
	s_waitcnt vmcnt(18) lgkmcnt(1)
	v_fma_f64 v[113:114], v[121:122], v[113:114], 0
	s_waitcnt vmcnt(16)
	v_fma_f64 v[113:114], v[123:124], v[115:116], v[113:114]
	s_waitcnt vmcnt(14) lgkmcnt(0)
	v_fma_f64 v[113:114], v[125:126], v[117:118], v[113:114]
	s_waitcnt vmcnt(12)
	v_fma_f64 v[121:122], v[127:128], v[119:120], v[113:114]
	ds_read_b128 v[113:116], v112 offset:848
	ds_read_b128 v[117:120], v112 offset:864
	s_waitcnt vmcnt(10) lgkmcnt(1)
	v_fma_f64 v[113:114], v[129:130], v[113:114], v[121:122]
	s_waitcnt vmcnt(8)
	v_fma_f64 v[113:114], v[131:132], v[115:116], v[113:114]
	ds_read_b64 v[115:116], v112 offset:880
	s_waitcnt vmcnt(6) lgkmcnt(1)
	v_fma_f64 v[113:114], v[133:134], v[117:118], v[113:114]
	s_waitcnt vmcnt(3)
	v_fma_f64 v[113:114], v[135:136], v[119:120], v[113:114]
	s_waitcnt vmcnt(2) lgkmcnt(0)
	v_fma_f64 v[113:114], v[137:138], v[115:116], v[113:114]
	s_waitcnt vmcnt(0)
	v_add_f64 v[113:114], v[139:140], -v[113:114]
	buffer_store_dword v113, off, s[0:3], 0 offset:360
	buffer_store_dword v114, off, s[0:3], 0 offset:364
	s_and_saveexec_b64 s[4:5], vcc
	s_cbranch_execz .LBB54_249
; %bb.248:
	buffer_load_dword v113, off, s[0:3], 0 offset:352
	buffer_load_dword v114, off, s[0:3], 0 offset:356
	s_waitcnt vmcnt(0)
	ds_write_b64 v111, v[113:114]
	buffer_store_dword v112, off, s[0:3], 0 offset:352
	buffer_store_dword v112, off, s[0:3], 0 offset:356
.LBB54_249:
	s_or_b64 exec, exec, s[4:5]
	s_waitcnt lgkmcnt(0)
	; wave barrier
	buffer_load_dword v121, off, s[0:3], 0 offset:360
	buffer_load_dword v122, off, s[0:3], 0 offset:364
	;; [unrolled: 1-line block ×20, first 2 shown]
	ds_read2_b64 v[113:116], v112 offset0:101 offset1:102
	buffer_load_dword v141, off, s[0:3], 0 offset:352
	buffer_load_dword v142, off, s[0:3], 0 offset:356
	ds_read2_b64 v[117:120], v112 offset0:103 offset1:104
	v_cmp_lt_u32_e32 vcc, 43, v0
	s_waitcnt vmcnt(20) lgkmcnt(1)
	v_fma_f64 v[113:114], v[121:122], v[113:114], 0
	s_waitcnt vmcnt(18)
	v_fma_f64 v[113:114], v[123:124], v[115:116], v[113:114]
	s_waitcnt vmcnt(16) lgkmcnt(0)
	v_fma_f64 v[113:114], v[125:126], v[117:118], v[113:114]
	s_waitcnt vmcnt(14)
	v_fma_f64 v[121:122], v[127:128], v[119:120], v[113:114]
	ds_read2_b64 v[113:116], v112 offset0:105 offset1:106
	ds_read2_b64 v[117:120], v112 offset0:107 offset1:108
	s_waitcnt vmcnt(12) lgkmcnt(1)
	v_fma_f64 v[113:114], v[129:130], v[113:114], v[121:122]
	s_waitcnt vmcnt(10)
	v_fma_f64 v[113:114], v[131:132], v[115:116], v[113:114]
	s_waitcnt vmcnt(8) lgkmcnt(0)
	v_fma_f64 v[113:114], v[133:134], v[117:118], v[113:114]
	s_waitcnt vmcnt(4)
	v_fma_f64 v[116:117], v[135:136], v[119:120], v[113:114]
	ds_read2_b64 v[112:115], v112 offset0:109 offset1:110
	s_waitcnt vmcnt(3) lgkmcnt(0)
	v_fma_f64 v[112:113], v[139:140], v[112:113], v[116:117]
	s_waitcnt vmcnt(2)
	v_fma_f64 v[112:113], v[137:138], v[114:115], v[112:113]
	s_waitcnt vmcnt(0)
	v_add_f64 v[112:113], v[141:142], -v[112:113]
	buffer_store_dword v112, off, s[0:3], 0 offset:352
	buffer_store_dword v113, off, s[0:3], 0 offset:356
	s_and_saveexec_b64 s[4:5], vcc
	s_cbranch_execz .LBB54_251
; %bb.250:
	buffer_load_dword v112, off, s[0:3], 0 offset:344
	buffer_load_dword v113, off, s[0:3], 0 offset:348
	v_mov_b32_e32 v114, 0
	buffer_store_dword v114, off, s[0:3], 0 offset:344
	buffer_store_dword v114, off, s[0:3], 0 offset:348
	s_waitcnt vmcnt(2)
	ds_write_b64 v111, v[112:113]
.LBB54_251:
	s_or_b64 exec, exec, s[4:5]
	s_waitcnt lgkmcnt(0)
	; wave barrier
	buffer_load_dword v121, off, s[0:3], 0 offset:352
	buffer_load_dword v122, off, s[0:3], 0 offset:356
	;; [unrolled: 1-line block ×21, first 2 shown]
	v_mov_b32_e32 v112, 0
	ds_read_b128 v[113:116], v112 offset:800
	ds_read_b128 v[117:120], v112 offset:816
	buffer_load_dword v138, off, s[0:3], 0 offset:436
	v_cmp_lt_u32_e32 vcc, 42, v0
	s_waitcnt vmcnt(20) lgkmcnt(1)
	v_fma_f64 v[113:114], v[121:122], v[113:114], 0
	buffer_load_dword v121, off, s[0:3], 0 offset:344
	buffer_load_dword v122, off, s[0:3], 0 offset:348
	s_waitcnt vmcnt(20)
	v_fma_f64 v[113:114], v[123:124], v[115:116], v[113:114]
	s_waitcnt vmcnt(18) lgkmcnt(0)
	v_fma_f64 v[113:114], v[125:126], v[117:118], v[113:114]
	s_waitcnt vmcnt(16)
	v_fma_f64 v[123:124], v[127:128], v[119:120], v[113:114]
	ds_read_b128 v[113:116], v112 offset:832
	ds_read_b128 v[117:120], v112 offset:848
	s_waitcnt vmcnt(14) lgkmcnt(1)
	v_fma_f64 v[113:114], v[129:130], v[113:114], v[123:124]
	s_waitcnt vmcnt(12)
	v_fma_f64 v[113:114], v[131:132], v[115:116], v[113:114]
	s_waitcnt vmcnt(10) lgkmcnt(0)
	v_fma_f64 v[113:114], v[133:134], v[117:118], v[113:114]
	s_waitcnt vmcnt(5)
	v_fma_f64 v[117:118], v[135:136], v[119:120], v[113:114]
	ds_read_b128 v[113:116], v112 offset:864
	ds_read_b64 v[119:120], v112 offset:880
	s_waitcnt vmcnt(4) lgkmcnt(1)
	v_fma_f64 v[113:114], v[141:142], v[113:114], v[117:118]
	s_waitcnt vmcnt(3)
	v_fma_f64 v[113:114], v[139:140], v[115:116], v[113:114]
	s_waitcnt vmcnt(2) lgkmcnt(0)
	v_fma_f64 v[113:114], v[137:138], v[119:120], v[113:114]
	s_waitcnt vmcnt(0)
	v_add_f64 v[113:114], v[121:122], -v[113:114]
	buffer_store_dword v114, off, s[0:3], 0 offset:348
	buffer_store_dword v113, off, s[0:3], 0 offset:344
	s_and_saveexec_b64 s[4:5], vcc
	s_cbranch_execz .LBB54_253
; %bb.252:
	buffer_load_dword v113, off, s[0:3], 0 offset:336
	buffer_load_dword v114, off, s[0:3], 0 offset:340
	s_waitcnt vmcnt(0)
	ds_write_b64 v111, v[113:114]
	buffer_store_dword v112, off, s[0:3], 0 offset:336
	buffer_store_dword v112, off, s[0:3], 0 offset:340
.LBB54_253:
	s_or_b64 exec, exec, s[4:5]
	s_waitcnt lgkmcnt(0)
	; wave barrier
	buffer_load_dword v121, off, s[0:3], 0 offset:344
	buffer_load_dword v122, off, s[0:3], 0 offset:348
	;; [unrolled: 1-line block ×21, first 2 shown]
	ds_read2_b64 v[113:116], v112 offset0:99 offset1:100
	ds_read2_b64 v[117:120], v112 offset0:101 offset1:102
	buffer_load_dword v138, off, s[0:3], 0 offset:428
	v_cmp_lt_u32_e32 vcc, 41, v0
	s_waitcnt vmcnt(20) lgkmcnt(1)
	v_fma_f64 v[113:114], v[121:122], v[113:114], 0
	buffer_load_dword v122, off, s[0:3], 0 offset:436
	buffer_load_dword v121, off, s[0:3], 0 offset:432
	s_waitcnt vmcnt(20)
	v_fma_f64 v[113:114], v[123:124], v[115:116], v[113:114]
	buffer_load_dword v123, off, s[0:3], 0 offset:336
	buffer_load_dword v124, off, s[0:3], 0 offset:340
	s_waitcnt vmcnt(20) lgkmcnt(0)
	v_fma_f64 v[113:114], v[125:126], v[117:118], v[113:114]
	s_waitcnt vmcnt(18)
	v_fma_f64 v[125:126], v[127:128], v[119:120], v[113:114]
	ds_read2_b64 v[113:116], v112 offset0:103 offset1:104
	ds_read2_b64 v[117:120], v112 offset0:105 offset1:106
	s_waitcnt vmcnt(16) lgkmcnt(1)
	v_fma_f64 v[113:114], v[129:130], v[113:114], v[125:126]
	s_waitcnt vmcnt(14)
	v_fma_f64 v[113:114], v[131:132], v[115:116], v[113:114]
	s_waitcnt vmcnt(12) lgkmcnt(0)
	v_fma_f64 v[113:114], v[133:134], v[117:118], v[113:114]
	s_waitcnt vmcnt(7)
	v_fma_f64 v[125:126], v[135:136], v[119:120], v[113:114]
	ds_read2_b64 v[113:116], v112 offset0:107 offset1:108
	ds_read2_b64 v[117:120], v112 offset0:109 offset1:110
	s_waitcnt vmcnt(6) lgkmcnt(1)
	v_fma_f64 v[112:113], v[141:142], v[113:114], v[125:126]
	s_waitcnt vmcnt(5)
	v_fma_f64 v[112:113], v[139:140], v[115:116], v[112:113]
	s_waitcnt vmcnt(4) lgkmcnt(0)
	v_fma_f64 v[112:113], v[137:138], v[117:118], v[112:113]
	s_waitcnt vmcnt(2)
	v_fma_f64 v[112:113], v[121:122], v[119:120], v[112:113]
	s_waitcnt vmcnt(0)
	v_add_f64 v[112:113], v[123:124], -v[112:113]
	buffer_store_dword v113, off, s[0:3], 0 offset:340
	buffer_store_dword v112, off, s[0:3], 0 offset:336
	s_and_saveexec_b64 s[4:5], vcc
	s_cbranch_execz .LBB54_255
; %bb.254:
	buffer_load_dword v112, off, s[0:3], 0 offset:328
	buffer_load_dword v113, off, s[0:3], 0 offset:332
	v_mov_b32_e32 v114, 0
	buffer_store_dword v114, off, s[0:3], 0 offset:328
	buffer_store_dword v114, off, s[0:3], 0 offset:332
	s_waitcnt vmcnt(2)
	ds_write_b64 v111, v[112:113]
.LBB54_255:
	s_or_b64 exec, exec, s[4:5]
	s_waitcnt lgkmcnt(0)
	; wave barrier
	buffer_load_dword v121, off, s[0:3], 0 offset:336
	buffer_load_dword v122, off, s[0:3], 0 offset:340
	;; [unrolled: 1-line block ×21, first 2 shown]
	v_mov_b32_e32 v112, 0
	ds_read_b128 v[113:116], v112 offset:784
	ds_read_b128 v[117:120], v112 offset:800
	buffer_load_dword v138, off, s[0:3], 0 offset:420
	v_cmp_lt_u32_e32 vcc, 40, v0
	s_waitcnt vmcnt(20) lgkmcnt(1)
	v_fma_f64 v[113:114], v[121:122], v[113:114], 0
	s_waitcnt vmcnt(18)
	v_fma_f64 v[113:114], v[123:124], v[115:116], v[113:114]
	buffer_load_dword v122, off, s[0:3], 0 offset:428
	buffer_load_dword v123, off, s[0:3], 0 offset:432
	;; [unrolled: 1-line block ×4, first 2 shown]
	s_waitcnt vmcnt(20) lgkmcnt(0)
	v_fma_f64 v[113:114], v[125:126], v[117:118], v[113:114]
	buffer_load_dword v125, off, s[0:3], 0 offset:328
	buffer_load_dword v126, off, s[0:3], 0 offset:332
	s_waitcnt vmcnt(20)
	v_fma_f64 v[127:128], v[127:128], v[119:120], v[113:114]
	ds_read_b128 v[113:116], v112 offset:816
	ds_read_b128 v[117:120], v112 offset:832
	s_waitcnt vmcnt(18) lgkmcnt(1)
	v_fma_f64 v[113:114], v[129:130], v[113:114], v[127:128]
	s_waitcnt vmcnt(16)
	v_fma_f64 v[113:114], v[131:132], v[115:116], v[113:114]
	s_waitcnt vmcnt(14) lgkmcnt(0)
	v_fma_f64 v[113:114], v[133:134], v[117:118], v[113:114]
	s_waitcnt vmcnt(9)
	v_fma_f64 v[127:128], v[135:136], v[119:120], v[113:114]
	ds_read_b128 v[113:116], v112 offset:848
	ds_read_b128 v[117:120], v112 offset:864
	s_waitcnt vmcnt(8) lgkmcnt(1)
	v_fma_f64 v[113:114], v[141:142], v[113:114], v[127:128]
	s_waitcnt vmcnt(7)
	v_fma_f64 v[113:114], v[139:140], v[115:116], v[113:114]
	ds_read_b64 v[115:116], v112 offset:880
	s_waitcnt vmcnt(6) lgkmcnt(1)
	v_fma_f64 v[113:114], v[137:138], v[117:118], v[113:114]
	s_waitcnt vmcnt(3)
	v_fma_f64 v[113:114], v[121:122], v[119:120], v[113:114]
	s_waitcnt vmcnt(2) lgkmcnt(0)
	v_fma_f64 v[113:114], v[123:124], v[115:116], v[113:114]
	s_waitcnt vmcnt(0)
	v_add_f64 v[113:114], v[125:126], -v[113:114]
	buffer_store_dword v114, off, s[0:3], 0 offset:332
	buffer_store_dword v113, off, s[0:3], 0 offset:328
	s_and_saveexec_b64 s[4:5], vcc
	s_cbranch_execz .LBB54_257
; %bb.256:
	buffer_load_dword v113, off, s[0:3], 0 offset:320
	buffer_load_dword v114, off, s[0:3], 0 offset:324
	s_waitcnt vmcnt(0)
	ds_write_b64 v111, v[113:114]
	buffer_store_dword v112, off, s[0:3], 0 offset:320
	buffer_store_dword v112, off, s[0:3], 0 offset:324
.LBB54_257:
	s_or_b64 exec, exec, s[4:5]
	s_waitcnt lgkmcnt(0)
	; wave barrier
	buffer_load_dword v121, off, s[0:3], 0 offset:328
	buffer_load_dword v122, off, s[0:3], 0 offset:332
	;; [unrolled: 1-line block ×22, first 2 shown]
	ds_read2_b64 v[113:116], v112 offset0:97 offset1:98
	ds_read2_b64 v[117:120], v112 offset0:99 offset1:100
	v_cmp_lt_u32_e32 vcc, 39, v0
	s_waitcnt vmcnt(20) lgkmcnt(1)
	v_fma_f64 v[113:114], v[121:122], v[113:114], 0
	s_waitcnt vmcnt(18)
	v_fma_f64 v[113:114], v[123:124], v[115:116], v[113:114]
	buffer_load_dword v122, off, s[0:3], 0 offset:420
	buffer_load_dword v123, off, s[0:3], 0 offset:432
	;; [unrolled: 1-line block ×6, first 2 shown]
	s_waitcnt vmcnt(22) lgkmcnt(0)
	v_fma_f64 v[113:114], v[125:126], v[117:118], v[113:114]
	s_waitcnt vmcnt(20)
	v_fma_f64 v[125:126], v[127:128], v[119:120], v[113:114]
	ds_read2_b64 v[113:116], v112 offset0:101 offset1:102
	buffer_load_dword v127, off, s[0:3], 0 offset:320
	buffer_load_dword v128, off, s[0:3], 0 offset:324
	ds_read2_b64 v[117:120], v112 offset0:103 offset1:104
	s_waitcnt vmcnt(20) lgkmcnt(1)
	v_fma_f64 v[113:114], v[129:130], v[113:114], v[125:126]
	s_waitcnt vmcnt(18)
	v_fma_f64 v[113:114], v[131:132], v[115:116], v[113:114]
	s_waitcnt vmcnt(16) lgkmcnt(0)
	v_fma_f64 v[113:114], v[133:134], v[117:118], v[113:114]
	s_waitcnt vmcnt(11)
	v_fma_f64 v[125:126], v[135:136], v[119:120], v[113:114]
	ds_read2_b64 v[113:116], v112 offset0:105 offset1:106
	ds_read2_b64 v[117:120], v112 offset0:107 offset1:108
	s_waitcnt vmcnt(10) lgkmcnt(1)
	v_fma_f64 v[113:114], v[141:142], v[113:114], v[125:126]
	s_waitcnt vmcnt(9)
	v_fma_f64 v[113:114], v[139:140], v[115:116], v[113:114]
	s_waitcnt vmcnt(8) lgkmcnt(0)
	v_fma_f64 v[113:114], v[137:138], v[117:118], v[113:114]
	s_waitcnt vmcnt(4)
	v_fma_f64 v[116:117], v[121:122], v[119:120], v[113:114]
	ds_read2_b64 v[112:115], v112 offset0:109 offset1:110
	s_waitcnt vmcnt(3) lgkmcnt(0)
	v_fma_f64 v[112:113], v[143:144], v[112:113], v[116:117]
	s_waitcnt vmcnt(2)
	v_fma_f64 v[112:113], v[123:124], v[114:115], v[112:113]
	s_waitcnt vmcnt(0)
	v_add_f64 v[112:113], v[127:128], -v[112:113]
	buffer_store_dword v113, off, s[0:3], 0 offset:324
	buffer_store_dword v112, off, s[0:3], 0 offset:320
	s_and_saveexec_b64 s[4:5], vcc
	s_cbranch_execz .LBB54_259
; %bb.258:
	buffer_load_dword v112, off, s[0:3], 0 offset:312
	buffer_load_dword v113, off, s[0:3], 0 offset:316
	v_mov_b32_e32 v114, 0
	buffer_store_dword v114, off, s[0:3], 0 offset:312
	buffer_store_dword v114, off, s[0:3], 0 offset:316
	s_waitcnt vmcnt(2)
	ds_write_b64 v111, v[112:113]
.LBB54_259:
	s_or_b64 exec, exec, s[4:5]
	s_waitcnt lgkmcnt(0)
	; wave barrier
	buffer_load_dword v121, off, s[0:3], 0 offset:320
	buffer_load_dword v122, off, s[0:3], 0 offset:324
	;; [unrolled: 1-line block ×22, first 2 shown]
	v_mov_b32_e32 v112, 0
	ds_read_b128 v[113:116], v112 offset:768
	ds_read_b128 v[117:120], v112 offset:784
	v_cmp_lt_u32_e32 vcc, 38, v0
	s_waitcnt vmcnt(20) lgkmcnt(1)
	v_fma_f64 v[113:114], v[121:122], v[113:114], 0
	s_waitcnt vmcnt(18)
	v_fma_f64 v[113:114], v[123:124], v[115:116], v[113:114]
	buffer_load_dword v122, off, s[0:3], 0 offset:412
	buffer_load_dword v123, off, s[0:3], 0 offset:432
	;; [unrolled: 1-line block ×8, first 2 shown]
	s_waitcnt vmcnt(24) lgkmcnt(0)
	v_fma_f64 v[113:114], v[125:126], v[117:118], v[113:114]
	s_waitcnt vmcnt(22)
	v_fma_f64 v[125:126], v[127:128], v[119:120], v[113:114]
	ds_read_b128 v[113:116], v112 offset:800
	ds_read_b128 v[117:120], v112 offset:816
	s_waitcnt vmcnt(20) lgkmcnt(1)
	v_fma_f64 v[113:114], v[129:130], v[113:114], v[125:126]
	buffer_load_dword v125, off, s[0:3], 0 offset:312
	buffer_load_dword v126, off, s[0:3], 0 offset:316
	s_waitcnt vmcnt(20)
	v_fma_f64 v[113:114], v[131:132], v[115:116], v[113:114]
	s_waitcnt vmcnt(18) lgkmcnt(0)
	v_fma_f64 v[113:114], v[133:134], v[117:118], v[113:114]
	s_waitcnt vmcnt(13)
	v_fma_f64 v[127:128], v[135:136], v[119:120], v[113:114]
	ds_read_b128 v[113:116], v112 offset:832
	ds_read_b128 v[117:120], v112 offset:848
	s_waitcnt vmcnt(12) lgkmcnt(1)
	v_fma_f64 v[113:114], v[141:142], v[113:114], v[127:128]
	s_waitcnt vmcnt(11)
	v_fma_f64 v[113:114], v[139:140], v[115:116], v[113:114]
	s_waitcnt vmcnt(10) lgkmcnt(0)
	v_fma_f64 v[113:114], v[137:138], v[117:118], v[113:114]
	s_waitcnt vmcnt(5)
	v_fma_f64 v[117:118], v[121:122], v[119:120], v[113:114]
	ds_read_b128 v[113:116], v112 offset:864
	ds_read_b64 v[119:120], v112 offset:880
	s_waitcnt vmcnt(4) lgkmcnt(1)
	v_fma_f64 v[113:114], v[145:146], v[113:114], v[117:118]
	s_waitcnt vmcnt(3)
	v_fma_f64 v[113:114], v[143:144], v[115:116], v[113:114]
	s_waitcnt vmcnt(2) lgkmcnt(0)
	v_fma_f64 v[113:114], v[123:124], v[119:120], v[113:114]
	s_waitcnt vmcnt(0)
	v_add_f64 v[113:114], v[125:126], -v[113:114]
	buffer_store_dword v114, off, s[0:3], 0 offset:316
	buffer_store_dword v113, off, s[0:3], 0 offset:312
	s_and_saveexec_b64 s[4:5], vcc
	s_cbranch_execz .LBB54_261
; %bb.260:
	buffer_load_dword v113, off, s[0:3], 0 offset:304
	buffer_load_dword v114, off, s[0:3], 0 offset:308
	s_waitcnt vmcnt(0)
	ds_write_b64 v111, v[113:114]
	buffer_store_dword v112, off, s[0:3], 0 offset:304
	buffer_store_dword v112, off, s[0:3], 0 offset:308
.LBB54_261:
	s_or_b64 exec, exec, s[4:5]
	s_waitcnt lgkmcnt(0)
	; wave barrier
	buffer_load_dword v121, off, s[0:3], 0 offset:312
	buffer_load_dword v122, off, s[0:3], 0 offset:316
	buffer_load_dword v123, off, s[0:3], 0 offset:320
	buffer_load_dword v124, off, s[0:3], 0 offset:324
	buffer_load_dword v125, off, s[0:3], 0 offset:328
	buffer_load_dword v126, off, s[0:3], 0 offset:332
	buffer_load_dword v127, off, s[0:3], 0 offset:336
	buffer_load_dword v128, off, s[0:3], 0 offset:340
	buffer_load_dword v129, off, s[0:3], 0 offset:344
	buffer_load_dword v130, off, s[0:3], 0 offset:348
	buffer_load_dword v131, off, s[0:3], 0 offset:352
	buffer_load_dword v132, off, s[0:3], 0 offset:356
	buffer_load_dword v133, off, s[0:3], 0 offset:360
	buffer_load_dword v134, off, s[0:3], 0 offset:364
	buffer_load_dword v136, off, s[0:3], 0 offset:372
	buffer_load_dword v137, off, s[0:3], 0 offset:392
	buffer_load_dword v139, off, s[0:3], 0 offset:384
	buffer_load_dword v141, off, s[0:3], 0 offset:376
	buffer_load_dword v135, off, s[0:3], 0 offset:368
	buffer_load_dword v142, off, s[0:3], 0 offset:380
	buffer_load_dword v140, off, s[0:3], 0 offset:388
	buffer_load_dword v138, off, s[0:3], 0 offset:396
	ds_read2_b64 v[113:116], v112 offset0:95 offset1:96
	ds_read2_b64 v[117:120], v112 offset0:97 offset1:98
	v_cmp_lt_u32_e32 vcc, 37, v0
	s_waitcnt vmcnt(20) lgkmcnt(1)
	v_fma_f64 v[113:114], v[121:122], v[113:114], 0
	s_waitcnt vmcnt(18)
	v_fma_f64 v[113:114], v[123:124], v[115:116], v[113:114]
	buffer_load_dword v122, off, s[0:3], 0 offset:404
	buffer_load_dword v123, off, s[0:3], 0 offset:424
	buffer_load_dword v143, off, s[0:3], 0 offset:416
	buffer_load_dword v145, off, s[0:3], 0 offset:408
	buffer_load_dword v121, off, s[0:3], 0 offset:400
	buffer_load_dword v146, off, s[0:3], 0 offset:412
	buffer_load_dword v144, off, s[0:3], 0 offset:420
	buffer_load_dword v124, off, s[0:3], 0 offset:428
	s_waitcnt vmcnt(24) lgkmcnt(0)
	v_fma_f64 v[113:114], v[125:126], v[117:118], v[113:114]
	s_waitcnt vmcnt(22)
	v_fma_f64 v[125:126], v[127:128], v[119:120], v[113:114]
	ds_read2_b64 v[113:116], v112 offset0:99 offset1:100
	ds_read2_b64 v[117:120], v112 offset0:101 offset1:102
	s_waitcnt vmcnt(20) lgkmcnt(1)
	v_fma_f64 v[113:114], v[129:130], v[113:114], v[125:126]
	buffer_load_dword v126, off, s[0:3], 0 offset:436
	buffer_load_dword v125, off, s[0:3], 0 offset:432
	;; [unrolled: 1-line block ×4, first 2 shown]
	s_waitcnt vmcnt(22)
	v_fma_f64 v[113:114], v[131:132], v[115:116], v[113:114]
	s_waitcnt vmcnt(20) lgkmcnt(0)
	v_fma_f64 v[113:114], v[133:134], v[117:118], v[113:114]
	s_waitcnt vmcnt(15)
	v_fma_f64 v[129:130], v[135:136], v[119:120], v[113:114]
	ds_read2_b64 v[113:116], v112 offset0:103 offset1:104
	ds_read2_b64 v[117:120], v112 offset0:105 offset1:106
	s_waitcnt vmcnt(14) lgkmcnt(1)
	v_fma_f64 v[113:114], v[141:142], v[113:114], v[129:130]
	s_waitcnt vmcnt(13)
	v_fma_f64 v[113:114], v[139:140], v[115:116], v[113:114]
	s_waitcnt vmcnt(12) lgkmcnt(0)
	v_fma_f64 v[113:114], v[137:138], v[117:118], v[113:114]
	s_waitcnt vmcnt(7)
	v_fma_f64 v[121:122], v[121:122], v[119:120], v[113:114]
	ds_read2_b64 v[113:116], v112 offset0:107 offset1:108
	ds_read2_b64 v[117:120], v112 offset0:109 offset1:110
	s_waitcnt vmcnt(6) lgkmcnt(1)
	v_fma_f64 v[112:113], v[145:146], v[113:114], v[121:122]
	s_waitcnt vmcnt(5)
	v_fma_f64 v[112:113], v[143:144], v[115:116], v[112:113]
	s_waitcnt vmcnt(4) lgkmcnt(0)
	v_fma_f64 v[112:113], v[123:124], v[117:118], v[112:113]
	s_waitcnt vmcnt(2)
	v_fma_f64 v[112:113], v[125:126], v[119:120], v[112:113]
	s_waitcnt vmcnt(0)
	v_add_f64 v[112:113], v[127:128], -v[112:113]
	buffer_store_dword v113, off, s[0:3], 0 offset:308
	buffer_store_dword v112, off, s[0:3], 0 offset:304
	s_and_saveexec_b64 s[4:5], vcc
	s_cbranch_execz .LBB54_263
; %bb.262:
	buffer_load_dword v112, off, s[0:3], 0 offset:296
	buffer_load_dword v113, off, s[0:3], 0 offset:300
	v_mov_b32_e32 v114, 0
	buffer_store_dword v114, off, s[0:3], 0 offset:296
	buffer_store_dword v114, off, s[0:3], 0 offset:300
	s_waitcnt vmcnt(2)
	ds_write_b64 v111, v[112:113]
.LBB54_263:
	s_or_b64 exec, exec, s[4:5]
	s_waitcnt lgkmcnt(0)
	; wave barrier
	buffer_load_dword v121, off, s[0:3], 0 offset:304
	buffer_load_dword v122, off, s[0:3], 0 offset:308
	;; [unrolled: 1-line block ×22, first 2 shown]
	v_mov_b32_e32 v112, 0
	ds_read_b128 v[113:116], v112 offset:752
	ds_read_b128 v[117:120], v112 offset:768
	v_cmp_lt_u32_e32 vcc, 36, v0
	s_waitcnt vmcnt(20) lgkmcnt(1)
	v_fma_f64 v[113:114], v[121:122], v[113:114], 0
	s_waitcnt vmcnt(18)
	v_fma_f64 v[113:114], v[123:124], v[115:116], v[113:114]
	buffer_load_dword v122, off, s[0:3], 0 offset:396
	buffer_load_dword v123, off, s[0:3], 0 offset:416
	buffer_load_dword v143, off, s[0:3], 0 offset:408
	buffer_load_dword v145, off, s[0:3], 0 offset:400
	buffer_load_dword v121, off, s[0:3], 0 offset:392
	buffer_load_dword v146, off, s[0:3], 0 offset:404
	buffer_load_dword v144, off, s[0:3], 0 offset:412
	s_waitcnt vmcnt(23) lgkmcnt(0)
	v_fma_f64 v[113:114], v[125:126], v[117:118], v[113:114]
	s_waitcnt vmcnt(21)
	v_fma_f64 v[124:125], v[127:128], v[119:120], v[113:114]
	ds_read_b128 v[113:116], v112 offset:784
	ds_read_b128 v[117:120], v112 offset:800
	s_waitcnt vmcnt(19) lgkmcnt(1)
	v_fma_f64 v[113:114], v[129:130], v[113:114], v[124:125]
	buffer_load_dword v124, off, s[0:3], 0 offset:420
	buffer_load_dword v126, off, s[0:3], 0 offset:428
	;; [unrolled: 1-line block ×7, first 2 shown]
	s_waitcnt vmcnt(24)
	v_fma_f64 v[113:114], v[131:132], v[115:116], v[113:114]
	s_waitcnt vmcnt(22) lgkmcnt(0)
	v_fma_f64 v[113:114], v[133:134], v[117:118], v[113:114]
	s_waitcnt vmcnt(17)
	v_fma_f64 v[131:132], v[135:136], v[119:120], v[113:114]
	ds_read_b128 v[113:116], v112 offset:816
	ds_read_b128 v[117:120], v112 offset:832
	s_waitcnt vmcnt(16) lgkmcnt(1)
	v_fma_f64 v[113:114], v[141:142], v[113:114], v[131:132]
	s_waitcnt vmcnt(15)
	v_fma_f64 v[113:114], v[139:140], v[115:116], v[113:114]
	s_waitcnt vmcnt(14) lgkmcnt(0)
	v_fma_f64 v[113:114], v[137:138], v[117:118], v[113:114]
	s_waitcnt vmcnt(9)
	v_fma_f64 v[121:122], v[121:122], v[119:120], v[113:114]
	ds_read_b128 v[113:116], v112 offset:848
	ds_read_b128 v[117:120], v112 offset:864
	s_waitcnt vmcnt(8) lgkmcnt(1)
	v_fma_f64 v[113:114], v[145:146], v[113:114], v[121:122]
	s_waitcnt vmcnt(7)
	v_fma_f64 v[113:114], v[143:144], v[115:116], v[113:114]
	ds_read_b64 v[115:116], v112 offset:880
	s_waitcnt vmcnt(6) lgkmcnt(1)
	v_fma_f64 v[113:114], v[123:124], v[117:118], v[113:114]
	s_waitcnt vmcnt(3)
	v_fma_f64 v[113:114], v[125:126], v[119:120], v[113:114]
	s_waitcnt vmcnt(2) lgkmcnt(0)
	v_fma_f64 v[113:114], v[127:128], v[115:116], v[113:114]
	s_waitcnt vmcnt(0)
	v_add_f64 v[113:114], v[129:130], -v[113:114]
	buffer_store_dword v114, off, s[0:3], 0 offset:300
	buffer_store_dword v113, off, s[0:3], 0 offset:296
	s_and_saveexec_b64 s[4:5], vcc
	s_cbranch_execz .LBB54_265
; %bb.264:
	buffer_load_dword v113, off, s[0:3], 0 offset:288
	buffer_load_dword v114, off, s[0:3], 0 offset:292
	s_waitcnt vmcnt(0)
	ds_write_b64 v111, v[113:114]
	buffer_store_dword v112, off, s[0:3], 0 offset:288
	buffer_store_dword v112, off, s[0:3], 0 offset:292
.LBB54_265:
	s_or_b64 exec, exec, s[4:5]
	s_waitcnt lgkmcnt(0)
	; wave barrier
	buffer_load_dword v121, off, s[0:3], 0 offset:296
	buffer_load_dword v122, off, s[0:3], 0 offset:300
	;; [unrolled: 1-line block ×22, first 2 shown]
	ds_read2_b64 v[113:116], v112 offset0:93 offset1:94
	ds_read2_b64 v[117:120], v112 offset0:95 offset1:96
	v_cmp_lt_u32_e32 vcc, 35, v0
	s_waitcnt vmcnt(20) lgkmcnt(1)
	v_fma_f64 v[113:114], v[121:122], v[113:114], 0
	s_waitcnt vmcnt(18)
	v_fma_f64 v[113:114], v[123:124], v[115:116], v[113:114]
	buffer_load_dword v122, off, s[0:3], 0 offset:388
	buffer_load_dword v123, off, s[0:3], 0 offset:408
	buffer_load_dword v143, off, s[0:3], 0 offset:400
	buffer_load_dword v145, off, s[0:3], 0 offset:392
	buffer_load_dword v121, off, s[0:3], 0 offset:384
	buffer_load_dword v146, off, s[0:3], 0 offset:396
	buffer_load_dword v144, off, s[0:3], 0 offset:404
	s_waitcnt vmcnt(23) lgkmcnt(0)
	v_fma_f64 v[113:114], v[125:126], v[117:118], v[113:114]
	s_waitcnt vmcnt(21)
	v_fma_f64 v[124:125], v[127:128], v[119:120], v[113:114]
	ds_read2_b64 v[113:116], v112 offset0:97 offset1:98
	ds_read2_b64 v[117:120], v112 offset0:99 offset1:100
	s_waitcnt vmcnt(19) lgkmcnt(1)
	v_fma_f64 v[113:114], v[129:130], v[113:114], v[124:125]
	buffer_load_dword v124, off, s[0:3], 0 offset:412
	buffer_load_dword v126, off, s[0:3], 0 offset:420
	;; [unrolled: 1-line block ×7, first 2 shown]
	s_waitcnt vmcnt(24)
	v_fma_f64 v[113:114], v[131:132], v[115:116], v[113:114]
	s_waitcnt vmcnt(22) lgkmcnt(0)
	v_fma_f64 v[113:114], v[133:134], v[117:118], v[113:114]
	s_waitcnt vmcnt(17)
	v_fma_f64 v[131:132], v[135:136], v[119:120], v[113:114]
	ds_read2_b64 v[113:116], v112 offset0:101 offset1:102
	buffer_load_dword v133, off, s[0:3], 0 offset:288
	buffer_load_dword v134, off, s[0:3], 0 offset:292
	ds_read2_b64 v[117:120], v112 offset0:103 offset1:104
	s_waitcnt vmcnt(18) lgkmcnt(1)
	v_fma_f64 v[113:114], v[141:142], v[113:114], v[131:132]
	s_waitcnt vmcnt(17)
	v_fma_f64 v[113:114], v[139:140], v[115:116], v[113:114]
	s_waitcnt vmcnt(16) lgkmcnt(0)
	v_fma_f64 v[113:114], v[137:138], v[117:118], v[113:114]
	s_waitcnt vmcnt(11)
	v_fma_f64 v[121:122], v[121:122], v[119:120], v[113:114]
	ds_read2_b64 v[113:116], v112 offset0:105 offset1:106
	ds_read2_b64 v[117:120], v112 offset0:107 offset1:108
	s_waitcnt vmcnt(10) lgkmcnt(1)
	v_fma_f64 v[113:114], v[145:146], v[113:114], v[121:122]
	s_waitcnt vmcnt(9)
	v_fma_f64 v[113:114], v[143:144], v[115:116], v[113:114]
	s_waitcnt vmcnt(8) lgkmcnt(0)
	v_fma_f64 v[113:114], v[123:124], v[117:118], v[113:114]
	s_waitcnt vmcnt(4)
	v_fma_f64 v[116:117], v[125:126], v[119:120], v[113:114]
	ds_read2_b64 v[112:115], v112 offset0:109 offset1:110
	s_waitcnt vmcnt(3) lgkmcnt(0)
	v_fma_f64 v[112:113], v[129:130], v[112:113], v[116:117]
	s_waitcnt vmcnt(2)
	v_fma_f64 v[112:113], v[127:128], v[114:115], v[112:113]
	s_waitcnt vmcnt(0)
	v_add_f64 v[112:113], v[133:134], -v[112:113]
	buffer_store_dword v113, off, s[0:3], 0 offset:292
	buffer_store_dword v112, off, s[0:3], 0 offset:288
	s_and_saveexec_b64 s[4:5], vcc
	s_cbranch_execz .LBB54_267
; %bb.266:
	buffer_load_dword v112, off, s[0:3], 0 offset:280
	buffer_load_dword v113, off, s[0:3], 0 offset:284
	v_mov_b32_e32 v114, 0
	buffer_store_dword v114, off, s[0:3], 0 offset:280
	buffer_store_dword v114, off, s[0:3], 0 offset:284
	s_waitcnt vmcnt(2)
	ds_write_b64 v111, v[112:113]
.LBB54_267:
	s_or_b64 exec, exec, s[4:5]
	s_waitcnt lgkmcnt(0)
	; wave barrier
	buffer_load_dword v121, off, s[0:3], 0 offset:288
	buffer_load_dword v122, off, s[0:3], 0 offset:292
	;; [unrolled: 1-line block ×22, first 2 shown]
	v_mov_b32_e32 v112, 0
	ds_read_b128 v[113:116], v112 offset:736
	ds_read_b128 v[117:120], v112 offset:752
	v_cmp_lt_u32_e32 vcc, 34, v0
	s_waitcnt vmcnt(20) lgkmcnt(1)
	v_fma_f64 v[113:114], v[121:122], v[113:114], 0
	s_waitcnt vmcnt(18)
	v_fma_f64 v[113:114], v[123:124], v[115:116], v[113:114]
	buffer_load_dword v122, off, s[0:3], 0 offset:380
	buffer_load_dword v123, off, s[0:3], 0 offset:400
	;; [unrolled: 1-line block ×7, first 2 shown]
	s_waitcnt vmcnt(23) lgkmcnt(0)
	v_fma_f64 v[113:114], v[125:126], v[117:118], v[113:114]
	s_waitcnt vmcnt(21)
	v_fma_f64 v[124:125], v[127:128], v[119:120], v[113:114]
	ds_read_b128 v[113:116], v112 offset:768
	ds_read_b128 v[117:120], v112 offset:784
	s_waitcnt vmcnt(19) lgkmcnt(1)
	v_fma_f64 v[113:114], v[129:130], v[113:114], v[124:125]
	buffer_load_dword v124, off, s[0:3], 0 offset:404
	s_waitcnt vmcnt(18)
	v_fma_f64 v[113:114], v[131:132], v[115:116], v[113:114]
	buffer_load_dword v126, off, s[0:3], 0 offset:412
	buffer_load_dword v127, off, s[0:3], 0 offset:432
	;; [unrolled: 1-line block ×8, first 2 shown]
	s_waitcnt vmcnt(24) lgkmcnt(0)
	v_fma_f64 v[113:114], v[133:134], v[117:118], v[113:114]
	s_waitcnt vmcnt(19)
	v_fma_f64 v[133:134], v[135:136], v[119:120], v[113:114]
	ds_read_b128 v[113:116], v112 offset:800
	ds_read_b128 v[117:120], v112 offset:816
	s_waitcnt vmcnt(18) lgkmcnt(1)
	v_fma_f64 v[113:114], v[141:142], v[113:114], v[133:134]
	buffer_load_dword v133, off, s[0:3], 0 offset:280
	buffer_load_dword v134, off, s[0:3], 0 offset:284
	s_waitcnt vmcnt(19)
	v_fma_f64 v[113:114], v[139:140], v[115:116], v[113:114]
	s_waitcnt vmcnt(18) lgkmcnt(0)
	v_fma_f64 v[113:114], v[137:138], v[117:118], v[113:114]
	s_waitcnt vmcnt(13)
	v_fma_f64 v[121:122], v[121:122], v[119:120], v[113:114]
	ds_read_b128 v[113:116], v112 offset:832
	ds_read_b128 v[117:120], v112 offset:848
	s_waitcnt vmcnt(12) lgkmcnt(1)
	v_fma_f64 v[113:114], v[145:146], v[113:114], v[121:122]
	s_waitcnt vmcnt(11)
	v_fma_f64 v[113:114], v[143:144], v[115:116], v[113:114]
	s_waitcnt vmcnt(10) lgkmcnt(0)
	v_fma_f64 v[113:114], v[123:124], v[117:118], v[113:114]
	s_waitcnt vmcnt(5)
	v_fma_f64 v[117:118], v[125:126], v[119:120], v[113:114]
	ds_read_b128 v[113:116], v112 offset:864
	ds_read_b64 v[119:120], v112 offset:880
	s_waitcnt vmcnt(4) lgkmcnt(1)
	v_fma_f64 v[113:114], v[131:132], v[113:114], v[117:118]
	s_waitcnt vmcnt(3)
	v_fma_f64 v[113:114], v[129:130], v[115:116], v[113:114]
	s_waitcnt vmcnt(2) lgkmcnt(0)
	v_fma_f64 v[113:114], v[127:128], v[119:120], v[113:114]
	s_waitcnt vmcnt(0)
	v_add_f64 v[113:114], v[133:134], -v[113:114]
	buffer_store_dword v114, off, s[0:3], 0 offset:284
	buffer_store_dword v113, off, s[0:3], 0 offset:280
	s_and_saveexec_b64 s[4:5], vcc
	s_cbranch_execz .LBB54_269
; %bb.268:
	buffer_load_dword v113, off, s[0:3], 0 offset:272
	buffer_load_dword v114, off, s[0:3], 0 offset:276
	s_waitcnt vmcnt(0)
	ds_write_b64 v111, v[113:114]
	buffer_store_dword v112, off, s[0:3], 0 offset:272
	buffer_store_dword v112, off, s[0:3], 0 offset:276
.LBB54_269:
	s_or_b64 exec, exec, s[4:5]
	s_waitcnt lgkmcnt(0)
	; wave barrier
	buffer_load_dword v121, off, s[0:3], 0 offset:280
	buffer_load_dword v122, off, s[0:3], 0 offset:284
	;; [unrolled: 1-line block ×22, first 2 shown]
	ds_read2_b64 v[113:116], v112 offset0:91 offset1:92
	ds_read2_b64 v[117:120], v112 offset0:93 offset1:94
	v_cmp_lt_u32_e32 vcc, 33, v0
	s_waitcnt vmcnt(20) lgkmcnt(1)
	v_fma_f64 v[113:114], v[121:122], v[113:114], 0
	s_waitcnt vmcnt(18)
	v_fma_f64 v[113:114], v[123:124], v[115:116], v[113:114]
	buffer_load_dword v122, off, s[0:3], 0 offset:372
	buffer_load_dword v123, off, s[0:3], 0 offset:392
	;; [unrolled: 1-line block ×7, first 2 shown]
	s_waitcnt vmcnt(23) lgkmcnt(0)
	v_fma_f64 v[113:114], v[125:126], v[117:118], v[113:114]
	s_waitcnt vmcnt(21)
	v_fma_f64 v[124:125], v[127:128], v[119:120], v[113:114]
	ds_read2_b64 v[113:116], v112 offset0:95 offset1:96
	ds_read2_b64 v[117:120], v112 offset0:97 offset1:98
	s_waitcnt vmcnt(19) lgkmcnt(1)
	v_fma_f64 v[113:114], v[129:130], v[113:114], v[124:125]
	buffer_load_dword v124, off, s[0:3], 0 offset:396
	s_waitcnt vmcnt(18)
	v_fma_f64 v[113:114], v[131:132], v[115:116], v[113:114]
	buffer_load_dword v126, off, s[0:3], 0 offset:404
	buffer_load_dword v127, off, s[0:3], 0 offset:424
	;; [unrolled: 1-line block ×8, first 2 shown]
	s_waitcnt vmcnt(24) lgkmcnt(0)
	v_fma_f64 v[113:114], v[133:134], v[117:118], v[113:114]
	s_waitcnt vmcnt(19)
	v_fma_f64 v[133:134], v[135:136], v[119:120], v[113:114]
	ds_read2_b64 v[113:116], v112 offset0:99 offset1:100
	ds_read2_b64 v[117:120], v112 offset0:101 offset1:102
	s_waitcnt vmcnt(18) lgkmcnt(1)
	v_fma_f64 v[113:114], v[141:142], v[113:114], v[133:134]
	buffer_load_dword v134, off, s[0:3], 0 offset:436
	buffer_load_dword v133, off, s[0:3], 0 offset:432
	;; [unrolled: 1-line block ×4, first 2 shown]
	s_waitcnt vmcnt(21)
	v_fma_f64 v[113:114], v[139:140], v[115:116], v[113:114]
	s_waitcnt vmcnt(20) lgkmcnt(0)
	v_fma_f64 v[113:114], v[137:138], v[117:118], v[113:114]
	s_waitcnt vmcnt(15)
	v_fma_f64 v[121:122], v[121:122], v[119:120], v[113:114]
	ds_read2_b64 v[113:116], v112 offset0:103 offset1:104
	ds_read2_b64 v[117:120], v112 offset0:105 offset1:106
	s_waitcnt vmcnt(14) lgkmcnt(1)
	v_fma_f64 v[113:114], v[145:146], v[113:114], v[121:122]
	s_waitcnt vmcnt(13)
	v_fma_f64 v[113:114], v[143:144], v[115:116], v[113:114]
	s_waitcnt vmcnt(12) lgkmcnt(0)
	v_fma_f64 v[113:114], v[123:124], v[117:118], v[113:114]
	s_waitcnt vmcnt(7)
	v_fma_f64 v[121:122], v[125:126], v[119:120], v[113:114]
	ds_read2_b64 v[113:116], v112 offset0:107 offset1:108
	ds_read2_b64 v[117:120], v112 offset0:109 offset1:110
	s_waitcnt vmcnt(6) lgkmcnt(1)
	v_fma_f64 v[112:113], v[131:132], v[113:114], v[121:122]
	s_waitcnt vmcnt(5)
	v_fma_f64 v[112:113], v[129:130], v[115:116], v[112:113]
	s_waitcnt vmcnt(4) lgkmcnt(0)
	v_fma_f64 v[112:113], v[127:128], v[117:118], v[112:113]
	s_waitcnt vmcnt(2)
	v_fma_f64 v[112:113], v[133:134], v[119:120], v[112:113]
	s_waitcnt vmcnt(0)
	v_add_f64 v[112:113], v[135:136], -v[112:113]
	buffer_store_dword v113, off, s[0:3], 0 offset:276
	buffer_store_dword v112, off, s[0:3], 0 offset:272
	s_and_saveexec_b64 s[4:5], vcc
	s_cbranch_execz .LBB54_271
; %bb.270:
	buffer_load_dword v112, off, s[0:3], 0 offset:264
	buffer_load_dword v113, off, s[0:3], 0 offset:268
	v_mov_b32_e32 v114, 0
	buffer_store_dword v114, off, s[0:3], 0 offset:264
	buffer_store_dword v114, off, s[0:3], 0 offset:268
	s_waitcnt vmcnt(2)
	ds_write_b64 v111, v[112:113]
.LBB54_271:
	s_or_b64 exec, exec, s[4:5]
	s_waitcnt lgkmcnt(0)
	; wave barrier
	buffer_load_dword v121, off, s[0:3], 0 offset:272
	buffer_load_dword v122, off, s[0:3], 0 offset:276
	;; [unrolled: 1-line block ×21, first 2 shown]
	v_mov_b32_e32 v112, 0
	ds_read_b128 v[113:116], v112 offset:720
	ds_read_b128 v[117:120], v112 offset:736
	buffer_load_dword v138, off, s[0:3], 0 offset:356
	v_cmp_lt_u32_e32 vcc, 32, v0
	s_waitcnt vmcnt(20) lgkmcnt(1)
	v_fma_f64 v[113:114], v[121:122], v[113:114], 0
	s_waitcnt vmcnt(18)
	v_fma_f64 v[113:114], v[123:124], v[115:116], v[113:114]
	buffer_load_dword v122, off, s[0:3], 0 offset:364
	buffer_load_dword v123, off, s[0:3], 0 offset:384
	;; [unrolled: 1-line block ×7, first 2 shown]
	s_waitcnt vmcnt(23) lgkmcnt(0)
	v_fma_f64 v[113:114], v[125:126], v[117:118], v[113:114]
	s_waitcnt vmcnt(21)
	v_fma_f64 v[124:125], v[127:128], v[119:120], v[113:114]
	ds_read_b128 v[113:116], v112 offset:752
	ds_read_b128 v[117:120], v112 offset:768
	s_waitcnt vmcnt(19) lgkmcnt(1)
	v_fma_f64 v[113:114], v[129:130], v[113:114], v[124:125]
	buffer_load_dword v124, off, s[0:3], 0 offset:388
	s_waitcnt vmcnt(18)
	v_fma_f64 v[113:114], v[131:132], v[115:116], v[113:114]
	buffer_load_dword v126, off, s[0:3], 0 offset:396
	buffer_load_dword v127, off, s[0:3], 0 offset:416
	;; [unrolled: 1-line block ×7, first 2 shown]
	s_waitcnt vmcnt(23) lgkmcnt(0)
	v_fma_f64 v[113:114], v[133:134], v[117:118], v[113:114]
	s_waitcnt vmcnt(18)
	v_fma_f64 v[133:134], v[135:136], v[119:120], v[113:114]
	ds_read_b128 v[113:116], v112 offset:784
	ds_read_b128 v[117:120], v112 offset:800
	buffer_load_dword v128, off, s[0:3], 0 offset:420
	s_waitcnt vmcnt(18) lgkmcnt(1)
	v_fma_f64 v[113:114], v[141:142], v[113:114], v[133:134]
	buffer_load_dword v134, off, s[0:3], 0 offset:428
	buffer_load_dword v135, off, s[0:3], 0 offset:432
	;; [unrolled: 1-line block ×4, first 2 shown]
	s_waitcnt vmcnt(21)
	v_fma_f64 v[113:114], v[139:140], v[115:116], v[113:114]
	s_waitcnt vmcnt(20) lgkmcnt(0)
	v_fma_f64 v[113:114], v[137:138], v[117:118], v[113:114]
	buffer_load_dword v137, off, s[0:3], 0 offset:264
	buffer_load_dword v138, off, s[0:3], 0 offset:268
	s_waitcnt vmcnt(17)
	v_fma_f64 v[121:122], v[121:122], v[119:120], v[113:114]
	ds_read_b128 v[113:116], v112 offset:816
	ds_read_b128 v[117:120], v112 offset:832
	s_waitcnt vmcnt(16) lgkmcnt(1)
	v_fma_f64 v[113:114], v[145:146], v[113:114], v[121:122]
	s_waitcnt vmcnt(15)
	v_fma_f64 v[113:114], v[143:144], v[115:116], v[113:114]
	s_waitcnt vmcnt(14) lgkmcnt(0)
	v_fma_f64 v[113:114], v[123:124], v[117:118], v[113:114]
	s_waitcnt vmcnt(9)
	v_fma_f64 v[121:122], v[125:126], v[119:120], v[113:114]
	ds_read_b128 v[113:116], v112 offset:848
	ds_read_b128 v[117:120], v112 offset:864
	s_waitcnt vmcnt(8) lgkmcnt(1)
	v_fma_f64 v[113:114], v[131:132], v[113:114], v[121:122]
	s_waitcnt vmcnt(7)
	v_fma_f64 v[113:114], v[129:130], v[115:116], v[113:114]
	ds_read_b64 v[115:116], v112 offset:880
	s_waitcnt vmcnt(6) lgkmcnt(1)
	v_fma_f64 v[113:114], v[127:128], v[117:118], v[113:114]
	s_waitcnt vmcnt(3)
	v_fma_f64 v[113:114], v[133:134], v[119:120], v[113:114]
	s_waitcnt vmcnt(2) lgkmcnt(0)
	v_fma_f64 v[113:114], v[135:136], v[115:116], v[113:114]
	s_waitcnt vmcnt(0)
	v_add_f64 v[113:114], v[137:138], -v[113:114]
	buffer_store_dword v114, off, s[0:3], 0 offset:268
	buffer_store_dword v113, off, s[0:3], 0 offset:264
	s_and_saveexec_b64 s[4:5], vcc
	s_cbranch_execz .LBB54_273
; %bb.272:
	buffer_load_dword v113, off, s[0:3], 0 offset:256
	buffer_load_dword v114, off, s[0:3], 0 offset:260
	s_waitcnt vmcnt(0)
	ds_write_b64 v111, v[113:114]
	buffer_store_dword v112, off, s[0:3], 0 offset:256
	buffer_store_dword v112, off, s[0:3], 0 offset:260
.LBB54_273:
	s_or_b64 exec, exec, s[4:5]
	s_waitcnt lgkmcnt(0)
	; wave barrier
	buffer_load_dword v121, off, s[0:3], 0 offset:264
	buffer_load_dword v122, off, s[0:3], 0 offset:268
	;; [unrolled: 1-line block ×21, first 2 shown]
	ds_read2_b64 v[113:116], v112 offset0:89 offset1:90
	ds_read2_b64 v[117:120], v112 offset0:91 offset1:92
	buffer_load_dword v138, off, s[0:3], 0 offset:348
	v_cmp_lt_u32_e32 vcc, 31, v0
	s_waitcnt vmcnt(20) lgkmcnt(1)
	v_fma_f64 v[113:114], v[121:122], v[113:114], 0
	s_waitcnt vmcnt(18)
	v_fma_f64 v[113:114], v[123:124], v[115:116], v[113:114]
	buffer_load_dword v122, off, s[0:3], 0 offset:356
	buffer_load_dword v123, off, s[0:3], 0 offset:376
	buffer_load_dword v143, off, s[0:3], 0 offset:368
	buffer_load_dword v145, off, s[0:3], 0 offset:360
	buffer_load_dword v121, off, s[0:3], 0 offset:352
	buffer_load_dword v146, off, s[0:3], 0 offset:364
	buffer_load_dword v144, off, s[0:3], 0 offset:372
	s_waitcnt vmcnt(23) lgkmcnt(0)
	v_fma_f64 v[113:114], v[125:126], v[117:118], v[113:114]
	s_waitcnt vmcnt(21)
	v_fma_f64 v[124:125], v[127:128], v[119:120], v[113:114]
	ds_read2_b64 v[113:116], v112 offset0:93 offset1:94
	ds_read2_b64 v[117:120], v112 offset0:95 offset1:96
	s_waitcnt vmcnt(19) lgkmcnt(1)
	v_fma_f64 v[113:114], v[129:130], v[113:114], v[124:125]
	buffer_load_dword v124, off, s[0:3], 0 offset:380
	s_waitcnt vmcnt(18)
	v_fma_f64 v[113:114], v[131:132], v[115:116], v[113:114]
	buffer_load_dword v126, off, s[0:3], 0 offset:388
	buffer_load_dword v127, off, s[0:3], 0 offset:408
	;; [unrolled: 1-line block ×8, first 2 shown]
	s_waitcnt vmcnt(24) lgkmcnt(0)
	v_fma_f64 v[113:114], v[133:134], v[117:118], v[113:114]
	s_waitcnt vmcnt(19)
	v_fma_f64 v[133:134], v[135:136], v[119:120], v[113:114]
	ds_read2_b64 v[113:116], v112 offset0:97 offset1:98
	ds_read2_b64 v[117:120], v112 offset0:99 offset1:100
	s_waitcnt vmcnt(18) lgkmcnt(1)
	v_fma_f64 v[113:114], v[141:142], v[113:114], v[133:134]
	s_waitcnt vmcnt(17)
	v_fma_f64 v[113:114], v[139:140], v[115:116], v[113:114]
	buffer_load_dword v134, off, s[0:3], 0 offset:420
	buffer_load_dword v135, off, s[0:3], 0 offset:432
	buffer_load_dword v139, off, s[0:3], 0 offset:424
	buffer_load_dword v133, off, s[0:3], 0 offset:416
	buffer_load_dword v140, off, s[0:3], 0 offset:428
	buffer_load_dword v136, off, s[0:3], 0 offset:436
	s_waitcnt vmcnt(22) lgkmcnt(0)
	v_fma_f64 v[113:114], v[137:138], v[117:118], v[113:114]
	s_waitcnt vmcnt(17)
	v_fma_f64 v[121:122], v[121:122], v[119:120], v[113:114]
	ds_read2_b64 v[113:116], v112 offset0:101 offset1:102
	buffer_load_dword v137, off, s[0:3], 0 offset:256
	buffer_load_dword v138, off, s[0:3], 0 offset:260
	ds_read2_b64 v[117:120], v112 offset0:103 offset1:104
	s_waitcnt vmcnt(18) lgkmcnt(1)
	v_fma_f64 v[113:114], v[145:146], v[113:114], v[121:122]
	s_waitcnt vmcnt(17)
	v_fma_f64 v[113:114], v[143:144], v[115:116], v[113:114]
	s_waitcnt vmcnt(16) lgkmcnt(0)
	v_fma_f64 v[113:114], v[123:124], v[117:118], v[113:114]
	s_waitcnt vmcnt(11)
	v_fma_f64 v[121:122], v[125:126], v[119:120], v[113:114]
	ds_read2_b64 v[113:116], v112 offset0:105 offset1:106
	ds_read2_b64 v[117:120], v112 offset0:107 offset1:108
	s_waitcnt vmcnt(10) lgkmcnt(1)
	v_fma_f64 v[113:114], v[131:132], v[113:114], v[121:122]
	s_waitcnt vmcnt(9)
	v_fma_f64 v[113:114], v[129:130], v[115:116], v[113:114]
	s_waitcnt vmcnt(8) lgkmcnt(0)
	v_fma_f64 v[113:114], v[127:128], v[117:118], v[113:114]
	s_waitcnt vmcnt(4)
	v_fma_f64 v[116:117], v[133:134], v[119:120], v[113:114]
	ds_read2_b64 v[112:115], v112 offset0:109 offset1:110
	s_waitcnt vmcnt(3) lgkmcnt(0)
	v_fma_f64 v[112:113], v[139:140], v[112:113], v[116:117]
	s_waitcnt vmcnt(2)
	v_fma_f64 v[112:113], v[135:136], v[114:115], v[112:113]
	s_waitcnt vmcnt(0)
	v_add_f64 v[112:113], v[137:138], -v[112:113]
	buffer_store_dword v113, off, s[0:3], 0 offset:260
	buffer_store_dword v112, off, s[0:3], 0 offset:256
	s_and_saveexec_b64 s[4:5], vcc
	s_cbranch_execz .LBB54_275
; %bb.274:
	buffer_load_dword v112, off, s[0:3], 0 offset:248
	buffer_load_dword v113, off, s[0:3], 0 offset:252
	v_mov_b32_e32 v114, 0
	buffer_store_dword v114, off, s[0:3], 0 offset:248
	buffer_store_dword v114, off, s[0:3], 0 offset:252
	s_waitcnt vmcnt(2)
	ds_write_b64 v111, v[112:113]
.LBB54_275:
	s_or_b64 exec, exec, s[4:5]
	s_waitcnt lgkmcnt(0)
	; wave barrier
	buffer_load_dword v121, off, s[0:3], 0 offset:256
	buffer_load_dword v122, off, s[0:3], 0 offset:260
	;; [unrolled: 1-line block ×21, first 2 shown]
	v_mov_b32_e32 v112, 0
	ds_read_b128 v[113:116], v112 offset:704
	ds_read_b128 v[117:120], v112 offset:720
	buffer_load_dword v138, off, s[0:3], 0 offset:340
	v_cmp_lt_u32_e32 vcc, 30, v0
	s_waitcnt vmcnt(20) lgkmcnt(1)
	v_fma_f64 v[113:114], v[121:122], v[113:114], 0
	s_waitcnt vmcnt(18)
	v_fma_f64 v[113:114], v[123:124], v[115:116], v[113:114]
	buffer_load_dword v122, off, s[0:3], 0 offset:348
	buffer_load_dword v123, off, s[0:3], 0 offset:368
	;; [unrolled: 1-line block ×7, first 2 shown]
	s_waitcnt vmcnt(23) lgkmcnt(0)
	v_fma_f64 v[113:114], v[125:126], v[117:118], v[113:114]
	s_waitcnt vmcnt(21)
	v_fma_f64 v[124:125], v[127:128], v[119:120], v[113:114]
	ds_read_b128 v[113:116], v112 offset:736
	ds_read_b128 v[117:120], v112 offset:752
	s_waitcnt vmcnt(19) lgkmcnt(1)
	v_fma_f64 v[113:114], v[129:130], v[113:114], v[124:125]
	buffer_load_dword v124, off, s[0:3], 0 offset:372
	s_waitcnt vmcnt(18)
	v_fma_f64 v[113:114], v[131:132], v[115:116], v[113:114]
	buffer_load_dword v126, off, s[0:3], 0 offset:380
	buffer_load_dword v127, off, s[0:3], 0 offset:400
	;; [unrolled: 1-line block ×8, first 2 shown]
	s_waitcnt vmcnt(24) lgkmcnt(0)
	v_fma_f64 v[113:114], v[133:134], v[117:118], v[113:114]
	s_waitcnt vmcnt(19)
	v_fma_f64 v[133:134], v[135:136], v[119:120], v[113:114]
	ds_read_b128 v[113:116], v112 offset:768
	ds_read_b128 v[117:120], v112 offset:784
	s_waitcnt vmcnt(18) lgkmcnt(1)
	v_fma_f64 v[113:114], v[141:142], v[113:114], v[133:134]
	s_waitcnt vmcnt(17)
	v_fma_f64 v[113:114], v[139:140], v[115:116], v[113:114]
	buffer_load_dword v134, off, s[0:3], 0 offset:412
	buffer_load_dword v135, off, s[0:3], 0 offset:432
	;; [unrolled: 1-line block ×8, first 2 shown]
	s_waitcnt vmcnt(24) lgkmcnt(0)
	v_fma_f64 v[113:114], v[137:138], v[117:118], v[113:114]
	s_waitcnt vmcnt(19)
	v_fma_f64 v[121:122], v[121:122], v[119:120], v[113:114]
	ds_read_b128 v[113:116], v112 offset:800
	ds_read_b128 v[117:120], v112 offset:816
	s_waitcnt vmcnt(18) lgkmcnt(1)
	v_fma_f64 v[113:114], v[145:146], v[113:114], v[121:122]
	buffer_load_dword v121, off, s[0:3], 0 offset:248
	buffer_load_dword v122, off, s[0:3], 0 offset:252
	s_waitcnt vmcnt(19)
	v_fma_f64 v[113:114], v[143:144], v[115:116], v[113:114]
	s_waitcnt vmcnt(18) lgkmcnt(0)
	v_fma_f64 v[113:114], v[123:124], v[117:118], v[113:114]
	s_waitcnt vmcnt(13)
	v_fma_f64 v[123:124], v[125:126], v[119:120], v[113:114]
	ds_read_b128 v[113:116], v112 offset:832
	ds_read_b128 v[117:120], v112 offset:848
	s_waitcnt vmcnt(12) lgkmcnt(1)
	v_fma_f64 v[113:114], v[131:132], v[113:114], v[123:124]
	s_waitcnt vmcnt(11)
	v_fma_f64 v[113:114], v[129:130], v[115:116], v[113:114]
	s_waitcnt vmcnt(10) lgkmcnt(0)
	v_fma_f64 v[113:114], v[127:128], v[117:118], v[113:114]
	s_waitcnt vmcnt(5)
	v_fma_f64 v[117:118], v[133:134], v[119:120], v[113:114]
	ds_read_b128 v[113:116], v112 offset:864
	ds_read_b64 v[119:120], v112 offset:880
	s_waitcnt vmcnt(4) lgkmcnt(1)
	v_fma_f64 v[113:114], v[141:142], v[113:114], v[117:118]
	s_waitcnt vmcnt(3)
	v_fma_f64 v[113:114], v[139:140], v[115:116], v[113:114]
	s_waitcnt vmcnt(2) lgkmcnt(0)
	v_fma_f64 v[113:114], v[135:136], v[119:120], v[113:114]
	s_waitcnt vmcnt(0)
	v_add_f64 v[113:114], v[121:122], -v[113:114]
	buffer_store_dword v114, off, s[0:3], 0 offset:252
	buffer_store_dword v113, off, s[0:3], 0 offset:248
	s_and_saveexec_b64 s[4:5], vcc
	s_cbranch_execz .LBB54_277
; %bb.276:
	buffer_load_dword v113, off, s[0:3], 0 offset:240
	buffer_load_dword v114, off, s[0:3], 0 offset:244
	s_waitcnt vmcnt(0)
	ds_write_b64 v111, v[113:114]
	buffer_store_dword v112, off, s[0:3], 0 offset:240
	buffer_store_dword v112, off, s[0:3], 0 offset:244
.LBB54_277:
	s_or_b64 exec, exec, s[4:5]
	s_waitcnt lgkmcnt(0)
	; wave barrier
	buffer_load_dword v121, off, s[0:3], 0 offset:248
	buffer_load_dword v122, off, s[0:3], 0 offset:252
	;; [unrolled: 1-line block ×21, first 2 shown]
	ds_read2_b64 v[113:116], v112 offset0:87 offset1:88
	ds_read2_b64 v[117:120], v112 offset0:89 offset1:90
	buffer_load_dword v138, off, s[0:3], 0 offset:332
	v_cmp_lt_u32_e32 vcc, 29, v0
	s_waitcnt vmcnt(20) lgkmcnt(1)
	v_fma_f64 v[113:114], v[121:122], v[113:114], 0
	s_waitcnt vmcnt(18)
	v_fma_f64 v[113:114], v[123:124], v[115:116], v[113:114]
	buffer_load_dword v122, off, s[0:3], 0 offset:340
	buffer_load_dword v123, off, s[0:3], 0 offset:360
	;; [unrolled: 1-line block ×7, first 2 shown]
	s_waitcnt vmcnt(23) lgkmcnt(0)
	v_fma_f64 v[113:114], v[125:126], v[117:118], v[113:114]
	s_waitcnt vmcnt(21)
	v_fma_f64 v[124:125], v[127:128], v[119:120], v[113:114]
	ds_read2_b64 v[113:116], v112 offset0:91 offset1:92
	ds_read2_b64 v[117:120], v112 offset0:93 offset1:94
	s_waitcnt vmcnt(19) lgkmcnt(1)
	v_fma_f64 v[113:114], v[129:130], v[113:114], v[124:125]
	buffer_load_dword v124, off, s[0:3], 0 offset:364
	s_waitcnt vmcnt(18)
	v_fma_f64 v[113:114], v[131:132], v[115:116], v[113:114]
	buffer_load_dword v126, off, s[0:3], 0 offset:372
	buffer_load_dword v127, off, s[0:3], 0 offset:392
	;; [unrolled: 1-line block ×8, first 2 shown]
	s_waitcnt vmcnt(24) lgkmcnt(0)
	v_fma_f64 v[113:114], v[133:134], v[117:118], v[113:114]
	s_waitcnt vmcnt(19)
	v_fma_f64 v[133:134], v[135:136], v[119:120], v[113:114]
	ds_read2_b64 v[113:116], v112 offset0:95 offset1:96
	ds_read2_b64 v[117:120], v112 offset0:97 offset1:98
	s_waitcnt vmcnt(18) lgkmcnt(1)
	v_fma_f64 v[113:114], v[141:142], v[113:114], v[133:134]
	s_waitcnt vmcnt(17)
	v_fma_f64 v[113:114], v[139:140], v[115:116], v[113:114]
	buffer_load_dword v134, off, s[0:3], 0 offset:404
	buffer_load_dword v135, off, s[0:3], 0 offset:424
	;; [unrolled: 1-line block ×8, first 2 shown]
	s_waitcnt vmcnt(24) lgkmcnt(0)
	v_fma_f64 v[113:114], v[137:138], v[117:118], v[113:114]
	s_waitcnt vmcnt(19)
	v_fma_f64 v[121:122], v[121:122], v[119:120], v[113:114]
	ds_read2_b64 v[113:116], v112 offset0:99 offset1:100
	ds_read2_b64 v[117:120], v112 offset0:101 offset1:102
	s_waitcnt vmcnt(18) lgkmcnt(1)
	v_fma_f64 v[113:114], v[145:146], v[113:114], v[121:122]
	buffer_load_dword v122, off, s[0:3], 0 offset:436
	buffer_load_dword v121, off, s[0:3], 0 offset:432
	;; [unrolled: 1-line block ×4, first 2 shown]
	s_waitcnt vmcnt(21)
	v_fma_f64 v[113:114], v[143:144], v[115:116], v[113:114]
	s_waitcnt vmcnt(20) lgkmcnt(0)
	v_fma_f64 v[113:114], v[123:124], v[117:118], v[113:114]
	s_waitcnt vmcnt(15)
	v_fma_f64 v[123:124], v[125:126], v[119:120], v[113:114]
	ds_read2_b64 v[113:116], v112 offset0:103 offset1:104
	ds_read2_b64 v[117:120], v112 offset0:105 offset1:106
	s_waitcnt vmcnt(14) lgkmcnt(1)
	v_fma_f64 v[113:114], v[131:132], v[113:114], v[123:124]
	s_waitcnt vmcnt(13)
	v_fma_f64 v[113:114], v[129:130], v[115:116], v[113:114]
	s_waitcnt vmcnt(12) lgkmcnt(0)
	v_fma_f64 v[113:114], v[127:128], v[117:118], v[113:114]
	s_waitcnt vmcnt(7)
	v_fma_f64 v[123:124], v[133:134], v[119:120], v[113:114]
	ds_read2_b64 v[113:116], v112 offset0:107 offset1:108
	ds_read2_b64 v[117:120], v112 offset0:109 offset1:110
	s_waitcnt vmcnt(6) lgkmcnt(1)
	v_fma_f64 v[112:113], v[141:142], v[113:114], v[123:124]
	s_waitcnt vmcnt(5)
	v_fma_f64 v[112:113], v[139:140], v[115:116], v[112:113]
	s_waitcnt vmcnt(4) lgkmcnt(0)
	v_fma_f64 v[112:113], v[135:136], v[117:118], v[112:113]
	s_waitcnt vmcnt(2)
	v_fma_f64 v[112:113], v[121:122], v[119:120], v[112:113]
	s_waitcnt vmcnt(0)
	v_add_f64 v[112:113], v[137:138], -v[112:113]
	buffer_store_dword v113, off, s[0:3], 0 offset:244
	buffer_store_dword v112, off, s[0:3], 0 offset:240
	s_and_saveexec_b64 s[4:5], vcc
	s_cbranch_execz .LBB54_279
; %bb.278:
	buffer_load_dword v112, off, s[0:3], 0 offset:232
	buffer_load_dword v113, off, s[0:3], 0 offset:236
	v_mov_b32_e32 v114, 0
	buffer_store_dword v114, off, s[0:3], 0 offset:232
	buffer_store_dword v114, off, s[0:3], 0 offset:236
	s_waitcnt vmcnt(2)
	ds_write_b64 v111, v[112:113]
.LBB54_279:
	s_or_b64 exec, exec, s[4:5]
	s_waitcnt lgkmcnt(0)
	; wave barrier
	buffer_load_dword v121, off, s[0:3], 0 offset:240
	buffer_load_dword v122, off, s[0:3], 0 offset:244
	;; [unrolled: 1-line block ×21, first 2 shown]
	v_mov_b32_e32 v112, 0
	ds_read_b128 v[113:116], v112 offset:688
	ds_read_b128 v[117:120], v112 offset:704
	buffer_load_dword v138, off, s[0:3], 0 offset:324
	v_cmp_lt_u32_e32 vcc, 28, v0
	s_waitcnt vmcnt(20) lgkmcnt(1)
	v_fma_f64 v[113:114], v[121:122], v[113:114], 0
	s_waitcnt vmcnt(18)
	v_fma_f64 v[113:114], v[123:124], v[115:116], v[113:114]
	buffer_load_dword v122, off, s[0:3], 0 offset:332
	buffer_load_dword v123, off, s[0:3], 0 offset:352
	;; [unrolled: 1-line block ×7, first 2 shown]
	s_waitcnt vmcnt(23) lgkmcnt(0)
	v_fma_f64 v[113:114], v[125:126], v[117:118], v[113:114]
	s_waitcnt vmcnt(21)
	v_fma_f64 v[124:125], v[127:128], v[119:120], v[113:114]
	ds_read_b128 v[113:116], v112 offset:720
	ds_read_b128 v[117:120], v112 offset:736
	s_waitcnt vmcnt(19) lgkmcnt(1)
	v_fma_f64 v[113:114], v[129:130], v[113:114], v[124:125]
	buffer_load_dword v124, off, s[0:3], 0 offset:356
	s_waitcnt vmcnt(18)
	v_fma_f64 v[113:114], v[131:132], v[115:116], v[113:114]
	buffer_load_dword v126, off, s[0:3], 0 offset:364
	buffer_load_dword v127, off, s[0:3], 0 offset:384
	;; [unrolled: 1-line block ×8, first 2 shown]
	s_waitcnt vmcnt(24) lgkmcnt(0)
	v_fma_f64 v[113:114], v[133:134], v[117:118], v[113:114]
	s_waitcnt vmcnt(19)
	v_fma_f64 v[133:134], v[135:136], v[119:120], v[113:114]
	ds_read_b128 v[113:116], v112 offset:752
	ds_read_b128 v[117:120], v112 offset:768
	s_waitcnt vmcnt(18) lgkmcnt(1)
	v_fma_f64 v[113:114], v[141:142], v[113:114], v[133:134]
	s_waitcnt vmcnt(17)
	v_fma_f64 v[113:114], v[139:140], v[115:116], v[113:114]
	buffer_load_dword v134, off, s[0:3], 0 offset:396
	buffer_load_dword v135, off, s[0:3], 0 offset:416
	;; [unrolled: 1-line block ×7, first 2 shown]
	s_waitcnt vmcnt(23) lgkmcnt(0)
	v_fma_f64 v[113:114], v[137:138], v[117:118], v[113:114]
	s_waitcnt vmcnt(18)
	v_fma_f64 v[121:122], v[121:122], v[119:120], v[113:114]
	ds_read_b128 v[113:116], v112 offset:784
	ds_read_b128 v[117:120], v112 offset:800
	buffer_load_dword v136, off, s[0:3], 0 offset:420
	s_waitcnt vmcnt(18) lgkmcnt(1)
	v_fma_f64 v[113:114], v[145:146], v[113:114], v[121:122]
	buffer_load_dword v122, off, s[0:3], 0 offset:428
	buffer_load_dword v137, off, s[0:3], 0 offset:432
	;; [unrolled: 1-line block ×4, first 2 shown]
	s_waitcnt vmcnt(21)
	v_fma_f64 v[113:114], v[143:144], v[115:116], v[113:114]
	s_waitcnt vmcnt(20) lgkmcnt(0)
	v_fma_f64 v[113:114], v[123:124], v[117:118], v[113:114]
	buffer_load_dword v123, off, s[0:3], 0 offset:232
	buffer_load_dword v124, off, s[0:3], 0 offset:236
	s_waitcnt vmcnt(17)
	v_fma_f64 v[125:126], v[125:126], v[119:120], v[113:114]
	ds_read_b128 v[113:116], v112 offset:816
	ds_read_b128 v[117:120], v112 offset:832
	s_waitcnt vmcnt(16) lgkmcnt(1)
	v_fma_f64 v[113:114], v[131:132], v[113:114], v[125:126]
	s_waitcnt vmcnt(15)
	v_fma_f64 v[113:114], v[129:130], v[115:116], v[113:114]
	s_waitcnt vmcnt(14) lgkmcnt(0)
	v_fma_f64 v[113:114], v[127:128], v[117:118], v[113:114]
	s_waitcnt vmcnt(9)
	v_fma_f64 v[125:126], v[133:134], v[119:120], v[113:114]
	ds_read_b128 v[113:116], v112 offset:848
	ds_read_b128 v[117:120], v112 offset:864
	s_waitcnt vmcnt(8) lgkmcnt(1)
	v_fma_f64 v[113:114], v[141:142], v[113:114], v[125:126]
	s_waitcnt vmcnt(7)
	v_fma_f64 v[113:114], v[139:140], v[115:116], v[113:114]
	ds_read_b64 v[115:116], v112 offset:880
	s_waitcnt vmcnt(6) lgkmcnt(1)
	v_fma_f64 v[113:114], v[135:136], v[117:118], v[113:114]
	s_waitcnt vmcnt(3)
	v_fma_f64 v[113:114], v[121:122], v[119:120], v[113:114]
	s_waitcnt vmcnt(2) lgkmcnt(0)
	v_fma_f64 v[113:114], v[137:138], v[115:116], v[113:114]
	s_waitcnt vmcnt(0)
	v_add_f64 v[113:114], v[123:124], -v[113:114]
	buffer_store_dword v114, off, s[0:3], 0 offset:236
	buffer_store_dword v113, off, s[0:3], 0 offset:232
	s_and_saveexec_b64 s[4:5], vcc
	s_cbranch_execz .LBB54_281
; %bb.280:
	buffer_load_dword v113, off, s[0:3], 0 offset:224
	buffer_load_dword v114, off, s[0:3], 0 offset:228
	s_waitcnt vmcnt(0)
	ds_write_b64 v111, v[113:114]
	buffer_store_dword v112, off, s[0:3], 0 offset:224
	buffer_store_dword v112, off, s[0:3], 0 offset:228
.LBB54_281:
	s_or_b64 exec, exec, s[4:5]
	s_waitcnt lgkmcnt(0)
	; wave barrier
	buffer_load_dword v121, off, s[0:3], 0 offset:232
	buffer_load_dword v122, off, s[0:3], 0 offset:236
	;; [unrolled: 1-line block ×22, first 2 shown]
	ds_read2_b64 v[113:116], v112 offset0:85 offset1:86
	ds_read2_b64 v[117:120], v112 offset0:87 offset1:88
	v_cmp_lt_u32_e32 vcc, 27, v0
	s_waitcnt vmcnt(20) lgkmcnt(1)
	v_fma_f64 v[113:114], v[121:122], v[113:114], 0
	s_waitcnt vmcnt(18)
	v_fma_f64 v[113:114], v[123:124], v[115:116], v[113:114]
	buffer_load_dword v122, off, s[0:3], 0 offset:324
	buffer_load_dword v123, off, s[0:3], 0 offset:344
	;; [unrolled: 1-line block ×7, first 2 shown]
	s_waitcnt vmcnt(23) lgkmcnt(0)
	v_fma_f64 v[113:114], v[125:126], v[117:118], v[113:114]
	s_waitcnt vmcnt(21)
	v_fma_f64 v[124:125], v[127:128], v[119:120], v[113:114]
	ds_read2_b64 v[113:116], v112 offset0:89 offset1:90
	ds_read2_b64 v[117:120], v112 offset0:91 offset1:92
	s_waitcnt vmcnt(19) lgkmcnt(1)
	v_fma_f64 v[113:114], v[129:130], v[113:114], v[124:125]
	buffer_load_dword v124, off, s[0:3], 0 offset:348
	s_waitcnt vmcnt(18)
	v_fma_f64 v[113:114], v[131:132], v[115:116], v[113:114]
	buffer_load_dword v126, off, s[0:3], 0 offset:356
	buffer_load_dword v127, off, s[0:3], 0 offset:376
	;; [unrolled: 1-line block ×8, first 2 shown]
	s_waitcnt vmcnt(24) lgkmcnt(0)
	v_fma_f64 v[113:114], v[133:134], v[117:118], v[113:114]
	s_waitcnt vmcnt(19)
	v_fma_f64 v[133:134], v[135:136], v[119:120], v[113:114]
	ds_read2_b64 v[113:116], v112 offset0:93 offset1:94
	ds_read2_b64 v[117:120], v112 offset0:95 offset1:96
	s_waitcnt vmcnt(18) lgkmcnt(1)
	v_fma_f64 v[113:114], v[141:142], v[113:114], v[133:134]
	s_waitcnt vmcnt(17)
	v_fma_f64 v[113:114], v[139:140], v[115:116], v[113:114]
	buffer_load_dword v134, off, s[0:3], 0 offset:388
	buffer_load_dword v135, off, s[0:3], 0 offset:408
	;; [unrolled: 1-line block ×8, first 2 shown]
	s_waitcnt vmcnt(24) lgkmcnt(0)
	v_fma_f64 v[113:114], v[137:138], v[117:118], v[113:114]
	s_waitcnt vmcnt(19)
	v_fma_f64 v[121:122], v[121:122], v[119:120], v[113:114]
	ds_read2_b64 v[113:116], v112 offset0:97 offset1:98
	ds_read2_b64 v[117:120], v112 offset0:99 offset1:100
	s_waitcnt vmcnt(18) lgkmcnt(1)
	v_fma_f64 v[113:114], v[145:146], v[113:114], v[121:122]
	s_waitcnt vmcnt(17)
	v_fma_f64 v[113:114], v[143:144], v[115:116], v[113:114]
	buffer_load_dword v122, off, s[0:3], 0 offset:420
	buffer_load_dword v137, off, s[0:3], 0 offset:432
	;; [unrolled: 1-line block ×6, first 2 shown]
	s_waitcnt vmcnt(22) lgkmcnt(0)
	v_fma_f64 v[113:114], v[123:124], v[117:118], v[113:114]
	s_waitcnt vmcnt(17)
	v_fma_f64 v[123:124], v[125:126], v[119:120], v[113:114]
	ds_read2_b64 v[113:116], v112 offset0:101 offset1:102
	buffer_load_dword v125, off, s[0:3], 0 offset:224
	buffer_load_dword v126, off, s[0:3], 0 offset:228
	ds_read2_b64 v[117:120], v112 offset0:103 offset1:104
	s_waitcnt vmcnt(18) lgkmcnt(1)
	v_fma_f64 v[113:114], v[131:132], v[113:114], v[123:124]
	s_waitcnt vmcnt(17)
	v_fma_f64 v[113:114], v[129:130], v[115:116], v[113:114]
	s_waitcnt vmcnt(16) lgkmcnt(0)
	v_fma_f64 v[113:114], v[127:128], v[117:118], v[113:114]
	s_waitcnt vmcnt(11)
	v_fma_f64 v[123:124], v[133:134], v[119:120], v[113:114]
	ds_read2_b64 v[113:116], v112 offset0:105 offset1:106
	ds_read2_b64 v[117:120], v112 offset0:107 offset1:108
	s_waitcnt vmcnt(10) lgkmcnt(1)
	v_fma_f64 v[113:114], v[141:142], v[113:114], v[123:124]
	s_waitcnt vmcnt(9)
	v_fma_f64 v[113:114], v[139:140], v[115:116], v[113:114]
	s_waitcnt vmcnt(8) lgkmcnt(0)
	v_fma_f64 v[113:114], v[135:136], v[117:118], v[113:114]
	s_waitcnt vmcnt(4)
	v_fma_f64 v[116:117], v[121:122], v[119:120], v[113:114]
	ds_read2_b64 v[112:115], v112 offset0:109 offset1:110
	s_waitcnt vmcnt(3) lgkmcnt(0)
	v_fma_f64 v[112:113], v[143:144], v[112:113], v[116:117]
	s_waitcnt vmcnt(2)
	v_fma_f64 v[112:113], v[137:138], v[114:115], v[112:113]
	s_waitcnt vmcnt(0)
	v_add_f64 v[112:113], v[125:126], -v[112:113]
	buffer_store_dword v113, off, s[0:3], 0 offset:228
	buffer_store_dword v112, off, s[0:3], 0 offset:224
	s_and_saveexec_b64 s[4:5], vcc
	s_cbranch_execz .LBB54_283
; %bb.282:
	buffer_load_dword v112, off, s[0:3], 0 offset:216
	buffer_load_dword v113, off, s[0:3], 0 offset:220
	v_mov_b32_e32 v114, 0
	buffer_store_dword v114, off, s[0:3], 0 offset:216
	buffer_store_dword v114, off, s[0:3], 0 offset:220
	s_waitcnt vmcnt(2)
	ds_write_b64 v111, v[112:113]
.LBB54_283:
	s_or_b64 exec, exec, s[4:5]
	s_waitcnt lgkmcnt(0)
	; wave barrier
	buffer_load_dword v121, off, s[0:3], 0 offset:224
	buffer_load_dword v122, off, s[0:3], 0 offset:228
	;; [unrolled: 1-line block ×22, first 2 shown]
	v_mov_b32_e32 v112, 0
	ds_read_b128 v[113:116], v112 offset:672
	ds_read_b128 v[117:120], v112 offset:688
	v_cmp_lt_u32_e32 vcc, 26, v0
	s_waitcnt vmcnt(20) lgkmcnt(1)
	v_fma_f64 v[113:114], v[121:122], v[113:114], 0
	s_waitcnt vmcnt(18)
	v_fma_f64 v[113:114], v[123:124], v[115:116], v[113:114]
	buffer_load_dword v122, off, s[0:3], 0 offset:316
	buffer_load_dword v123, off, s[0:3], 0 offset:336
	;; [unrolled: 1-line block ×7, first 2 shown]
	s_waitcnt vmcnt(23) lgkmcnt(0)
	v_fma_f64 v[113:114], v[125:126], v[117:118], v[113:114]
	s_waitcnt vmcnt(21)
	v_fma_f64 v[124:125], v[127:128], v[119:120], v[113:114]
	ds_read_b128 v[113:116], v112 offset:704
	ds_read_b128 v[117:120], v112 offset:720
	s_waitcnt vmcnt(19) lgkmcnt(1)
	v_fma_f64 v[113:114], v[129:130], v[113:114], v[124:125]
	buffer_load_dword v124, off, s[0:3], 0 offset:340
	s_waitcnt vmcnt(18)
	v_fma_f64 v[113:114], v[131:132], v[115:116], v[113:114]
	buffer_load_dword v126, off, s[0:3], 0 offset:348
	buffer_load_dword v127, off, s[0:3], 0 offset:368
	buffer_load_dword v129, off, s[0:3], 0 offset:360
	buffer_load_dword v131, off, s[0:3], 0 offset:352
	buffer_load_dword v125, off, s[0:3], 0 offset:344
	buffer_load_dword v132, off, s[0:3], 0 offset:356
	buffer_load_dword v130, off, s[0:3], 0 offset:364
	buffer_load_dword v128, off, s[0:3], 0 offset:372
	s_waitcnt vmcnt(24) lgkmcnt(0)
	v_fma_f64 v[113:114], v[133:134], v[117:118], v[113:114]
	s_waitcnt vmcnt(19)
	v_fma_f64 v[133:134], v[135:136], v[119:120], v[113:114]
	ds_read_b128 v[113:116], v112 offset:736
	ds_read_b128 v[117:120], v112 offset:752
	s_waitcnt vmcnt(18) lgkmcnt(1)
	v_fma_f64 v[113:114], v[141:142], v[113:114], v[133:134]
	s_waitcnt vmcnt(17)
	v_fma_f64 v[113:114], v[139:140], v[115:116], v[113:114]
	buffer_load_dword v134, off, s[0:3], 0 offset:380
	buffer_load_dword v135, off, s[0:3], 0 offset:400
	buffer_load_dword v139, off, s[0:3], 0 offset:392
	buffer_load_dword v141, off, s[0:3], 0 offset:384
	buffer_load_dword v133, off, s[0:3], 0 offset:376
	buffer_load_dword v142, off, s[0:3], 0 offset:388
	buffer_load_dword v140, off, s[0:3], 0 offset:396
	buffer_load_dword v136, off, s[0:3], 0 offset:404
	s_waitcnt vmcnt(24) lgkmcnt(0)
	v_fma_f64 v[113:114], v[137:138], v[117:118], v[113:114]
	s_waitcnt vmcnt(19)
	v_fma_f64 v[121:122], v[121:122], v[119:120], v[113:114]
	ds_read_b128 v[113:116], v112 offset:768
	ds_read_b128 v[117:120], v112 offset:784
	s_waitcnt vmcnt(18) lgkmcnt(1)
	v_fma_f64 v[113:114], v[145:146], v[113:114], v[121:122]
	;; [unrolled: 18-line block ×3, first 2 shown]
	buffer_load_dword v123, off, s[0:3], 0 offset:216
	buffer_load_dword v124, off, s[0:3], 0 offset:220
	s_waitcnt vmcnt(19)
	v_fma_f64 v[113:114], v[129:130], v[115:116], v[113:114]
	s_waitcnt vmcnt(18) lgkmcnt(0)
	v_fma_f64 v[113:114], v[127:128], v[117:118], v[113:114]
	s_waitcnt vmcnt(13)
	v_fma_f64 v[125:126], v[133:134], v[119:120], v[113:114]
	ds_read_b128 v[113:116], v112 offset:832
	ds_read_b128 v[117:120], v112 offset:848
	s_waitcnt vmcnt(12) lgkmcnt(1)
	v_fma_f64 v[113:114], v[141:142], v[113:114], v[125:126]
	s_waitcnt vmcnt(11)
	v_fma_f64 v[113:114], v[139:140], v[115:116], v[113:114]
	s_waitcnt vmcnt(10) lgkmcnt(0)
	v_fma_f64 v[113:114], v[135:136], v[117:118], v[113:114]
	s_waitcnt vmcnt(5)
	v_fma_f64 v[117:118], v[121:122], v[119:120], v[113:114]
	ds_read_b128 v[113:116], v112 offset:864
	ds_read_b64 v[119:120], v112 offset:880
	s_waitcnt vmcnt(4) lgkmcnt(1)
	v_fma_f64 v[113:114], v[145:146], v[113:114], v[117:118]
	s_waitcnt vmcnt(3)
	v_fma_f64 v[113:114], v[143:144], v[115:116], v[113:114]
	s_waitcnt vmcnt(2) lgkmcnt(0)
	v_fma_f64 v[113:114], v[137:138], v[119:120], v[113:114]
	s_waitcnt vmcnt(0)
	v_add_f64 v[113:114], v[123:124], -v[113:114]
	buffer_store_dword v114, off, s[0:3], 0 offset:220
	buffer_store_dword v113, off, s[0:3], 0 offset:216
	s_and_saveexec_b64 s[4:5], vcc
	s_cbranch_execz .LBB54_285
; %bb.284:
	buffer_load_dword v113, off, s[0:3], 0 offset:208
	buffer_load_dword v114, off, s[0:3], 0 offset:212
	s_waitcnt vmcnt(0)
	ds_write_b64 v111, v[113:114]
	buffer_store_dword v112, off, s[0:3], 0 offset:208
	buffer_store_dword v112, off, s[0:3], 0 offset:212
.LBB54_285:
	s_or_b64 exec, exec, s[4:5]
	s_waitcnt lgkmcnt(0)
	; wave barrier
	buffer_load_dword v121, off, s[0:3], 0 offset:216
	buffer_load_dword v122, off, s[0:3], 0 offset:220
	;; [unrolled: 1-line block ×22, first 2 shown]
	ds_read2_b64 v[113:116], v112 offset0:83 offset1:84
	ds_read2_b64 v[117:120], v112 offset0:85 offset1:86
	v_cmp_lt_u32_e32 vcc, 25, v0
	s_waitcnt vmcnt(20) lgkmcnt(1)
	v_fma_f64 v[113:114], v[121:122], v[113:114], 0
	s_waitcnt vmcnt(18)
	v_fma_f64 v[113:114], v[123:124], v[115:116], v[113:114]
	buffer_load_dword v122, off, s[0:3], 0 offset:308
	buffer_load_dword v123, off, s[0:3], 0 offset:328
	;; [unrolled: 1-line block ×7, first 2 shown]
	s_waitcnt vmcnt(23) lgkmcnt(0)
	v_fma_f64 v[113:114], v[125:126], v[117:118], v[113:114]
	s_waitcnt vmcnt(21)
	v_fma_f64 v[124:125], v[127:128], v[119:120], v[113:114]
	ds_read2_b64 v[113:116], v112 offset0:87 offset1:88
	ds_read2_b64 v[117:120], v112 offset0:89 offset1:90
	s_waitcnt vmcnt(19) lgkmcnt(1)
	v_fma_f64 v[113:114], v[129:130], v[113:114], v[124:125]
	buffer_load_dword v124, off, s[0:3], 0 offset:332
	s_waitcnt vmcnt(18)
	v_fma_f64 v[113:114], v[131:132], v[115:116], v[113:114]
	buffer_load_dword v126, off, s[0:3], 0 offset:340
	buffer_load_dword v127, off, s[0:3], 0 offset:360
	buffer_load_dword v129, off, s[0:3], 0 offset:352
	buffer_load_dword v131, off, s[0:3], 0 offset:344
	buffer_load_dword v125, off, s[0:3], 0 offset:336
	buffer_load_dword v132, off, s[0:3], 0 offset:348
	buffer_load_dword v130, off, s[0:3], 0 offset:356
	buffer_load_dword v128, off, s[0:3], 0 offset:364
	s_waitcnt vmcnt(24) lgkmcnt(0)
	v_fma_f64 v[113:114], v[133:134], v[117:118], v[113:114]
	s_waitcnt vmcnt(19)
	v_fma_f64 v[133:134], v[135:136], v[119:120], v[113:114]
	ds_read2_b64 v[113:116], v112 offset0:91 offset1:92
	ds_read2_b64 v[117:120], v112 offset0:93 offset1:94
	s_waitcnt vmcnt(18) lgkmcnt(1)
	v_fma_f64 v[113:114], v[141:142], v[113:114], v[133:134]
	s_waitcnt vmcnt(17)
	v_fma_f64 v[113:114], v[139:140], v[115:116], v[113:114]
	buffer_load_dword v134, off, s[0:3], 0 offset:372
	buffer_load_dword v135, off, s[0:3], 0 offset:392
	buffer_load_dword v139, off, s[0:3], 0 offset:384
	buffer_load_dword v141, off, s[0:3], 0 offset:376
	buffer_load_dword v133, off, s[0:3], 0 offset:368
	buffer_load_dword v142, off, s[0:3], 0 offset:380
	buffer_load_dword v140, off, s[0:3], 0 offset:388
	buffer_load_dword v136, off, s[0:3], 0 offset:396
	s_waitcnt vmcnt(24) lgkmcnt(0)
	v_fma_f64 v[113:114], v[137:138], v[117:118], v[113:114]
	s_waitcnt vmcnt(19)
	v_fma_f64 v[121:122], v[121:122], v[119:120], v[113:114]
	ds_read2_b64 v[113:116], v112 offset0:95 offset1:96
	ds_read2_b64 v[117:120], v112 offset0:97 offset1:98
	s_waitcnt vmcnt(18) lgkmcnt(1)
	v_fma_f64 v[113:114], v[145:146], v[113:114], v[121:122]
	;; [unrolled: 18-line block ×3, first 2 shown]
	buffer_load_dword v124, off, s[0:3], 0 offset:436
	buffer_load_dword v123, off, s[0:3], 0 offset:432
	;; [unrolled: 1-line block ×4, first 2 shown]
	s_waitcnt vmcnt(21)
	v_fma_f64 v[113:114], v[129:130], v[115:116], v[113:114]
	s_waitcnt vmcnt(20) lgkmcnt(0)
	v_fma_f64 v[113:114], v[127:128], v[117:118], v[113:114]
	s_waitcnt vmcnt(15)
	v_fma_f64 v[127:128], v[133:134], v[119:120], v[113:114]
	ds_read2_b64 v[113:116], v112 offset0:103 offset1:104
	ds_read2_b64 v[117:120], v112 offset0:105 offset1:106
	s_waitcnt vmcnt(14) lgkmcnt(1)
	v_fma_f64 v[113:114], v[141:142], v[113:114], v[127:128]
	s_waitcnt vmcnt(13)
	v_fma_f64 v[113:114], v[139:140], v[115:116], v[113:114]
	s_waitcnt vmcnt(12) lgkmcnt(0)
	v_fma_f64 v[113:114], v[135:136], v[117:118], v[113:114]
	s_waitcnt vmcnt(7)
	v_fma_f64 v[121:122], v[121:122], v[119:120], v[113:114]
	ds_read2_b64 v[113:116], v112 offset0:107 offset1:108
	ds_read2_b64 v[117:120], v112 offset0:109 offset1:110
	s_waitcnt vmcnt(6) lgkmcnt(1)
	v_fma_f64 v[112:113], v[145:146], v[113:114], v[121:122]
	s_waitcnt vmcnt(5)
	v_fma_f64 v[112:113], v[143:144], v[115:116], v[112:113]
	s_waitcnt vmcnt(4) lgkmcnt(0)
	v_fma_f64 v[112:113], v[137:138], v[117:118], v[112:113]
	s_waitcnt vmcnt(2)
	v_fma_f64 v[112:113], v[123:124], v[119:120], v[112:113]
	s_waitcnt vmcnt(0)
	v_add_f64 v[112:113], v[125:126], -v[112:113]
	buffer_store_dword v113, off, s[0:3], 0 offset:212
	buffer_store_dword v112, off, s[0:3], 0 offset:208
	s_and_saveexec_b64 s[4:5], vcc
	s_cbranch_execz .LBB54_287
; %bb.286:
	buffer_load_dword v112, off, s[0:3], 0 offset:200
	buffer_load_dword v113, off, s[0:3], 0 offset:204
	v_mov_b32_e32 v114, 0
	buffer_store_dword v114, off, s[0:3], 0 offset:200
	buffer_store_dword v114, off, s[0:3], 0 offset:204
	s_waitcnt vmcnt(2)
	ds_write_b64 v111, v[112:113]
.LBB54_287:
	s_or_b64 exec, exec, s[4:5]
	s_waitcnt lgkmcnt(0)
	; wave barrier
	buffer_load_dword v121, off, s[0:3], 0 offset:208
	buffer_load_dword v122, off, s[0:3], 0 offset:212
	;; [unrolled: 1-line block ×22, first 2 shown]
	v_mov_b32_e32 v112, 0
	ds_read_b128 v[113:116], v112 offset:656
	ds_read_b128 v[117:120], v112 offset:672
	v_cmp_lt_u32_e32 vcc, 24, v0
	s_waitcnt vmcnt(20) lgkmcnt(1)
	v_fma_f64 v[113:114], v[121:122], v[113:114], 0
	s_waitcnt vmcnt(18)
	v_fma_f64 v[113:114], v[123:124], v[115:116], v[113:114]
	buffer_load_dword v122, off, s[0:3], 0 offset:300
	buffer_load_dword v123, off, s[0:3], 0 offset:320
	;; [unrolled: 1-line block ×7, first 2 shown]
	s_waitcnt vmcnt(23) lgkmcnt(0)
	v_fma_f64 v[113:114], v[125:126], v[117:118], v[113:114]
	s_waitcnt vmcnt(21)
	v_fma_f64 v[124:125], v[127:128], v[119:120], v[113:114]
	ds_read_b128 v[113:116], v112 offset:688
	ds_read_b128 v[117:120], v112 offset:704
	s_waitcnt vmcnt(19) lgkmcnt(1)
	v_fma_f64 v[113:114], v[129:130], v[113:114], v[124:125]
	buffer_load_dword v124, off, s[0:3], 0 offset:324
	s_waitcnt vmcnt(18)
	v_fma_f64 v[113:114], v[131:132], v[115:116], v[113:114]
	buffer_load_dword v126, off, s[0:3], 0 offset:332
	buffer_load_dword v127, off, s[0:3], 0 offset:352
	;; [unrolled: 1-line block ×7, first 2 shown]
	s_waitcnt vmcnt(23) lgkmcnt(0)
	v_fma_f64 v[113:114], v[133:134], v[117:118], v[113:114]
	s_waitcnt vmcnt(18)
	v_fma_f64 v[133:134], v[135:136], v[119:120], v[113:114]
	ds_read_b128 v[113:116], v112 offset:720
	ds_read_b128 v[117:120], v112 offset:736
	buffer_load_dword v128, off, s[0:3], 0 offset:356
	s_waitcnt vmcnt(18) lgkmcnt(1)
	v_fma_f64 v[113:114], v[141:142], v[113:114], v[133:134]
	s_waitcnt vmcnt(17)
	v_fma_f64 v[113:114], v[139:140], v[115:116], v[113:114]
	buffer_load_dword v134, off, s[0:3], 0 offset:364
	buffer_load_dword v135, off, s[0:3], 0 offset:384
	;; [unrolled: 1-line block ×8, first 2 shown]
	s_waitcnt vmcnt(24) lgkmcnt(0)
	v_fma_f64 v[113:114], v[137:138], v[117:118], v[113:114]
	s_waitcnt vmcnt(19)
	v_fma_f64 v[121:122], v[121:122], v[119:120], v[113:114]
	ds_read_b128 v[113:116], v112 offset:752
	ds_read_b128 v[117:120], v112 offset:768
	s_waitcnt vmcnt(18) lgkmcnt(1)
	v_fma_f64 v[113:114], v[145:146], v[113:114], v[121:122]
	s_waitcnt vmcnt(17)
	v_fma_f64 v[113:114], v[143:144], v[115:116], v[113:114]
	buffer_load_dword v122, off, s[0:3], 0 offset:396
	buffer_load_dword v137, off, s[0:3], 0 offset:416
	;; [unrolled: 1-line block ×7, first 2 shown]
	s_waitcnt vmcnt(23) lgkmcnt(0)
	v_fma_f64 v[113:114], v[123:124], v[117:118], v[113:114]
	s_waitcnt vmcnt(18)
	v_fma_f64 v[123:124], v[125:126], v[119:120], v[113:114]
	ds_read_b128 v[113:116], v112 offset:784
	ds_read_b128 v[117:120], v112 offset:800
	buffer_load_dword v138, off, s[0:3], 0 offset:420
	s_waitcnt vmcnt(18) lgkmcnt(1)
	v_fma_f64 v[113:114], v[131:132], v[113:114], v[123:124]
	buffer_load_dword v124, off, s[0:3], 0 offset:428
	buffer_load_dword v125, off, s[0:3], 0 offset:432
	;; [unrolled: 1-line block ×4, first 2 shown]
	s_waitcnt vmcnt(21)
	v_fma_f64 v[113:114], v[129:130], v[115:116], v[113:114]
	s_waitcnt vmcnt(20) lgkmcnt(0)
	v_fma_f64 v[113:114], v[127:128], v[117:118], v[113:114]
	buffer_load_dword v127, off, s[0:3], 0 offset:200
	buffer_load_dword v128, off, s[0:3], 0 offset:204
	s_waitcnt vmcnt(17)
	v_fma_f64 v[129:130], v[133:134], v[119:120], v[113:114]
	ds_read_b128 v[113:116], v112 offset:816
	ds_read_b128 v[117:120], v112 offset:832
	s_waitcnt vmcnt(16) lgkmcnt(1)
	v_fma_f64 v[113:114], v[141:142], v[113:114], v[129:130]
	s_waitcnt vmcnt(15)
	v_fma_f64 v[113:114], v[139:140], v[115:116], v[113:114]
	s_waitcnt vmcnt(14) lgkmcnt(0)
	v_fma_f64 v[113:114], v[135:136], v[117:118], v[113:114]
	s_waitcnt vmcnt(9)
	v_fma_f64 v[121:122], v[121:122], v[119:120], v[113:114]
	ds_read_b128 v[113:116], v112 offset:848
	ds_read_b128 v[117:120], v112 offset:864
	s_waitcnt vmcnt(8) lgkmcnt(1)
	v_fma_f64 v[113:114], v[145:146], v[113:114], v[121:122]
	s_waitcnt vmcnt(7)
	v_fma_f64 v[113:114], v[143:144], v[115:116], v[113:114]
	ds_read_b64 v[115:116], v112 offset:880
	s_waitcnt vmcnt(6) lgkmcnt(1)
	v_fma_f64 v[113:114], v[137:138], v[117:118], v[113:114]
	s_waitcnt vmcnt(3)
	v_fma_f64 v[113:114], v[123:124], v[119:120], v[113:114]
	s_waitcnt vmcnt(2) lgkmcnt(0)
	v_fma_f64 v[113:114], v[125:126], v[115:116], v[113:114]
	s_waitcnt vmcnt(0)
	v_add_f64 v[113:114], v[127:128], -v[113:114]
	buffer_store_dword v114, off, s[0:3], 0 offset:204
	buffer_store_dword v113, off, s[0:3], 0 offset:200
	s_and_saveexec_b64 s[4:5], vcc
	s_cbranch_execz .LBB54_289
; %bb.288:
	buffer_load_dword v113, off, s[0:3], 0 offset:192
	buffer_load_dword v114, off, s[0:3], 0 offset:196
	s_waitcnt vmcnt(0)
	ds_write_b64 v111, v[113:114]
	buffer_store_dword v112, off, s[0:3], 0 offset:192
	buffer_store_dword v112, off, s[0:3], 0 offset:196
.LBB54_289:
	s_or_b64 exec, exec, s[4:5]
	s_waitcnt lgkmcnt(0)
	; wave barrier
	buffer_load_dword v121, off, s[0:3], 0 offset:200
	buffer_load_dword v122, off, s[0:3], 0 offset:204
	;; [unrolled: 1-line block ×22, first 2 shown]
	ds_read2_b64 v[113:116], v112 offset0:81 offset1:82
	ds_read2_b64 v[117:120], v112 offset0:83 offset1:84
	v_cmp_lt_u32_e32 vcc, 23, v0
	s_waitcnt vmcnt(20) lgkmcnt(1)
	v_fma_f64 v[113:114], v[121:122], v[113:114], 0
	s_waitcnt vmcnt(18)
	v_fma_f64 v[113:114], v[123:124], v[115:116], v[113:114]
	buffer_load_dword v122, off, s[0:3], 0 offset:292
	buffer_load_dword v123, off, s[0:3], 0 offset:312
	buffer_load_dword v143, off, s[0:3], 0 offset:304
	buffer_load_dword v145, off, s[0:3], 0 offset:296
	buffer_load_dword v121, off, s[0:3], 0 offset:288
	buffer_load_dword v146, off, s[0:3], 0 offset:300
	buffer_load_dword v144, off, s[0:3], 0 offset:308
	s_waitcnt vmcnt(23) lgkmcnt(0)
	v_fma_f64 v[113:114], v[125:126], v[117:118], v[113:114]
	s_waitcnt vmcnt(21)
	v_fma_f64 v[124:125], v[127:128], v[119:120], v[113:114]
	ds_read2_b64 v[113:116], v112 offset0:85 offset1:86
	ds_read2_b64 v[117:120], v112 offset0:87 offset1:88
	s_waitcnt vmcnt(19) lgkmcnt(1)
	v_fma_f64 v[113:114], v[129:130], v[113:114], v[124:125]
	buffer_load_dword v124, off, s[0:3], 0 offset:316
	s_waitcnt vmcnt(18)
	v_fma_f64 v[113:114], v[131:132], v[115:116], v[113:114]
	buffer_load_dword v126, off, s[0:3], 0 offset:324
	buffer_load_dword v127, off, s[0:3], 0 offset:344
	;; [unrolled: 1-line block ×7, first 2 shown]
	s_waitcnt vmcnt(23) lgkmcnt(0)
	v_fma_f64 v[113:114], v[133:134], v[117:118], v[113:114]
	s_waitcnt vmcnt(18)
	v_fma_f64 v[133:134], v[135:136], v[119:120], v[113:114]
	ds_read2_b64 v[113:116], v112 offset0:89 offset1:90
	ds_read2_b64 v[117:120], v112 offset0:91 offset1:92
	buffer_load_dword v128, off, s[0:3], 0 offset:348
	s_waitcnt vmcnt(18) lgkmcnt(1)
	v_fma_f64 v[113:114], v[141:142], v[113:114], v[133:134]
	s_waitcnt vmcnt(17)
	v_fma_f64 v[113:114], v[139:140], v[115:116], v[113:114]
	buffer_load_dword v134, off, s[0:3], 0 offset:356
	buffer_load_dword v135, off, s[0:3], 0 offset:376
	;; [unrolled: 1-line block ×8, first 2 shown]
	s_waitcnt vmcnt(24) lgkmcnt(0)
	v_fma_f64 v[113:114], v[137:138], v[117:118], v[113:114]
	s_waitcnt vmcnt(19)
	v_fma_f64 v[121:122], v[121:122], v[119:120], v[113:114]
	ds_read2_b64 v[113:116], v112 offset0:93 offset1:94
	ds_read2_b64 v[117:120], v112 offset0:95 offset1:96
	s_waitcnt vmcnt(18) lgkmcnt(1)
	v_fma_f64 v[113:114], v[145:146], v[113:114], v[121:122]
	s_waitcnt vmcnt(17)
	v_fma_f64 v[113:114], v[143:144], v[115:116], v[113:114]
	buffer_load_dword v122, off, s[0:3], 0 offset:388
	buffer_load_dword v137, off, s[0:3], 0 offset:408
	;; [unrolled: 1-line block ×8, first 2 shown]
	s_waitcnt vmcnt(24) lgkmcnt(0)
	v_fma_f64 v[113:114], v[123:124], v[117:118], v[113:114]
	s_waitcnt vmcnt(19)
	v_fma_f64 v[123:124], v[125:126], v[119:120], v[113:114]
	ds_read2_b64 v[113:116], v112 offset0:97 offset1:98
	ds_read2_b64 v[117:120], v112 offset0:99 offset1:100
	s_waitcnt vmcnt(18) lgkmcnt(1)
	v_fma_f64 v[113:114], v[131:132], v[113:114], v[123:124]
	s_waitcnt vmcnt(17)
	v_fma_f64 v[113:114], v[129:130], v[115:116], v[113:114]
	buffer_load_dword v124, off, s[0:3], 0 offset:420
	buffer_load_dword v125, off, s[0:3], 0 offset:432
	buffer_load_dword v129, off, s[0:3], 0 offset:424
	buffer_load_dword v123, off, s[0:3], 0 offset:416
	buffer_load_dword v130, off, s[0:3], 0 offset:428
	buffer_load_dword v126, off, s[0:3], 0 offset:436
	s_waitcnt vmcnt(22) lgkmcnt(0)
	v_fma_f64 v[113:114], v[127:128], v[117:118], v[113:114]
	s_waitcnt vmcnt(17)
	v_fma_f64 v[127:128], v[133:134], v[119:120], v[113:114]
	ds_read2_b64 v[113:116], v112 offset0:101 offset1:102
	buffer_load_dword v131, off, s[0:3], 0 offset:192
	buffer_load_dword v132, off, s[0:3], 0 offset:196
	ds_read2_b64 v[117:120], v112 offset0:103 offset1:104
	s_waitcnt vmcnt(18) lgkmcnt(1)
	v_fma_f64 v[113:114], v[141:142], v[113:114], v[127:128]
	s_waitcnt vmcnt(17)
	v_fma_f64 v[113:114], v[139:140], v[115:116], v[113:114]
	s_waitcnt vmcnt(16) lgkmcnt(0)
	v_fma_f64 v[113:114], v[135:136], v[117:118], v[113:114]
	s_waitcnt vmcnt(11)
	v_fma_f64 v[121:122], v[121:122], v[119:120], v[113:114]
	ds_read2_b64 v[113:116], v112 offset0:105 offset1:106
	ds_read2_b64 v[117:120], v112 offset0:107 offset1:108
	s_waitcnt vmcnt(10) lgkmcnt(1)
	v_fma_f64 v[113:114], v[145:146], v[113:114], v[121:122]
	s_waitcnt vmcnt(9)
	v_fma_f64 v[113:114], v[143:144], v[115:116], v[113:114]
	s_waitcnt vmcnt(8) lgkmcnt(0)
	v_fma_f64 v[113:114], v[137:138], v[117:118], v[113:114]
	s_waitcnt vmcnt(4)
	v_fma_f64 v[116:117], v[123:124], v[119:120], v[113:114]
	ds_read2_b64 v[112:115], v112 offset0:109 offset1:110
	s_waitcnt vmcnt(3) lgkmcnt(0)
	v_fma_f64 v[112:113], v[129:130], v[112:113], v[116:117]
	s_waitcnt vmcnt(2)
	v_fma_f64 v[112:113], v[125:126], v[114:115], v[112:113]
	s_waitcnt vmcnt(0)
	v_add_f64 v[112:113], v[131:132], -v[112:113]
	buffer_store_dword v113, off, s[0:3], 0 offset:196
	buffer_store_dword v112, off, s[0:3], 0 offset:192
	s_and_saveexec_b64 s[4:5], vcc
	s_cbranch_execz .LBB54_291
; %bb.290:
	buffer_load_dword v112, off, s[0:3], 0 offset:184
	buffer_load_dword v113, off, s[0:3], 0 offset:188
	v_mov_b32_e32 v114, 0
	buffer_store_dword v114, off, s[0:3], 0 offset:184
	buffer_store_dword v114, off, s[0:3], 0 offset:188
	s_waitcnt vmcnt(2)
	ds_write_b64 v111, v[112:113]
.LBB54_291:
	s_or_b64 exec, exec, s[4:5]
	s_waitcnt lgkmcnt(0)
	; wave barrier
	buffer_load_dword v121, off, s[0:3], 0 offset:192
	buffer_load_dword v122, off, s[0:3], 0 offset:196
	;; [unrolled: 1-line block ×22, first 2 shown]
	v_mov_b32_e32 v112, 0
	ds_read_b128 v[113:116], v112 offset:640
	ds_read_b128 v[117:120], v112 offset:656
	v_cmp_lt_u32_e32 vcc, 22, v0
	s_waitcnt vmcnt(20) lgkmcnt(1)
	v_fma_f64 v[113:114], v[121:122], v[113:114], 0
	s_waitcnt vmcnt(18)
	v_fma_f64 v[113:114], v[123:124], v[115:116], v[113:114]
	buffer_load_dword v122, off, s[0:3], 0 offset:284
	buffer_load_dword v123, off, s[0:3], 0 offset:304
	;; [unrolled: 1-line block ×7, first 2 shown]
	s_waitcnt vmcnt(23) lgkmcnt(0)
	v_fma_f64 v[113:114], v[125:126], v[117:118], v[113:114]
	s_waitcnt vmcnt(21)
	v_fma_f64 v[124:125], v[127:128], v[119:120], v[113:114]
	ds_read_b128 v[113:116], v112 offset:672
	ds_read_b128 v[117:120], v112 offset:688
	s_waitcnt vmcnt(19) lgkmcnt(1)
	v_fma_f64 v[113:114], v[129:130], v[113:114], v[124:125]
	buffer_load_dword v124, off, s[0:3], 0 offset:308
	s_waitcnt vmcnt(18)
	v_fma_f64 v[113:114], v[131:132], v[115:116], v[113:114]
	buffer_load_dword v126, off, s[0:3], 0 offset:316
	buffer_load_dword v127, off, s[0:3], 0 offset:336
	;; [unrolled: 1-line block ×7, first 2 shown]
	s_waitcnt vmcnt(23) lgkmcnt(0)
	v_fma_f64 v[113:114], v[133:134], v[117:118], v[113:114]
	s_waitcnt vmcnt(18)
	v_fma_f64 v[133:134], v[135:136], v[119:120], v[113:114]
	ds_read_b128 v[113:116], v112 offset:704
	ds_read_b128 v[117:120], v112 offset:720
	buffer_load_dword v128, off, s[0:3], 0 offset:340
	s_waitcnt vmcnt(18) lgkmcnt(1)
	v_fma_f64 v[113:114], v[141:142], v[113:114], v[133:134]
	s_waitcnt vmcnt(17)
	v_fma_f64 v[113:114], v[139:140], v[115:116], v[113:114]
	buffer_load_dword v134, off, s[0:3], 0 offset:348
	buffer_load_dword v135, off, s[0:3], 0 offset:368
	buffer_load_dword v139, off, s[0:3], 0 offset:360
	buffer_load_dword v141, off, s[0:3], 0 offset:352
	buffer_load_dword v133, off, s[0:3], 0 offset:344
	buffer_load_dword v142, off, s[0:3], 0 offset:356
	buffer_load_dword v140, off, s[0:3], 0 offset:364
	buffer_load_dword v136, off, s[0:3], 0 offset:372
	s_waitcnt vmcnt(24) lgkmcnt(0)
	v_fma_f64 v[113:114], v[137:138], v[117:118], v[113:114]
	s_waitcnt vmcnt(19)
	v_fma_f64 v[121:122], v[121:122], v[119:120], v[113:114]
	ds_read_b128 v[113:116], v112 offset:736
	ds_read_b128 v[117:120], v112 offset:752
	s_waitcnt vmcnt(18) lgkmcnt(1)
	v_fma_f64 v[113:114], v[145:146], v[113:114], v[121:122]
	s_waitcnt vmcnt(17)
	v_fma_f64 v[113:114], v[143:144], v[115:116], v[113:114]
	buffer_load_dword v122, off, s[0:3], 0 offset:380
	buffer_load_dword v137, off, s[0:3], 0 offset:400
	buffer_load_dword v143, off, s[0:3], 0 offset:392
	buffer_load_dword v145, off, s[0:3], 0 offset:384
	buffer_load_dword v121, off, s[0:3], 0 offset:376
	buffer_load_dword v146, off, s[0:3], 0 offset:388
	buffer_load_dword v144, off, s[0:3], 0 offset:396
	buffer_load_dword v138, off, s[0:3], 0 offset:404
	s_waitcnt vmcnt(24) lgkmcnt(0)
	v_fma_f64 v[113:114], v[123:124], v[117:118], v[113:114]
	s_waitcnt vmcnt(19)
	v_fma_f64 v[123:124], v[125:126], v[119:120], v[113:114]
	ds_read_b128 v[113:116], v112 offset:768
	ds_read_b128 v[117:120], v112 offset:784
	;; [unrolled: 18-line block ×3, first 2 shown]
	s_waitcnt vmcnt(18) lgkmcnt(1)
	v_fma_f64 v[113:114], v[141:142], v[113:114], v[127:128]
	buffer_load_dword v127, off, s[0:3], 0 offset:184
	buffer_load_dword v128, off, s[0:3], 0 offset:188
	s_waitcnt vmcnt(19)
	v_fma_f64 v[113:114], v[139:140], v[115:116], v[113:114]
	s_waitcnt vmcnt(18) lgkmcnt(0)
	v_fma_f64 v[113:114], v[135:136], v[117:118], v[113:114]
	s_waitcnt vmcnt(13)
	v_fma_f64 v[121:122], v[121:122], v[119:120], v[113:114]
	ds_read_b128 v[113:116], v112 offset:832
	ds_read_b128 v[117:120], v112 offset:848
	s_waitcnt vmcnt(12) lgkmcnt(1)
	v_fma_f64 v[113:114], v[145:146], v[113:114], v[121:122]
	s_waitcnt vmcnt(11)
	v_fma_f64 v[113:114], v[143:144], v[115:116], v[113:114]
	s_waitcnt vmcnt(10) lgkmcnt(0)
	v_fma_f64 v[113:114], v[137:138], v[117:118], v[113:114]
	s_waitcnt vmcnt(5)
	v_fma_f64 v[117:118], v[123:124], v[119:120], v[113:114]
	ds_read_b128 v[113:116], v112 offset:864
	ds_read_b64 v[119:120], v112 offset:880
	s_waitcnt vmcnt(4) lgkmcnt(1)
	v_fma_f64 v[113:114], v[131:132], v[113:114], v[117:118]
	s_waitcnt vmcnt(3)
	v_fma_f64 v[113:114], v[129:130], v[115:116], v[113:114]
	s_waitcnt vmcnt(2) lgkmcnt(0)
	v_fma_f64 v[113:114], v[125:126], v[119:120], v[113:114]
	s_waitcnt vmcnt(0)
	v_add_f64 v[113:114], v[127:128], -v[113:114]
	buffer_store_dword v114, off, s[0:3], 0 offset:188
	buffer_store_dword v113, off, s[0:3], 0 offset:184
	s_and_saveexec_b64 s[4:5], vcc
	s_cbranch_execz .LBB54_293
; %bb.292:
	buffer_load_dword v113, off, s[0:3], 0 offset:176
	buffer_load_dword v114, off, s[0:3], 0 offset:180
	s_waitcnt vmcnt(0)
	ds_write_b64 v111, v[113:114]
	buffer_store_dword v112, off, s[0:3], 0 offset:176
	buffer_store_dword v112, off, s[0:3], 0 offset:180
.LBB54_293:
	s_or_b64 exec, exec, s[4:5]
	s_waitcnt lgkmcnt(0)
	; wave barrier
	buffer_load_dword v121, off, s[0:3], 0 offset:184
	buffer_load_dword v122, off, s[0:3], 0 offset:188
	;; [unrolled: 1-line block ×22, first 2 shown]
	ds_read2_b64 v[113:116], v112 offset0:79 offset1:80
	ds_read2_b64 v[117:120], v112 offset0:81 offset1:82
	v_cmp_lt_u32_e32 vcc, 21, v0
	s_waitcnt vmcnt(20) lgkmcnt(1)
	v_fma_f64 v[113:114], v[121:122], v[113:114], 0
	s_waitcnt vmcnt(18)
	v_fma_f64 v[113:114], v[123:124], v[115:116], v[113:114]
	buffer_load_dword v122, off, s[0:3], 0 offset:276
	buffer_load_dword v123, off, s[0:3], 0 offset:296
	;; [unrolled: 1-line block ×7, first 2 shown]
	s_waitcnt vmcnt(23) lgkmcnt(0)
	v_fma_f64 v[113:114], v[125:126], v[117:118], v[113:114]
	s_waitcnt vmcnt(21)
	v_fma_f64 v[124:125], v[127:128], v[119:120], v[113:114]
	ds_read2_b64 v[113:116], v112 offset0:83 offset1:84
	ds_read2_b64 v[117:120], v112 offset0:85 offset1:86
	s_waitcnt vmcnt(19) lgkmcnt(1)
	v_fma_f64 v[113:114], v[129:130], v[113:114], v[124:125]
	buffer_load_dword v124, off, s[0:3], 0 offset:300
	s_waitcnt vmcnt(18)
	v_fma_f64 v[113:114], v[131:132], v[115:116], v[113:114]
	buffer_load_dword v126, off, s[0:3], 0 offset:308
	buffer_load_dword v127, off, s[0:3], 0 offset:328
	;; [unrolled: 1-line block ×7, first 2 shown]
	s_waitcnt vmcnt(23) lgkmcnt(0)
	v_fma_f64 v[113:114], v[133:134], v[117:118], v[113:114]
	s_waitcnt vmcnt(18)
	v_fma_f64 v[133:134], v[135:136], v[119:120], v[113:114]
	ds_read2_b64 v[113:116], v112 offset0:87 offset1:88
	ds_read2_b64 v[117:120], v112 offset0:89 offset1:90
	buffer_load_dword v128, off, s[0:3], 0 offset:332
	s_waitcnt vmcnt(18) lgkmcnt(1)
	v_fma_f64 v[113:114], v[141:142], v[113:114], v[133:134]
	s_waitcnt vmcnt(17)
	v_fma_f64 v[113:114], v[139:140], v[115:116], v[113:114]
	buffer_load_dword v134, off, s[0:3], 0 offset:340
	buffer_load_dword v135, off, s[0:3], 0 offset:360
	buffer_load_dword v139, off, s[0:3], 0 offset:352
	buffer_load_dword v141, off, s[0:3], 0 offset:344
	buffer_load_dword v133, off, s[0:3], 0 offset:336
	buffer_load_dword v142, off, s[0:3], 0 offset:348
	buffer_load_dword v140, off, s[0:3], 0 offset:356
	buffer_load_dword v136, off, s[0:3], 0 offset:364
	s_waitcnt vmcnt(24) lgkmcnt(0)
	v_fma_f64 v[113:114], v[137:138], v[117:118], v[113:114]
	s_waitcnt vmcnt(19)
	v_fma_f64 v[121:122], v[121:122], v[119:120], v[113:114]
	ds_read2_b64 v[113:116], v112 offset0:91 offset1:92
	ds_read2_b64 v[117:120], v112 offset0:93 offset1:94
	s_waitcnt vmcnt(18) lgkmcnt(1)
	v_fma_f64 v[113:114], v[145:146], v[113:114], v[121:122]
	s_waitcnt vmcnt(17)
	v_fma_f64 v[113:114], v[143:144], v[115:116], v[113:114]
	buffer_load_dword v122, off, s[0:3], 0 offset:372
	buffer_load_dword v137, off, s[0:3], 0 offset:392
	buffer_load_dword v143, off, s[0:3], 0 offset:384
	buffer_load_dword v145, off, s[0:3], 0 offset:376
	buffer_load_dword v121, off, s[0:3], 0 offset:368
	buffer_load_dword v146, off, s[0:3], 0 offset:380
	buffer_load_dword v144, off, s[0:3], 0 offset:388
	buffer_load_dword v138, off, s[0:3], 0 offset:396
	s_waitcnt vmcnt(24) lgkmcnt(0)
	v_fma_f64 v[113:114], v[123:124], v[117:118], v[113:114]
	s_waitcnt vmcnt(19)
	v_fma_f64 v[123:124], v[125:126], v[119:120], v[113:114]
	ds_read2_b64 v[113:116], v112 offset0:95 offset1:96
	ds_read2_b64 v[117:120], v112 offset0:97 offset1:98
	;; [unrolled: 18-line block ×3, first 2 shown]
	s_waitcnt vmcnt(18) lgkmcnt(1)
	v_fma_f64 v[113:114], v[141:142], v[113:114], v[127:128]
	buffer_load_dword v128, off, s[0:3], 0 offset:436
	buffer_load_dword v127, off, s[0:3], 0 offset:432
	;; [unrolled: 1-line block ×4, first 2 shown]
	s_waitcnt vmcnt(21)
	v_fma_f64 v[113:114], v[139:140], v[115:116], v[113:114]
	s_waitcnt vmcnt(20) lgkmcnt(0)
	v_fma_f64 v[113:114], v[135:136], v[117:118], v[113:114]
	s_waitcnt vmcnt(15)
	v_fma_f64 v[121:122], v[121:122], v[119:120], v[113:114]
	ds_read2_b64 v[113:116], v112 offset0:103 offset1:104
	ds_read2_b64 v[117:120], v112 offset0:105 offset1:106
	s_waitcnt vmcnt(14) lgkmcnt(1)
	v_fma_f64 v[113:114], v[145:146], v[113:114], v[121:122]
	s_waitcnt vmcnt(13)
	v_fma_f64 v[113:114], v[143:144], v[115:116], v[113:114]
	s_waitcnt vmcnt(12) lgkmcnt(0)
	v_fma_f64 v[113:114], v[137:138], v[117:118], v[113:114]
	s_waitcnt vmcnt(7)
	v_fma_f64 v[121:122], v[123:124], v[119:120], v[113:114]
	ds_read2_b64 v[113:116], v112 offset0:107 offset1:108
	ds_read2_b64 v[117:120], v112 offset0:109 offset1:110
	s_waitcnt vmcnt(6) lgkmcnt(1)
	v_fma_f64 v[112:113], v[131:132], v[113:114], v[121:122]
	s_waitcnt vmcnt(5)
	v_fma_f64 v[112:113], v[129:130], v[115:116], v[112:113]
	s_waitcnt vmcnt(4) lgkmcnt(0)
	v_fma_f64 v[112:113], v[125:126], v[117:118], v[112:113]
	s_waitcnt vmcnt(2)
	v_fma_f64 v[112:113], v[127:128], v[119:120], v[112:113]
	s_waitcnt vmcnt(0)
	v_add_f64 v[112:113], v[133:134], -v[112:113]
	buffer_store_dword v113, off, s[0:3], 0 offset:180
	buffer_store_dword v112, off, s[0:3], 0 offset:176
	s_and_saveexec_b64 s[4:5], vcc
	s_cbranch_execz .LBB54_295
; %bb.294:
	buffer_load_dword v112, off, s[0:3], 0 offset:168
	buffer_load_dword v113, off, s[0:3], 0 offset:172
	v_mov_b32_e32 v114, 0
	buffer_store_dword v114, off, s[0:3], 0 offset:168
	buffer_store_dword v114, off, s[0:3], 0 offset:172
	s_waitcnt vmcnt(2)
	ds_write_b64 v111, v[112:113]
.LBB54_295:
	s_or_b64 exec, exec, s[4:5]
	s_waitcnt lgkmcnt(0)
	; wave barrier
	buffer_load_dword v121, off, s[0:3], 0 offset:176
	buffer_load_dword v122, off, s[0:3], 0 offset:180
	;; [unrolled: 1-line block ×21, first 2 shown]
	v_mov_b32_e32 v112, 0
	ds_read_b128 v[113:116], v112 offset:624
	ds_read_b128 v[117:120], v112 offset:640
	buffer_load_dword v138, off, s[0:3], 0 offset:260
	v_cmp_lt_u32_e32 vcc, 20, v0
	s_waitcnt vmcnt(20) lgkmcnt(1)
	v_fma_f64 v[113:114], v[121:122], v[113:114], 0
	s_waitcnt vmcnt(18)
	v_fma_f64 v[113:114], v[123:124], v[115:116], v[113:114]
	buffer_load_dword v122, off, s[0:3], 0 offset:268
	buffer_load_dword v123, off, s[0:3], 0 offset:288
	;; [unrolled: 1-line block ×7, first 2 shown]
	s_waitcnt vmcnt(23) lgkmcnt(0)
	v_fma_f64 v[113:114], v[125:126], v[117:118], v[113:114]
	s_waitcnt vmcnt(21)
	v_fma_f64 v[124:125], v[127:128], v[119:120], v[113:114]
	ds_read_b128 v[113:116], v112 offset:656
	ds_read_b128 v[117:120], v112 offset:672
	s_waitcnt vmcnt(19) lgkmcnt(1)
	v_fma_f64 v[113:114], v[129:130], v[113:114], v[124:125]
	buffer_load_dword v124, off, s[0:3], 0 offset:292
	s_waitcnt vmcnt(18)
	v_fma_f64 v[113:114], v[131:132], v[115:116], v[113:114]
	buffer_load_dword v126, off, s[0:3], 0 offset:300
	buffer_load_dword v127, off, s[0:3], 0 offset:320
	buffer_load_dword v129, off, s[0:3], 0 offset:312
	buffer_load_dword v131, off, s[0:3], 0 offset:304
	buffer_load_dword v125, off, s[0:3], 0 offset:296
	buffer_load_dword v132, off, s[0:3], 0 offset:308
	buffer_load_dword v130, off, s[0:3], 0 offset:316
	s_waitcnt vmcnt(23) lgkmcnt(0)
	v_fma_f64 v[113:114], v[133:134], v[117:118], v[113:114]
	s_waitcnt vmcnt(18)
	v_fma_f64 v[133:134], v[135:136], v[119:120], v[113:114]
	ds_read_b128 v[113:116], v112 offset:688
	ds_read_b128 v[117:120], v112 offset:704
	buffer_load_dword v128, off, s[0:3], 0 offset:324
	s_waitcnt vmcnt(18) lgkmcnt(1)
	v_fma_f64 v[113:114], v[141:142], v[113:114], v[133:134]
	s_waitcnt vmcnt(17)
	v_fma_f64 v[113:114], v[139:140], v[115:116], v[113:114]
	buffer_load_dword v134, off, s[0:3], 0 offset:332
	buffer_load_dword v135, off, s[0:3], 0 offset:352
	;; [unrolled: 1-line block ×7, first 2 shown]
	s_waitcnt vmcnt(23) lgkmcnt(0)
	v_fma_f64 v[113:114], v[137:138], v[117:118], v[113:114]
	s_waitcnt vmcnt(18)
	v_fma_f64 v[121:122], v[121:122], v[119:120], v[113:114]
	ds_read_b128 v[113:116], v112 offset:720
	ds_read_b128 v[117:120], v112 offset:736
	buffer_load_dword v136, off, s[0:3], 0 offset:356
	s_waitcnt vmcnt(18) lgkmcnt(1)
	v_fma_f64 v[113:114], v[145:146], v[113:114], v[121:122]
	s_waitcnt vmcnt(17)
	v_fma_f64 v[113:114], v[143:144], v[115:116], v[113:114]
	buffer_load_dword v122, off, s[0:3], 0 offset:364
	buffer_load_dword v137, off, s[0:3], 0 offset:384
	;; [unrolled: 1-line block ×8, first 2 shown]
	s_waitcnt vmcnt(24) lgkmcnt(0)
	v_fma_f64 v[113:114], v[123:124], v[117:118], v[113:114]
	s_waitcnt vmcnt(19)
	v_fma_f64 v[123:124], v[125:126], v[119:120], v[113:114]
	ds_read_b128 v[113:116], v112 offset:752
	ds_read_b128 v[117:120], v112 offset:768
	s_waitcnt vmcnt(18) lgkmcnt(1)
	v_fma_f64 v[113:114], v[131:132], v[113:114], v[123:124]
	s_waitcnt vmcnt(17)
	v_fma_f64 v[113:114], v[129:130], v[115:116], v[113:114]
	buffer_load_dword v124, off, s[0:3], 0 offset:396
	buffer_load_dword v125, off, s[0:3], 0 offset:416
	;; [unrolled: 1-line block ×7, first 2 shown]
	s_waitcnt vmcnt(23) lgkmcnt(0)
	v_fma_f64 v[113:114], v[127:128], v[117:118], v[113:114]
	s_waitcnt vmcnt(18)
	v_fma_f64 v[126:127], v[133:134], v[119:120], v[113:114]
	ds_read_b128 v[113:116], v112 offset:784
	ds_read_b128 v[117:120], v112 offset:800
	s_waitcnt vmcnt(17) lgkmcnt(1)
	v_fma_f64 v[113:114], v[141:142], v[113:114], v[126:127]
	buffer_load_dword v126, off, s[0:3], 0 offset:420
	buffer_load_dword v128, off, s[0:3], 0 offset:428
	;; [unrolled: 1-line block ×5, first 2 shown]
	s_waitcnt vmcnt(21)
	v_fma_f64 v[113:114], v[139:140], v[115:116], v[113:114]
	s_waitcnt vmcnt(20) lgkmcnt(0)
	v_fma_f64 v[113:114], v[135:136], v[117:118], v[113:114]
	buffer_load_dword v135, off, s[0:3], 0 offset:168
	buffer_load_dword v136, off, s[0:3], 0 offset:172
	s_waitcnt vmcnt(17)
	v_fma_f64 v[121:122], v[121:122], v[119:120], v[113:114]
	ds_read_b128 v[113:116], v112 offset:816
	ds_read_b128 v[117:120], v112 offset:832
	s_waitcnt vmcnt(16) lgkmcnt(1)
	v_fma_f64 v[113:114], v[145:146], v[113:114], v[121:122]
	s_waitcnt vmcnt(15)
	v_fma_f64 v[113:114], v[143:144], v[115:116], v[113:114]
	s_waitcnt vmcnt(14) lgkmcnt(0)
	v_fma_f64 v[113:114], v[137:138], v[117:118], v[113:114]
	s_waitcnt vmcnt(9)
	v_fma_f64 v[121:122], v[123:124], v[119:120], v[113:114]
	ds_read_b128 v[113:116], v112 offset:848
	ds_read_b128 v[117:120], v112 offset:864
	s_waitcnt vmcnt(8) lgkmcnt(1)
	v_fma_f64 v[113:114], v[131:132], v[113:114], v[121:122]
	s_waitcnt vmcnt(7)
	v_fma_f64 v[113:114], v[129:130], v[115:116], v[113:114]
	ds_read_b64 v[115:116], v112 offset:880
	s_waitcnt vmcnt(6) lgkmcnt(1)
	v_fma_f64 v[113:114], v[125:126], v[117:118], v[113:114]
	s_waitcnt vmcnt(3)
	v_fma_f64 v[113:114], v[127:128], v[119:120], v[113:114]
	s_waitcnt vmcnt(2) lgkmcnt(0)
	v_fma_f64 v[113:114], v[133:134], v[115:116], v[113:114]
	s_waitcnt vmcnt(0)
	v_add_f64 v[113:114], v[135:136], -v[113:114]
	buffer_store_dword v114, off, s[0:3], 0 offset:172
	buffer_store_dword v113, off, s[0:3], 0 offset:168
	s_and_saveexec_b64 s[4:5], vcc
	s_cbranch_execz .LBB54_297
; %bb.296:
	buffer_load_dword v113, off, s[0:3], 0 offset:160
	buffer_load_dword v114, off, s[0:3], 0 offset:164
	s_waitcnt vmcnt(0)
	ds_write_b64 v111, v[113:114]
	buffer_store_dword v112, off, s[0:3], 0 offset:160
	buffer_store_dword v112, off, s[0:3], 0 offset:164
.LBB54_297:
	s_or_b64 exec, exec, s[4:5]
	s_waitcnt lgkmcnt(0)
	; wave barrier
	buffer_load_dword v121, off, s[0:3], 0 offset:168
	buffer_load_dword v122, off, s[0:3], 0 offset:172
	;; [unrolled: 1-line block ×21, first 2 shown]
	ds_read2_b64 v[113:116], v112 offset0:77 offset1:78
	ds_read2_b64 v[117:120], v112 offset0:79 offset1:80
	buffer_load_dword v138, off, s[0:3], 0 offset:252
	v_cmp_lt_u32_e32 vcc, 19, v0
	s_waitcnt vmcnt(20) lgkmcnt(1)
	v_fma_f64 v[113:114], v[121:122], v[113:114], 0
	s_waitcnt vmcnt(18)
	v_fma_f64 v[113:114], v[123:124], v[115:116], v[113:114]
	buffer_load_dword v122, off, s[0:3], 0 offset:260
	buffer_load_dword v123, off, s[0:3], 0 offset:280
	buffer_load_dword v143, off, s[0:3], 0 offset:272
	buffer_load_dword v145, off, s[0:3], 0 offset:264
	buffer_load_dword v121, off, s[0:3], 0 offset:256
	buffer_load_dword v146, off, s[0:3], 0 offset:268
	buffer_load_dword v144, off, s[0:3], 0 offset:276
	s_waitcnt vmcnt(23) lgkmcnt(0)
	v_fma_f64 v[113:114], v[125:126], v[117:118], v[113:114]
	s_waitcnt vmcnt(21)
	v_fma_f64 v[124:125], v[127:128], v[119:120], v[113:114]
	ds_read2_b64 v[113:116], v112 offset0:81 offset1:82
	ds_read2_b64 v[117:120], v112 offset0:83 offset1:84
	s_waitcnt vmcnt(19) lgkmcnt(1)
	v_fma_f64 v[113:114], v[129:130], v[113:114], v[124:125]
	buffer_load_dword v124, off, s[0:3], 0 offset:284
	s_waitcnt vmcnt(18)
	v_fma_f64 v[113:114], v[131:132], v[115:116], v[113:114]
	buffer_load_dword v126, off, s[0:3], 0 offset:292
	buffer_load_dword v127, off, s[0:3], 0 offset:312
	buffer_load_dword v129, off, s[0:3], 0 offset:304
	buffer_load_dword v131, off, s[0:3], 0 offset:296
	buffer_load_dword v125, off, s[0:3], 0 offset:288
	buffer_load_dword v132, off, s[0:3], 0 offset:300
	buffer_load_dword v130, off, s[0:3], 0 offset:308
	buffer_load_dword v128, off, s[0:3], 0 offset:316
	s_waitcnt vmcnt(24) lgkmcnt(0)
	v_fma_f64 v[113:114], v[133:134], v[117:118], v[113:114]
	s_waitcnt vmcnt(19)
	v_fma_f64 v[133:134], v[135:136], v[119:120], v[113:114]
	ds_read2_b64 v[113:116], v112 offset0:85 offset1:86
	ds_read2_b64 v[117:120], v112 offset0:87 offset1:88
	s_waitcnt vmcnt(18) lgkmcnt(1)
	v_fma_f64 v[113:114], v[141:142], v[113:114], v[133:134]
	s_waitcnt vmcnt(17)
	v_fma_f64 v[113:114], v[139:140], v[115:116], v[113:114]
	buffer_load_dword v134, off, s[0:3], 0 offset:324
	buffer_load_dword v135, off, s[0:3], 0 offset:344
	;; [unrolled: 1-line block ×7, first 2 shown]
	s_waitcnt vmcnt(23) lgkmcnt(0)
	v_fma_f64 v[113:114], v[137:138], v[117:118], v[113:114]
	s_waitcnt vmcnt(18)
	v_fma_f64 v[121:122], v[121:122], v[119:120], v[113:114]
	ds_read2_b64 v[113:116], v112 offset0:89 offset1:90
	ds_read2_b64 v[117:120], v112 offset0:91 offset1:92
	buffer_load_dword v136, off, s[0:3], 0 offset:348
	s_waitcnt vmcnt(18) lgkmcnt(1)
	v_fma_f64 v[113:114], v[145:146], v[113:114], v[121:122]
	s_waitcnt vmcnt(17)
	v_fma_f64 v[113:114], v[143:144], v[115:116], v[113:114]
	buffer_load_dword v122, off, s[0:3], 0 offset:356
	buffer_load_dword v137, off, s[0:3], 0 offset:376
	;; [unrolled: 1-line block ×8, first 2 shown]
	s_waitcnt vmcnt(24) lgkmcnt(0)
	v_fma_f64 v[113:114], v[123:124], v[117:118], v[113:114]
	s_waitcnt vmcnt(19)
	v_fma_f64 v[123:124], v[125:126], v[119:120], v[113:114]
	ds_read2_b64 v[113:116], v112 offset0:93 offset1:94
	ds_read2_b64 v[117:120], v112 offset0:95 offset1:96
	s_waitcnt vmcnt(18) lgkmcnt(1)
	v_fma_f64 v[113:114], v[131:132], v[113:114], v[123:124]
	s_waitcnt vmcnt(17)
	v_fma_f64 v[113:114], v[129:130], v[115:116], v[113:114]
	buffer_load_dword v124, off, s[0:3], 0 offset:388
	buffer_load_dword v125, off, s[0:3], 0 offset:408
	;; [unrolled: 1-line block ×7, first 2 shown]
	s_waitcnt vmcnt(23) lgkmcnt(0)
	v_fma_f64 v[113:114], v[127:128], v[117:118], v[113:114]
	s_waitcnt vmcnt(18)
	v_fma_f64 v[126:127], v[133:134], v[119:120], v[113:114]
	ds_read2_b64 v[113:116], v112 offset0:97 offset1:98
	ds_read2_b64 v[117:120], v112 offset0:99 offset1:100
	s_waitcnt vmcnt(17) lgkmcnt(1)
	v_fma_f64 v[113:114], v[141:142], v[113:114], v[126:127]
	buffer_load_dword v126, off, s[0:3], 0 offset:412
	s_waitcnt vmcnt(17)
	v_fma_f64 v[113:114], v[139:140], v[115:116], v[113:114]
	buffer_load_dword v128, off, s[0:3], 0 offset:420
	buffer_load_dword v133, off, s[0:3], 0 offset:432
	;; [unrolled: 1-line block ×6, first 2 shown]
	s_waitcnt vmcnt(22) lgkmcnt(0)
	v_fma_f64 v[113:114], v[135:136], v[117:118], v[113:114]
	s_waitcnt vmcnt(17)
	v_fma_f64 v[121:122], v[121:122], v[119:120], v[113:114]
	ds_read2_b64 v[113:116], v112 offset0:101 offset1:102
	buffer_load_dword v135, off, s[0:3], 0 offset:160
	buffer_load_dword v136, off, s[0:3], 0 offset:164
	ds_read2_b64 v[117:120], v112 offset0:103 offset1:104
	s_waitcnt vmcnt(18) lgkmcnt(1)
	v_fma_f64 v[113:114], v[145:146], v[113:114], v[121:122]
	s_waitcnt vmcnt(17)
	v_fma_f64 v[113:114], v[143:144], v[115:116], v[113:114]
	s_waitcnt vmcnt(16) lgkmcnt(0)
	v_fma_f64 v[113:114], v[137:138], v[117:118], v[113:114]
	s_waitcnt vmcnt(11)
	v_fma_f64 v[121:122], v[123:124], v[119:120], v[113:114]
	ds_read2_b64 v[113:116], v112 offset0:105 offset1:106
	ds_read2_b64 v[117:120], v112 offset0:107 offset1:108
	s_waitcnt vmcnt(10) lgkmcnt(1)
	v_fma_f64 v[113:114], v[131:132], v[113:114], v[121:122]
	s_waitcnt vmcnt(9)
	v_fma_f64 v[113:114], v[129:130], v[115:116], v[113:114]
	s_waitcnt vmcnt(8) lgkmcnt(0)
	v_fma_f64 v[113:114], v[125:126], v[117:118], v[113:114]
	s_waitcnt vmcnt(4)
	v_fma_f64 v[116:117], v[127:128], v[119:120], v[113:114]
	ds_read2_b64 v[112:115], v112 offset0:109 offset1:110
	s_waitcnt vmcnt(3) lgkmcnt(0)
	v_fma_f64 v[112:113], v[139:140], v[112:113], v[116:117]
	s_waitcnt vmcnt(2)
	v_fma_f64 v[112:113], v[133:134], v[114:115], v[112:113]
	s_waitcnt vmcnt(0)
	v_add_f64 v[112:113], v[135:136], -v[112:113]
	buffer_store_dword v113, off, s[0:3], 0 offset:164
	buffer_store_dword v112, off, s[0:3], 0 offset:160
	s_and_saveexec_b64 s[4:5], vcc
	s_cbranch_execz .LBB54_299
; %bb.298:
	buffer_load_dword v112, off, s[0:3], 0 offset:152
	buffer_load_dword v113, off, s[0:3], 0 offset:156
	v_mov_b32_e32 v114, 0
	buffer_store_dword v114, off, s[0:3], 0 offset:152
	buffer_store_dword v114, off, s[0:3], 0 offset:156
	s_waitcnt vmcnt(2)
	ds_write_b64 v111, v[112:113]
.LBB54_299:
	s_or_b64 exec, exec, s[4:5]
	s_waitcnt lgkmcnt(0)
	; wave barrier
	buffer_load_dword v121, off, s[0:3], 0 offset:160
	buffer_load_dword v122, off, s[0:3], 0 offset:164
	;; [unrolled: 1-line block ×21, first 2 shown]
	v_mov_b32_e32 v112, 0
	ds_read_b128 v[113:116], v112 offset:608
	ds_read_b128 v[117:120], v112 offset:624
	buffer_load_dword v138, off, s[0:3], 0 offset:244
	v_cmp_lt_u32_e32 vcc, 18, v0
	s_waitcnt vmcnt(20) lgkmcnt(1)
	v_fma_f64 v[113:114], v[121:122], v[113:114], 0
	s_waitcnt vmcnt(18)
	v_fma_f64 v[113:114], v[123:124], v[115:116], v[113:114]
	buffer_load_dword v122, off, s[0:3], 0 offset:252
	buffer_load_dword v123, off, s[0:3], 0 offset:272
	;; [unrolled: 1-line block ×7, first 2 shown]
	s_waitcnt vmcnt(23) lgkmcnt(0)
	v_fma_f64 v[113:114], v[125:126], v[117:118], v[113:114]
	s_waitcnt vmcnt(21)
	v_fma_f64 v[124:125], v[127:128], v[119:120], v[113:114]
	ds_read_b128 v[113:116], v112 offset:640
	ds_read_b128 v[117:120], v112 offset:656
	s_waitcnt vmcnt(19) lgkmcnt(1)
	v_fma_f64 v[113:114], v[129:130], v[113:114], v[124:125]
	buffer_load_dword v124, off, s[0:3], 0 offset:276
	s_waitcnt vmcnt(18)
	v_fma_f64 v[113:114], v[131:132], v[115:116], v[113:114]
	buffer_load_dword v126, off, s[0:3], 0 offset:284
	buffer_load_dword v127, off, s[0:3], 0 offset:304
	;; [unrolled: 1-line block ×8, first 2 shown]
	s_waitcnt vmcnt(24) lgkmcnt(0)
	v_fma_f64 v[113:114], v[133:134], v[117:118], v[113:114]
	s_waitcnt vmcnt(19)
	v_fma_f64 v[133:134], v[135:136], v[119:120], v[113:114]
	ds_read_b128 v[113:116], v112 offset:672
	ds_read_b128 v[117:120], v112 offset:688
	s_waitcnt vmcnt(18) lgkmcnt(1)
	v_fma_f64 v[113:114], v[141:142], v[113:114], v[133:134]
	s_waitcnt vmcnt(17)
	v_fma_f64 v[113:114], v[139:140], v[115:116], v[113:114]
	buffer_load_dword v134, off, s[0:3], 0 offset:316
	buffer_load_dword v135, off, s[0:3], 0 offset:336
	;; [unrolled: 1-line block ×7, first 2 shown]
	s_waitcnt vmcnt(23) lgkmcnt(0)
	v_fma_f64 v[113:114], v[137:138], v[117:118], v[113:114]
	s_waitcnt vmcnt(18)
	v_fma_f64 v[121:122], v[121:122], v[119:120], v[113:114]
	ds_read_b128 v[113:116], v112 offset:704
	ds_read_b128 v[117:120], v112 offset:720
	buffer_load_dword v136, off, s[0:3], 0 offset:340
	s_waitcnt vmcnt(18) lgkmcnt(1)
	v_fma_f64 v[113:114], v[145:146], v[113:114], v[121:122]
	s_waitcnt vmcnt(17)
	v_fma_f64 v[113:114], v[143:144], v[115:116], v[113:114]
	buffer_load_dword v122, off, s[0:3], 0 offset:348
	buffer_load_dword v137, off, s[0:3], 0 offset:368
	buffer_load_dword v143, off, s[0:3], 0 offset:360
	buffer_load_dword v145, off, s[0:3], 0 offset:352
	buffer_load_dword v121, off, s[0:3], 0 offset:344
	buffer_load_dword v146, off, s[0:3], 0 offset:356
	buffer_load_dword v144, off, s[0:3], 0 offset:364
	buffer_load_dword v138, off, s[0:3], 0 offset:372
	s_waitcnt vmcnt(24) lgkmcnt(0)
	v_fma_f64 v[113:114], v[123:124], v[117:118], v[113:114]
	s_waitcnt vmcnt(19)
	v_fma_f64 v[123:124], v[125:126], v[119:120], v[113:114]
	ds_read_b128 v[113:116], v112 offset:736
	ds_read_b128 v[117:120], v112 offset:752
	s_waitcnt vmcnt(18) lgkmcnt(1)
	v_fma_f64 v[113:114], v[131:132], v[113:114], v[123:124]
	s_waitcnt vmcnt(17)
	v_fma_f64 v[113:114], v[129:130], v[115:116], v[113:114]
	buffer_load_dword v124, off, s[0:3], 0 offset:380
	buffer_load_dword v125, off, s[0:3], 0 offset:400
	;; [unrolled: 1-line block ×7, first 2 shown]
	s_waitcnt vmcnt(23) lgkmcnt(0)
	v_fma_f64 v[113:114], v[127:128], v[117:118], v[113:114]
	s_waitcnt vmcnt(18)
	v_fma_f64 v[126:127], v[133:134], v[119:120], v[113:114]
	ds_read_b128 v[113:116], v112 offset:768
	ds_read_b128 v[117:120], v112 offset:784
	s_waitcnt vmcnt(17) lgkmcnt(1)
	v_fma_f64 v[113:114], v[141:142], v[113:114], v[126:127]
	buffer_load_dword v126, off, s[0:3], 0 offset:404
	s_waitcnt vmcnt(17)
	v_fma_f64 v[113:114], v[139:140], v[115:116], v[113:114]
	buffer_load_dword v128, off, s[0:3], 0 offset:412
	buffer_load_dword v133, off, s[0:3], 0 offset:432
	;; [unrolled: 1-line block ×8, first 2 shown]
	s_waitcnt vmcnt(24) lgkmcnt(0)
	v_fma_f64 v[113:114], v[135:136], v[117:118], v[113:114]
	s_waitcnt vmcnt(19)
	v_fma_f64 v[121:122], v[121:122], v[119:120], v[113:114]
	ds_read_b128 v[113:116], v112 offset:800
	ds_read_b128 v[117:120], v112 offset:816
	s_waitcnt vmcnt(18) lgkmcnt(1)
	v_fma_f64 v[113:114], v[145:146], v[113:114], v[121:122]
	buffer_load_dword v121, off, s[0:3], 0 offset:152
	buffer_load_dword v122, off, s[0:3], 0 offset:156
	s_waitcnt vmcnt(19)
	v_fma_f64 v[113:114], v[143:144], v[115:116], v[113:114]
	s_waitcnt vmcnt(18) lgkmcnt(0)
	v_fma_f64 v[113:114], v[137:138], v[117:118], v[113:114]
	s_waitcnt vmcnt(13)
	v_fma_f64 v[123:124], v[123:124], v[119:120], v[113:114]
	ds_read_b128 v[113:116], v112 offset:832
	ds_read_b128 v[117:120], v112 offset:848
	s_waitcnt vmcnt(12) lgkmcnt(1)
	v_fma_f64 v[113:114], v[131:132], v[113:114], v[123:124]
	s_waitcnt vmcnt(11)
	v_fma_f64 v[113:114], v[129:130], v[115:116], v[113:114]
	s_waitcnt vmcnt(10) lgkmcnt(0)
	v_fma_f64 v[113:114], v[125:126], v[117:118], v[113:114]
	s_waitcnt vmcnt(5)
	v_fma_f64 v[117:118], v[127:128], v[119:120], v[113:114]
	ds_read_b128 v[113:116], v112 offset:864
	ds_read_b64 v[119:120], v112 offset:880
	s_waitcnt vmcnt(4) lgkmcnt(1)
	v_fma_f64 v[113:114], v[141:142], v[113:114], v[117:118]
	s_waitcnt vmcnt(3)
	v_fma_f64 v[113:114], v[139:140], v[115:116], v[113:114]
	s_waitcnt vmcnt(2) lgkmcnt(0)
	v_fma_f64 v[113:114], v[133:134], v[119:120], v[113:114]
	s_waitcnt vmcnt(0)
	v_add_f64 v[113:114], v[121:122], -v[113:114]
	buffer_store_dword v114, off, s[0:3], 0 offset:156
	buffer_store_dword v113, off, s[0:3], 0 offset:152
	s_and_saveexec_b64 s[4:5], vcc
	s_cbranch_execz .LBB54_301
; %bb.300:
	buffer_load_dword v113, off, s[0:3], 0 offset:144
	buffer_load_dword v114, off, s[0:3], 0 offset:148
	s_waitcnt vmcnt(0)
	ds_write_b64 v111, v[113:114]
	buffer_store_dword v112, off, s[0:3], 0 offset:144
	buffer_store_dword v112, off, s[0:3], 0 offset:148
.LBB54_301:
	s_or_b64 exec, exec, s[4:5]
	s_waitcnt lgkmcnt(0)
	; wave barrier
	buffer_load_dword v121, off, s[0:3], 0 offset:152
	buffer_load_dword v122, off, s[0:3], 0 offset:156
	;; [unrolled: 1-line block ×21, first 2 shown]
	ds_read2_b64 v[113:116], v112 offset0:75 offset1:76
	ds_read2_b64 v[117:120], v112 offset0:77 offset1:78
	buffer_load_dword v138, off, s[0:3], 0 offset:236
	v_cmp_lt_u32_e32 vcc, 17, v0
	s_waitcnt vmcnt(20) lgkmcnt(1)
	v_fma_f64 v[113:114], v[121:122], v[113:114], 0
	s_waitcnt vmcnt(18)
	v_fma_f64 v[113:114], v[123:124], v[115:116], v[113:114]
	buffer_load_dword v122, off, s[0:3], 0 offset:244
	buffer_load_dword v123, off, s[0:3], 0 offset:264
	;; [unrolled: 1-line block ×7, first 2 shown]
	s_waitcnt vmcnt(23) lgkmcnt(0)
	v_fma_f64 v[113:114], v[125:126], v[117:118], v[113:114]
	s_waitcnt vmcnt(21)
	v_fma_f64 v[124:125], v[127:128], v[119:120], v[113:114]
	ds_read2_b64 v[113:116], v112 offset0:79 offset1:80
	ds_read2_b64 v[117:120], v112 offset0:81 offset1:82
	s_waitcnt vmcnt(19) lgkmcnt(1)
	v_fma_f64 v[113:114], v[129:130], v[113:114], v[124:125]
	buffer_load_dword v124, off, s[0:3], 0 offset:268
	s_waitcnt vmcnt(18)
	v_fma_f64 v[113:114], v[131:132], v[115:116], v[113:114]
	buffer_load_dword v126, off, s[0:3], 0 offset:276
	buffer_load_dword v127, off, s[0:3], 0 offset:296
	;; [unrolled: 1-line block ×8, first 2 shown]
	s_waitcnt vmcnt(24) lgkmcnt(0)
	v_fma_f64 v[113:114], v[133:134], v[117:118], v[113:114]
	s_waitcnt vmcnt(19)
	v_fma_f64 v[133:134], v[135:136], v[119:120], v[113:114]
	ds_read2_b64 v[113:116], v112 offset0:83 offset1:84
	ds_read2_b64 v[117:120], v112 offset0:85 offset1:86
	s_waitcnt vmcnt(18) lgkmcnt(1)
	v_fma_f64 v[113:114], v[141:142], v[113:114], v[133:134]
	s_waitcnt vmcnt(17)
	v_fma_f64 v[113:114], v[139:140], v[115:116], v[113:114]
	buffer_load_dword v134, off, s[0:3], 0 offset:308
	buffer_load_dword v135, off, s[0:3], 0 offset:328
	;; [unrolled: 1-line block ×7, first 2 shown]
	s_waitcnt vmcnt(23) lgkmcnt(0)
	v_fma_f64 v[113:114], v[137:138], v[117:118], v[113:114]
	s_waitcnt vmcnt(18)
	v_fma_f64 v[121:122], v[121:122], v[119:120], v[113:114]
	ds_read2_b64 v[113:116], v112 offset0:87 offset1:88
	ds_read2_b64 v[117:120], v112 offset0:89 offset1:90
	buffer_load_dword v136, off, s[0:3], 0 offset:332
	s_waitcnt vmcnt(18) lgkmcnt(1)
	v_fma_f64 v[113:114], v[145:146], v[113:114], v[121:122]
	s_waitcnt vmcnt(17)
	v_fma_f64 v[113:114], v[143:144], v[115:116], v[113:114]
	buffer_load_dword v122, off, s[0:3], 0 offset:340
	buffer_load_dword v137, off, s[0:3], 0 offset:360
	;; [unrolled: 1-line block ×8, first 2 shown]
	s_waitcnt vmcnt(24) lgkmcnt(0)
	v_fma_f64 v[113:114], v[123:124], v[117:118], v[113:114]
	s_waitcnt vmcnt(19)
	v_fma_f64 v[123:124], v[125:126], v[119:120], v[113:114]
	ds_read2_b64 v[113:116], v112 offset0:91 offset1:92
	ds_read2_b64 v[117:120], v112 offset0:93 offset1:94
	s_waitcnt vmcnt(18) lgkmcnt(1)
	v_fma_f64 v[113:114], v[131:132], v[113:114], v[123:124]
	s_waitcnt vmcnt(17)
	v_fma_f64 v[113:114], v[129:130], v[115:116], v[113:114]
	buffer_load_dword v124, off, s[0:3], 0 offset:372
	buffer_load_dword v125, off, s[0:3], 0 offset:392
	buffer_load_dword v129, off, s[0:3], 0 offset:384
	buffer_load_dword v131, off, s[0:3], 0 offset:376
	buffer_load_dword v123, off, s[0:3], 0 offset:368
	buffer_load_dword v132, off, s[0:3], 0 offset:380
	buffer_load_dword v130, off, s[0:3], 0 offset:388
	s_waitcnt vmcnt(23) lgkmcnt(0)
	v_fma_f64 v[113:114], v[127:128], v[117:118], v[113:114]
	s_waitcnt vmcnt(18)
	v_fma_f64 v[126:127], v[133:134], v[119:120], v[113:114]
	ds_read2_b64 v[113:116], v112 offset0:95 offset1:96
	ds_read2_b64 v[117:120], v112 offset0:97 offset1:98
	s_waitcnt vmcnt(17) lgkmcnt(1)
	v_fma_f64 v[113:114], v[141:142], v[113:114], v[126:127]
	buffer_load_dword v126, off, s[0:3], 0 offset:396
	s_waitcnt vmcnt(17)
	v_fma_f64 v[113:114], v[139:140], v[115:116], v[113:114]
	buffer_load_dword v128, off, s[0:3], 0 offset:404
	buffer_load_dword v133, off, s[0:3], 0 offset:424
	;; [unrolled: 1-line block ×8, first 2 shown]
	s_waitcnt vmcnt(24) lgkmcnt(0)
	v_fma_f64 v[113:114], v[135:136], v[117:118], v[113:114]
	s_waitcnt vmcnt(19)
	v_fma_f64 v[121:122], v[121:122], v[119:120], v[113:114]
	ds_read2_b64 v[113:116], v112 offset0:99 offset1:100
	ds_read2_b64 v[117:120], v112 offset0:101 offset1:102
	s_waitcnt vmcnt(18) lgkmcnt(1)
	v_fma_f64 v[113:114], v[145:146], v[113:114], v[121:122]
	buffer_load_dword v122, off, s[0:3], 0 offset:436
	buffer_load_dword v121, off, s[0:3], 0 offset:432
	;; [unrolled: 1-line block ×4, first 2 shown]
	s_waitcnt vmcnt(21)
	v_fma_f64 v[113:114], v[143:144], v[115:116], v[113:114]
	s_waitcnt vmcnt(20) lgkmcnt(0)
	v_fma_f64 v[113:114], v[137:138], v[117:118], v[113:114]
	s_waitcnt vmcnt(15)
	v_fma_f64 v[123:124], v[123:124], v[119:120], v[113:114]
	ds_read2_b64 v[113:116], v112 offset0:103 offset1:104
	ds_read2_b64 v[117:120], v112 offset0:105 offset1:106
	s_waitcnt vmcnt(14) lgkmcnt(1)
	v_fma_f64 v[113:114], v[131:132], v[113:114], v[123:124]
	s_waitcnt vmcnt(13)
	v_fma_f64 v[113:114], v[129:130], v[115:116], v[113:114]
	s_waitcnt vmcnt(12) lgkmcnt(0)
	v_fma_f64 v[113:114], v[125:126], v[117:118], v[113:114]
	s_waitcnt vmcnt(7)
	v_fma_f64 v[123:124], v[127:128], v[119:120], v[113:114]
	ds_read2_b64 v[113:116], v112 offset0:107 offset1:108
	ds_read2_b64 v[117:120], v112 offset0:109 offset1:110
	s_waitcnt vmcnt(6) lgkmcnt(1)
	v_fma_f64 v[112:113], v[141:142], v[113:114], v[123:124]
	s_waitcnt vmcnt(5)
	v_fma_f64 v[112:113], v[139:140], v[115:116], v[112:113]
	s_waitcnt vmcnt(4) lgkmcnt(0)
	v_fma_f64 v[112:113], v[133:134], v[117:118], v[112:113]
	s_waitcnt vmcnt(2)
	v_fma_f64 v[112:113], v[121:122], v[119:120], v[112:113]
	s_waitcnt vmcnt(0)
	v_add_f64 v[112:113], v[135:136], -v[112:113]
	buffer_store_dword v113, off, s[0:3], 0 offset:148
	buffer_store_dword v112, off, s[0:3], 0 offset:144
	s_and_saveexec_b64 s[4:5], vcc
	s_cbranch_execz .LBB54_303
; %bb.302:
	buffer_load_dword v112, off, s[0:3], 0 offset:136
	buffer_load_dword v113, off, s[0:3], 0 offset:140
	v_mov_b32_e32 v114, 0
	buffer_store_dword v114, off, s[0:3], 0 offset:136
	buffer_store_dword v114, off, s[0:3], 0 offset:140
	s_waitcnt vmcnt(2)
	ds_write_b64 v111, v[112:113]
.LBB54_303:
	s_or_b64 exec, exec, s[4:5]
	s_waitcnt lgkmcnt(0)
	; wave barrier
	buffer_load_dword v121, off, s[0:3], 0 offset:144
	buffer_load_dword v122, off, s[0:3], 0 offset:148
	;; [unrolled: 1-line block ×21, first 2 shown]
	v_mov_b32_e32 v112, 0
	ds_read_b128 v[113:116], v112 offset:592
	ds_read_b128 v[117:120], v112 offset:608
	buffer_load_dword v138, off, s[0:3], 0 offset:228
	v_cmp_lt_u32_e32 vcc, 16, v0
	s_waitcnt vmcnt(20) lgkmcnt(1)
	v_fma_f64 v[113:114], v[121:122], v[113:114], 0
	s_waitcnt vmcnt(18)
	v_fma_f64 v[113:114], v[123:124], v[115:116], v[113:114]
	buffer_load_dword v122, off, s[0:3], 0 offset:236
	buffer_load_dword v123, off, s[0:3], 0 offset:256
	;; [unrolled: 1-line block ×7, first 2 shown]
	s_waitcnt vmcnt(23) lgkmcnt(0)
	v_fma_f64 v[113:114], v[125:126], v[117:118], v[113:114]
	s_waitcnt vmcnt(21)
	v_fma_f64 v[124:125], v[127:128], v[119:120], v[113:114]
	ds_read_b128 v[113:116], v112 offset:624
	ds_read_b128 v[117:120], v112 offset:640
	s_waitcnt vmcnt(19) lgkmcnt(1)
	v_fma_f64 v[113:114], v[129:130], v[113:114], v[124:125]
	buffer_load_dword v124, off, s[0:3], 0 offset:260
	s_waitcnt vmcnt(18)
	v_fma_f64 v[113:114], v[131:132], v[115:116], v[113:114]
	buffer_load_dword v126, off, s[0:3], 0 offset:268
	buffer_load_dword v127, off, s[0:3], 0 offset:288
	;; [unrolled: 1-line block ×8, first 2 shown]
	s_waitcnt vmcnt(24) lgkmcnt(0)
	v_fma_f64 v[113:114], v[133:134], v[117:118], v[113:114]
	s_waitcnt vmcnt(19)
	v_fma_f64 v[133:134], v[135:136], v[119:120], v[113:114]
	ds_read_b128 v[113:116], v112 offset:656
	ds_read_b128 v[117:120], v112 offset:672
	s_waitcnt vmcnt(18) lgkmcnt(1)
	v_fma_f64 v[113:114], v[141:142], v[113:114], v[133:134]
	s_waitcnt vmcnt(17)
	v_fma_f64 v[113:114], v[139:140], v[115:116], v[113:114]
	buffer_load_dword v134, off, s[0:3], 0 offset:300
	buffer_load_dword v135, off, s[0:3], 0 offset:320
	;; [unrolled: 1-line block ×7, first 2 shown]
	s_waitcnt vmcnt(23) lgkmcnt(0)
	v_fma_f64 v[113:114], v[137:138], v[117:118], v[113:114]
	s_waitcnt vmcnt(18)
	v_fma_f64 v[121:122], v[121:122], v[119:120], v[113:114]
	ds_read_b128 v[113:116], v112 offset:688
	ds_read_b128 v[117:120], v112 offset:704
	buffer_load_dword v136, off, s[0:3], 0 offset:324
	s_waitcnt vmcnt(18) lgkmcnt(1)
	v_fma_f64 v[113:114], v[145:146], v[113:114], v[121:122]
	s_waitcnt vmcnt(17)
	v_fma_f64 v[113:114], v[143:144], v[115:116], v[113:114]
	buffer_load_dword v122, off, s[0:3], 0 offset:332
	buffer_load_dword v137, off, s[0:3], 0 offset:352
	;; [unrolled: 1-line block ×7, first 2 shown]
	s_waitcnt vmcnt(23) lgkmcnt(0)
	v_fma_f64 v[113:114], v[123:124], v[117:118], v[113:114]
	s_waitcnt vmcnt(18)
	v_fma_f64 v[123:124], v[125:126], v[119:120], v[113:114]
	ds_read_b128 v[113:116], v112 offset:720
	ds_read_b128 v[117:120], v112 offset:736
	buffer_load_dword v138, off, s[0:3], 0 offset:356
	s_waitcnt vmcnt(18) lgkmcnt(1)
	v_fma_f64 v[113:114], v[131:132], v[113:114], v[123:124]
	s_waitcnt vmcnt(17)
	v_fma_f64 v[113:114], v[129:130], v[115:116], v[113:114]
	buffer_load_dword v124, off, s[0:3], 0 offset:364
	buffer_load_dword v125, off, s[0:3], 0 offset:384
	;; [unrolled: 1-line block ×7, first 2 shown]
	s_waitcnt vmcnt(23) lgkmcnt(0)
	v_fma_f64 v[113:114], v[127:128], v[117:118], v[113:114]
	s_waitcnt vmcnt(18)
	v_fma_f64 v[126:127], v[133:134], v[119:120], v[113:114]
	ds_read_b128 v[113:116], v112 offset:752
	ds_read_b128 v[117:120], v112 offset:768
	s_waitcnt vmcnt(17) lgkmcnt(1)
	v_fma_f64 v[113:114], v[141:142], v[113:114], v[126:127]
	buffer_load_dword v126, off, s[0:3], 0 offset:388
	s_waitcnt vmcnt(17)
	v_fma_f64 v[113:114], v[139:140], v[115:116], v[113:114]
	buffer_load_dword v128, off, s[0:3], 0 offset:396
	buffer_load_dword v133, off, s[0:3], 0 offset:416
	;; [unrolled: 1-line block ×7, first 2 shown]
	s_waitcnt vmcnt(23) lgkmcnt(0)
	v_fma_f64 v[113:114], v[135:136], v[117:118], v[113:114]
	s_waitcnt vmcnt(18)
	v_fma_f64 v[121:122], v[121:122], v[119:120], v[113:114]
	ds_read_b128 v[113:116], v112 offset:784
	ds_read_b128 v[117:120], v112 offset:800
	buffer_load_dword v134, off, s[0:3], 0 offset:420
	s_waitcnt vmcnt(18) lgkmcnt(1)
	v_fma_f64 v[113:114], v[145:146], v[113:114], v[121:122]
	buffer_load_dword v122, off, s[0:3], 0 offset:428
	buffer_load_dword v135, off, s[0:3], 0 offset:432
	buffer_load_dword v121, off, s[0:3], 0 offset:424
	buffer_load_dword v136, off, s[0:3], 0 offset:436
	s_waitcnt vmcnt(21)
	v_fma_f64 v[113:114], v[143:144], v[115:116], v[113:114]
	s_waitcnt vmcnt(20) lgkmcnt(0)
	v_fma_f64 v[113:114], v[137:138], v[117:118], v[113:114]
	buffer_load_dword v137, off, s[0:3], 0 offset:136
	buffer_load_dword v138, off, s[0:3], 0 offset:140
	s_waitcnt vmcnt(17)
	v_fma_f64 v[123:124], v[123:124], v[119:120], v[113:114]
	ds_read_b128 v[113:116], v112 offset:816
	ds_read_b128 v[117:120], v112 offset:832
	s_waitcnt vmcnt(16) lgkmcnt(1)
	v_fma_f64 v[113:114], v[131:132], v[113:114], v[123:124]
	s_waitcnt vmcnt(15)
	v_fma_f64 v[113:114], v[129:130], v[115:116], v[113:114]
	s_waitcnt vmcnt(14) lgkmcnt(0)
	v_fma_f64 v[113:114], v[125:126], v[117:118], v[113:114]
	s_waitcnt vmcnt(9)
	v_fma_f64 v[123:124], v[127:128], v[119:120], v[113:114]
	ds_read_b128 v[113:116], v112 offset:848
	ds_read_b128 v[117:120], v112 offset:864
	s_waitcnt vmcnt(8) lgkmcnt(1)
	v_fma_f64 v[113:114], v[141:142], v[113:114], v[123:124]
	s_waitcnt vmcnt(7)
	v_fma_f64 v[113:114], v[139:140], v[115:116], v[113:114]
	ds_read_b64 v[115:116], v112 offset:880
	s_waitcnt vmcnt(6) lgkmcnt(1)
	v_fma_f64 v[113:114], v[133:134], v[117:118], v[113:114]
	s_waitcnt vmcnt(3)
	v_fma_f64 v[113:114], v[121:122], v[119:120], v[113:114]
	s_waitcnt vmcnt(2) lgkmcnt(0)
	v_fma_f64 v[113:114], v[135:136], v[115:116], v[113:114]
	s_waitcnt vmcnt(0)
	v_add_f64 v[113:114], v[137:138], -v[113:114]
	buffer_store_dword v114, off, s[0:3], 0 offset:140
	buffer_store_dword v113, off, s[0:3], 0 offset:136
	s_and_saveexec_b64 s[4:5], vcc
	s_cbranch_execz .LBB54_305
; %bb.304:
	buffer_load_dword v113, off, s[0:3], 0 offset:128
	buffer_load_dword v114, off, s[0:3], 0 offset:132
	s_waitcnt vmcnt(0)
	ds_write_b64 v111, v[113:114]
	buffer_store_dword v112, off, s[0:3], 0 offset:128
	buffer_store_dword v112, off, s[0:3], 0 offset:132
.LBB54_305:
	s_or_b64 exec, exec, s[4:5]
	s_waitcnt lgkmcnt(0)
	; wave barrier
	buffer_load_dword v121, off, s[0:3], 0 offset:136
	buffer_load_dword v122, off, s[0:3], 0 offset:140
	;; [unrolled: 1-line block ×22, first 2 shown]
	ds_read2_b64 v[113:116], v112 offset0:73 offset1:74
	ds_read2_b64 v[117:120], v112 offset0:75 offset1:76
	v_cmp_lt_u32_e32 vcc, 15, v0
	s_waitcnt vmcnt(20) lgkmcnt(1)
	v_fma_f64 v[113:114], v[121:122], v[113:114], 0
	s_waitcnt vmcnt(18)
	v_fma_f64 v[113:114], v[123:124], v[115:116], v[113:114]
	buffer_load_dword v122, off, s[0:3], 0 offset:228
	buffer_load_dword v123, off, s[0:3], 0 offset:248
	;; [unrolled: 1-line block ×7, first 2 shown]
	s_waitcnt vmcnt(23) lgkmcnt(0)
	v_fma_f64 v[113:114], v[125:126], v[117:118], v[113:114]
	s_waitcnt vmcnt(21)
	v_fma_f64 v[124:125], v[127:128], v[119:120], v[113:114]
	ds_read2_b64 v[113:116], v112 offset0:77 offset1:78
	ds_read2_b64 v[117:120], v112 offset0:79 offset1:80
	s_waitcnt vmcnt(19) lgkmcnt(1)
	v_fma_f64 v[113:114], v[129:130], v[113:114], v[124:125]
	buffer_load_dword v124, off, s[0:3], 0 offset:252
	s_waitcnt vmcnt(18)
	v_fma_f64 v[113:114], v[131:132], v[115:116], v[113:114]
	buffer_load_dword v126, off, s[0:3], 0 offset:260
	buffer_load_dword v127, off, s[0:3], 0 offset:280
	;; [unrolled: 1-line block ×8, first 2 shown]
	s_waitcnt vmcnt(24) lgkmcnt(0)
	v_fma_f64 v[113:114], v[133:134], v[117:118], v[113:114]
	s_waitcnt vmcnt(19)
	v_fma_f64 v[133:134], v[135:136], v[119:120], v[113:114]
	ds_read2_b64 v[113:116], v112 offset0:81 offset1:82
	ds_read2_b64 v[117:120], v112 offset0:83 offset1:84
	s_waitcnt vmcnt(18) lgkmcnt(1)
	v_fma_f64 v[113:114], v[141:142], v[113:114], v[133:134]
	s_waitcnt vmcnt(17)
	v_fma_f64 v[113:114], v[139:140], v[115:116], v[113:114]
	buffer_load_dword v134, off, s[0:3], 0 offset:292
	buffer_load_dword v135, off, s[0:3], 0 offset:312
	;; [unrolled: 1-line block ×8, first 2 shown]
	s_waitcnt vmcnt(24) lgkmcnt(0)
	v_fma_f64 v[113:114], v[137:138], v[117:118], v[113:114]
	s_waitcnt vmcnt(19)
	v_fma_f64 v[121:122], v[121:122], v[119:120], v[113:114]
	ds_read2_b64 v[113:116], v112 offset0:85 offset1:86
	ds_read2_b64 v[117:120], v112 offset0:87 offset1:88
	s_waitcnt vmcnt(18) lgkmcnt(1)
	v_fma_f64 v[113:114], v[145:146], v[113:114], v[121:122]
	s_waitcnt vmcnt(17)
	v_fma_f64 v[113:114], v[143:144], v[115:116], v[113:114]
	buffer_load_dword v122, off, s[0:3], 0 offset:324
	buffer_load_dword v137, off, s[0:3], 0 offset:344
	;; [unrolled: 1-line block ×7, first 2 shown]
	s_waitcnt vmcnt(23) lgkmcnt(0)
	v_fma_f64 v[113:114], v[123:124], v[117:118], v[113:114]
	s_waitcnt vmcnt(18)
	v_fma_f64 v[123:124], v[125:126], v[119:120], v[113:114]
	ds_read2_b64 v[113:116], v112 offset0:89 offset1:90
	ds_read2_b64 v[117:120], v112 offset0:91 offset1:92
	buffer_load_dword v138, off, s[0:3], 0 offset:348
	s_waitcnt vmcnt(18) lgkmcnt(1)
	v_fma_f64 v[113:114], v[131:132], v[113:114], v[123:124]
	s_waitcnt vmcnt(17)
	v_fma_f64 v[113:114], v[129:130], v[115:116], v[113:114]
	buffer_load_dword v124, off, s[0:3], 0 offset:356
	buffer_load_dword v125, off, s[0:3], 0 offset:376
	;; [unrolled: 1-line block ×7, first 2 shown]
	s_waitcnt vmcnt(23) lgkmcnt(0)
	v_fma_f64 v[113:114], v[127:128], v[117:118], v[113:114]
	s_waitcnt vmcnt(18)
	v_fma_f64 v[126:127], v[133:134], v[119:120], v[113:114]
	ds_read2_b64 v[113:116], v112 offset0:93 offset1:94
	ds_read2_b64 v[117:120], v112 offset0:95 offset1:96
	s_waitcnt vmcnt(17) lgkmcnt(1)
	v_fma_f64 v[113:114], v[141:142], v[113:114], v[126:127]
	buffer_load_dword v126, off, s[0:3], 0 offset:380
	s_waitcnt vmcnt(17)
	v_fma_f64 v[113:114], v[139:140], v[115:116], v[113:114]
	buffer_load_dword v128, off, s[0:3], 0 offset:388
	buffer_load_dword v133, off, s[0:3], 0 offset:408
	;; [unrolled: 1-line block ×8, first 2 shown]
	s_waitcnt vmcnt(24) lgkmcnt(0)
	v_fma_f64 v[113:114], v[135:136], v[117:118], v[113:114]
	s_waitcnt vmcnt(19)
	v_fma_f64 v[121:122], v[121:122], v[119:120], v[113:114]
	ds_read2_b64 v[113:116], v112 offset0:97 offset1:98
	ds_read2_b64 v[117:120], v112 offset0:99 offset1:100
	s_waitcnt vmcnt(18) lgkmcnt(1)
	v_fma_f64 v[113:114], v[145:146], v[113:114], v[121:122]
	s_waitcnt vmcnt(17)
	v_fma_f64 v[113:114], v[143:144], v[115:116], v[113:114]
	buffer_load_dword v122, off, s[0:3], 0 offset:420
	buffer_load_dword v135, off, s[0:3], 0 offset:432
	buffer_load_dword v143, off, s[0:3], 0 offset:424
	buffer_load_dword v121, off, s[0:3], 0 offset:416
	buffer_load_dword v144, off, s[0:3], 0 offset:428
	buffer_load_dword v136, off, s[0:3], 0 offset:436
	s_waitcnt vmcnt(22) lgkmcnt(0)
	v_fma_f64 v[113:114], v[137:138], v[117:118], v[113:114]
	s_waitcnt vmcnt(17)
	v_fma_f64 v[123:124], v[123:124], v[119:120], v[113:114]
	ds_read2_b64 v[113:116], v112 offset0:101 offset1:102
	buffer_load_dword v137, off, s[0:3], 0 offset:128
	buffer_load_dword v138, off, s[0:3], 0 offset:132
	ds_read2_b64 v[117:120], v112 offset0:103 offset1:104
	s_waitcnt vmcnt(18) lgkmcnt(1)
	v_fma_f64 v[113:114], v[131:132], v[113:114], v[123:124]
	s_waitcnt vmcnt(17)
	v_fma_f64 v[113:114], v[129:130], v[115:116], v[113:114]
	s_waitcnt vmcnt(16) lgkmcnt(0)
	v_fma_f64 v[113:114], v[125:126], v[117:118], v[113:114]
	s_waitcnt vmcnt(11)
	v_fma_f64 v[123:124], v[127:128], v[119:120], v[113:114]
	ds_read2_b64 v[113:116], v112 offset0:105 offset1:106
	ds_read2_b64 v[117:120], v112 offset0:107 offset1:108
	s_waitcnt vmcnt(10) lgkmcnt(1)
	v_fma_f64 v[113:114], v[141:142], v[113:114], v[123:124]
	s_waitcnt vmcnt(9)
	v_fma_f64 v[113:114], v[139:140], v[115:116], v[113:114]
	s_waitcnt vmcnt(8) lgkmcnt(0)
	v_fma_f64 v[113:114], v[133:134], v[117:118], v[113:114]
	s_waitcnt vmcnt(4)
	v_fma_f64 v[116:117], v[121:122], v[119:120], v[113:114]
	ds_read2_b64 v[112:115], v112 offset0:109 offset1:110
	s_waitcnt vmcnt(3) lgkmcnt(0)
	v_fma_f64 v[112:113], v[143:144], v[112:113], v[116:117]
	s_waitcnt vmcnt(2)
	v_fma_f64 v[112:113], v[135:136], v[114:115], v[112:113]
	s_waitcnt vmcnt(0)
	v_add_f64 v[112:113], v[137:138], -v[112:113]
	buffer_store_dword v113, off, s[0:3], 0 offset:132
	buffer_store_dword v112, off, s[0:3], 0 offset:128
	s_and_saveexec_b64 s[4:5], vcc
	s_cbranch_execz .LBB54_307
; %bb.306:
	buffer_load_dword v112, off, s[0:3], 0 offset:120
	buffer_load_dword v113, off, s[0:3], 0 offset:124
	v_mov_b32_e32 v114, 0
	buffer_store_dword v114, off, s[0:3], 0 offset:120
	buffer_store_dword v114, off, s[0:3], 0 offset:124
	s_waitcnt vmcnt(2)
	ds_write_b64 v111, v[112:113]
.LBB54_307:
	s_or_b64 exec, exec, s[4:5]
	s_waitcnt lgkmcnt(0)
	; wave barrier
	buffer_load_dword v121, off, s[0:3], 0 offset:128
	buffer_load_dword v122, off, s[0:3], 0 offset:132
	;; [unrolled: 1-line block ×22, first 2 shown]
	v_mov_b32_e32 v112, 0
	ds_read_b128 v[113:116], v112 offset:576
	ds_read_b128 v[117:120], v112 offset:592
	v_cmp_lt_u32_e32 vcc, 14, v0
	s_waitcnt vmcnt(20) lgkmcnt(1)
	v_fma_f64 v[113:114], v[121:122], v[113:114], 0
	s_waitcnt vmcnt(18)
	v_fma_f64 v[113:114], v[123:124], v[115:116], v[113:114]
	buffer_load_dword v122, off, s[0:3], 0 offset:220
	buffer_load_dword v123, off, s[0:3], 0 offset:240
	;; [unrolled: 1-line block ×7, first 2 shown]
	s_waitcnt vmcnt(23) lgkmcnt(0)
	v_fma_f64 v[113:114], v[125:126], v[117:118], v[113:114]
	s_waitcnt vmcnt(21)
	v_fma_f64 v[124:125], v[127:128], v[119:120], v[113:114]
	ds_read_b128 v[113:116], v112 offset:608
	ds_read_b128 v[117:120], v112 offset:624
	s_waitcnt vmcnt(19) lgkmcnt(1)
	v_fma_f64 v[113:114], v[129:130], v[113:114], v[124:125]
	buffer_load_dword v124, off, s[0:3], 0 offset:244
	s_waitcnt vmcnt(18)
	v_fma_f64 v[113:114], v[131:132], v[115:116], v[113:114]
	buffer_load_dword v126, off, s[0:3], 0 offset:252
	buffer_load_dword v127, off, s[0:3], 0 offset:272
	buffer_load_dword v129, off, s[0:3], 0 offset:264
	buffer_load_dword v131, off, s[0:3], 0 offset:256
	buffer_load_dword v125, off, s[0:3], 0 offset:248
	buffer_load_dword v132, off, s[0:3], 0 offset:260
	buffer_load_dword v130, off, s[0:3], 0 offset:268
	buffer_load_dword v128, off, s[0:3], 0 offset:276
	s_waitcnt vmcnt(24) lgkmcnt(0)
	v_fma_f64 v[113:114], v[133:134], v[117:118], v[113:114]
	s_waitcnt vmcnt(19)
	v_fma_f64 v[133:134], v[135:136], v[119:120], v[113:114]
	ds_read_b128 v[113:116], v112 offset:640
	ds_read_b128 v[117:120], v112 offset:656
	s_waitcnt vmcnt(18) lgkmcnt(1)
	v_fma_f64 v[113:114], v[141:142], v[113:114], v[133:134]
	s_waitcnt vmcnt(17)
	v_fma_f64 v[113:114], v[139:140], v[115:116], v[113:114]
	buffer_load_dword v134, off, s[0:3], 0 offset:284
	buffer_load_dword v135, off, s[0:3], 0 offset:304
	buffer_load_dword v139, off, s[0:3], 0 offset:296
	buffer_load_dword v141, off, s[0:3], 0 offset:288
	buffer_load_dword v133, off, s[0:3], 0 offset:280
	buffer_load_dword v142, off, s[0:3], 0 offset:292
	buffer_load_dword v140, off, s[0:3], 0 offset:300
	buffer_load_dword v136, off, s[0:3], 0 offset:308
	s_waitcnt vmcnt(24) lgkmcnt(0)
	v_fma_f64 v[113:114], v[137:138], v[117:118], v[113:114]
	s_waitcnt vmcnt(19)
	v_fma_f64 v[121:122], v[121:122], v[119:120], v[113:114]
	ds_read_b128 v[113:116], v112 offset:672
	ds_read_b128 v[117:120], v112 offset:688
	s_waitcnt vmcnt(18) lgkmcnt(1)
	v_fma_f64 v[113:114], v[145:146], v[113:114], v[121:122]
	s_waitcnt vmcnt(17)
	v_fma_f64 v[113:114], v[143:144], v[115:116], v[113:114]
	buffer_load_dword v122, off, s[0:3], 0 offset:316
	buffer_load_dword v137, off, s[0:3], 0 offset:336
	;; [unrolled: 1-line block ×7, first 2 shown]
	s_waitcnt vmcnt(23) lgkmcnt(0)
	v_fma_f64 v[113:114], v[123:124], v[117:118], v[113:114]
	s_waitcnt vmcnt(18)
	v_fma_f64 v[123:124], v[125:126], v[119:120], v[113:114]
	ds_read_b128 v[113:116], v112 offset:704
	ds_read_b128 v[117:120], v112 offset:720
	buffer_load_dword v138, off, s[0:3], 0 offset:340
	s_waitcnt vmcnt(18) lgkmcnt(1)
	v_fma_f64 v[113:114], v[131:132], v[113:114], v[123:124]
	s_waitcnt vmcnt(17)
	v_fma_f64 v[113:114], v[129:130], v[115:116], v[113:114]
	buffer_load_dword v124, off, s[0:3], 0 offset:348
	buffer_load_dword v125, off, s[0:3], 0 offset:368
	;; [unrolled: 1-line block ×7, first 2 shown]
	s_waitcnt vmcnt(23) lgkmcnt(0)
	v_fma_f64 v[113:114], v[127:128], v[117:118], v[113:114]
	s_waitcnt vmcnt(18)
	v_fma_f64 v[126:127], v[133:134], v[119:120], v[113:114]
	ds_read_b128 v[113:116], v112 offset:736
	ds_read_b128 v[117:120], v112 offset:752
	s_waitcnt vmcnt(17) lgkmcnt(1)
	v_fma_f64 v[113:114], v[141:142], v[113:114], v[126:127]
	buffer_load_dword v126, off, s[0:3], 0 offset:372
	s_waitcnt vmcnt(17)
	v_fma_f64 v[113:114], v[139:140], v[115:116], v[113:114]
	buffer_load_dword v128, off, s[0:3], 0 offset:380
	buffer_load_dword v133, off, s[0:3], 0 offset:400
	;; [unrolled: 1-line block ×8, first 2 shown]
	s_waitcnt vmcnt(24) lgkmcnt(0)
	v_fma_f64 v[113:114], v[135:136], v[117:118], v[113:114]
	s_waitcnt vmcnt(19)
	v_fma_f64 v[121:122], v[121:122], v[119:120], v[113:114]
	ds_read_b128 v[113:116], v112 offset:768
	ds_read_b128 v[117:120], v112 offset:784
	s_waitcnt vmcnt(18) lgkmcnt(1)
	v_fma_f64 v[113:114], v[145:146], v[113:114], v[121:122]
	s_waitcnt vmcnt(17)
	v_fma_f64 v[113:114], v[143:144], v[115:116], v[113:114]
	buffer_load_dword v122, off, s[0:3], 0 offset:412
	buffer_load_dword v135, off, s[0:3], 0 offset:432
	;; [unrolled: 1-line block ×8, first 2 shown]
	s_waitcnt vmcnt(24) lgkmcnt(0)
	v_fma_f64 v[113:114], v[137:138], v[117:118], v[113:114]
	s_waitcnt vmcnt(19)
	v_fma_f64 v[123:124], v[123:124], v[119:120], v[113:114]
	ds_read_b128 v[113:116], v112 offset:800
	ds_read_b128 v[117:120], v112 offset:816
	s_waitcnt vmcnt(18) lgkmcnt(1)
	v_fma_f64 v[113:114], v[131:132], v[113:114], v[123:124]
	buffer_load_dword v123, off, s[0:3], 0 offset:120
	buffer_load_dword v124, off, s[0:3], 0 offset:124
	s_waitcnt vmcnt(19)
	v_fma_f64 v[113:114], v[129:130], v[115:116], v[113:114]
	s_waitcnt vmcnt(18) lgkmcnt(0)
	v_fma_f64 v[113:114], v[125:126], v[117:118], v[113:114]
	s_waitcnt vmcnt(13)
	v_fma_f64 v[125:126], v[127:128], v[119:120], v[113:114]
	ds_read_b128 v[113:116], v112 offset:832
	ds_read_b128 v[117:120], v112 offset:848
	s_waitcnt vmcnt(12) lgkmcnt(1)
	v_fma_f64 v[113:114], v[141:142], v[113:114], v[125:126]
	s_waitcnt vmcnt(11)
	v_fma_f64 v[113:114], v[139:140], v[115:116], v[113:114]
	s_waitcnt vmcnt(10) lgkmcnt(0)
	v_fma_f64 v[113:114], v[133:134], v[117:118], v[113:114]
	s_waitcnt vmcnt(5)
	v_fma_f64 v[117:118], v[121:122], v[119:120], v[113:114]
	ds_read_b128 v[113:116], v112 offset:864
	ds_read_b64 v[119:120], v112 offset:880
	s_waitcnt vmcnt(4) lgkmcnt(1)
	v_fma_f64 v[113:114], v[145:146], v[113:114], v[117:118]
	s_waitcnt vmcnt(3)
	v_fma_f64 v[113:114], v[143:144], v[115:116], v[113:114]
	s_waitcnt vmcnt(2) lgkmcnt(0)
	v_fma_f64 v[113:114], v[135:136], v[119:120], v[113:114]
	s_waitcnt vmcnt(0)
	v_add_f64 v[113:114], v[123:124], -v[113:114]
	buffer_store_dword v114, off, s[0:3], 0 offset:124
	buffer_store_dword v113, off, s[0:3], 0 offset:120
	s_and_saveexec_b64 s[4:5], vcc
	s_cbranch_execz .LBB54_309
; %bb.308:
	buffer_load_dword v113, off, s[0:3], 0 offset:112
	buffer_load_dword v114, off, s[0:3], 0 offset:116
	s_waitcnt vmcnt(0)
	ds_write_b64 v111, v[113:114]
	buffer_store_dword v112, off, s[0:3], 0 offset:112
	buffer_store_dword v112, off, s[0:3], 0 offset:116
.LBB54_309:
	s_or_b64 exec, exec, s[4:5]
	s_waitcnt lgkmcnt(0)
	; wave barrier
	buffer_load_dword v121, off, s[0:3], 0 offset:120
	buffer_load_dword v122, off, s[0:3], 0 offset:124
	;; [unrolled: 1-line block ×22, first 2 shown]
	ds_read2_b64 v[113:116], v112 offset0:71 offset1:72
	ds_read2_b64 v[117:120], v112 offset0:73 offset1:74
	v_cmp_lt_u32_e32 vcc, 13, v0
	s_waitcnt vmcnt(20) lgkmcnt(1)
	v_fma_f64 v[113:114], v[121:122], v[113:114], 0
	s_waitcnt vmcnt(18)
	v_fma_f64 v[113:114], v[123:124], v[115:116], v[113:114]
	buffer_load_dword v122, off, s[0:3], 0 offset:212
	buffer_load_dword v123, off, s[0:3], 0 offset:232
	;; [unrolled: 1-line block ×7, first 2 shown]
	s_waitcnt vmcnt(23) lgkmcnt(0)
	v_fma_f64 v[113:114], v[125:126], v[117:118], v[113:114]
	s_waitcnt vmcnt(21)
	v_fma_f64 v[124:125], v[127:128], v[119:120], v[113:114]
	ds_read2_b64 v[113:116], v112 offset0:75 offset1:76
	ds_read2_b64 v[117:120], v112 offset0:77 offset1:78
	s_waitcnt vmcnt(19) lgkmcnt(1)
	v_fma_f64 v[113:114], v[129:130], v[113:114], v[124:125]
	buffer_load_dword v124, off, s[0:3], 0 offset:236
	s_waitcnt vmcnt(18)
	v_fma_f64 v[113:114], v[131:132], v[115:116], v[113:114]
	buffer_load_dword v126, off, s[0:3], 0 offset:244
	buffer_load_dword v127, off, s[0:3], 0 offset:264
	;; [unrolled: 1-line block ×8, first 2 shown]
	s_waitcnt vmcnt(24) lgkmcnt(0)
	v_fma_f64 v[113:114], v[133:134], v[117:118], v[113:114]
	s_waitcnt vmcnt(19)
	v_fma_f64 v[133:134], v[135:136], v[119:120], v[113:114]
	ds_read2_b64 v[113:116], v112 offset0:79 offset1:80
	ds_read2_b64 v[117:120], v112 offset0:81 offset1:82
	s_waitcnt vmcnt(18) lgkmcnt(1)
	v_fma_f64 v[113:114], v[141:142], v[113:114], v[133:134]
	s_waitcnt vmcnt(17)
	v_fma_f64 v[113:114], v[139:140], v[115:116], v[113:114]
	buffer_load_dword v134, off, s[0:3], 0 offset:276
	buffer_load_dword v135, off, s[0:3], 0 offset:296
	;; [unrolled: 1-line block ×8, first 2 shown]
	s_waitcnt vmcnt(24) lgkmcnt(0)
	v_fma_f64 v[113:114], v[137:138], v[117:118], v[113:114]
	s_waitcnt vmcnt(19)
	v_fma_f64 v[121:122], v[121:122], v[119:120], v[113:114]
	ds_read2_b64 v[113:116], v112 offset0:83 offset1:84
	ds_read2_b64 v[117:120], v112 offset0:85 offset1:86
	s_waitcnt vmcnt(18) lgkmcnt(1)
	v_fma_f64 v[113:114], v[145:146], v[113:114], v[121:122]
	s_waitcnt vmcnt(17)
	v_fma_f64 v[113:114], v[143:144], v[115:116], v[113:114]
	buffer_load_dword v122, off, s[0:3], 0 offset:308
	buffer_load_dword v137, off, s[0:3], 0 offset:328
	;; [unrolled: 1-line block ×7, first 2 shown]
	s_waitcnt vmcnt(23) lgkmcnt(0)
	v_fma_f64 v[113:114], v[123:124], v[117:118], v[113:114]
	s_waitcnt vmcnt(18)
	v_fma_f64 v[123:124], v[125:126], v[119:120], v[113:114]
	ds_read2_b64 v[113:116], v112 offset0:87 offset1:88
	ds_read2_b64 v[117:120], v112 offset0:89 offset1:90
	buffer_load_dword v138, off, s[0:3], 0 offset:332
	s_waitcnt vmcnt(18) lgkmcnt(1)
	v_fma_f64 v[113:114], v[131:132], v[113:114], v[123:124]
	s_waitcnt vmcnt(17)
	v_fma_f64 v[113:114], v[129:130], v[115:116], v[113:114]
	buffer_load_dword v124, off, s[0:3], 0 offset:340
	buffer_load_dword v125, off, s[0:3], 0 offset:360
	buffer_load_dword v129, off, s[0:3], 0 offset:352
	buffer_load_dword v131, off, s[0:3], 0 offset:344
	buffer_load_dword v123, off, s[0:3], 0 offset:336
	buffer_load_dword v132, off, s[0:3], 0 offset:348
	buffer_load_dword v130, off, s[0:3], 0 offset:356
	s_waitcnt vmcnt(23) lgkmcnt(0)
	v_fma_f64 v[113:114], v[127:128], v[117:118], v[113:114]
	s_waitcnt vmcnt(18)
	v_fma_f64 v[126:127], v[133:134], v[119:120], v[113:114]
	ds_read2_b64 v[113:116], v112 offset0:91 offset1:92
	ds_read2_b64 v[117:120], v112 offset0:93 offset1:94
	s_waitcnt vmcnt(17) lgkmcnt(1)
	v_fma_f64 v[113:114], v[141:142], v[113:114], v[126:127]
	buffer_load_dword v126, off, s[0:3], 0 offset:364
	s_waitcnt vmcnt(17)
	v_fma_f64 v[113:114], v[139:140], v[115:116], v[113:114]
	buffer_load_dword v128, off, s[0:3], 0 offset:372
	buffer_load_dword v133, off, s[0:3], 0 offset:392
	;; [unrolled: 1-line block ×8, first 2 shown]
	s_waitcnt vmcnt(24) lgkmcnt(0)
	v_fma_f64 v[113:114], v[135:136], v[117:118], v[113:114]
	s_waitcnt vmcnt(19)
	v_fma_f64 v[121:122], v[121:122], v[119:120], v[113:114]
	ds_read2_b64 v[113:116], v112 offset0:95 offset1:96
	ds_read2_b64 v[117:120], v112 offset0:97 offset1:98
	s_waitcnt vmcnt(18) lgkmcnt(1)
	v_fma_f64 v[113:114], v[145:146], v[113:114], v[121:122]
	s_waitcnt vmcnt(17)
	v_fma_f64 v[113:114], v[143:144], v[115:116], v[113:114]
	buffer_load_dword v122, off, s[0:3], 0 offset:404
	buffer_load_dword v135, off, s[0:3], 0 offset:424
	;; [unrolled: 1-line block ×8, first 2 shown]
	s_waitcnt vmcnt(24) lgkmcnt(0)
	v_fma_f64 v[113:114], v[137:138], v[117:118], v[113:114]
	s_waitcnt vmcnt(19)
	v_fma_f64 v[123:124], v[123:124], v[119:120], v[113:114]
	ds_read2_b64 v[113:116], v112 offset0:99 offset1:100
	ds_read2_b64 v[117:120], v112 offset0:101 offset1:102
	s_waitcnt vmcnt(18) lgkmcnt(1)
	v_fma_f64 v[113:114], v[131:132], v[113:114], v[123:124]
	buffer_load_dword v124, off, s[0:3], 0 offset:436
	buffer_load_dword v123, off, s[0:3], 0 offset:432
	s_waitcnt vmcnt(19)
	v_fma_f64 v[113:114], v[129:130], v[115:116], v[113:114]
	buffer_load_dword v129, off, s[0:3], 0 offset:112
	buffer_load_dword v130, off, s[0:3], 0 offset:116
	s_waitcnt vmcnt(20) lgkmcnt(0)
	v_fma_f64 v[113:114], v[125:126], v[117:118], v[113:114]
	s_waitcnt vmcnt(15)
	v_fma_f64 v[125:126], v[127:128], v[119:120], v[113:114]
	ds_read2_b64 v[113:116], v112 offset0:103 offset1:104
	ds_read2_b64 v[117:120], v112 offset0:105 offset1:106
	s_waitcnt vmcnt(14) lgkmcnt(1)
	v_fma_f64 v[113:114], v[141:142], v[113:114], v[125:126]
	s_waitcnt vmcnt(13)
	v_fma_f64 v[113:114], v[139:140], v[115:116], v[113:114]
	s_waitcnt vmcnt(12) lgkmcnt(0)
	v_fma_f64 v[113:114], v[133:134], v[117:118], v[113:114]
	s_waitcnt vmcnt(7)
	v_fma_f64 v[121:122], v[121:122], v[119:120], v[113:114]
	ds_read2_b64 v[113:116], v112 offset0:107 offset1:108
	ds_read2_b64 v[117:120], v112 offset0:109 offset1:110
	s_waitcnt vmcnt(6) lgkmcnt(1)
	v_fma_f64 v[112:113], v[145:146], v[113:114], v[121:122]
	s_waitcnt vmcnt(5)
	v_fma_f64 v[112:113], v[143:144], v[115:116], v[112:113]
	s_waitcnt vmcnt(4) lgkmcnt(0)
	v_fma_f64 v[112:113], v[135:136], v[117:118], v[112:113]
	s_waitcnt vmcnt(2)
	v_fma_f64 v[112:113], v[123:124], v[119:120], v[112:113]
	s_waitcnt vmcnt(0)
	v_add_f64 v[112:113], v[129:130], -v[112:113]
	buffer_store_dword v113, off, s[0:3], 0 offset:116
	buffer_store_dword v112, off, s[0:3], 0 offset:112
	s_and_saveexec_b64 s[4:5], vcc
	s_cbranch_execz .LBB54_311
; %bb.310:
	buffer_load_dword v112, off, s[0:3], 0 offset:104
	buffer_load_dword v113, off, s[0:3], 0 offset:108
	v_mov_b32_e32 v114, 0
	buffer_store_dword v114, off, s[0:3], 0 offset:104
	buffer_store_dword v114, off, s[0:3], 0 offset:108
	s_waitcnt vmcnt(2)
	ds_write_b64 v111, v[112:113]
.LBB54_311:
	s_or_b64 exec, exec, s[4:5]
	s_waitcnt lgkmcnt(0)
	; wave barrier
	buffer_load_dword v121, off, s[0:3], 0 offset:112
	buffer_load_dword v122, off, s[0:3], 0 offset:116
	;; [unrolled: 1-line block ×22, first 2 shown]
	v_mov_b32_e32 v112, 0
	ds_read_b128 v[113:116], v112 offset:560
	ds_read_b128 v[117:120], v112 offset:576
	v_cmp_lt_u32_e32 vcc, 12, v0
	s_waitcnt vmcnt(20) lgkmcnt(1)
	v_fma_f64 v[113:114], v[121:122], v[113:114], 0
	s_waitcnt vmcnt(18)
	v_fma_f64 v[113:114], v[123:124], v[115:116], v[113:114]
	buffer_load_dword v122, off, s[0:3], 0 offset:204
	buffer_load_dword v123, off, s[0:3], 0 offset:224
	;; [unrolled: 1-line block ×7, first 2 shown]
	s_waitcnt vmcnt(23) lgkmcnt(0)
	v_fma_f64 v[113:114], v[125:126], v[117:118], v[113:114]
	s_waitcnt vmcnt(21)
	v_fma_f64 v[124:125], v[127:128], v[119:120], v[113:114]
	ds_read_b128 v[113:116], v112 offset:592
	ds_read_b128 v[117:120], v112 offset:608
	s_waitcnt vmcnt(19) lgkmcnt(1)
	v_fma_f64 v[113:114], v[129:130], v[113:114], v[124:125]
	buffer_load_dword v124, off, s[0:3], 0 offset:228
	s_waitcnt vmcnt(18)
	v_fma_f64 v[113:114], v[131:132], v[115:116], v[113:114]
	buffer_load_dword v126, off, s[0:3], 0 offset:236
	buffer_load_dword v127, off, s[0:3], 0 offset:256
	buffer_load_dword v129, off, s[0:3], 0 offset:248
	buffer_load_dword v131, off, s[0:3], 0 offset:240
	buffer_load_dword v125, off, s[0:3], 0 offset:232
	buffer_load_dword v132, off, s[0:3], 0 offset:244
	buffer_load_dword v130, off, s[0:3], 0 offset:252
	s_waitcnt vmcnt(23) lgkmcnt(0)
	v_fma_f64 v[113:114], v[133:134], v[117:118], v[113:114]
	s_waitcnt vmcnt(18)
	v_fma_f64 v[133:134], v[135:136], v[119:120], v[113:114]
	ds_read_b128 v[113:116], v112 offset:624
	ds_read_b128 v[117:120], v112 offset:640
	buffer_load_dword v128, off, s[0:3], 0 offset:260
	s_waitcnt vmcnt(18) lgkmcnt(1)
	v_fma_f64 v[113:114], v[141:142], v[113:114], v[133:134]
	s_waitcnt vmcnt(17)
	v_fma_f64 v[113:114], v[139:140], v[115:116], v[113:114]
	buffer_load_dword v134, off, s[0:3], 0 offset:268
	buffer_load_dword v135, off, s[0:3], 0 offset:288
	;; [unrolled: 1-line block ×8, first 2 shown]
	s_waitcnt vmcnt(24) lgkmcnt(0)
	v_fma_f64 v[113:114], v[137:138], v[117:118], v[113:114]
	s_waitcnt vmcnt(19)
	v_fma_f64 v[121:122], v[121:122], v[119:120], v[113:114]
	ds_read_b128 v[113:116], v112 offset:656
	ds_read_b128 v[117:120], v112 offset:672
	s_waitcnt vmcnt(18) lgkmcnt(1)
	v_fma_f64 v[113:114], v[145:146], v[113:114], v[121:122]
	s_waitcnt vmcnt(17)
	v_fma_f64 v[113:114], v[143:144], v[115:116], v[113:114]
	buffer_load_dword v122, off, s[0:3], 0 offset:300
	buffer_load_dword v137, off, s[0:3], 0 offset:320
	;; [unrolled: 1-line block ×7, first 2 shown]
	s_waitcnt vmcnt(23) lgkmcnt(0)
	v_fma_f64 v[113:114], v[123:124], v[117:118], v[113:114]
	s_waitcnt vmcnt(18)
	v_fma_f64 v[123:124], v[125:126], v[119:120], v[113:114]
	ds_read_b128 v[113:116], v112 offset:688
	ds_read_b128 v[117:120], v112 offset:704
	buffer_load_dword v138, off, s[0:3], 0 offset:324
	s_waitcnt vmcnt(18) lgkmcnt(1)
	v_fma_f64 v[113:114], v[131:132], v[113:114], v[123:124]
	s_waitcnt vmcnt(17)
	v_fma_f64 v[113:114], v[129:130], v[115:116], v[113:114]
	buffer_load_dword v124, off, s[0:3], 0 offset:332
	buffer_load_dword v125, off, s[0:3], 0 offset:352
	;; [unrolled: 1-line block ×7, first 2 shown]
	s_waitcnt vmcnt(23) lgkmcnt(0)
	v_fma_f64 v[113:114], v[127:128], v[117:118], v[113:114]
	s_waitcnt vmcnt(18)
	v_fma_f64 v[126:127], v[133:134], v[119:120], v[113:114]
	ds_read_b128 v[113:116], v112 offset:720
	ds_read_b128 v[117:120], v112 offset:736
	s_waitcnt vmcnt(17) lgkmcnt(1)
	v_fma_f64 v[113:114], v[141:142], v[113:114], v[126:127]
	buffer_load_dword v126, off, s[0:3], 0 offset:356
	s_waitcnt vmcnt(17)
	v_fma_f64 v[113:114], v[139:140], v[115:116], v[113:114]
	buffer_load_dword v128, off, s[0:3], 0 offset:364
	buffer_load_dword v133, off, s[0:3], 0 offset:384
	;; [unrolled: 1-line block ×8, first 2 shown]
	s_waitcnt vmcnt(24) lgkmcnt(0)
	v_fma_f64 v[113:114], v[135:136], v[117:118], v[113:114]
	s_waitcnt vmcnt(19)
	v_fma_f64 v[121:122], v[121:122], v[119:120], v[113:114]
	ds_read_b128 v[113:116], v112 offset:752
	ds_read_b128 v[117:120], v112 offset:768
	s_waitcnt vmcnt(18) lgkmcnt(1)
	v_fma_f64 v[113:114], v[145:146], v[113:114], v[121:122]
	s_waitcnt vmcnt(17)
	v_fma_f64 v[113:114], v[143:144], v[115:116], v[113:114]
	buffer_load_dword v122, off, s[0:3], 0 offset:396
	buffer_load_dword v135, off, s[0:3], 0 offset:416
	;; [unrolled: 1-line block ×7, first 2 shown]
	s_waitcnt vmcnt(23) lgkmcnt(0)
	v_fma_f64 v[113:114], v[137:138], v[117:118], v[113:114]
	s_waitcnt vmcnt(18)
	v_fma_f64 v[123:124], v[123:124], v[119:120], v[113:114]
	ds_read_b128 v[113:116], v112 offset:784
	ds_read_b128 v[117:120], v112 offset:800
	buffer_load_dword v136, off, s[0:3], 0 offset:420
	s_waitcnt vmcnt(18) lgkmcnt(1)
	v_fma_f64 v[113:114], v[131:132], v[113:114], v[123:124]
	s_waitcnt vmcnt(17)
	v_fma_f64 v[113:114], v[129:130], v[115:116], v[113:114]
	buffer_load_dword v124, off, s[0:3], 0 offset:428
	buffer_load_dword v129, off, s[0:3], 0 offset:432
	;; [unrolled: 1-line block ×4, first 2 shown]
	s_waitcnt vmcnt(20) lgkmcnt(0)
	v_fma_f64 v[113:114], v[125:126], v[117:118], v[113:114]
	buffer_load_dword v125, off, s[0:3], 0 offset:104
	buffer_load_dword v126, off, s[0:3], 0 offset:108
	s_waitcnt vmcnt(17)
	v_fma_f64 v[127:128], v[127:128], v[119:120], v[113:114]
	ds_read_b128 v[113:116], v112 offset:816
	ds_read_b128 v[117:120], v112 offset:832
	s_waitcnt vmcnt(16) lgkmcnt(1)
	v_fma_f64 v[113:114], v[141:142], v[113:114], v[127:128]
	s_waitcnt vmcnt(15)
	v_fma_f64 v[113:114], v[139:140], v[115:116], v[113:114]
	s_waitcnt vmcnt(14) lgkmcnt(0)
	v_fma_f64 v[113:114], v[133:134], v[117:118], v[113:114]
	s_waitcnt vmcnt(9)
	v_fma_f64 v[121:122], v[121:122], v[119:120], v[113:114]
	ds_read_b128 v[113:116], v112 offset:848
	ds_read_b128 v[117:120], v112 offset:864
	s_waitcnt vmcnt(8) lgkmcnt(1)
	v_fma_f64 v[113:114], v[145:146], v[113:114], v[121:122]
	s_waitcnt vmcnt(7)
	v_fma_f64 v[113:114], v[143:144], v[115:116], v[113:114]
	ds_read_b64 v[115:116], v112 offset:880
	s_waitcnt vmcnt(6) lgkmcnt(1)
	v_fma_f64 v[113:114], v[135:136], v[117:118], v[113:114]
	s_waitcnt vmcnt(3)
	v_fma_f64 v[113:114], v[123:124], v[119:120], v[113:114]
	s_waitcnt vmcnt(2) lgkmcnt(0)
	v_fma_f64 v[113:114], v[129:130], v[115:116], v[113:114]
	s_waitcnt vmcnt(0)
	v_add_f64 v[113:114], v[125:126], -v[113:114]
	buffer_store_dword v114, off, s[0:3], 0 offset:108
	buffer_store_dword v113, off, s[0:3], 0 offset:104
	s_and_saveexec_b64 s[4:5], vcc
	s_cbranch_execz .LBB54_313
; %bb.312:
	buffer_load_dword v113, off, s[0:3], 0 offset:96
	buffer_load_dword v114, off, s[0:3], 0 offset:100
	s_waitcnt vmcnt(0)
	ds_write_b64 v111, v[113:114]
	buffer_store_dword v112, off, s[0:3], 0 offset:96
	buffer_store_dword v112, off, s[0:3], 0 offset:100
.LBB54_313:
	s_or_b64 exec, exec, s[4:5]
	s_waitcnt lgkmcnt(0)
	; wave barrier
	buffer_load_dword v121, off, s[0:3], 0 offset:104
	buffer_load_dword v122, off, s[0:3], 0 offset:108
	;; [unrolled: 1-line block ×22, first 2 shown]
	ds_read2_b64 v[113:116], v112 offset0:69 offset1:70
	ds_read2_b64 v[117:120], v112 offset0:71 offset1:72
	v_cmp_lt_u32_e32 vcc, 11, v0
	s_waitcnt vmcnt(20) lgkmcnt(1)
	v_fma_f64 v[113:114], v[121:122], v[113:114], 0
	s_waitcnt vmcnt(18)
	v_fma_f64 v[113:114], v[123:124], v[115:116], v[113:114]
	buffer_load_dword v122, off, s[0:3], 0 offset:196
	buffer_load_dword v123, off, s[0:3], 0 offset:216
	;; [unrolled: 1-line block ×7, first 2 shown]
	s_waitcnt vmcnt(23) lgkmcnt(0)
	v_fma_f64 v[113:114], v[125:126], v[117:118], v[113:114]
	s_waitcnt vmcnt(21)
	v_fma_f64 v[124:125], v[127:128], v[119:120], v[113:114]
	ds_read2_b64 v[113:116], v112 offset0:73 offset1:74
	ds_read2_b64 v[117:120], v112 offset0:75 offset1:76
	s_waitcnt vmcnt(19) lgkmcnt(1)
	v_fma_f64 v[113:114], v[129:130], v[113:114], v[124:125]
	buffer_load_dword v124, off, s[0:3], 0 offset:220
	s_waitcnt vmcnt(18)
	v_fma_f64 v[113:114], v[131:132], v[115:116], v[113:114]
	buffer_load_dword v126, off, s[0:3], 0 offset:228
	buffer_load_dword v127, off, s[0:3], 0 offset:248
	;; [unrolled: 1-line block ×7, first 2 shown]
	s_waitcnt vmcnt(23) lgkmcnt(0)
	v_fma_f64 v[113:114], v[133:134], v[117:118], v[113:114]
	s_waitcnt vmcnt(18)
	v_fma_f64 v[133:134], v[135:136], v[119:120], v[113:114]
	ds_read2_b64 v[113:116], v112 offset0:77 offset1:78
	ds_read2_b64 v[117:120], v112 offset0:79 offset1:80
	buffer_load_dword v128, off, s[0:3], 0 offset:252
	s_waitcnt vmcnt(18) lgkmcnt(1)
	v_fma_f64 v[113:114], v[141:142], v[113:114], v[133:134]
	s_waitcnt vmcnt(17)
	v_fma_f64 v[113:114], v[139:140], v[115:116], v[113:114]
	buffer_load_dword v134, off, s[0:3], 0 offset:260
	buffer_load_dword v135, off, s[0:3], 0 offset:280
	buffer_load_dword v139, off, s[0:3], 0 offset:272
	buffer_load_dword v141, off, s[0:3], 0 offset:264
	buffer_load_dword v133, off, s[0:3], 0 offset:256
	buffer_load_dword v142, off, s[0:3], 0 offset:268
	buffer_load_dword v140, off, s[0:3], 0 offset:276
	buffer_load_dword v136, off, s[0:3], 0 offset:284
	s_waitcnt vmcnt(24) lgkmcnt(0)
	v_fma_f64 v[113:114], v[137:138], v[117:118], v[113:114]
	s_waitcnt vmcnt(19)
	v_fma_f64 v[121:122], v[121:122], v[119:120], v[113:114]
	ds_read2_b64 v[113:116], v112 offset0:81 offset1:82
	ds_read2_b64 v[117:120], v112 offset0:83 offset1:84
	s_waitcnt vmcnt(18) lgkmcnt(1)
	v_fma_f64 v[113:114], v[145:146], v[113:114], v[121:122]
	s_waitcnt vmcnt(17)
	v_fma_f64 v[113:114], v[143:144], v[115:116], v[113:114]
	buffer_load_dword v122, off, s[0:3], 0 offset:292
	buffer_load_dword v137, off, s[0:3], 0 offset:312
	;; [unrolled: 1-line block ×8, first 2 shown]
	s_waitcnt vmcnt(24) lgkmcnt(0)
	v_fma_f64 v[113:114], v[123:124], v[117:118], v[113:114]
	s_waitcnt vmcnt(19)
	v_fma_f64 v[123:124], v[125:126], v[119:120], v[113:114]
	ds_read2_b64 v[113:116], v112 offset0:85 offset1:86
	ds_read2_b64 v[117:120], v112 offset0:87 offset1:88
	s_waitcnt vmcnt(18) lgkmcnt(1)
	v_fma_f64 v[113:114], v[131:132], v[113:114], v[123:124]
	s_waitcnt vmcnt(17)
	v_fma_f64 v[113:114], v[129:130], v[115:116], v[113:114]
	buffer_load_dword v124, off, s[0:3], 0 offset:324
	buffer_load_dword v125, off, s[0:3], 0 offset:344
	buffer_load_dword v129, off, s[0:3], 0 offset:336
	buffer_load_dword v131, off, s[0:3], 0 offset:328
	buffer_load_dword v123, off, s[0:3], 0 offset:320
	buffer_load_dword v132, off, s[0:3], 0 offset:332
	buffer_load_dword v130, off, s[0:3], 0 offset:340
	s_waitcnt vmcnt(23) lgkmcnt(0)
	v_fma_f64 v[113:114], v[127:128], v[117:118], v[113:114]
	s_waitcnt vmcnt(18)
	v_fma_f64 v[126:127], v[133:134], v[119:120], v[113:114]
	ds_read2_b64 v[113:116], v112 offset0:89 offset1:90
	ds_read2_b64 v[117:120], v112 offset0:91 offset1:92
	s_waitcnt vmcnt(17) lgkmcnt(1)
	v_fma_f64 v[113:114], v[141:142], v[113:114], v[126:127]
	buffer_load_dword v126, off, s[0:3], 0 offset:348
	s_waitcnt vmcnt(17)
	v_fma_f64 v[113:114], v[139:140], v[115:116], v[113:114]
	buffer_load_dword v128, off, s[0:3], 0 offset:356
	buffer_load_dword v133, off, s[0:3], 0 offset:376
	;; [unrolled: 1-line block ×8, first 2 shown]
	s_waitcnt vmcnt(24) lgkmcnt(0)
	v_fma_f64 v[113:114], v[135:136], v[117:118], v[113:114]
	s_waitcnt vmcnt(19)
	v_fma_f64 v[121:122], v[121:122], v[119:120], v[113:114]
	ds_read2_b64 v[113:116], v112 offset0:93 offset1:94
	ds_read2_b64 v[117:120], v112 offset0:95 offset1:96
	s_waitcnt vmcnt(18) lgkmcnt(1)
	v_fma_f64 v[113:114], v[145:146], v[113:114], v[121:122]
	s_waitcnt vmcnt(17)
	v_fma_f64 v[113:114], v[143:144], v[115:116], v[113:114]
	buffer_load_dword v122, off, s[0:3], 0 offset:388
	buffer_load_dword v135, off, s[0:3], 0 offset:408
	;; [unrolled: 1-line block ×8, first 2 shown]
	s_waitcnt vmcnt(24) lgkmcnt(0)
	v_fma_f64 v[113:114], v[137:138], v[117:118], v[113:114]
	s_waitcnt vmcnt(19)
	v_fma_f64 v[123:124], v[123:124], v[119:120], v[113:114]
	ds_read2_b64 v[113:116], v112 offset0:97 offset1:98
	ds_read2_b64 v[117:120], v112 offset0:99 offset1:100
	s_waitcnt vmcnt(18) lgkmcnt(1)
	v_fma_f64 v[113:114], v[131:132], v[113:114], v[123:124]
	s_waitcnt vmcnt(17)
	v_fma_f64 v[113:114], v[129:130], v[115:116], v[113:114]
	buffer_load_dword v124, off, s[0:3], 0 offset:420
	buffer_load_dword v129, off, s[0:3], 0 offset:432
	;; [unrolled: 1-line block ×6, first 2 shown]
	s_waitcnt vmcnt(22) lgkmcnt(0)
	v_fma_f64 v[113:114], v[125:126], v[117:118], v[113:114]
	s_waitcnt vmcnt(17)
	v_fma_f64 v[125:126], v[127:128], v[119:120], v[113:114]
	ds_read2_b64 v[113:116], v112 offset0:101 offset1:102
	buffer_load_dword v127, off, s[0:3], 0 offset:96
	buffer_load_dword v128, off, s[0:3], 0 offset:100
	ds_read2_b64 v[117:120], v112 offset0:103 offset1:104
	s_waitcnt vmcnt(18) lgkmcnt(1)
	v_fma_f64 v[113:114], v[141:142], v[113:114], v[125:126]
	s_waitcnt vmcnt(17)
	v_fma_f64 v[113:114], v[139:140], v[115:116], v[113:114]
	s_waitcnt vmcnt(16) lgkmcnt(0)
	v_fma_f64 v[113:114], v[133:134], v[117:118], v[113:114]
	s_waitcnt vmcnt(11)
	v_fma_f64 v[121:122], v[121:122], v[119:120], v[113:114]
	ds_read2_b64 v[113:116], v112 offset0:105 offset1:106
	ds_read2_b64 v[117:120], v112 offset0:107 offset1:108
	s_waitcnt vmcnt(10) lgkmcnt(1)
	v_fma_f64 v[113:114], v[145:146], v[113:114], v[121:122]
	s_waitcnt vmcnt(9)
	v_fma_f64 v[113:114], v[143:144], v[115:116], v[113:114]
	s_waitcnt vmcnt(8) lgkmcnt(0)
	v_fma_f64 v[113:114], v[135:136], v[117:118], v[113:114]
	s_waitcnt vmcnt(4)
	v_fma_f64 v[116:117], v[123:124], v[119:120], v[113:114]
	ds_read2_b64 v[112:115], v112 offset0:109 offset1:110
	s_waitcnt vmcnt(3) lgkmcnt(0)
	v_fma_f64 v[112:113], v[131:132], v[112:113], v[116:117]
	s_waitcnt vmcnt(2)
	v_fma_f64 v[112:113], v[129:130], v[114:115], v[112:113]
	s_waitcnt vmcnt(0)
	v_add_f64 v[112:113], v[127:128], -v[112:113]
	buffer_store_dword v113, off, s[0:3], 0 offset:100
	buffer_store_dword v112, off, s[0:3], 0 offset:96
	s_and_saveexec_b64 s[4:5], vcc
	s_cbranch_execz .LBB54_315
; %bb.314:
	buffer_load_dword v112, off, s[0:3], 0 offset:88
	buffer_load_dword v113, off, s[0:3], 0 offset:92
	v_mov_b32_e32 v114, 0
	buffer_store_dword v114, off, s[0:3], 0 offset:88
	buffer_store_dword v114, off, s[0:3], 0 offset:92
	s_waitcnt vmcnt(2)
	ds_write_b64 v111, v[112:113]
.LBB54_315:
	s_or_b64 exec, exec, s[4:5]
	s_waitcnt lgkmcnt(0)
	; wave barrier
	buffer_load_dword v121, off, s[0:3], 0 offset:96
	buffer_load_dword v122, off, s[0:3], 0 offset:100
	;; [unrolled: 1-line block ×22, first 2 shown]
	v_mov_b32_e32 v112, 0
	ds_read_b128 v[113:116], v112 offset:544
	ds_read_b128 v[117:120], v112 offset:560
	v_cmp_lt_u32_e32 vcc, 10, v0
	s_waitcnt vmcnt(20) lgkmcnt(1)
	v_fma_f64 v[113:114], v[121:122], v[113:114], 0
	s_waitcnt vmcnt(18)
	v_fma_f64 v[113:114], v[123:124], v[115:116], v[113:114]
	buffer_load_dword v122, off, s[0:3], 0 offset:188
	buffer_load_dword v123, off, s[0:3], 0 offset:208
	;; [unrolled: 1-line block ×7, first 2 shown]
	s_waitcnt vmcnt(23) lgkmcnt(0)
	v_fma_f64 v[113:114], v[125:126], v[117:118], v[113:114]
	s_waitcnt vmcnt(21)
	v_fma_f64 v[124:125], v[127:128], v[119:120], v[113:114]
	ds_read_b128 v[113:116], v112 offset:576
	ds_read_b128 v[117:120], v112 offset:592
	s_waitcnt vmcnt(19) lgkmcnt(1)
	v_fma_f64 v[113:114], v[129:130], v[113:114], v[124:125]
	buffer_load_dword v124, off, s[0:3], 0 offset:212
	s_waitcnt vmcnt(18)
	v_fma_f64 v[113:114], v[131:132], v[115:116], v[113:114]
	buffer_load_dword v126, off, s[0:3], 0 offset:220
	buffer_load_dword v127, off, s[0:3], 0 offset:240
	buffer_load_dword v129, off, s[0:3], 0 offset:232
	buffer_load_dword v131, off, s[0:3], 0 offset:224
	buffer_load_dword v125, off, s[0:3], 0 offset:216
	buffer_load_dword v132, off, s[0:3], 0 offset:228
	buffer_load_dword v130, off, s[0:3], 0 offset:236
	s_waitcnt vmcnt(23) lgkmcnt(0)
	v_fma_f64 v[113:114], v[133:134], v[117:118], v[113:114]
	s_waitcnt vmcnt(18)
	v_fma_f64 v[133:134], v[135:136], v[119:120], v[113:114]
	ds_read_b128 v[113:116], v112 offset:608
	ds_read_b128 v[117:120], v112 offset:624
	buffer_load_dword v128, off, s[0:3], 0 offset:244
	s_waitcnt vmcnt(18) lgkmcnt(1)
	v_fma_f64 v[113:114], v[141:142], v[113:114], v[133:134]
	s_waitcnt vmcnt(17)
	v_fma_f64 v[113:114], v[139:140], v[115:116], v[113:114]
	buffer_load_dword v134, off, s[0:3], 0 offset:252
	buffer_load_dword v135, off, s[0:3], 0 offset:272
	;; [unrolled: 1-line block ×8, first 2 shown]
	s_waitcnt vmcnt(24) lgkmcnt(0)
	v_fma_f64 v[113:114], v[137:138], v[117:118], v[113:114]
	s_waitcnt vmcnt(19)
	v_fma_f64 v[121:122], v[121:122], v[119:120], v[113:114]
	ds_read_b128 v[113:116], v112 offset:640
	ds_read_b128 v[117:120], v112 offset:656
	s_waitcnt vmcnt(18) lgkmcnt(1)
	v_fma_f64 v[113:114], v[145:146], v[113:114], v[121:122]
	s_waitcnt vmcnt(17)
	v_fma_f64 v[113:114], v[143:144], v[115:116], v[113:114]
	buffer_load_dword v122, off, s[0:3], 0 offset:284
	buffer_load_dword v137, off, s[0:3], 0 offset:304
	buffer_load_dword v143, off, s[0:3], 0 offset:296
	buffer_load_dword v145, off, s[0:3], 0 offset:288
	buffer_load_dword v121, off, s[0:3], 0 offset:280
	buffer_load_dword v146, off, s[0:3], 0 offset:292
	buffer_load_dword v144, off, s[0:3], 0 offset:300
	buffer_load_dword v138, off, s[0:3], 0 offset:308
	s_waitcnt vmcnt(24) lgkmcnt(0)
	v_fma_f64 v[113:114], v[123:124], v[117:118], v[113:114]
	s_waitcnt vmcnt(19)
	v_fma_f64 v[123:124], v[125:126], v[119:120], v[113:114]
	ds_read_b128 v[113:116], v112 offset:672
	ds_read_b128 v[117:120], v112 offset:688
	s_waitcnt vmcnt(18) lgkmcnt(1)
	v_fma_f64 v[113:114], v[131:132], v[113:114], v[123:124]
	s_waitcnt vmcnt(17)
	v_fma_f64 v[113:114], v[129:130], v[115:116], v[113:114]
	buffer_load_dword v124, off, s[0:3], 0 offset:316
	buffer_load_dword v125, off, s[0:3], 0 offset:336
	;; [unrolled: 1-line block ×7, first 2 shown]
	s_waitcnt vmcnt(23) lgkmcnt(0)
	v_fma_f64 v[113:114], v[127:128], v[117:118], v[113:114]
	s_waitcnt vmcnt(18)
	v_fma_f64 v[126:127], v[133:134], v[119:120], v[113:114]
	ds_read_b128 v[113:116], v112 offset:704
	ds_read_b128 v[117:120], v112 offset:720
	s_waitcnt vmcnt(17) lgkmcnt(1)
	v_fma_f64 v[113:114], v[141:142], v[113:114], v[126:127]
	buffer_load_dword v126, off, s[0:3], 0 offset:340
	s_waitcnt vmcnt(17)
	v_fma_f64 v[113:114], v[139:140], v[115:116], v[113:114]
	buffer_load_dword v128, off, s[0:3], 0 offset:348
	buffer_load_dword v133, off, s[0:3], 0 offset:368
	buffer_load_dword v139, off, s[0:3], 0 offset:360
	buffer_load_dword v141, off, s[0:3], 0 offset:352
	buffer_load_dword v127, off, s[0:3], 0 offset:344
	buffer_load_dword v142, off, s[0:3], 0 offset:356
	buffer_load_dword v140, off, s[0:3], 0 offset:364
	buffer_load_dword v134, off, s[0:3], 0 offset:372
	s_waitcnt vmcnt(24) lgkmcnt(0)
	v_fma_f64 v[113:114], v[135:136], v[117:118], v[113:114]
	s_waitcnt vmcnt(19)
	v_fma_f64 v[121:122], v[121:122], v[119:120], v[113:114]
	ds_read_b128 v[113:116], v112 offset:736
	ds_read_b128 v[117:120], v112 offset:752
	s_waitcnt vmcnt(18) lgkmcnt(1)
	v_fma_f64 v[113:114], v[145:146], v[113:114], v[121:122]
	s_waitcnt vmcnt(17)
	v_fma_f64 v[113:114], v[143:144], v[115:116], v[113:114]
	buffer_load_dword v122, off, s[0:3], 0 offset:380
	buffer_load_dword v135, off, s[0:3], 0 offset:400
	buffer_load_dword v143, off, s[0:3], 0 offset:392
	buffer_load_dword v145, off, s[0:3], 0 offset:384
	buffer_load_dword v121, off, s[0:3], 0 offset:376
	buffer_load_dword v146, off, s[0:3], 0 offset:388
	buffer_load_dword v144, off, s[0:3], 0 offset:396
	buffer_load_dword v136, off, s[0:3], 0 offset:404
	s_waitcnt vmcnt(24) lgkmcnt(0)
	v_fma_f64 v[113:114], v[137:138], v[117:118], v[113:114]
	s_waitcnt vmcnt(19)
	v_fma_f64 v[123:124], v[123:124], v[119:120], v[113:114]
	ds_read_b128 v[113:116], v112 offset:768
	ds_read_b128 v[117:120], v112 offset:784
	s_waitcnt vmcnt(18) lgkmcnt(1)
	v_fma_f64 v[113:114], v[131:132], v[113:114], v[123:124]
	;; [unrolled: 18-line block ×3, first 2 shown]
	buffer_load_dword v125, off, s[0:3], 0 offset:88
	buffer_load_dword v126, off, s[0:3], 0 offset:92
	s_waitcnt vmcnt(19)
	v_fma_f64 v[113:114], v[139:140], v[115:116], v[113:114]
	s_waitcnt vmcnt(18) lgkmcnt(0)
	v_fma_f64 v[113:114], v[133:134], v[117:118], v[113:114]
	s_waitcnt vmcnt(13)
	v_fma_f64 v[121:122], v[121:122], v[119:120], v[113:114]
	ds_read_b128 v[113:116], v112 offset:832
	ds_read_b128 v[117:120], v112 offset:848
	s_waitcnt vmcnt(12) lgkmcnt(1)
	v_fma_f64 v[113:114], v[145:146], v[113:114], v[121:122]
	s_waitcnt vmcnt(11)
	v_fma_f64 v[113:114], v[143:144], v[115:116], v[113:114]
	s_waitcnt vmcnt(10) lgkmcnt(0)
	v_fma_f64 v[113:114], v[135:136], v[117:118], v[113:114]
	s_waitcnt vmcnt(5)
	v_fma_f64 v[117:118], v[123:124], v[119:120], v[113:114]
	ds_read_b128 v[113:116], v112 offset:864
	ds_read_b64 v[119:120], v112 offset:880
	s_waitcnt vmcnt(4) lgkmcnt(1)
	v_fma_f64 v[113:114], v[137:138], v[113:114], v[117:118]
	s_waitcnt vmcnt(3)
	v_fma_f64 v[113:114], v[131:132], v[115:116], v[113:114]
	s_waitcnt vmcnt(2) lgkmcnt(0)
	v_fma_f64 v[113:114], v[129:130], v[119:120], v[113:114]
	s_waitcnt vmcnt(0)
	v_add_f64 v[113:114], v[125:126], -v[113:114]
	buffer_store_dword v114, off, s[0:3], 0 offset:92
	buffer_store_dword v113, off, s[0:3], 0 offset:88
	s_and_saveexec_b64 s[4:5], vcc
	s_cbranch_execz .LBB54_317
; %bb.316:
	buffer_load_dword v113, off, s[0:3], 0 offset:80
	buffer_load_dword v114, off, s[0:3], 0 offset:84
	s_waitcnt vmcnt(0)
	ds_write_b64 v111, v[113:114]
	buffer_store_dword v112, off, s[0:3], 0 offset:80
	buffer_store_dword v112, off, s[0:3], 0 offset:84
.LBB54_317:
	s_or_b64 exec, exec, s[4:5]
	s_waitcnt lgkmcnt(0)
	; wave barrier
	buffer_load_dword v121, off, s[0:3], 0 offset:88
	buffer_load_dword v122, off, s[0:3], 0 offset:92
	;; [unrolled: 1-line block ×22, first 2 shown]
	ds_read2_b64 v[113:116], v112 offset0:67 offset1:68
	ds_read2_b64 v[117:120], v112 offset0:69 offset1:70
	v_cmp_lt_u32_e32 vcc, 9, v0
	s_waitcnt vmcnt(20) lgkmcnt(1)
	v_fma_f64 v[113:114], v[121:122], v[113:114], 0
	s_waitcnt vmcnt(18)
	v_fma_f64 v[113:114], v[123:124], v[115:116], v[113:114]
	buffer_load_dword v122, off, s[0:3], 0 offset:180
	buffer_load_dword v123, off, s[0:3], 0 offset:200
	;; [unrolled: 1-line block ×7, first 2 shown]
	s_waitcnt vmcnt(23) lgkmcnt(0)
	v_fma_f64 v[113:114], v[125:126], v[117:118], v[113:114]
	s_waitcnt vmcnt(21)
	v_fma_f64 v[124:125], v[127:128], v[119:120], v[113:114]
	ds_read2_b64 v[113:116], v112 offset0:71 offset1:72
	ds_read2_b64 v[117:120], v112 offset0:73 offset1:74
	s_waitcnt vmcnt(19) lgkmcnt(1)
	v_fma_f64 v[113:114], v[129:130], v[113:114], v[124:125]
	buffer_load_dword v124, off, s[0:3], 0 offset:204
	s_waitcnt vmcnt(18)
	v_fma_f64 v[113:114], v[131:132], v[115:116], v[113:114]
	buffer_load_dword v126, off, s[0:3], 0 offset:212
	buffer_load_dword v127, off, s[0:3], 0 offset:232
	;; [unrolled: 1-line block ×7, first 2 shown]
	s_waitcnt vmcnt(23) lgkmcnt(0)
	v_fma_f64 v[113:114], v[133:134], v[117:118], v[113:114]
	s_waitcnt vmcnt(18)
	v_fma_f64 v[133:134], v[135:136], v[119:120], v[113:114]
	ds_read2_b64 v[113:116], v112 offset0:75 offset1:76
	ds_read2_b64 v[117:120], v112 offset0:77 offset1:78
	buffer_load_dword v128, off, s[0:3], 0 offset:236
	s_waitcnt vmcnt(18) lgkmcnt(1)
	v_fma_f64 v[113:114], v[141:142], v[113:114], v[133:134]
	s_waitcnt vmcnt(17)
	v_fma_f64 v[113:114], v[139:140], v[115:116], v[113:114]
	buffer_load_dword v134, off, s[0:3], 0 offset:244
	buffer_load_dword v135, off, s[0:3], 0 offset:264
	;; [unrolled: 1-line block ×8, first 2 shown]
	s_waitcnt vmcnt(24) lgkmcnt(0)
	v_fma_f64 v[113:114], v[137:138], v[117:118], v[113:114]
	s_waitcnt vmcnt(19)
	v_fma_f64 v[121:122], v[121:122], v[119:120], v[113:114]
	ds_read2_b64 v[113:116], v112 offset0:79 offset1:80
	ds_read2_b64 v[117:120], v112 offset0:81 offset1:82
	s_waitcnt vmcnt(18) lgkmcnt(1)
	v_fma_f64 v[113:114], v[145:146], v[113:114], v[121:122]
	s_waitcnt vmcnt(17)
	v_fma_f64 v[113:114], v[143:144], v[115:116], v[113:114]
	buffer_load_dword v122, off, s[0:3], 0 offset:276
	buffer_load_dword v137, off, s[0:3], 0 offset:296
	;; [unrolled: 1-line block ×8, first 2 shown]
	s_waitcnt vmcnt(24) lgkmcnt(0)
	v_fma_f64 v[113:114], v[123:124], v[117:118], v[113:114]
	s_waitcnt vmcnt(19)
	v_fma_f64 v[123:124], v[125:126], v[119:120], v[113:114]
	ds_read2_b64 v[113:116], v112 offset0:83 offset1:84
	ds_read2_b64 v[117:120], v112 offset0:85 offset1:86
	s_waitcnt vmcnt(18) lgkmcnt(1)
	v_fma_f64 v[113:114], v[131:132], v[113:114], v[123:124]
	s_waitcnt vmcnt(17)
	v_fma_f64 v[113:114], v[129:130], v[115:116], v[113:114]
	buffer_load_dword v124, off, s[0:3], 0 offset:308
	buffer_load_dword v125, off, s[0:3], 0 offset:328
	;; [unrolled: 1-line block ×7, first 2 shown]
	s_waitcnt vmcnt(23) lgkmcnt(0)
	v_fma_f64 v[113:114], v[127:128], v[117:118], v[113:114]
	s_waitcnt vmcnt(18)
	v_fma_f64 v[126:127], v[133:134], v[119:120], v[113:114]
	ds_read2_b64 v[113:116], v112 offset0:87 offset1:88
	ds_read2_b64 v[117:120], v112 offset0:89 offset1:90
	s_waitcnt vmcnt(17) lgkmcnt(1)
	v_fma_f64 v[113:114], v[141:142], v[113:114], v[126:127]
	buffer_load_dword v126, off, s[0:3], 0 offset:332
	s_waitcnt vmcnt(17)
	v_fma_f64 v[113:114], v[139:140], v[115:116], v[113:114]
	buffer_load_dword v128, off, s[0:3], 0 offset:340
	buffer_load_dword v133, off, s[0:3], 0 offset:360
	buffer_load_dword v139, off, s[0:3], 0 offset:352
	buffer_load_dword v141, off, s[0:3], 0 offset:344
	buffer_load_dword v127, off, s[0:3], 0 offset:336
	buffer_load_dword v142, off, s[0:3], 0 offset:348
	buffer_load_dword v140, off, s[0:3], 0 offset:356
	buffer_load_dword v134, off, s[0:3], 0 offset:364
	s_waitcnt vmcnt(24) lgkmcnt(0)
	v_fma_f64 v[113:114], v[135:136], v[117:118], v[113:114]
	s_waitcnt vmcnt(19)
	v_fma_f64 v[121:122], v[121:122], v[119:120], v[113:114]
	ds_read2_b64 v[113:116], v112 offset0:91 offset1:92
	ds_read2_b64 v[117:120], v112 offset0:93 offset1:94
	s_waitcnt vmcnt(18) lgkmcnt(1)
	v_fma_f64 v[113:114], v[145:146], v[113:114], v[121:122]
	s_waitcnt vmcnt(17)
	v_fma_f64 v[113:114], v[143:144], v[115:116], v[113:114]
	buffer_load_dword v122, off, s[0:3], 0 offset:372
	buffer_load_dword v135, off, s[0:3], 0 offset:392
	buffer_load_dword v143, off, s[0:3], 0 offset:384
	buffer_load_dword v145, off, s[0:3], 0 offset:376
	buffer_load_dword v121, off, s[0:3], 0 offset:368
	buffer_load_dword v146, off, s[0:3], 0 offset:380
	buffer_load_dword v144, off, s[0:3], 0 offset:388
	buffer_load_dword v136, off, s[0:3], 0 offset:396
	s_waitcnt vmcnt(24) lgkmcnt(0)
	v_fma_f64 v[113:114], v[137:138], v[117:118], v[113:114]
	s_waitcnt vmcnt(19)
	v_fma_f64 v[123:124], v[123:124], v[119:120], v[113:114]
	ds_read2_b64 v[113:116], v112 offset0:95 offset1:96
	ds_read2_b64 v[117:120], v112 offset0:97 offset1:98
	s_waitcnt vmcnt(18) lgkmcnt(1)
	v_fma_f64 v[113:114], v[131:132], v[113:114], v[123:124]
	;; [unrolled: 18-line block ×3, first 2 shown]
	buffer_load_dword v126, off, s[0:3], 0 offset:436
	buffer_load_dword v125, off, s[0:3], 0 offset:432
	buffer_load_dword v127, off, s[0:3], 0 offset:80
	buffer_load_dword v128, off, s[0:3], 0 offset:84
	s_waitcnt vmcnt(21)
	v_fma_f64 v[113:114], v[139:140], v[115:116], v[113:114]
	s_waitcnt vmcnt(20) lgkmcnt(0)
	v_fma_f64 v[113:114], v[133:134], v[117:118], v[113:114]
	s_waitcnt vmcnt(15)
	v_fma_f64 v[121:122], v[121:122], v[119:120], v[113:114]
	ds_read2_b64 v[113:116], v112 offset0:103 offset1:104
	ds_read2_b64 v[117:120], v112 offset0:105 offset1:106
	s_waitcnt vmcnt(14) lgkmcnt(1)
	v_fma_f64 v[113:114], v[145:146], v[113:114], v[121:122]
	s_waitcnt vmcnt(13)
	v_fma_f64 v[113:114], v[143:144], v[115:116], v[113:114]
	s_waitcnt vmcnt(12) lgkmcnt(0)
	v_fma_f64 v[113:114], v[135:136], v[117:118], v[113:114]
	s_waitcnt vmcnt(7)
	v_fma_f64 v[121:122], v[123:124], v[119:120], v[113:114]
	ds_read2_b64 v[113:116], v112 offset0:107 offset1:108
	ds_read2_b64 v[117:120], v112 offset0:109 offset1:110
	s_waitcnt vmcnt(6) lgkmcnt(1)
	v_fma_f64 v[112:113], v[137:138], v[113:114], v[121:122]
	s_waitcnt vmcnt(5)
	v_fma_f64 v[112:113], v[131:132], v[115:116], v[112:113]
	s_waitcnt vmcnt(4) lgkmcnt(0)
	v_fma_f64 v[112:113], v[129:130], v[117:118], v[112:113]
	s_waitcnt vmcnt(2)
	v_fma_f64 v[112:113], v[125:126], v[119:120], v[112:113]
	s_waitcnt vmcnt(0)
	v_add_f64 v[112:113], v[127:128], -v[112:113]
	buffer_store_dword v113, off, s[0:3], 0 offset:84
	buffer_store_dword v112, off, s[0:3], 0 offset:80
	s_and_saveexec_b64 s[4:5], vcc
	s_cbranch_execz .LBB54_319
; %bb.318:
	buffer_load_dword v112, off, s[0:3], 0 offset:72
	buffer_load_dword v113, off, s[0:3], 0 offset:76
	v_mov_b32_e32 v114, 0
	buffer_store_dword v114, off, s[0:3], 0 offset:72
	buffer_store_dword v114, off, s[0:3], 0 offset:76
	s_waitcnt vmcnt(2)
	ds_write_b64 v111, v[112:113]
.LBB54_319:
	s_or_b64 exec, exec, s[4:5]
	s_waitcnt lgkmcnt(0)
	; wave barrier
	buffer_load_dword v121, off, s[0:3], 0 offset:80
	buffer_load_dword v122, off, s[0:3], 0 offset:84
	;; [unrolled: 1-line block ×21, first 2 shown]
	v_mov_b32_e32 v112, 0
	ds_read_b128 v[113:116], v112 offset:528
	ds_read_b128 v[117:120], v112 offset:544
	buffer_load_dword v138, off, s[0:3], 0 offset:164
	v_cmp_lt_u32_e32 vcc, 8, v0
	s_waitcnt vmcnt(20) lgkmcnt(1)
	v_fma_f64 v[113:114], v[121:122], v[113:114], 0
	s_waitcnt vmcnt(18)
	v_fma_f64 v[113:114], v[123:124], v[115:116], v[113:114]
	buffer_load_dword v122, off, s[0:3], 0 offset:172
	buffer_load_dword v123, off, s[0:3], 0 offset:192
	;; [unrolled: 1-line block ×7, first 2 shown]
	s_waitcnt vmcnt(23) lgkmcnt(0)
	v_fma_f64 v[113:114], v[125:126], v[117:118], v[113:114]
	s_waitcnt vmcnt(21)
	v_fma_f64 v[124:125], v[127:128], v[119:120], v[113:114]
	ds_read_b128 v[113:116], v112 offset:560
	ds_read_b128 v[117:120], v112 offset:576
	s_waitcnt vmcnt(19) lgkmcnt(1)
	v_fma_f64 v[113:114], v[129:130], v[113:114], v[124:125]
	buffer_load_dword v124, off, s[0:3], 0 offset:196
	s_waitcnt vmcnt(18)
	v_fma_f64 v[113:114], v[131:132], v[115:116], v[113:114]
	buffer_load_dword v126, off, s[0:3], 0 offset:204
	buffer_load_dword v127, off, s[0:3], 0 offset:224
	;; [unrolled: 1-line block ×7, first 2 shown]
	s_waitcnt vmcnt(23) lgkmcnt(0)
	v_fma_f64 v[113:114], v[133:134], v[117:118], v[113:114]
	s_waitcnt vmcnt(18)
	v_fma_f64 v[133:134], v[135:136], v[119:120], v[113:114]
	ds_read_b128 v[113:116], v112 offset:592
	ds_read_b128 v[117:120], v112 offset:608
	buffer_load_dword v128, off, s[0:3], 0 offset:228
	s_waitcnt vmcnt(18) lgkmcnt(1)
	v_fma_f64 v[113:114], v[141:142], v[113:114], v[133:134]
	s_waitcnt vmcnt(17)
	v_fma_f64 v[113:114], v[139:140], v[115:116], v[113:114]
	buffer_load_dword v134, off, s[0:3], 0 offset:236
	buffer_load_dword v135, off, s[0:3], 0 offset:256
	;; [unrolled: 1-line block ×7, first 2 shown]
	s_waitcnt vmcnt(23) lgkmcnt(0)
	v_fma_f64 v[113:114], v[137:138], v[117:118], v[113:114]
	s_waitcnt vmcnt(18)
	v_fma_f64 v[121:122], v[121:122], v[119:120], v[113:114]
	ds_read_b128 v[113:116], v112 offset:624
	ds_read_b128 v[117:120], v112 offset:640
	buffer_load_dword v136, off, s[0:3], 0 offset:260
	s_waitcnt vmcnt(18) lgkmcnt(1)
	v_fma_f64 v[113:114], v[145:146], v[113:114], v[121:122]
	s_waitcnt vmcnt(17)
	v_fma_f64 v[113:114], v[143:144], v[115:116], v[113:114]
	buffer_load_dword v122, off, s[0:3], 0 offset:268
	buffer_load_dword v137, off, s[0:3], 0 offset:288
	buffer_load_dword v143, off, s[0:3], 0 offset:280
	buffer_load_dword v145, off, s[0:3], 0 offset:272
	buffer_load_dword v121, off, s[0:3], 0 offset:264
	buffer_load_dword v146, off, s[0:3], 0 offset:276
	buffer_load_dword v144, off, s[0:3], 0 offset:284
	buffer_load_dword v138, off, s[0:3], 0 offset:292
	s_waitcnt vmcnt(24) lgkmcnt(0)
	v_fma_f64 v[113:114], v[123:124], v[117:118], v[113:114]
	s_waitcnt vmcnt(19)
	v_fma_f64 v[123:124], v[125:126], v[119:120], v[113:114]
	ds_read_b128 v[113:116], v112 offset:656
	ds_read_b128 v[117:120], v112 offset:672
	s_waitcnt vmcnt(18) lgkmcnt(1)
	v_fma_f64 v[113:114], v[131:132], v[113:114], v[123:124]
	s_waitcnt vmcnt(17)
	v_fma_f64 v[113:114], v[129:130], v[115:116], v[113:114]
	buffer_load_dword v124, off, s[0:3], 0 offset:300
	buffer_load_dword v125, off, s[0:3], 0 offset:320
	;; [unrolled: 1-line block ×7, first 2 shown]
	s_waitcnt vmcnt(23) lgkmcnt(0)
	v_fma_f64 v[113:114], v[127:128], v[117:118], v[113:114]
	s_waitcnt vmcnt(18)
	v_fma_f64 v[126:127], v[133:134], v[119:120], v[113:114]
	ds_read_b128 v[113:116], v112 offset:688
	ds_read_b128 v[117:120], v112 offset:704
	s_waitcnt vmcnt(17) lgkmcnt(1)
	v_fma_f64 v[113:114], v[141:142], v[113:114], v[126:127]
	buffer_load_dword v126, off, s[0:3], 0 offset:324
	s_waitcnt vmcnt(17)
	v_fma_f64 v[113:114], v[139:140], v[115:116], v[113:114]
	buffer_load_dword v128, off, s[0:3], 0 offset:332
	buffer_load_dword v133, off, s[0:3], 0 offset:352
	;; [unrolled: 1-line block ×7, first 2 shown]
	s_waitcnt vmcnt(23) lgkmcnt(0)
	v_fma_f64 v[113:114], v[135:136], v[117:118], v[113:114]
	s_waitcnt vmcnt(18)
	v_fma_f64 v[121:122], v[121:122], v[119:120], v[113:114]
	ds_read_b128 v[113:116], v112 offset:720
	ds_read_b128 v[117:120], v112 offset:736
	buffer_load_dword v134, off, s[0:3], 0 offset:356
	s_waitcnt vmcnt(18) lgkmcnt(1)
	v_fma_f64 v[113:114], v[145:146], v[113:114], v[121:122]
	s_waitcnt vmcnt(17)
	v_fma_f64 v[113:114], v[143:144], v[115:116], v[113:114]
	buffer_load_dword v122, off, s[0:3], 0 offset:364
	buffer_load_dword v135, off, s[0:3], 0 offset:384
	buffer_load_dword v143, off, s[0:3], 0 offset:376
	buffer_load_dword v145, off, s[0:3], 0 offset:368
	buffer_load_dword v121, off, s[0:3], 0 offset:360
	buffer_load_dword v146, off, s[0:3], 0 offset:372
	buffer_load_dword v144, off, s[0:3], 0 offset:380
	buffer_load_dword v136, off, s[0:3], 0 offset:388
	s_waitcnt vmcnt(24) lgkmcnt(0)
	v_fma_f64 v[113:114], v[137:138], v[117:118], v[113:114]
	s_waitcnt vmcnt(19)
	v_fma_f64 v[123:124], v[123:124], v[119:120], v[113:114]
	ds_read_b128 v[113:116], v112 offset:752
	ds_read_b128 v[117:120], v112 offset:768
	s_waitcnt vmcnt(18) lgkmcnt(1)
	v_fma_f64 v[113:114], v[131:132], v[113:114], v[123:124]
	s_waitcnt vmcnt(17)
	v_fma_f64 v[113:114], v[129:130], v[115:116], v[113:114]
	buffer_load_dword v124, off, s[0:3], 0 offset:396
	buffer_load_dword v129, off, s[0:3], 0 offset:416
	;; [unrolled: 1-line block ×7, first 2 shown]
	s_waitcnt vmcnt(23) lgkmcnt(0)
	v_fma_f64 v[113:114], v[125:126], v[117:118], v[113:114]
	s_waitcnt vmcnt(18)
	v_fma_f64 v[125:126], v[127:128], v[119:120], v[113:114]
	ds_read_b128 v[113:116], v112 offset:784
	ds_read_b128 v[117:120], v112 offset:800
	buffer_load_dword v130, off, s[0:3], 0 offset:420
	s_waitcnt vmcnt(18) lgkmcnt(1)
	v_fma_f64 v[113:114], v[141:142], v[113:114], v[125:126]
	buffer_load_dword v126, off, s[0:3], 0 offset:428
	buffer_load_dword v127, off, s[0:3], 0 offset:432
	;; [unrolled: 1-line block ×4, first 2 shown]
	s_waitcnt vmcnt(21)
	v_fma_f64 v[113:114], v[139:140], v[115:116], v[113:114]
	s_waitcnt vmcnt(20) lgkmcnt(0)
	v_fma_f64 v[113:114], v[133:134], v[117:118], v[113:114]
	buffer_load_dword v133, off, s[0:3], 0 offset:72
	buffer_load_dword v134, off, s[0:3], 0 offset:76
	s_waitcnt vmcnt(17)
	v_fma_f64 v[121:122], v[121:122], v[119:120], v[113:114]
	ds_read_b128 v[113:116], v112 offset:816
	ds_read_b128 v[117:120], v112 offset:832
	s_waitcnt vmcnt(16) lgkmcnt(1)
	v_fma_f64 v[113:114], v[145:146], v[113:114], v[121:122]
	s_waitcnt vmcnt(15)
	v_fma_f64 v[113:114], v[143:144], v[115:116], v[113:114]
	s_waitcnt vmcnt(14) lgkmcnt(0)
	v_fma_f64 v[113:114], v[135:136], v[117:118], v[113:114]
	s_waitcnt vmcnt(9)
	v_fma_f64 v[121:122], v[123:124], v[119:120], v[113:114]
	ds_read_b128 v[113:116], v112 offset:848
	ds_read_b128 v[117:120], v112 offset:864
	s_waitcnt vmcnt(8) lgkmcnt(1)
	v_fma_f64 v[113:114], v[137:138], v[113:114], v[121:122]
	s_waitcnt vmcnt(7)
	v_fma_f64 v[113:114], v[131:132], v[115:116], v[113:114]
	ds_read_b64 v[115:116], v112 offset:880
	s_waitcnt vmcnt(6) lgkmcnt(1)
	v_fma_f64 v[113:114], v[129:130], v[117:118], v[113:114]
	s_waitcnt vmcnt(3)
	v_fma_f64 v[113:114], v[125:126], v[119:120], v[113:114]
	s_waitcnt vmcnt(2) lgkmcnt(0)
	v_fma_f64 v[113:114], v[127:128], v[115:116], v[113:114]
	s_waitcnt vmcnt(0)
	v_add_f64 v[113:114], v[133:134], -v[113:114]
	buffer_store_dword v114, off, s[0:3], 0 offset:76
	buffer_store_dword v113, off, s[0:3], 0 offset:72
	s_and_saveexec_b64 s[4:5], vcc
	s_cbranch_execz .LBB54_321
; %bb.320:
	buffer_load_dword v113, off, s[0:3], 0 offset:64
	buffer_load_dword v114, off, s[0:3], 0 offset:68
	s_waitcnt vmcnt(0)
	ds_write_b64 v111, v[113:114]
	buffer_store_dword v112, off, s[0:3], 0 offset:64
	buffer_store_dword v112, off, s[0:3], 0 offset:68
.LBB54_321:
	s_or_b64 exec, exec, s[4:5]
	s_waitcnt lgkmcnt(0)
	; wave barrier
	buffer_load_dword v121, off, s[0:3], 0 offset:72
	buffer_load_dword v122, off, s[0:3], 0 offset:76
	;; [unrolled: 1-line block ×21, first 2 shown]
	ds_read2_b64 v[113:116], v112 offset0:65 offset1:66
	ds_read2_b64 v[117:120], v112 offset0:67 offset1:68
	buffer_load_dword v138, off, s[0:3], 0 offset:156
	v_cmp_lt_u32_e32 vcc, 7, v0
	s_waitcnt vmcnt(20) lgkmcnt(1)
	v_fma_f64 v[113:114], v[121:122], v[113:114], 0
	s_waitcnt vmcnt(18)
	v_fma_f64 v[113:114], v[123:124], v[115:116], v[113:114]
	buffer_load_dword v122, off, s[0:3], 0 offset:164
	buffer_load_dword v123, off, s[0:3], 0 offset:184
	;; [unrolled: 1-line block ×7, first 2 shown]
	s_waitcnt vmcnt(23) lgkmcnt(0)
	v_fma_f64 v[113:114], v[125:126], v[117:118], v[113:114]
	s_waitcnt vmcnt(21)
	v_fma_f64 v[124:125], v[127:128], v[119:120], v[113:114]
	ds_read2_b64 v[113:116], v112 offset0:69 offset1:70
	ds_read2_b64 v[117:120], v112 offset0:71 offset1:72
	s_waitcnt vmcnt(19) lgkmcnt(1)
	v_fma_f64 v[113:114], v[129:130], v[113:114], v[124:125]
	buffer_load_dword v124, off, s[0:3], 0 offset:188
	s_waitcnt vmcnt(18)
	v_fma_f64 v[113:114], v[131:132], v[115:116], v[113:114]
	buffer_load_dword v126, off, s[0:3], 0 offset:196
	buffer_load_dword v127, off, s[0:3], 0 offset:216
	;; [unrolled: 1-line block ×8, first 2 shown]
	s_waitcnt vmcnt(24) lgkmcnt(0)
	v_fma_f64 v[113:114], v[133:134], v[117:118], v[113:114]
	s_waitcnt vmcnt(19)
	v_fma_f64 v[133:134], v[135:136], v[119:120], v[113:114]
	ds_read2_b64 v[113:116], v112 offset0:73 offset1:74
	ds_read2_b64 v[117:120], v112 offset0:75 offset1:76
	s_waitcnt vmcnt(18) lgkmcnt(1)
	v_fma_f64 v[113:114], v[141:142], v[113:114], v[133:134]
	s_waitcnt vmcnt(17)
	v_fma_f64 v[113:114], v[139:140], v[115:116], v[113:114]
	buffer_load_dword v134, off, s[0:3], 0 offset:228
	buffer_load_dword v135, off, s[0:3], 0 offset:248
	;; [unrolled: 1-line block ×7, first 2 shown]
	s_waitcnt vmcnt(23) lgkmcnt(0)
	v_fma_f64 v[113:114], v[137:138], v[117:118], v[113:114]
	s_waitcnt vmcnt(18)
	v_fma_f64 v[121:122], v[121:122], v[119:120], v[113:114]
	ds_read2_b64 v[113:116], v112 offset0:77 offset1:78
	ds_read2_b64 v[117:120], v112 offset0:79 offset1:80
	buffer_load_dword v136, off, s[0:3], 0 offset:252
	s_waitcnt vmcnt(18) lgkmcnt(1)
	v_fma_f64 v[113:114], v[145:146], v[113:114], v[121:122]
	s_waitcnt vmcnt(17)
	v_fma_f64 v[113:114], v[143:144], v[115:116], v[113:114]
	buffer_load_dword v122, off, s[0:3], 0 offset:260
	buffer_load_dword v137, off, s[0:3], 0 offset:280
	;; [unrolled: 1-line block ×8, first 2 shown]
	s_waitcnt vmcnt(24) lgkmcnt(0)
	v_fma_f64 v[113:114], v[123:124], v[117:118], v[113:114]
	s_waitcnt vmcnt(19)
	v_fma_f64 v[123:124], v[125:126], v[119:120], v[113:114]
	ds_read2_b64 v[113:116], v112 offset0:81 offset1:82
	ds_read2_b64 v[117:120], v112 offset0:83 offset1:84
	s_waitcnt vmcnt(18) lgkmcnt(1)
	v_fma_f64 v[113:114], v[131:132], v[113:114], v[123:124]
	s_waitcnt vmcnt(17)
	v_fma_f64 v[113:114], v[129:130], v[115:116], v[113:114]
	buffer_load_dword v124, off, s[0:3], 0 offset:292
	buffer_load_dword v125, off, s[0:3], 0 offset:312
	;; [unrolled: 1-line block ×7, first 2 shown]
	s_waitcnt vmcnt(23) lgkmcnt(0)
	v_fma_f64 v[113:114], v[127:128], v[117:118], v[113:114]
	s_waitcnt vmcnt(18)
	v_fma_f64 v[126:127], v[133:134], v[119:120], v[113:114]
	ds_read2_b64 v[113:116], v112 offset0:85 offset1:86
	ds_read2_b64 v[117:120], v112 offset0:87 offset1:88
	s_waitcnt vmcnt(17) lgkmcnt(1)
	v_fma_f64 v[113:114], v[141:142], v[113:114], v[126:127]
	buffer_load_dword v126, off, s[0:3], 0 offset:316
	s_waitcnt vmcnt(17)
	v_fma_f64 v[113:114], v[139:140], v[115:116], v[113:114]
	buffer_load_dword v128, off, s[0:3], 0 offset:324
	buffer_load_dword v133, off, s[0:3], 0 offset:344
	buffer_load_dword v139, off, s[0:3], 0 offset:336
	buffer_load_dword v141, off, s[0:3], 0 offset:328
	buffer_load_dword v127, off, s[0:3], 0 offset:320
	buffer_load_dword v142, off, s[0:3], 0 offset:332
	buffer_load_dword v140, off, s[0:3], 0 offset:340
	s_waitcnt vmcnt(23) lgkmcnt(0)
	v_fma_f64 v[113:114], v[135:136], v[117:118], v[113:114]
	s_waitcnt vmcnt(18)
	v_fma_f64 v[121:122], v[121:122], v[119:120], v[113:114]
	ds_read2_b64 v[113:116], v112 offset0:89 offset1:90
	ds_read2_b64 v[117:120], v112 offset0:91 offset1:92
	buffer_load_dword v134, off, s[0:3], 0 offset:348
	s_waitcnt vmcnt(18) lgkmcnt(1)
	v_fma_f64 v[113:114], v[145:146], v[113:114], v[121:122]
	s_waitcnt vmcnt(17)
	v_fma_f64 v[113:114], v[143:144], v[115:116], v[113:114]
	buffer_load_dword v122, off, s[0:3], 0 offset:356
	buffer_load_dword v135, off, s[0:3], 0 offset:376
	buffer_load_dword v143, off, s[0:3], 0 offset:368
	buffer_load_dword v145, off, s[0:3], 0 offset:360
	buffer_load_dword v121, off, s[0:3], 0 offset:352
	buffer_load_dword v146, off, s[0:3], 0 offset:364
	buffer_load_dword v144, off, s[0:3], 0 offset:372
	buffer_load_dword v136, off, s[0:3], 0 offset:380
	s_waitcnt vmcnt(24) lgkmcnt(0)
	v_fma_f64 v[113:114], v[137:138], v[117:118], v[113:114]
	s_waitcnt vmcnt(19)
	v_fma_f64 v[123:124], v[123:124], v[119:120], v[113:114]
	ds_read2_b64 v[113:116], v112 offset0:93 offset1:94
	ds_read2_b64 v[117:120], v112 offset0:95 offset1:96
	s_waitcnt vmcnt(18) lgkmcnt(1)
	v_fma_f64 v[113:114], v[131:132], v[113:114], v[123:124]
	s_waitcnt vmcnt(17)
	v_fma_f64 v[113:114], v[129:130], v[115:116], v[113:114]
	buffer_load_dword v124, off, s[0:3], 0 offset:388
	buffer_load_dword v129, off, s[0:3], 0 offset:408
	buffer_load_dword v131, off, s[0:3], 0 offset:400
	buffer_load_dword v137, off, s[0:3], 0 offset:392
	buffer_load_dword v123, off, s[0:3], 0 offset:384
	buffer_load_dword v138, off, s[0:3], 0 offset:396
	buffer_load_dword v132, off, s[0:3], 0 offset:404
	buffer_load_dword v130, off, s[0:3], 0 offset:412
	s_waitcnt vmcnt(24) lgkmcnt(0)
	v_fma_f64 v[113:114], v[125:126], v[117:118], v[113:114]
	s_waitcnt vmcnt(19)
	v_fma_f64 v[125:126], v[127:128], v[119:120], v[113:114]
	ds_read2_b64 v[113:116], v112 offset0:97 offset1:98
	ds_read2_b64 v[117:120], v112 offset0:99 offset1:100
	s_waitcnt vmcnt(18) lgkmcnt(1)
	v_fma_f64 v[113:114], v[141:142], v[113:114], v[125:126]
	s_waitcnt vmcnt(17)
	v_fma_f64 v[113:114], v[139:140], v[115:116], v[113:114]
	buffer_load_dword v126, off, s[0:3], 0 offset:420
	buffer_load_dword v127, off, s[0:3], 0 offset:432
	;; [unrolled: 1-line block ×6, first 2 shown]
	s_waitcnt vmcnt(22) lgkmcnt(0)
	v_fma_f64 v[113:114], v[133:134], v[117:118], v[113:114]
	s_waitcnt vmcnt(17)
	v_fma_f64 v[121:122], v[121:122], v[119:120], v[113:114]
	ds_read2_b64 v[113:116], v112 offset0:101 offset1:102
	buffer_load_dword v133, off, s[0:3], 0 offset:64
	buffer_load_dword v134, off, s[0:3], 0 offset:68
	ds_read2_b64 v[117:120], v112 offset0:103 offset1:104
	s_waitcnt vmcnt(18) lgkmcnt(1)
	v_fma_f64 v[113:114], v[145:146], v[113:114], v[121:122]
	s_waitcnt vmcnt(17)
	v_fma_f64 v[113:114], v[143:144], v[115:116], v[113:114]
	s_waitcnt vmcnt(16) lgkmcnt(0)
	v_fma_f64 v[113:114], v[135:136], v[117:118], v[113:114]
	s_waitcnt vmcnt(11)
	v_fma_f64 v[121:122], v[123:124], v[119:120], v[113:114]
	ds_read2_b64 v[113:116], v112 offset0:105 offset1:106
	ds_read2_b64 v[117:120], v112 offset0:107 offset1:108
	s_waitcnt vmcnt(10) lgkmcnt(1)
	v_fma_f64 v[113:114], v[137:138], v[113:114], v[121:122]
	s_waitcnt vmcnt(9)
	v_fma_f64 v[113:114], v[131:132], v[115:116], v[113:114]
	s_waitcnt vmcnt(8) lgkmcnt(0)
	v_fma_f64 v[113:114], v[129:130], v[117:118], v[113:114]
	s_waitcnt vmcnt(4)
	v_fma_f64 v[116:117], v[125:126], v[119:120], v[113:114]
	ds_read2_b64 v[112:115], v112 offset0:109 offset1:110
	s_waitcnt vmcnt(3) lgkmcnt(0)
	v_fma_f64 v[112:113], v[139:140], v[112:113], v[116:117]
	s_waitcnt vmcnt(2)
	v_fma_f64 v[112:113], v[127:128], v[114:115], v[112:113]
	s_waitcnt vmcnt(0)
	v_add_f64 v[112:113], v[133:134], -v[112:113]
	buffer_store_dword v113, off, s[0:3], 0 offset:68
	buffer_store_dword v112, off, s[0:3], 0 offset:64
	s_and_saveexec_b64 s[4:5], vcc
	s_cbranch_execz .LBB54_323
; %bb.322:
	buffer_load_dword v112, off, s[0:3], 0 offset:56
	buffer_load_dword v113, off, s[0:3], 0 offset:60
	v_mov_b32_e32 v114, 0
	buffer_store_dword v114, off, s[0:3], 0 offset:56
	buffer_store_dword v114, off, s[0:3], 0 offset:60
	s_waitcnt vmcnt(2)
	ds_write_b64 v111, v[112:113]
.LBB54_323:
	s_or_b64 exec, exec, s[4:5]
	s_waitcnt lgkmcnt(0)
	; wave barrier
	buffer_load_dword v121, off, s[0:3], 0 offset:64
	buffer_load_dword v122, off, s[0:3], 0 offset:68
	;; [unrolled: 1-line block ×21, first 2 shown]
	v_mov_b32_e32 v112, 0
	ds_read_b128 v[113:116], v112 offset:512
	ds_read_b128 v[117:120], v112 offset:528
	buffer_load_dword v138, off, s[0:3], 0 offset:148
	v_cmp_lt_u32_e32 vcc, 6, v0
	s_waitcnt vmcnt(20) lgkmcnt(1)
	v_fma_f64 v[113:114], v[121:122], v[113:114], 0
	s_waitcnt vmcnt(18)
	v_fma_f64 v[113:114], v[123:124], v[115:116], v[113:114]
	buffer_load_dword v122, off, s[0:3], 0 offset:156
	buffer_load_dword v123, off, s[0:3], 0 offset:176
	;; [unrolled: 1-line block ×7, first 2 shown]
	s_waitcnt vmcnt(23) lgkmcnt(0)
	v_fma_f64 v[113:114], v[125:126], v[117:118], v[113:114]
	s_waitcnt vmcnt(21)
	v_fma_f64 v[124:125], v[127:128], v[119:120], v[113:114]
	ds_read_b128 v[113:116], v112 offset:544
	ds_read_b128 v[117:120], v112 offset:560
	s_waitcnt vmcnt(19) lgkmcnt(1)
	v_fma_f64 v[113:114], v[129:130], v[113:114], v[124:125]
	buffer_load_dword v124, off, s[0:3], 0 offset:180
	s_waitcnt vmcnt(18)
	v_fma_f64 v[113:114], v[131:132], v[115:116], v[113:114]
	buffer_load_dword v126, off, s[0:3], 0 offset:188
	buffer_load_dword v127, off, s[0:3], 0 offset:208
	;; [unrolled: 1-line block ×8, first 2 shown]
	s_waitcnt vmcnt(24) lgkmcnt(0)
	v_fma_f64 v[113:114], v[133:134], v[117:118], v[113:114]
	s_waitcnt vmcnt(19)
	v_fma_f64 v[133:134], v[135:136], v[119:120], v[113:114]
	ds_read_b128 v[113:116], v112 offset:576
	ds_read_b128 v[117:120], v112 offset:592
	s_waitcnt vmcnt(18) lgkmcnt(1)
	v_fma_f64 v[113:114], v[141:142], v[113:114], v[133:134]
	s_waitcnt vmcnt(17)
	v_fma_f64 v[113:114], v[139:140], v[115:116], v[113:114]
	buffer_load_dword v134, off, s[0:3], 0 offset:220
	buffer_load_dword v135, off, s[0:3], 0 offset:240
	;; [unrolled: 1-line block ×7, first 2 shown]
	s_waitcnt vmcnt(23) lgkmcnt(0)
	v_fma_f64 v[113:114], v[137:138], v[117:118], v[113:114]
	s_waitcnt vmcnt(18)
	v_fma_f64 v[121:122], v[121:122], v[119:120], v[113:114]
	ds_read_b128 v[113:116], v112 offset:608
	ds_read_b128 v[117:120], v112 offset:624
	buffer_load_dword v136, off, s[0:3], 0 offset:244
	s_waitcnt vmcnt(18) lgkmcnt(1)
	v_fma_f64 v[113:114], v[145:146], v[113:114], v[121:122]
	s_waitcnt vmcnt(17)
	v_fma_f64 v[113:114], v[143:144], v[115:116], v[113:114]
	buffer_load_dword v122, off, s[0:3], 0 offset:252
	buffer_load_dword v137, off, s[0:3], 0 offset:272
	;; [unrolled: 1-line block ×8, first 2 shown]
	s_waitcnt vmcnt(24) lgkmcnt(0)
	v_fma_f64 v[113:114], v[123:124], v[117:118], v[113:114]
	s_waitcnt vmcnt(19)
	v_fma_f64 v[123:124], v[125:126], v[119:120], v[113:114]
	ds_read_b128 v[113:116], v112 offset:640
	ds_read_b128 v[117:120], v112 offset:656
	s_waitcnt vmcnt(18) lgkmcnt(1)
	v_fma_f64 v[113:114], v[131:132], v[113:114], v[123:124]
	s_waitcnt vmcnt(17)
	v_fma_f64 v[113:114], v[129:130], v[115:116], v[113:114]
	buffer_load_dword v124, off, s[0:3], 0 offset:284
	buffer_load_dword v125, off, s[0:3], 0 offset:304
	;; [unrolled: 1-line block ×7, first 2 shown]
	s_waitcnt vmcnt(23) lgkmcnt(0)
	v_fma_f64 v[113:114], v[127:128], v[117:118], v[113:114]
	s_waitcnt vmcnt(18)
	v_fma_f64 v[126:127], v[133:134], v[119:120], v[113:114]
	ds_read_b128 v[113:116], v112 offset:672
	ds_read_b128 v[117:120], v112 offset:688
	s_waitcnt vmcnt(17) lgkmcnt(1)
	v_fma_f64 v[113:114], v[141:142], v[113:114], v[126:127]
	buffer_load_dword v126, off, s[0:3], 0 offset:308
	s_waitcnt vmcnt(17)
	v_fma_f64 v[113:114], v[139:140], v[115:116], v[113:114]
	buffer_load_dword v128, off, s[0:3], 0 offset:316
	buffer_load_dword v133, off, s[0:3], 0 offset:336
	;; [unrolled: 1-line block ×7, first 2 shown]
	s_waitcnt vmcnt(23) lgkmcnt(0)
	v_fma_f64 v[113:114], v[135:136], v[117:118], v[113:114]
	s_waitcnt vmcnt(18)
	v_fma_f64 v[121:122], v[121:122], v[119:120], v[113:114]
	ds_read_b128 v[113:116], v112 offset:704
	ds_read_b128 v[117:120], v112 offset:720
	buffer_load_dword v134, off, s[0:3], 0 offset:340
	s_waitcnt vmcnt(18) lgkmcnt(1)
	v_fma_f64 v[113:114], v[145:146], v[113:114], v[121:122]
	s_waitcnt vmcnt(17)
	v_fma_f64 v[113:114], v[143:144], v[115:116], v[113:114]
	buffer_load_dword v122, off, s[0:3], 0 offset:348
	buffer_load_dword v135, off, s[0:3], 0 offset:368
	buffer_load_dword v143, off, s[0:3], 0 offset:360
	buffer_load_dword v145, off, s[0:3], 0 offset:352
	buffer_load_dword v121, off, s[0:3], 0 offset:344
	buffer_load_dword v146, off, s[0:3], 0 offset:356
	buffer_load_dword v144, off, s[0:3], 0 offset:364
	buffer_load_dword v136, off, s[0:3], 0 offset:372
	s_waitcnt vmcnt(24) lgkmcnt(0)
	v_fma_f64 v[113:114], v[137:138], v[117:118], v[113:114]
	s_waitcnt vmcnt(19)
	v_fma_f64 v[123:124], v[123:124], v[119:120], v[113:114]
	ds_read_b128 v[113:116], v112 offset:736
	ds_read_b128 v[117:120], v112 offset:752
	s_waitcnt vmcnt(18) lgkmcnt(1)
	v_fma_f64 v[113:114], v[131:132], v[113:114], v[123:124]
	s_waitcnt vmcnt(17)
	v_fma_f64 v[113:114], v[129:130], v[115:116], v[113:114]
	buffer_load_dword v124, off, s[0:3], 0 offset:380
	buffer_load_dword v129, off, s[0:3], 0 offset:400
	buffer_load_dword v131, off, s[0:3], 0 offset:392
	buffer_load_dword v137, off, s[0:3], 0 offset:384
	buffer_load_dword v123, off, s[0:3], 0 offset:376
	buffer_load_dword v138, off, s[0:3], 0 offset:388
	buffer_load_dword v132, off, s[0:3], 0 offset:396
	buffer_load_dword v130, off, s[0:3], 0 offset:404
	s_waitcnt vmcnt(24) lgkmcnt(0)
	v_fma_f64 v[113:114], v[125:126], v[117:118], v[113:114]
	s_waitcnt vmcnt(19)
	v_fma_f64 v[125:126], v[127:128], v[119:120], v[113:114]
	ds_read_b128 v[113:116], v112 offset:768
	ds_read_b128 v[117:120], v112 offset:784
	;; [unrolled: 18-line block ×3, first 2 shown]
	s_waitcnt vmcnt(18) lgkmcnt(1)
	v_fma_f64 v[113:114], v[145:146], v[113:114], v[121:122]
	buffer_load_dword v121, off, s[0:3], 0 offset:56
	buffer_load_dword v122, off, s[0:3], 0 offset:60
	s_waitcnt vmcnt(19)
	v_fma_f64 v[113:114], v[143:144], v[115:116], v[113:114]
	s_waitcnt vmcnt(18) lgkmcnt(0)
	v_fma_f64 v[113:114], v[135:136], v[117:118], v[113:114]
	s_waitcnt vmcnt(13)
	v_fma_f64 v[123:124], v[123:124], v[119:120], v[113:114]
	ds_read_b128 v[113:116], v112 offset:832
	ds_read_b128 v[117:120], v112 offset:848
	s_waitcnt vmcnt(12) lgkmcnt(1)
	v_fma_f64 v[113:114], v[137:138], v[113:114], v[123:124]
	s_waitcnt vmcnt(11)
	v_fma_f64 v[113:114], v[131:132], v[115:116], v[113:114]
	s_waitcnt vmcnt(10) lgkmcnt(0)
	v_fma_f64 v[113:114], v[129:130], v[117:118], v[113:114]
	s_waitcnt vmcnt(5)
	v_fma_f64 v[117:118], v[125:126], v[119:120], v[113:114]
	ds_read_b128 v[113:116], v112 offset:864
	ds_read_b64 v[119:120], v112 offset:880
	s_waitcnt vmcnt(4) lgkmcnt(1)
	v_fma_f64 v[113:114], v[141:142], v[113:114], v[117:118]
	s_waitcnt vmcnt(3)
	v_fma_f64 v[113:114], v[139:140], v[115:116], v[113:114]
	s_waitcnt vmcnt(2) lgkmcnt(0)
	v_fma_f64 v[113:114], v[127:128], v[119:120], v[113:114]
	s_waitcnt vmcnt(0)
	v_add_f64 v[113:114], v[121:122], -v[113:114]
	buffer_store_dword v114, off, s[0:3], 0 offset:60
	buffer_store_dword v113, off, s[0:3], 0 offset:56
	s_and_saveexec_b64 s[4:5], vcc
	s_cbranch_execz .LBB54_325
; %bb.324:
	buffer_load_dword v113, off, s[0:3], 0 offset:48
	buffer_load_dword v114, off, s[0:3], 0 offset:52
	s_waitcnt vmcnt(0)
	ds_write_b64 v111, v[113:114]
	buffer_store_dword v112, off, s[0:3], 0 offset:48
	buffer_store_dword v112, off, s[0:3], 0 offset:52
.LBB54_325:
	s_or_b64 exec, exec, s[4:5]
	s_waitcnt lgkmcnt(0)
	; wave barrier
	buffer_load_dword v121, off, s[0:3], 0 offset:56
	buffer_load_dword v122, off, s[0:3], 0 offset:60
	buffer_load_dword v123, off, s[0:3], 0 offset:64
	buffer_load_dword v124, off, s[0:3], 0 offset:68
	buffer_load_dword v125, off, s[0:3], 0 offset:72
	buffer_load_dword v126, off, s[0:3], 0 offset:76
	buffer_load_dword v127, off, s[0:3], 0 offset:80
	buffer_load_dword v128, off, s[0:3], 0 offset:84
	buffer_load_dword v129, off, s[0:3], 0 offset:88
	buffer_load_dword v130, off, s[0:3], 0 offset:92
	buffer_load_dword v131, off, s[0:3], 0 offset:96
	buffer_load_dword v132, off, s[0:3], 0 offset:100
	buffer_load_dword v133, off, s[0:3], 0 offset:104
	buffer_load_dword v134, off, s[0:3], 0 offset:108
	buffer_load_dword v136, off, s[0:3], 0 offset:116
	buffer_load_dword v137, off, s[0:3], 0 offset:136
	buffer_load_dword v139, off, s[0:3], 0 offset:128
	buffer_load_dword v141, off, s[0:3], 0 offset:120
	buffer_load_dword v135, off, s[0:3], 0 offset:112
	buffer_load_dword v142, off, s[0:3], 0 offset:124
	buffer_load_dword v140, off, s[0:3], 0 offset:132
	ds_read2_b64 v[113:116], v112 offset0:63 offset1:64
	ds_read2_b64 v[117:120], v112 offset0:65 offset1:66
	buffer_load_dword v138, off, s[0:3], 0 offset:140
	v_cmp_lt_u32_e32 vcc, 5, v0
	s_waitcnt vmcnt(20) lgkmcnt(1)
	v_fma_f64 v[113:114], v[121:122], v[113:114], 0
	s_waitcnt vmcnt(18)
	v_fma_f64 v[113:114], v[123:124], v[115:116], v[113:114]
	buffer_load_dword v122, off, s[0:3], 0 offset:148
	buffer_load_dword v123, off, s[0:3], 0 offset:168
	;; [unrolled: 1-line block ×7, first 2 shown]
	s_waitcnt vmcnt(23) lgkmcnt(0)
	v_fma_f64 v[113:114], v[125:126], v[117:118], v[113:114]
	s_waitcnt vmcnt(21)
	v_fma_f64 v[124:125], v[127:128], v[119:120], v[113:114]
	ds_read2_b64 v[113:116], v112 offset0:67 offset1:68
	ds_read2_b64 v[117:120], v112 offset0:69 offset1:70
	s_waitcnt vmcnt(19) lgkmcnt(1)
	v_fma_f64 v[113:114], v[129:130], v[113:114], v[124:125]
	buffer_load_dword v124, off, s[0:3], 0 offset:172
	s_waitcnt vmcnt(18)
	v_fma_f64 v[113:114], v[131:132], v[115:116], v[113:114]
	buffer_load_dword v126, off, s[0:3], 0 offset:180
	buffer_load_dword v127, off, s[0:3], 0 offset:200
	;; [unrolled: 1-line block ×8, first 2 shown]
	s_waitcnt vmcnt(24) lgkmcnt(0)
	v_fma_f64 v[113:114], v[133:134], v[117:118], v[113:114]
	s_waitcnt vmcnt(19)
	v_fma_f64 v[133:134], v[135:136], v[119:120], v[113:114]
	ds_read2_b64 v[113:116], v112 offset0:71 offset1:72
	ds_read2_b64 v[117:120], v112 offset0:73 offset1:74
	s_waitcnt vmcnt(18) lgkmcnt(1)
	v_fma_f64 v[113:114], v[141:142], v[113:114], v[133:134]
	s_waitcnt vmcnt(17)
	v_fma_f64 v[113:114], v[139:140], v[115:116], v[113:114]
	buffer_load_dword v134, off, s[0:3], 0 offset:212
	buffer_load_dword v135, off, s[0:3], 0 offset:232
	buffer_load_dword v139, off, s[0:3], 0 offset:224
	buffer_load_dword v141, off, s[0:3], 0 offset:216
	buffer_load_dword v133, off, s[0:3], 0 offset:208
	buffer_load_dword v142, off, s[0:3], 0 offset:220
	buffer_load_dword v140, off, s[0:3], 0 offset:228
	s_waitcnt vmcnt(23) lgkmcnt(0)
	v_fma_f64 v[113:114], v[137:138], v[117:118], v[113:114]
	s_waitcnt vmcnt(18)
	v_fma_f64 v[121:122], v[121:122], v[119:120], v[113:114]
	ds_read2_b64 v[113:116], v112 offset0:75 offset1:76
	ds_read2_b64 v[117:120], v112 offset0:77 offset1:78
	buffer_load_dword v136, off, s[0:3], 0 offset:236
	s_waitcnt vmcnt(18) lgkmcnt(1)
	v_fma_f64 v[113:114], v[145:146], v[113:114], v[121:122]
	s_waitcnt vmcnt(17)
	v_fma_f64 v[113:114], v[143:144], v[115:116], v[113:114]
	buffer_load_dword v122, off, s[0:3], 0 offset:244
	buffer_load_dword v137, off, s[0:3], 0 offset:264
	;; [unrolled: 1-line block ×8, first 2 shown]
	s_waitcnt vmcnt(24) lgkmcnt(0)
	v_fma_f64 v[113:114], v[123:124], v[117:118], v[113:114]
	s_waitcnt vmcnt(19)
	v_fma_f64 v[123:124], v[125:126], v[119:120], v[113:114]
	ds_read2_b64 v[113:116], v112 offset0:79 offset1:80
	ds_read2_b64 v[117:120], v112 offset0:81 offset1:82
	s_waitcnt vmcnt(18) lgkmcnt(1)
	v_fma_f64 v[113:114], v[131:132], v[113:114], v[123:124]
	s_waitcnt vmcnt(17)
	v_fma_f64 v[113:114], v[129:130], v[115:116], v[113:114]
	buffer_load_dword v124, off, s[0:3], 0 offset:276
	buffer_load_dword v125, off, s[0:3], 0 offset:296
	buffer_load_dword v129, off, s[0:3], 0 offset:288
	buffer_load_dword v131, off, s[0:3], 0 offset:280
	buffer_load_dword v123, off, s[0:3], 0 offset:272
	buffer_load_dword v132, off, s[0:3], 0 offset:284
	buffer_load_dword v130, off, s[0:3], 0 offset:292
	s_waitcnt vmcnt(23) lgkmcnt(0)
	v_fma_f64 v[113:114], v[127:128], v[117:118], v[113:114]
	s_waitcnt vmcnt(18)
	v_fma_f64 v[126:127], v[133:134], v[119:120], v[113:114]
	ds_read2_b64 v[113:116], v112 offset0:83 offset1:84
	ds_read2_b64 v[117:120], v112 offset0:85 offset1:86
	s_waitcnt vmcnt(17) lgkmcnt(1)
	v_fma_f64 v[113:114], v[141:142], v[113:114], v[126:127]
	buffer_load_dword v126, off, s[0:3], 0 offset:300
	s_waitcnt vmcnt(17)
	v_fma_f64 v[113:114], v[139:140], v[115:116], v[113:114]
	buffer_load_dword v128, off, s[0:3], 0 offset:308
	buffer_load_dword v133, off, s[0:3], 0 offset:328
	;; [unrolled: 1-line block ×7, first 2 shown]
	s_waitcnt vmcnt(23) lgkmcnt(0)
	v_fma_f64 v[113:114], v[135:136], v[117:118], v[113:114]
	s_waitcnt vmcnt(18)
	v_fma_f64 v[121:122], v[121:122], v[119:120], v[113:114]
	ds_read2_b64 v[113:116], v112 offset0:87 offset1:88
	ds_read2_b64 v[117:120], v112 offset0:89 offset1:90
	buffer_load_dword v134, off, s[0:3], 0 offset:332
	s_waitcnt vmcnt(18) lgkmcnt(1)
	v_fma_f64 v[113:114], v[145:146], v[113:114], v[121:122]
	s_waitcnt vmcnt(17)
	v_fma_f64 v[113:114], v[143:144], v[115:116], v[113:114]
	buffer_load_dword v122, off, s[0:3], 0 offset:340
	buffer_load_dword v135, off, s[0:3], 0 offset:360
	buffer_load_dword v143, off, s[0:3], 0 offset:352
	buffer_load_dword v145, off, s[0:3], 0 offset:344
	buffer_load_dword v121, off, s[0:3], 0 offset:336
	buffer_load_dword v146, off, s[0:3], 0 offset:348
	buffer_load_dword v144, off, s[0:3], 0 offset:356
	buffer_load_dword v136, off, s[0:3], 0 offset:364
	s_waitcnt vmcnt(24) lgkmcnt(0)
	v_fma_f64 v[113:114], v[137:138], v[117:118], v[113:114]
	s_waitcnt vmcnt(19)
	v_fma_f64 v[123:124], v[123:124], v[119:120], v[113:114]
	ds_read2_b64 v[113:116], v112 offset0:91 offset1:92
	ds_read2_b64 v[117:120], v112 offset0:93 offset1:94
	s_waitcnt vmcnt(18) lgkmcnt(1)
	v_fma_f64 v[113:114], v[131:132], v[113:114], v[123:124]
	s_waitcnt vmcnt(17)
	v_fma_f64 v[113:114], v[129:130], v[115:116], v[113:114]
	buffer_load_dword v124, off, s[0:3], 0 offset:372
	buffer_load_dword v129, off, s[0:3], 0 offset:392
	buffer_load_dword v131, off, s[0:3], 0 offset:384
	buffer_load_dword v137, off, s[0:3], 0 offset:376
	buffer_load_dword v123, off, s[0:3], 0 offset:368
	buffer_load_dword v138, off, s[0:3], 0 offset:380
	buffer_load_dword v132, off, s[0:3], 0 offset:388
	buffer_load_dword v130, off, s[0:3], 0 offset:396
	s_waitcnt vmcnt(24) lgkmcnt(0)
	v_fma_f64 v[113:114], v[125:126], v[117:118], v[113:114]
	s_waitcnt vmcnt(19)
	v_fma_f64 v[125:126], v[127:128], v[119:120], v[113:114]
	ds_read2_b64 v[113:116], v112 offset0:95 offset1:96
	ds_read2_b64 v[117:120], v112 offset0:97 offset1:98
	;; [unrolled: 18-line block ×3, first 2 shown]
	s_waitcnt vmcnt(18) lgkmcnt(1)
	v_fma_f64 v[113:114], v[145:146], v[113:114], v[121:122]
	buffer_load_dword v122, off, s[0:3], 0 offset:436
	buffer_load_dword v121, off, s[0:3], 0 offset:432
	;; [unrolled: 1-line block ×4, first 2 shown]
	s_waitcnt vmcnt(21)
	v_fma_f64 v[113:114], v[143:144], v[115:116], v[113:114]
	s_waitcnt vmcnt(20) lgkmcnt(0)
	v_fma_f64 v[113:114], v[135:136], v[117:118], v[113:114]
	s_waitcnt vmcnt(15)
	v_fma_f64 v[123:124], v[123:124], v[119:120], v[113:114]
	ds_read2_b64 v[113:116], v112 offset0:103 offset1:104
	ds_read2_b64 v[117:120], v112 offset0:105 offset1:106
	s_waitcnt vmcnt(14) lgkmcnt(1)
	v_fma_f64 v[113:114], v[137:138], v[113:114], v[123:124]
	s_waitcnt vmcnt(13)
	v_fma_f64 v[113:114], v[131:132], v[115:116], v[113:114]
	s_waitcnt vmcnt(12) lgkmcnt(0)
	v_fma_f64 v[113:114], v[129:130], v[117:118], v[113:114]
	s_waitcnt vmcnt(7)
	v_fma_f64 v[123:124], v[125:126], v[119:120], v[113:114]
	ds_read2_b64 v[113:116], v112 offset0:107 offset1:108
	ds_read2_b64 v[117:120], v112 offset0:109 offset1:110
	s_waitcnt vmcnt(6) lgkmcnt(1)
	v_fma_f64 v[112:113], v[141:142], v[113:114], v[123:124]
	s_waitcnt vmcnt(5)
	v_fma_f64 v[112:113], v[139:140], v[115:116], v[112:113]
	s_waitcnt vmcnt(4) lgkmcnt(0)
	v_fma_f64 v[112:113], v[127:128], v[117:118], v[112:113]
	s_waitcnt vmcnt(2)
	v_fma_f64 v[112:113], v[121:122], v[119:120], v[112:113]
	s_waitcnt vmcnt(0)
	v_add_f64 v[112:113], v[133:134], -v[112:113]
	buffer_store_dword v113, off, s[0:3], 0 offset:52
	buffer_store_dword v112, off, s[0:3], 0 offset:48
	s_and_saveexec_b64 s[4:5], vcc
	s_cbranch_execz .LBB54_327
; %bb.326:
	buffer_load_dword v112, off, s[0:3], 0 offset:40
	buffer_load_dword v113, off, s[0:3], 0 offset:44
	v_mov_b32_e32 v114, 0
	buffer_store_dword v114, off, s[0:3], 0 offset:40
	buffer_store_dword v114, off, s[0:3], 0 offset:44
	s_waitcnt vmcnt(2)
	ds_write_b64 v111, v[112:113]
.LBB54_327:
	s_or_b64 exec, exec, s[4:5]
	s_waitcnt lgkmcnt(0)
	; wave barrier
	buffer_load_dword v121, off, s[0:3], 0 offset:48
	buffer_load_dword v122, off, s[0:3], 0 offset:52
	;; [unrolled: 1-line block ×21, first 2 shown]
	v_mov_b32_e32 v112, 0
	ds_read_b128 v[113:116], v112 offset:496
	ds_read_b128 v[117:120], v112 offset:512
	buffer_load_dword v138, off, s[0:3], 0 offset:132
	v_cmp_lt_u32_e32 vcc, 4, v0
	s_waitcnt vmcnt(20) lgkmcnt(1)
	v_fma_f64 v[113:114], v[121:122], v[113:114], 0
	s_waitcnt vmcnt(18)
	v_fma_f64 v[113:114], v[123:124], v[115:116], v[113:114]
	buffer_load_dword v122, off, s[0:3], 0 offset:140
	buffer_load_dword v123, off, s[0:3], 0 offset:160
	;; [unrolled: 1-line block ×7, first 2 shown]
	s_waitcnt vmcnt(23) lgkmcnt(0)
	v_fma_f64 v[113:114], v[125:126], v[117:118], v[113:114]
	s_waitcnt vmcnt(21)
	v_fma_f64 v[124:125], v[127:128], v[119:120], v[113:114]
	ds_read_b128 v[113:116], v112 offset:528
	ds_read_b128 v[117:120], v112 offset:544
	s_waitcnt vmcnt(19) lgkmcnt(1)
	v_fma_f64 v[113:114], v[129:130], v[113:114], v[124:125]
	buffer_load_dword v124, off, s[0:3], 0 offset:164
	s_waitcnt vmcnt(18)
	v_fma_f64 v[113:114], v[131:132], v[115:116], v[113:114]
	buffer_load_dword v126, off, s[0:3], 0 offset:172
	buffer_load_dword v127, off, s[0:3], 0 offset:192
	;; [unrolled: 1-line block ×8, first 2 shown]
	s_waitcnt vmcnt(24) lgkmcnt(0)
	v_fma_f64 v[113:114], v[133:134], v[117:118], v[113:114]
	s_waitcnt vmcnt(19)
	v_fma_f64 v[133:134], v[135:136], v[119:120], v[113:114]
	ds_read_b128 v[113:116], v112 offset:560
	ds_read_b128 v[117:120], v112 offset:576
	s_waitcnt vmcnt(18) lgkmcnt(1)
	v_fma_f64 v[113:114], v[141:142], v[113:114], v[133:134]
	s_waitcnt vmcnt(17)
	v_fma_f64 v[113:114], v[139:140], v[115:116], v[113:114]
	buffer_load_dword v134, off, s[0:3], 0 offset:204
	buffer_load_dword v135, off, s[0:3], 0 offset:224
	;; [unrolled: 1-line block ×7, first 2 shown]
	s_waitcnt vmcnt(23) lgkmcnt(0)
	v_fma_f64 v[113:114], v[137:138], v[117:118], v[113:114]
	s_waitcnt vmcnt(18)
	v_fma_f64 v[121:122], v[121:122], v[119:120], v[113:114]
	ds_read_b128 v[113:116], v112 offset:592
	ds_read_b128 v[117:120], v112 offset:608
	buffer_load_dword v136, off, s[0:3], 0 offset:228
	s_waitcnt vmcnt(18) lgkmcnt(1)
	v_fma_f64 v[113:114], v[145:146], v[113:114], v[121:122]
	s_waitcnt vmcnt(17)
	v_fma_f64 v[113:114], v[143:144], v[115:116], v[113:114]
	buffer_load_dword v122, off, s[0:3], 0 offset:236
	buffer_load_dword v137, off, s[0:3], 0 offset:256
	;; [unrolled: 1-line block ×7, first 2 shown]
	s_waitcnt vmcnt(23) lgkmcnt(0)
	v_fma_f64 v[113:114], v[123:124], v[117:118], v[113:114]
	s_waitcnt vmcnt(18)
	v_fma_f64 v[123:124], v[125:126], v[119:120], v[113:114]
	ds_read_b128 v[113:116], v112 offset:624
	ds_read_b128 v[117:120], v112 offset:640
	buffer_load_dword v138, off, s[0:3], 0 offset:260
	s_waitcnt vmcnt(18) lgkmcnt(1)
	v_fma_f64 v[113:114], v[131:132], v[113:114], v[123:124]
	s_waitcnt vmcnt(17)
	v_fma_f64 v[113:114], v[129:130], v[115:116], v[113:114]
	buffer_load_dword v124, off, s[0:3], 0 offset:268
	buffer_load_dword v125, off, s[0:3], 0 offset:288
	;; [unrolled: 1-line block ×7, first 2 shown]
	s_waitcnt vmcnt(23) lgkmcnt(0)
	v_fma_f64 v[113:114], v[127:128], v[117:118], v[113:114]
	s_waitcnt vmcnt(18)
	v_fma_f64 v[126:127], v[133:134], v[119:120], v[113:114]
	ds_read_b128 v[113:116], v112 offset:656
	ds_read_b128 v[117:120], v112 offset:672
	s_waitcnt vmcnt(17) lgkmcnt(1)
	v_fma_f64 v[113:114], v[141:142], v[113:114], v[126:127]
	buffer_load_dword v126, off, s[0:3], 0 offset:292
	s_waitcnt vmcnt(17)
	v_fma_f64 v[113:114], v[139:140], v[115:116], v[113:114]
	buffer_load_dword v128, off, s[0:3], 0 offset:300
	buffer_load_dword v133, off, s[0:3], 0 offset:320
	;; [unrolled: 1-line block ×7, first 2 shown]
	s_waitcnt vmcnt(23) lgkmcnt(0)
	v_fma_f64 v[113:114], v[135:136], v[117:118], v[113:114]
	s_waitcnt vmcnt(18)
	v_fma_f64 v[121:122], v[121:122], v[119:120], v[113:114]
	ds_read_b128 v[113:116], v112 offset:688
	ds_read_b128 v[117:120], v112 offset:704
	buffer_load_dword v134, off, s[0:3], 0 offset:324
	s_waitcnt vmcnt(18) lgkmcnt(1)
	v_fma_f64 v[113:114], v[145:146], v[113:114], v[121:122]
	s_waitcnt vmcnt(17)
	v_fma_f64 v[113:114], v[143:144], v[115:116], v[113:114]
	buffer_load_dword v122, off, s[0:3], 0 offset:332
	buffer_load_dword v135, off, s[0:3], 0 offset:352
	;; [unrolled: 1-line block ×7, first 2 shown]
	s_waitcnt vmcnt(23) lgkmcnt(0)
	v_fma_f64 v[113:114], v[137:138], v[117:118], v[113:114]
	s_waitcnt vmcnt(18)
	v_fma_f64 v[123:124], v[123:124], v[119:120], v[113:114]
	ds_read_b128 v[113:116], v112 offset:720
	ds_read_b128 v[117:120], v112 offset:736
	buffer_load_dword v136, off, s[0:3], 0 offset:356
	s_waitcnt vmcnt(18) lgkmcnt(1)
	v_fma_f64 v[113:114], v[131:132], v[113:114], v[123:124]
	s_waitcnt vmcnt(17)
	v_fma_f64 v[113:114], v[129:130], v[115:116], v[113:114]
	buffer_load_dword v124, off, s[0:3], 0 offset:364
	buffer_load_dword v129, off, s[0:3], 0 offset:384
	;; [unrolled: 1-line block ×8, first 2 shown]
	s_waitcnt vmcnt(24) lgkmcnt(0)
	v_fma_f64 v[113:114], v[125:126], v[117:118], v[113:114]
	s_waitcnt vmcnt(19)
	v_fma_f64 v[125:126], v[127:128], v[119:120], v[113:114]
	ds_read_b128 v[113:116], v112 offset:752
	ds_read_b128 v[117:120], v112 offset:768
	s_waitcnt vmcnt(18) lgkmcnt(1)
	v_fma_f64 v[113:114], v[141:142], v[113:114], v[125:126]
	s_waitcnt vmcnt(17)
	v_fma_f64 v[113:114], v[139:140], v[115:116], v[113:114]
	buffer_load_dword v126, off, s[0:3], 0 offset:396
	buffer_load_dword v127, off, s[0:3], 0 offset:416
	buffer_load_dword v139, off, s[0:3], 0 offset:408
	buffer_load_dword v141, off, s[0:3], 0 offset:400
	buffer_load_dword v125, off, s[0:3], 0 offset:392
	buffer_load_dword v142, off, s[0:3], 0 offset:404
	buffer_load_dword v140, off, s[0:3], 0 offset:412
	s_waitcnt vmcnt(23) lgkmcnt(0)
	v_fma_f64 v[113:114], v[133:134], v[117:118], v[113:114]
	s_waitcnt vmcnt(18)
	v_fma_f64 v[121:122], v[121:122], v[119:120], v[113:114]
	ds_read_b128 v[113:116], v112 offset:784
	ds_read_b128 v[117:120], v112 offset:800
	buffer_load_dword v128, off, s[0:3], 0 offset:420
	s_waitcnt vmcnt(18) lgkmcnt(1)
	v_fma_f64 v[113:114], v[145:146], v[113:114], v[121:122]
	buffer_load_dword v122, off, s[0:3], 0 offset:428
	buffer_load_dword v133, off, s[0:3], 0 offset:432
	;; [unrolled: 1-line block ×4, first 2 shown]
	s_waitcnt vmcnt(21)
	v_fma_f64 v[113:114], v[143:144], v[115:116], v[113:114]
	s_waitcnt vmcnt(20) lgkmcnt(0)
	v_fma_f64 v[113:114], v[135:136], v[117:118], v[113:114]
	buffer_load_dword v135, off, s[0:3], 0 offset:40
	buffer_load_dword v136, off, s[0:3], 0 offset:44
	s_waitcnt vmcnt(17)
	v_fma_f64 v[123:124], v[123:124], v[119:120], v[113:114]
	ds_read_b128 v[113:116], v112 offset:816
	ds_read_b128 v[117:120], v112 offset:832
	s_waitcnt vmcnt(16) lgkmcnt(1)
	v_fma_f64 v[113:114], v[137:138], v[113:114], v[123:124]
	s_waitcnt vmcnt(15)
	v_fma_f64 v[113:114], v[131:132], v[115:116], v[113:114]
	s_waitcnt vmcnt(14) lgkmcnt(0)
	v_fma_f64 v[113:114], v[129:130], v[117:118], v[113:114]
	s_waitcnt vmcnt(9)
	v_fma_f64 v[123:124], v[125:126], v[119:120], v[113:114]
	ds_read_b128 v[113:116], v112 offset:848
	ds_read_b128 v[117:120], v112 offset:864
	s_waitcnt vmcnt(8) lgkmcnt(1)
	v_fma_f64 v[113:114], v[141:142], v[113:114], v[123:124]
	s_waitcnt vmcnt(7)
	v_fma_f64 v[113:114], v[139:140], v[115:116], v[113:114]
	ds_read_b64 v[115:116], v112 offset:880
	s_waitcnt vmcnt(6) lgkmcnt(1)
	v_fma_f64 v[113:114], v[127:128], v[117:118], v[113:114]
	s_waitcnt vmcnt(3)
	v_fma_f64 v[113:114], v[121:122], v[119:120], v[113:114]
	s_waitcnt vmcnt(2) lgkmcnt(0)
	v_fma_f64 v[113:114], v[133:134], v[115:116], v[113:114]
	s_waitcnt vmcnt(0)
	v_add_f64 v[113:114], v[135:136], -v[113:114]
	buffer_store_dword v114, off, s[0:3], 0 offset:44
	buffer_store_dword v113, off, s[0:3], 0 offset:40
	s_and_saveexec_b64 s[4:5], vcc
	s_cbranch_execz .LBB54_329
; %bb.328:
	buffer_load_dword v113, off, s[0:3], 0 offset:32
	buffer_load_dword v114, off, s[0:3], 0 offset:36
	s_waitcnt vmcnt(0)
	ds_write_b64 v111, v[113:114]
	buffer_store_dword v112, off, s[0:3], 0 offset:32
	buffer_store_dword v112, off, s[0:3], 0 offset:36
.LBB54_329:
	s_or_b64 exec, exec, s[4:5]
	s_waitcnt lgkmcnt(0)
	; wave barrier
	buffer_load_dword v121, off, s[0:3], 0 offset:40
	buffer_load_dword v122, off, s[0:3], 0 offset:44
	;; [unrolled: 1-line block ×22, first 2 shown]
	ds_read2_b64 v[113:116], v112 offset0:61 offset1:62
	ds_read2_b64 v[117:120], v112 offset0:63 offset1:64
	v_cmp_lt_u32_e32 vcc, 3, v0
	s_waitcnt vmcnt(20) lgkmcnt(1)
	v_fma_f64 v[113:114], v[121:122], v[113:114], 0
	s_waitcnt vmcnt(18)
	v_fma_f64 v[113:114], v[123:124], v[115:116], v[113:114]
	buffer_load_dword v122, off, s[0:3], 0 offset:132
	buffer_load_dword v123, off, s[0:3], 0 offset:152
	buffer_load_dword v143, off, s[0:3], 0 offset:144
	buffer_load_dword v145, off, s[0:3], 0 offset:136
	buffer_load_dword v121, off, s[0:3], 0 offset:128
	buffer_load_dword v146, off, s[0:3], 0 offset:140
	buffer_load_dword v144, off, s[0:3], 0 offset:148
	s_waitcnt vmcnt(23) lgkmcnt(0)
	v_fma_f64 v[113:114], v[125:126], v[117:118], v[113:114]
	s_waitcnt vmcnt(21)
	v_fma_f64 v[124:125], v[127:128], v[119:120], v[113:114]
	ds_read2_b64 v[113:116], v112 offset0:65 offset1:66
	ds_read2_b64 v[117:120], v112 offset0:67 offset1:68
	s_waitcnt vmcnt(19) lgkmcnt(1)
	v_fma_f64 v[113:114], v[129:130], v[113:114], v[124:125]
	buffer_load_dword v124, off, s[0:3], 0 offset:156
	s_waitcnt vmcnt(18)
	v_fma_f64 v[113:114], v[131:132], v[115:116], v[113:114]
	buffer_load_dword v126, off, s[0:3], 0 offset:164
	buffer_load_dword v127, off, s[0:3], 0 offset:184
	;; [unrolled: 1-line block ×8, first 2 shown]
	s_waitcnt vmcnt(24) lgkmcnt(0)
	v_fma_f64 v[113:114], v[133:134], v[117:118], v[113:114]
	s_waitcnt vmcnt(19)
	v_fma_f64 v[133:134], v[135:136], v[119:120], v[113:114]
	ds_read2_b64 v[113:116], v112 offset0:69 offset1:70
	ds_read2_b64 v[117:120], v112 offset0:71 offset1:72
	s_waitcnt vmcnt(18) lgkmcnt(1)
	v_fma_f64 v[113:114], v[141:142], v[113:114], v[133:134]
	s_waitcnt vmcnt(17)
	v_fma_f64 v[113:114], v[139:140], v[115:116], v[113:114]
	buffer_load_dword v134, off, s[0:3], 0 offset:196
	buffer_load_dword v135, off, s[0:3], 0 offset:216
	;; [unrolled: 1-line block ×8, first 2 shown]
	s_waitcnt vmcnt(24) lgkmcnt(0)
	v_fma_f64 v[113:114], v[137:138], v[117:118], v[113:114]
	s_waitcnt vmcnt(19)
	v_fma_f64 v[121:122], v[121:122], v[119:120], v[113:114]
	ds_read2_b64 v[113:116], v112 offset0:73 offset1:74
	ds_read2_b64 v[117:120], v112 offset0:75 offset1:76
	s_waitcnt vmcnt(18) lgkmcnt(1)
	v_fma_f64 v[113:114], v[145:146], v[113:114], v[121:122]
	s_waitcnt vmcnt(17)
	v_fma_f64 v[113:114], v[143:144], v[115:116], v[113:114]
	buffer_load_dword v122, off, s[0:3], 0 offset:228
	buffer_load_dword v137, off, s[0:3], 0 offset:248
	;; [unrolled: 1-line block ×7, first 2 shown]
	s_waitcnt vmcnt(23) lgkmcnt(0)
	v_fma_f64 v[113:114], v[123:124], v[117:118], v[113:114]
	s_waitcnt vmcnt(18)
	v_fma_f64 v[123:124], v[125:126], v[119:120], v[113:114]
	ds_read2_b64 v[113:116], v112 offset0:77 offset1:78
	ds_read2_b64 v[117:120], v112 offset0:79 offset1:80
	buffer_load_dword v138, off, s[0:3], 0 offset:252
	s_waitcnt vmcnt(18) lgkmcnt(1)
	v_fma_f64 v[113:114], v[131:132], v[113:114], v[123:124]
	s_waitcnt vmcnt(17)
	v_fma_f64 v[113:114], v[129:130], v[115:116], v[113:114]
	buffer_load_dword v124, off, s[0:3], 0 offset:260
	buffer_load_dword v125, off, s[0:3], 0 offset:280
	;; [unrolled: 1-line block ×7, first 2 shown]
	s_waitcnt vmcnt(23) lgkmcnt(0)
	v_fma_f64 v[113:114], v[127:128], v[117:118], v[113:114]
	s_waitcnt vmcnt(18)
	v_fma_f64 v[126:127], v[133:134], v[119:120], v[113:114]
	ds_read2_b64 v[113:116], v112 offset0:81 offset1:82
	ds_read2_b64 v[117:120], v112 offset0:83 offset1:84
	s_waitcnt vmcnt(17) lgkmcnt(1)
	v_fma_f64 v[113:114], v[141:142], v[113:114], v[126:127]
	buffer_load_dword v126, off, s[0:3], 0 offset:284
	s_waitcnt vmcnt(17)
	v_fma_f64 v[113:114], v[139:140], v[115:116], v[113:114]
	buffer_load_dword v128, off, s[0:3], 0 offset:292
	buffer_load_dword v133, off, s[0:3], 0 offset:312
	buffer_load_dword v139, off, s[0:3], 0 offset:304
	buffer_load_dword v141, off, s[0:3], 0 offset:296
	buffer_load_dword v127, off, s[0:3], 0 offset:288
	buffer_load_dword v142, off, s[0:3], 0 offset:300
	buffer_load_dword v140, off, s[0:3], 0 offset:308
	buffer_load_dword v134, off, s[0:3], 0 offset:316
	s_waitcnt vmcnt(24) lgkmcnt(0)
	v_fma_f64 v[113:114], v[135:136], v[117:118], v[113:114]
	s_waitcnt vmcnt(19)
	v_fma_f64 v[121:122], v[121:122], v[119:120], v[113:114]
	ds_read2_b64 v[113:116], v112 offset0:85 offset1:86
	ds_read2_b64 v[117:120], v112 offset0:87 offset1:88
	s_waitcnt vmcnt(18) lgkmcnt(1)
	v_fma_f64 v[113:114], v[145:146], v[113:114], v[121:122]
	s_waitcnt vmcnt(17)
	v_fma_f64 v[113:114], v[143:144], v[115:116], v[113:114]
	buffer_load_dword v122, off, s[0:3], 0 offset:324
	buffer_load_dword v135, off, s[0:3], 0 offset:344
	;; [unrolled: 1-line block ×7, first 2 shown]
	s_waitcnt vmcnt(23) lgkmcnt(0)
	v_fma_f64 v[113:114], v[137:138], v[117:118], v[113:114]
	s_waitcnt vmcnt(18)
	v_fma_f64 v[123:124], v[123:124], v[119:120], v[113:114]
	ds_read2_b64 v[113:116], v112 offset0:89 offset1:90
	ds_read2_b64 v[117:120], v112 offset0:91 offset1:92
	buffer_load_dword v136, off, s[0:3], 0 offset:348
	s_waitcnt vmcnt(18) lgkmcnt(1)
	v_fma_f64 v[113:114], v[131:132], v[113:114], v[123:124]
	s_waitcnt vmcnt(17)
	v_fma_f64 v[113:114], v[129:130], v[115:116], v[113:114]
	buffer_load_dword v124, off, s[0:3], 0 offset:356
	buffer_load_dword v129, off, s[0:3], 0 offset:376
	;; [unrolled: 1-line block ×8, first 2 shown]
	s_waitcnt vmcnt(24) lgkmcnt(0)
	v_fma_f64 v[113:114], v[125:126], v[117:118], v[113:114]
	s_waitcnt vmcnt(19)
	v_fma_f64 v[125:126], v[127:128], v[119:120], v[113:114]
	ds_read2_b64 v[113:116], v112 offset0:93 offset1:94
	ds_read2_b64 v[117:120], v112 offset0:95 offset1:96
	s_waitcnt vmcnt(18) lgkmcnt(1)
	v_fma_f64 v[113:114], v[141:142], v[113:114], v[125:126]
	s_waitcnt vmcnt(17)
	v_fma_f64 v[113:114], v[139:140], v[115:116], v[113:114]
	buffer_load_dword v126, off, s[0:3], 0 offset:388
	buffer_load_dword v127, off, s[0:3], 0 offset:408
	;; [unrolled: 1-line block ×8, first 2 shown]
	s_waitcnt vmcnt(24) lgkmcnt(0)
	v_fma_f64 v[113:114], v[133:134], v[117:118], v[113:114]
	s_waitcnt vmcnt(19)
	v_fma_f64 v[121:122], v[121:122], v[119:120], v[113:114]
	ds_read2_b64 v[113:116], v112 offset0:97 offset1:98
	ds_read2_b64 v[117:120], v112 offset0:99 offset1:100
	s_waitcnt vmcnt(18) lgkmcnt(1)
	v_fma_f64 v[113:114], v[145:146], v[113:114], v[121:122]
	s_waitcnt vmcnt(17)
	v_fma_f64 v[113:114], v[143:144], v[115:116], v[113:114]
	buffer_load_dword v122, off, s[0:3], 0 offset:420
	buffer_load_dword v133, off, s[0:3], 0 offset:432
	;; [unrolled: 1-line block ×6, first 2 shown]
	s_waitcnt vmcnt(22) lgkmcnt(0)
	v_fma_f64 v[113:114], v[135:136], v[117:118], v[113:114]
	s_waitcnt vmcnt(17)
	v_fma_f64 v[123:124], v[123:124], v[119:120], v[113:114]
	ds_read2_b64 v[113:116], v112 offset0:101 offset1:102
	buffer_load_dword v135, off, s[0:3], 0 offset:32
	buffer_load_dword v136, off, s[0:3], 0 offset:36
	ds_read2_b64 v[117:120], v112 offset0:103 offset1:104
	s_waitcnt vmcnt(18) lgkmcnt(1)
	v_fma_f64 v[113:114], v[137:138], v[113:114], v[123:124]
	s_waitcnt vmcnt(17)
	v_fma_f64 v[113:114], v[131:132], v[115:116], v[113:114]
	s_waitcnt vmcnt(16) lgkmcnt(0)
	v_fma_f64 v[113:114], v[129:130], v[117:118], v[113:114]
	s_waitcnt vmcnt(11)
	v_fma_f64 v[123:124], v[125:126], v[119:120], v[113:114]
	ds_read2_b64 v[113:116], v112 offset0:105 offset1:106
	ds_read2_b64 v[117:120], v112 offset0:107 offset1:108
	s_waitcnt vmcnt(10) lgkmcnt(1)
	v_fma_f64 v[113:114], v[141:142], v[113:114], v[123:124]
	s_waitcnt vmcnt(9)
	v_fma_f64 v[113:114], v[139:140], v[115:116], v[113:114]
	s_waitcnt vmcnt(8) lgkmcnt(0)
	v_fma_f64 v[113:114], v[127:128], v[117:118], v[113:114]
	s_waitcnt vmcnt(4)
	v_fma_f64 v[116:117], v[121:122], v[119:120], v[113:114]
	ds_read2_b64 v[112:115], v112 offset0:109 offset1:110
	s_waitcnt vmcnt(3) lgkmcnt(0)
	v_fma_f64 v[112:113], v[143:144], v[112:113], v[116:117]
	s_waitcnt vmcnt(2)
	v_fma_f64 v[112:113], v[133:134], v[114:115], v[112:113]
	s_waitcnt vmcnt(0)
	v_add_f64 v[112:113], v[135:136], -v[112:113]
	buffer_store_dword v113, off, s[0:3], 0 offset:36
	buffer_store_dword v112, off, s[0:3], 0 offset:32
	s_and_saveexec_b64 s[4:5], vcc
	s_cbranch_execz .LBB54_331
; %bb.330:
	buffer_load_dword v112, off, s[0:3], 0 offset:24
	buffer_load_dword v113, off, s[0:3], 0 offset:28
	v_mov_b32_e32 v114, 0
	buffer_store_dword v114, off, s[0:3], 0 offset:24
	buffer_store_dword v114, off, s[0:3], 0 offset:28
	s_waitcnt vmcnt(2)
	ds_write_b64 v111, v[112:113]
.LBB54_331:
	s_or_b64 exec, exec, s[4:5]
	s_waitcnt lgkmcnt(0)
	; wave barrier
	buffer_load_dword v121, off, s[0:3], 0 offset:32
	buffer_load_dword v122, off, s[0:3], 0 offset:36
	;; [unrolled: 1-line block ×22, first 2 shown]
	v_mov_b32_e32 v112, 0
	ds_read_b128 v[113:116], v112 offset:480
	ds_read_b128 v[117:120], v112 offset:496
	v_cmp_lt_u32_e32 vcc, 2, v0
	s_waitcnt vmcnt(20) lgkmcnt(1)
	v_fma_f64 v[113:114], v[121:122], v[113:114], 0
	s_waitcnt vmcnt(18)
	v_fma_f64 v[113:114], v[123:124], v[115:116], v[113:114]
	buffer_load_dword v122, off, s[0:3], 0 offset:124
	buffer_load_dword v123, off, s[0:3], 0 offset:144
	;; [unrolled: 1-line block ×7, first 2 shown]
	s_waitcnt vmcnt(23) lgkmcnt(0)
	v_fma_f64 v[113:114], v[125:126], v[117:118], v[113:114]
	s_waitcnt vmcnt(21)
	v_fma_f64 v[124:125], v[127:128], v[119:120], v[113:114]
	ds_read_b128 v[113:116], v112 offset:512
	ds_read_b128 v[117:120], v112 offset:528
	s_waitcnt vmcnt(19) lgkmcnt(1)
	v_fma_f64 v[113:114], v[129:130], v[113:114], v[124:125]
	buffer_load_dword v124, off, s[0:3], 0 offset:148
	s_waitcnt vmcnt(18)
	v_fma_f64 v[113:114], v[131:132], v[115:116], v[113:114]
	buffer_load_dword v126, off, s[0:3], 0 offset:156
	buffer_load_dword v127, off, s[0:3], 0 offset:176
	buffer_load_dword v129, off, s[0:3], 0 offset:168
	buffer_load_dword v131, off, s[0:3], 0 offset:160
	buffer_load_dword v125, off, s[0:3], 0 offset:152
	buffer_load_dword v132, off, s[0:3], 0 offset:164
	buffer_load_dword v130, off, s[0:3], 0 offset:172
	buffer_load_dword v128, off, s[0:3], 0 offset:180
	s_waitcnt vmcnt(24) lgkmcnt(0)
	v_fma_f64 v[113:114], v[133:134], v[117:118], v[113:114]
	s_waitcnt vmcnt(19)
	v_fma_f64 v[133:134], v[135:136], v[119:120], v[113:114]
	ds_read_b128 v[113:116], v112 offset:544
	ds_read_b128 v[117:120], v112 offset:560
	s_waitcnt vmcnt(18) lgkmcnt(1)
	v_fma_f64 v[113:114], v[141:142], v[113:114], v[133:134]
	s_waitcnt vmcnt(17)
	v_fma_f64 v[113:114], v[139:140], v[115:116], v[113:114]
	buffer_load_dword v134, off, s[0:3], 0 offset:188
	buffer_load_dword v135, off, s[0:3], 0 offset:208
	;; [unrolled: 1-line block ×8, first 2 shown]
	s_waitcnt vmcnt(24) lgkmcnt(0)
	v_fma_f64 v[113:114], v[137:138], v[117:118], v[113:114]
	s_waitcnt vmcnt(19)
	v_fma_f64 v[121:122], v[121:122], v[119:120], v[113:114]
	ds_read_b128 v[113:116], v112 offset:576
	ds_read_b128 v[117:120], v112 offset:592
	s_waitcnt vmcnt(18) lgkmcnt(1)
	v_fma_f64 v[113:114], v[145:146], v[113:114], v[121:122]
	s_waitcnt vmcnt(17)
	v_fma_f64 v[113:114], v[143:144], v[115:116], v[113:114]
	buffer_load_dword v122, off, s[0:3], 0 offset:220
	buffer_load_dword v137, off, s[0:3], 0 offset:240
	;; [unrolled: 1-line block ×7, first 2 shown]
	s_waitcnt vmcnt(23) lgkmcnt(0)
	v_fma_f64 v[113:114], v[123:124], v[117:118], v[113:114]
	s_waitcnt vmcnt(18)
	v_fma_f64 v[123:124], v[125:126], v[119:120], v[113:114]
	ds_read_b128 v[113:116], v112 offset:608
	ds_read_b128 v[117:120], v112 offset:624
	buffer_load_dword v138, off, s[0:3], 0 offset:244
	s_waitcnt vmcnt(18) lgkmcnt(1)
	v_fma_f64 v[113:114], v[131:132], v[113:114], v[123:124]
	s_waitcnt vmcnt(17)
	v_fma_f64 v[113:114], v[129:130], v[115:116], v[113:114]
	buffer_load_dword v124, off, s[0:3], 0 offset:252
	buffer_load_dword v125, off, s[0:3], 0 offset:272
	;; [unrolled: 1-line block ×7, first 2 shown]
	s_waitcnt vmcnt(23) lgkmcnt(0)
	v_fma_f64 v[113:114], v[127:128], v[117:118], v[113:114]
	s_waitcnt vmcnt(18)
	v_fma_f64 v[126:127], v[133:134], v[119:120], v[113:114]
	ds_read_b128 v[113:116], v112 offset:640
	ds_read_b128 v[117:120], v112 offset:656
	s_waitcnt vmcnt(17) lgkmcnt(1)
	v_fma_f64 v[113:114], v[141:142], v[113:114], v[126:127]
	buffer_load_dword v126, off, s[0:3], 0 offset:276
	s_waitcnt vmcnt(17)
	v_fma_f64 v[113:114], v[139:140], v[115:116], v[113:114]
	buffer_load_dword v128, off, s[0:3], 0 offset:284
	buffer_load_dword v133, off, s[0:3], 0 offset:304
	;; [unrolled: 1-line block ×8, first 2 shown]
	s_waitcnt vmcnt(24) lgkmcnt(0)
	v_fma_f64 v[113:114], v[135:136], v[117:118], v[113:114]
	s_waitcnt vmcnt(19)
	v_fma_f64 v[121:122], v[121:122], v[119:120], v[113:114]
	ds_read_b128 v[113:116], v112 offset:672
	ds_read_b128 v[117:120], v112 offset:688
	s_waitcnt vmcnt(18) lgkmcnt(1)
	v_fma_f64 v[113:114], v[145:146], v[113:114], v[121:122]
	s_waitcnt vmcnt(17)
	v_fma_f64 v[113:114], v[143:144], v[115:116], v[113:114]
	buffer_load_dword v122, off, s[0:3], 0 offset:316
	buffer_load_dword v135, off, s[0:3], 0 offset:336
	;; [unrolled: 1-line block ×7, first 2 shown]
	s_waitcnt vmcnt(23) lgkmcnt(0)
	v_fma_f64 v[113:114], v[137:138], v[117:118], v[113:114]
	s_waitcnt vmcnt(18)
	v_fma_f64 v[123:124], v[123:124], v[119:120], v[113:114]
	ds_read_b128 v[113:116], v112 offset:704
	ds_read_b128 v[117:120], v112 offset:720
	buffer_load_dword v136, off, s[0:3], 0 offset:340
	s_waitcnt vmcnt(18) lgkmcnt(1)
	v_fma_f64 v[113:114], v[131:132], v[113:114], v[123:124]
	s_waitcnt vmcnt(17)
	v_fma_f64 v[113:114], v[129:130], v[115:116], v[113:114]
	buffer_load_dword v124, off, s[0:3], 0 offset:348
	buffer_load_dword v129, off, s[0:3], 0 offset:368
	buffer_load_dword v131, off, s[0:3], 0 offset:360
	buffer_load_dword v137, off, s[0:3], 0 offset:352
	buffer_load_dword v123, off, s[0:3], 0 offset:344
	buffer_load_dword v138, off, s[0:3], 0 offset:356
	buffer_load_dword v132, off, s[0:3], 0 offset:364
	buffer_load_dword v130, off, s[0:3], 0 offset:372
	s_waitcnt vmcnt(24) lgkmcnt(0)
	v_fma_f64 v[113:114], v[125:126], v[117:118], v[113:114]
	s_waitcnt vmcnt(19)
	v_fma_f64 v[125:126], v[127:128], v[119:120], v[113:114]
	ds_read_b128 v[113:116], v112 offset:736
	ds_read_b128 v[117:120], v112 offset:752
	s_waitcnt vmcnt(18) lgkmcnt(1)
	v_fma_f64 v[113:114], v[141:142], v[113:114], v[125:126]
	s_waitcnt vmcnt(17)
	v_fma_f64 v[113:114], v[139:140], v[115:116], v[113:114]
	buffer_load_dword v126, off, s[0:3], 0 offset:380
	buffer_load_dword v127, off, s[0:3], 0 offset:400
	buffer_load_dword v139, off, s[0:3], 0 offset:392
	buffer_load_dword v141, off, s[0:3], 0 offset:384
	buffer_load_dword v125, off, s[0:3], 0 offset:376
	buffer_load_dword v142, off, s[0:3], 0 offset:388
	buffer_load_dword v140, off, s[0:3], 0 offset:396
	buffer_load_dword v128, off, s[0:3], 0 offset:404
	s_waitcnt vmcnt(24) lgkmcnt(0)
	v_fma_f64 v[113:114], v[133:134], v[117:118], v[113:114]
	s_waitcnt vmcnt(19)
	v_fma_f64 v[121:122], v[121:122], v[119:120], v[113:114]
	ds_read_b128 v[113:116], v112 offset:768
	ds_read_b128 v[117:120], v112 offset:784
	;; [unrolled: 18-line block ×3, first 2 shown]
	s_waitcnt vmcnt(18) lgkmcnt(1)
	v_fma_f64 v[113:114], v[137:138], v[113:114], v[123:124]
	buffer_load_dword v123, off, s[0:3], 0 offset:24
	buffer_load_dword v124, off, s[0:3], 0 offset:28
	s_waitcnt vmcnt(19)
	v_fma_f64 v[113:114], v[131:132], v[115:116], v[113:114]
	s_waitcnt vmcnt(18) lgkmcnt(0)
	v_fma_f64 v[113:114], v[129:130], v[117:118], v[113:114]
	s_waitcnt vmcnt(13)
	v_fma_f64 v[125:126], v[125:126], v[119:120], v[113:114]
	ds_read_b128 v[113:116], v112 offset:832
	ds_read_b128 v[117:120], v112 offset:848
	s_waitcnt vmcnt(12) lgkmcnt(1)
	v_fma_f64 v[113:114], v[141:142], v[113:114], v[125:126]
	s_waitcnt vmcnt(11)
	v_fma_f64 v[113:114], v[139:140], v[115:116], v[113:114]
	s_waitcnt vmcnt(10) lgkmcnt(0)
	v_fma_f64 v[113:114], v[127:128], v[117:118], v[113:114]
	s_waitcnt vmcnt(5)
	v_fma_f64 v[117:118], v[121:122], v[119:120], v[113:114]
	ds_read_b128 v[113:116], v112 offset:864
	ds_read_b64 v[119:120], v112 offset:880
	s_waitcnt vmcnt(4) lgkmcnt(1)
	v_fma_f64 v[113:114], v[145:146], v[113:114], v[117:118]
	s_waitcnt vmcnt(3)
	v_fma_f64 v[113:114], v[143:144], v[115:116], v[113:114]
	s_waitcnt vmcnt(2) lgkmcnt(0)
	v_fma_f64 v[113:114], v[133:134], v[119:120], v[113:114]
	s_waitcnt vmcnt(0)
	v_add_f64 v[113:114], v[123:124], -v[113:114]
	buffer_store_dword v114, off, s[0:3], 0 offset:28
	buffer_store_dword v113, off, s[0:3], 0 offset:24
	s_and_saveexec_b64 s[4:5], vcc
	s_cbranch_execz .LBB54_333
; %bb.332:
	buffer_load_dword v113, off, s[0:3], 0 offset:16
	buffer_load_dword v114, off, s[0:3], 0 offset:20
	s_waitcnt vmcnt(0)
	ds_write_b64 v111, v[113:114]
	buffer_store_dword v112, off, s[0:3], 0 offset:16
	buffer_store_dword v112, off, s[0:3], 0 offset:20
.LBB54_333:
	s_or_b64 exec, exec, s[4:5]
	s_waitcnt lgkmcnt(0)
	; wave barrier
	buffer_load_dword v121, off, s[0:3], 0 offset:24
	buffer_load_dword v122, off, s[0:3], 0 offset:28
	;; [unrolled: 1-line block ×22, first 2 shown]
	ds_read2_b64 v[113:116], v112 offset0:59 offset1:60
	ds_read2_b64 v[117:120], v112 offset0:61 offset1:62
	v_cmp_lt_u32_e32 vcc, 1, v0
	s_waitcnt vmcnt(20) lgkmcnt(1)
	v_fma_f64 v[113:114], v[121:122], v[113:114], 0
	s_waitcnt vmcnt(18)
	v_fma_f64 v[113:114], v[123:124], v[115:116], v[113:114]
	buffer_load_dword v122, off, s[0:3], 0 offset:116
	buffer_load_dword v123, off, s[0:3], 0 offset:136
	;; [unrolled: 1-line block ×7, first 2 shown]
	s_waitcnt vmcnt(23) lgkmcnt(0)
	v_fma_f64 v[113:114], v[125:126], v[117:118], v[113:114]
	s_waitcnt vmcnt(21)
	v_fma_f64 v[124:125], v[127:128], v[119:120], v[113:114]
	ds_read2_b64 v[113:116], v112 offset0:63 offset1:64
	ds_read2_b64 v[117:120], v112 offset0:65 offset1:66
	s_waitcnt vmcnt(19) lgkmcnt(1)
	v_fma_f64 v[113:114], v[129:130], v[113:114], v[124:125]
	buffer_load_dword v124, off, s[0:3], 0 offset:140
	s_waitcnt vmcnt(18)
	v_fma_f64 v[113:114], v[131:132], v[115:116], v[113:114]
	buffer_load_dword v126, off, s[0:3], 0 offset:148
	buffer_load_dword v127, off, s[0:3], 0 offset:168
	;; [unrolled: 1-line block ×8, first 2 shown]
	s_waitcnt vmcnt(24) lgkmcnt(0)
	v_fma_f64 v[113:114], v[133:134], v[117:118], v[113:114]
	s_waitcnt vmcnt(19)
	v_fma_f64 v[133:134], v[135:136], v[119:120], v[113:114]
	ds_read2_b64 v[113:116], v112 offset0:67 offset1:68
	ds_read2_b64 v[117:120], v112 offset0:69 offset1:70
	s_waitcnt vmcnt(18) lgkmcnt(1)
	v_fma_f64 v[113:114], v[141:142], v[113:114], v[133:134]
	s_waitcnt vmcnt(17)
	v_fma_f64 v[113:114], v[139:140], v[115:116], v[113:114]
	buffer_load_dword v134, off, s[0:3], 0 offset:180
	buffer_load_dword v135, off, s[0:3], 0 offset:200
	;; [unrolled: 1-line block ×8, first 2 shown]
	s_waitcnt vmcnt(24) lgkmcnt(0)
	v_fma_f64 v[113:114], v[137:138], v[117:118], v[113:114]
	s_waitcnt vmcnt(19)
	v_fma_f64 v[121:122], v[121:122], v[119:120], v[113:114]
	ds_read2_b64 v[113:116], v112 offset0:71 offset1:72
	ds_read2_b64 v[117:120], v112 offset0:73 offset1:74
	s_waitcnt vmcnt(18) lgkmcnt(1)
	v_fma_f64 v[113:114], v[145:146], v[113:114], v[121:122]
	s_waitcnt vmcnt(17)
	v_fma_f64 v[113:114], v[143:144], v[115:116], v[113:114]
	buffer_load_dword v122, off, s[0:3], 0 offset:212
	buffer_load_dword v137, off, s[0:3], 0 offset:232
	;; [unrolled: 1-line block ×7, first 2 shown]
	s_waitcnt vmcnt(23) lgkmcnt(0)
	v_fma_f64 v[113:114], v[123:124], v[117:118], v[113:114]
	s_waitcnt vmcnt(18)
	v_fma_f64 v[123:124], v[125:126], v[119:120], v[113:114]
	ds_read2_b64 v[113:116], v112 offset0:75 offset1:76
	ds_read2_b64 v[117:120], v112 offset0:77 offset1:78
	buffer_load_dword v138, off, s[0:3], 0 offset:236
	s_waitcnt vmcnt(18) lgkmcnt(1)
	v_fma_f64 v[113:114], v[131:132], v[113:114], v[123:124]
	s_waitcnt vmcnt(17)
	v_fma_f64 v[113:114], v[129:130], v[115:116], v[113:114]
	buffer_load_dword v124, off, s[0:3], 0 offset:244
	buffer_load_dword v125, off, s[0:3], 0 offset:264
	buffer_load_dword v129, off, s[0:3], 0 offset:256
	buffer_load_dword v131, off, s[0:3], 0 offset:248
	buffer_load_dword v123, off, s[0:3], 0 offset:240
	buffer_load_dword v132, off, s[0:3], 0 offset:252
	buffer_load_dword v130, off, s[0:3], 0 offset:260
	s_waitcnt vmcnt(23) lgkmcnt(0)
	v_fma_f64 v[113:114], v[127:128], v[117:118], v[113:114]
	s_waitcnt vmcnt(18)
	v_fma_f64 v[126:127], v[133:134], v[119:120], v[113:114]
	ds_read2_b64 v[113:116], v112 offset0:79 offset1:80
	ds_read2_b64 v[117:120], v112 offset0:81 offset1:82
	s_waitcnt vmcnt(17) lgkmcnt(1)
	v_fma_f64 v[113:114], v[141:142], v[113:114], v[126:127]
	buffer_load_dword v126, off, s[0:3], 0 offset:268
	s_waitcnt vmcnt(17)
	v_fma_f64 v[113:114], v[139:140], v[115:116], v[113:114]
	buffer_load_dword v128, off, s[0:3], 0 offset:276
	buffer_load_dword v133, off, s[0:3], 0 offset:296
	;; [unrolled: 1-line block ×8, first 2 shown]
	s_waitcnt vmcnt(24) lgkmcnt(0)
	v_fma_f64 v[113:114], v[135:136], v[117:118], v[113:114]
	s_waitcnt vmcnt(19)
	v_fma_f64 v[121:122], v[121:122], v[119:120], v[113:114]
	ds_read2_b64 v[113:116], v112 offset0:83 offset1:84
	ds_read2_b64 v[117:120], v112 offset0:85 offset1:86
	s_waitcnt vmcnt(18) lgkmcnt(1)
	v_fma_f64 v[113:114], v[145:146], v[113:114], v[121:122]
	s_waitcnt vmcnt(17)
	v_fma_f64 v[113:114], v[143:144], v[115:116], v[113:114]
	buffer_load_dword v122, off, s[0:3], 0 offset:308
	buffer_load_dword v135, off, s[0:3], 0 offset:328
	;; [unrolled: 1-line block ×7, first 2 shown]
	s_waitcnt vmcnt(23) lgkmcnt(0)
	v_fma_f64 v[113:114], v[137:138], v[117:118], v[113:114]
	s_waitcnt vmcnt(18)
	v_fma_f64 v[123:124], v[123:124], v[119:120], v[113:114]
	ds_read2_b64 v[113:116], v112 offset0:87 offset1:88
	ds_read2_b64 v[117:120], v112 offset0:89 offset1:90
	buffer_load_dword v136, off, s[0:3], 0 offset:332
	s_waitcnt vmcnt(18) lgkmcnt(1)
	v_fma_f64 v[113:114], v[131:132], v[113:114], v[123:124]
	s_waitcnt vmcnt(17)
	v_fma_f64 v[113:114], v[129:130], v[115:116], v[113:114]
	buffer_load_dword v124, off, s[0:3], 0 offset:340
	buffer_load_dword v129, off, s[0:3], 0 offset:360
	buffer_load_dword v131, off, s[0:3], 0 offset:352
	buffer_load_dword v137, off, s[0:3], 0 offset:344
	buffer_load_dword v123, off, s[0:3], 0 offset:336
	buffer_load_dword v138, off, s[0:3], 0 offset:348
	buffer_load_dword v132, off, s[0:3], 0 offset:356
	buffer_load_dword v130, off, s[0:3], 0 offset:364
	s_waitcnt vmcnt(24) lgkmcnt(0)
	v_fma_f64 v[113:114], v[125:126], v[117:118], v[113:114]
	s_waitcnt vmcnt(19)
	v_fma_f64 v[125:126], v[127:128], v[119:120], v[113:114]
	ds_read2_b64 v[113:116], v112 offset0:91 offset1:92
	ds_read2_b64 v[117:120], v112 offset0:93 offset1:94
	s_waitcnt vmcnt(18) lgkmcnt(1)
	v_fma_f64 v[113:114], v[141:142], v[113:114], v[125:126]
	s_waitcnt vmcnt(17)
	v_fma_f64 v[113:114], v[139:140], v[115:116], v[113:114]
	buffer_load_dword v126, off, s[0:3], 0 offset:372
	buffer_load_dword v127, off, s[0:3], 0 offset:392
	buffer_load_dword v139, off, s[0:3], 0 offset:384
	buffer_load_dword v141, off, s[0:3], 0 offset:376
	buffer_load_dword v125, off, s[0:3], 0 offset:368
	buffer_load_dword v142, off, s[0:3], 0 offset:380
	buffer_load_dword v140, off, s[0:3], 0 offset:388
	buffer_load_dword v128, off, s[0:3], 0 offset:396
	s_waitcnt vmcnt(24) lgkmcnt(0)
	v_fma_f64 v[113:114], v[133:134], v[117:118], v[113:114]
	s_waitcnt vmcnt(19)
	v_fma_f64 v[121:122], v[121:122], v[119:120], v[113:114]
	ds_read2_b64 v[113:116], v112 offset0:95 offset1:96
	ds_read2_b64 v[117:120], v112 offset0:97 offset1:98
	;; [unrolled: 18-line block ×3, first 2 shown]
	s_waitcnt vmcnt(18) lgkmcnt(1)
	v_fma_f64 v[113:114], v[137:138], v[113:114], v[123:124]
	buffer_load_dword v124, off, s[0:3], 0 offset:436
	buffer_load_dword v123, off, s[0:3], 0 offset:432
	s_waitcnt vmcnt(19)
	v_fma_f64 v[113:114], v[131:132], v[115:116], v[113:114]
	buffer_load_dword v131, off, s[0:3], 0 offset:16
	buffer_load_dword v132, off, s[0:3], 0 offset:20
	s_waitcnt vmcnt(20) lgkmcnt(0)
	v_fma_f64 v[113:114], v[129:130], v[117:118], v[113:114]
	s_waitcnt vmcnt(15)
	v_fma_f64 v[125:126], v[125:126], v[119:120], v[113:114]
	ds_read2_b64 v[113:116], v112 offset0:103 offset1:104
	ds_read2_b64 v[117:120], v112 offset0:105 offset1:106
	s_waitcnt vmcnt(14) lgkmcnt(1)
	v_fma_f64 v[113:114], v[141:142], v[113:114], v[125:126]
	s_waitcnt vmcnt(13)
	v_fma_f64 v[113:114], v[139:140], v[115:116], v[113:114]
	s_waitcnt vmcnt(12) lgkmcnt(0)
	v_fma_f64 v[113:114], v[127:128], v[117:118], v[113:114]
	s_waitcnt vmcnt(7)
	v_fma_f64 v[121:122], v[121:122], v[119:120], v[113:114]
	ds_read2_b64 v[113:116], v112 offset0:107 offset1:108
	ds_read2_b64 v[117:120], v112 offset0:109 offset1:110
	s_waitcnt vmcnt(6) lgkmcnt(1)
	v_fma_f64 v[112:113], v[145:146], v[113:114], v[121:122]
	s_waitcnt vmcnt(5)
	v_fma_f64 v[112:113], v[143:144], v[115:116], v[112:113]
	s_waitcnt vmcnt(4) lgkmcnt(0)
	v_fma_f64 v[112:113], v[133:134], v[117:118], v[112:113]
	s_waitcnt vmcnt(2)
	v_fma_f64 v[112:113], v[123:124], v[119:120], v[112:113]
	s_waitcnt vmcnt(0)
	v_add_f64 v[112:113], v[131:132], -v[112:113]
	buffer_store_dword v113, off, s[0:3], 0 offset:20
	buffer_store_dword v112, off, s[0:3], 0 offset:16
	s_and_saveexec_b64 s[4:5], vcc
	s_cbranch_execz .LBB54_335
; %bb.334:
	buffer_load_dword v112, off, s[0:3], 0 offset:8
	buffer_load_dword v113, off, s[0:3], 0 offset:12
	v_mov_b32_e32 v114, 0
	buffer_store_dword v114, off, s[0:3], 0 offset:8
	buffer_store_dword v114, off, s[0:3], 0 offset:12
	s_waitcnt vmcnt(2)
	ds_write_b64 v111, v[112:113]
.LBB54_335:
	s_or_b64 exec, exec, s[4:5]
	s_waitcnt lgkmcnt(0)
	; wave barrier
	buffer_load_dword v121, off, s[0:3], 0 offset:16
	buffer_load_dword v122, off, s[0:3], 0 offset:20
	;; [unrolled: 1-line block ×22, first 2 shown]
	v_mov_b32_e32 v112, 0
	ds_read_b128 v[113:116], v112 offset:464
	ds_read_b128 v[117:120], v112 offset:480
	v_cmp_ne_u32_e32 vcc, 0, v0
	s_waitcnt vmcnt(20) lgkmcnt(1)
	v_fma_f64 v[113:114], v[121:122], v[113:114], 0
	s_waitcnt vmcnt(18)
	v_fma_f64 v[113:114], v[123:124], v[115:116], v[113:114]
	buffer_load_dword v122, off, s[0:3], 0 offset:108
	buffer_load_dword v123, off, s[0:3], 0 offset:128
	;; [unrolled: 1-line block ×7, first 2 shown]
	s_waitcnt vmcnt(23) lgkmcnt(0)
	v_fma_f64 v[113:114], v[125:126], v[117:118], v[113:114]
	s_waitcnt vmcnt(21)
	v_fma_f64 v[124:125], v[127:128], v[119:120], v[113:114]
	ds_read_b128 v[113:116], v112 offset:496
	ds_read_b128 v[117:120], v112 offset:512
	s_waitcnt vmcnt(19) lgkmcnt(1)
	v_fma_f64 v[113:114], v[129:130], v[113:114], v[124:125]
	buffer_load_dword v124, off, s[0:3], 0 offset:132
	s_waitcnt vmcnt(18)
	v_fma_f64 v[113:114], v[131:132], v[115:116], v[113:114]
	buffer_load_dword v126, off, s[0:3], 0 offset:140
	buffer_load_dword v127, off, s[0:3], 0 offset:160
	;; [unrolled: 1-line block ×7, first 2 shown]
	s_waitcnt vmcnt(23) lgkmcnt(0)
	v_fma_f64 v[113:114], v[133:134], v[117:118], v[113:114]
	s_waitcnt vmcnt(18)
	v_fma_f64 v[133:134], v[135:136], v[119:120], v[113:114]
	ds_read_b128 v[113:116], v112 offset:528
	ds_read_b128 v[117:120], v112 offset:544
	buffer_load_dword v128, off, s[0:3], 0 offset:164
	s_waitcnt vmcnt(18) lgkmcnt(1)
	v_fma_f64 v[113:114], v[141:142], v[113:114], v[133:134]
	s_waitcnt vmcnt(17)
	v_fma_f64 v[113:114], v[139:140], v[115:116], v[113:114]
	buffer_load_dword v134, off, s[0:3], 0 offset:172
	buffer_load_dword v135, off, s[0:3], 0 offset:192
	;; [unrolled: 1-line block ×8, first 2 shown]
	s_waitcnt vmcnt(24) lgkmcnt(0)
	v_fma_f64 v[113:114], v[137:138], v[117:118], v[113:114]
	s_waitcnt vmcnt(19)
	v_fma_f64 v[121:122], v[121:122], v[119:120], v[113:114]
	ds_read_b128 v[113:116], v112 offset:560
	ds_read_b128 v[117:120], v112 offset:576
	s_waitcnt vmcnt(18) lgkmcnt(1)
	v_fma_f64 v[113:114], v[145:146], v[113:114], v[121:122]
	s_waitcnt vmcnt(17)
	v_fma_f64 v[113:114], v[143:144], v[115:116], v[113:114]
	buffer_load_dword v122, off, s[0:3], 0 offset:204
	buffer_load_dword v137, off, s[0:3], 0 offset:224
	;; [unrolled: 1-line block ×7, first 2 shown]
	s_waitcnt vmcnt(23) lgkmcnt(0)
	v_fma_f64 v[113:114], v[123:124], v[117:118], v[113:114]
	s_waitcnt vmcnt(18)
	v_fma_f64 v[123:124], v[125:126], v[119:120], v[113:114]
	ds_read_b128 v[113:116], v112 offset:592
	ds_read_b128 v[117:120], v112 offset:608
	buffer_load_dword v138, off, s[0:3], 0 offset:228
	s_waitcnt vmcnt(18) lgkmcnt(1)
	v_fma_f64 v[113:114], v[131:132], v[113:114], v[123:124]
	s_waitcnt vmcnt(17)
	v_fma_f64 v[113:114], v[129:130], v[115:116], v[113:114]
	buffer_load_dword v124, off, s[0:3], 0 offset:236
	buffer_load_dword v125, off, s[0:3], 0 offset:256
	;; [unrolled: 1-line block ×7, first 2 shown]
	s_waitcnt vmcnt(23) lgkmcnt(0)
	v_fma_f64 v[113:114], v[127:128], v[117:118], v[113:114]
	s_waitcnt vmcnt(18)
	v_fma_f64 v[126:127], v[133:134], v[119:120], v[113:114]
	ds_read_b128 v[113:116], v112 offset:624
	ds_read_b128 v[117:120], v112 offset:640
	s_waitcnt vmcnt(17) lgkmcnt(1)
	v_fma_f64 v[113:114], v[141:142], v[113:114], v[126:127]
	buffer_load_dword v126, off, s[0:3], 0 offset:260
	s_waitcnt vmcnt(17)
	v_fma_f64 v[113:114], v[139:140], v[115:116], v[113:114]
	buffer_load_dword v128, off, s[0:3], 0 offset:268
	buffer_load_dword v133, off, s[0:3], 0 offset:288
	;; [unrolled: 1-line block ×8, first 2 shown]
	s_waitcnt vmcnt(24) lgkmcnt(0)
	v_fma_f64 v[113:114], v[135:136], v[117:118], v[113:114]
	s_waitcnt vmcnt(19)
	v_fma_f64 v[121:122], v[121:122], v[119:120], v[113:114]
	ds_read_b128 v[113:116], v112 offset:656
	ds_read_b128 v[117:120], v112 offset:672
	s_waitcnt vmcnt(18) lgkmcnt(1)
	v_fma_f64 v[113:114], v[145:146], v[113:114], v[121:122]
	s_waitcnt vmcnt(17)
	v_fma_f64 v[113:114], v[143:144], v[115:116], v[113:114]
	buffer_load_dword v122, off, s[0:3], 0 offset:300
	buffer_load_dword v135, off, s[0:3], 0 offset:320
	;; [unrolled: 1-line block ×7, first 2 shown]
	s_waitcnt vmcnt(23) lgkmcnt(0)
	v_fma_f64 v[113:114], v[137:138], v[117:118], v[113:114]
	s_waitcnt vmcnt(18)
	v_fma_f64 v[123:124], v[123:124], v[119:120], v[113:114]
	ds_read_b128 v[113:116], v112 offset:688
	ds_read_b128 v[117:120], v112 offset:704
	buffer_load_dword v136, off, s[0:3], 0 offset:324
	s_waitcnt vmcnt(18) lgkmcnt(1)
	v_fma_f64 v[113:114], v[131:132], v[113:114], v[123:124]
	s_waitcnt vmcnt(17)
	v_fma_f64 v[113:114], v[129:130], v[115:116], v[113:114]
	buffer_load_dword v124, off, s[0:3], 0 offset:332
	buffer_load_dword v129, off, s[0:3], 0 offset:352
	;; [unrolled: 1-line block ×7, first 2 shown]
	s_waitcnt vmcnt(23) lgkmcnt(0)
	v_fma_f64 v[113:114], v[125:126], v[117:118], v[113:114]
	s_waitcnt vmcnt(18)
	v_fma_f64 v[125:126], v[127:128], v[119:120], v[113:114]
	ds_read_b128 v[113:116], v112 offset:720
	ds_read_b128 v[117:120], v112 offset:736
	buffer_load_dword v130, off, s[0:3], 0 offset:356
	s_waitcnt vmcnt(18) lgkmcnt(1)
	v_fma_f64 v[113:114], v[141:142], v[113:114], v[125:126]
	s_waitcnt vmcnt(17)
	v_fma_f64 v[113:114], v[139:140], v[115:116], v[113:114]
	buffer_load_dword v126, off, s[0:3], 0 offset:364
	buffer_load_dword v127, off, s[0:3], 0 offset:384
	;; [unrolled: 1-line block ×8, first 2 shown]
	s_waitcnt vmcnt(24) lgkmcnt(0)
	v_fma_f64 v[113:114], v[133:134], v[117:118], v[113:114]
	s_waitcnt vmcnt(19)
	v_fma_f64 v[121:122], v[121:122], v[119:120], v[113:114]
	ds_read_b128 v[113:116], v112 offset:752
	ds_read_b128 v[117:120], v112 offset:768
	s_waitcnt vmcnt(18) lgkmcnt(1)
	v_fma_f64 v[113:114], v[145:146], v[113:114], v[121:122]
	s_waitcnt vmcnt(17)
	v_fma_f64 v[113:114], v[143:144], v[115:116], v[113:114]
	buffer_load_dword v122, off, s[0:3], 0 offset:396
	buffer_load_dword v133, off, s[0:3], 0 offset:416
	;; [unrolled: 1-line block ×7, first 2 shown]
	s_waitcnt vmcnt(23) lgkmcnt(0)
	v_fma_f64 v[113:114], v[135:136], v[117:118], v[113:114]
	s_waitcnt vmcnt(18)
	v_fma_f64 v[123:124], v[123:124], v[119:120], v[113:114]
	ds_read_b128 v[113:116], v112 offset:784
	ds_read_b128 v[117:120], v112 offset:800
	buffer_load_dword v134, off, s[0:3], 0 offset:420
	s_waitcnt vmcnt(18) lgkmcnt(1)
	v_fma_f64 v[113:114], v[137:138], v[113:114], v[123:124]
	s_waitcnt vmcnt(17)
	v_fma_f64 v[113:114], v[131:132], v[115:116], v[113:114]
	buffer_load_dword v124, off, s[0:3], 0 offset:428
	buffer_load_dword v131, off, s[0:3], 0 offset:432
	;; [unrolled: 1-line block ×4, first 2 shown]
	s_waitcnt vmcnt(20) lgkmcnt(0)
	v_fma_f64 v[113:114], v[129:130], v[117:118], v[113:114]
	buffer_load_dword v129, off, s[0:3], 0 offset:8
	buffer_load_dword v130, off, s[0:3], 0 offset:12
	s_waitcnt vmcnt(17)
	v_fma_f64 v[125:126], v[125:126], v[119:120], v[113:114]
	ds_read_b128 v[113:116], v112 offset:816
	ds_read_b128 v[117:120], v112 offset:832
	s_waitcnt vmcnt(16) lgkmcnt(1)
	v_fma_f64 v[113:114], v[141:142], v[113:114], v[125:126]
	s_waitcnt vmcnt(15)
	v_fma_f64 v[113:114], v[139:140], v[115:116], v[113:114]
	s_waitcnt vmcnt(14) lgkmcnt(0)
	v_fma_f64 v[113:114], v[127:128], v[117:118], v[113:114]
	s_waitcnt vmcnt(9)
	v_fma_f64 v[121:122], v[121:122], v[119:120], v[113:114]
	ds_read_b128 v[113:116], v112 offset:848
	ds_read_b128 v[117:120], v112 offset:864
	s_waitcnt vmcnt(8) lgkmcnt(1)
	v_fma_f64 v[113:114], v[145:146], v[113:114], v[121:122]
	s_waitcnt vmcnt(7)
	v_fma_f64 v[113:114], v[143:144], v[115:116], v[113:114]
	ds_read_b64 v[115:116], v112 offset:880
	s_waitcnt vmcnt(6) lgkmcnt(1)
	v_fma_f64 v[113:114], v[133:134], v[117:118], v[113:114]
	s_waitcnt vmcnt(3)
	v_fma_f64 v[113:114], v[123:124], v[119:120], v[113:114]
	s_waitcnt vmcnt(2) lgkmcnt(0)
	v_fma_f64 v[113:114], v[131:132], v[115:116], v[113:114]
	s_waitcnt vmcnt(0)
	v_add_f64 v[113:114], v[129:130], -v[113:114]
	buffer_store_dword v114, off, s[0:3], 0 offset:12
	buffer_store_dword v113, off, s[0:3], 0 offset:8
	s_and_saveexec_b64 s[4:5], vcc
	s_cbranch_execz .LBB54_337
; %bb.336:
	buffer_load_dword v113, off, s[0:3], 0
	buffer_load_dword v114, off, s[0:3], 0 offset:4
	s_waitcnt vmcnt(0)
	ds_write_b64 v111, v[113:114]
	buffer_store_dword v112, off, s[0:3], 0
	buffer_store_dword v112, off, s[0:3], 0 offset:4
.LBB54_337:
	s_or_b64 exec, exec, s[4:5]
	s_waitcnt lgkmcnt(0)
	; wave barrier
	buffer_load_dword v121, off, s[0:3], 0 offset:8
	buffer_load_dword v122, off, s[0:3], 0 offset:12
	;; [unrolled: 1-line block ×22, first 2 shown]
	ds_read2_b64 v[113:116], v112 offset0:57 offset1:58
	ds_read2_b64 v[117:120], v112 offset0:59 offset1:60
	s_and_b64 vcc, exec, s[22:23]
	s_waitcnt vmcnt(20) lgkmcnt(1)
	v_fma_f64 v[113:114], v[121:122], v[113:114], 0
	s_waitcnt vmcnt(18)
	v_fma_f64 v[113:114], v[123:124], v[115:116], v[113:114]
	buffer_load_dword v122, off, s[0:3], 0 offset:100
	buffer_load_dword v123, off, s[0:3], 0 offset:120
	;; [unrolled: 1-line block ×7, first 2 shown]
	s_waitcnt vmcnt(23) lgkmcnt(0)
	v_fma_f64 v[113:114], v[125:126], v[117:118], v[113:114]
	s_waitcnt vmcnt(21)
	v_fma_f64 v[124:125], v[127:128], v[119:120], v[113:114]
	ds_read2_b64 v[113:116], v112 offset0:61 offset1:62
	ds_read2_b64 v[117:120], v112 offset0:63 offset1:64
	s_waitcnt vmcnt(19) lgkmcnt(1)
	v_fma_f64 v[113:114], v[129:130], v[113:114], v[124:125]
	buffer_load_dword v124, off, s[0:3], 0 offset:124
	s_waitcnt vmcnt(18)
	v_fma_f64 v[113:114], v[131:132], v[115:116], v[113:114]
	buffer_load_dword v126, off, s[0:3], 0 offset:132
	buffer_load_dword v127, off, s[0:3], 0 offset:152
	buffer_load_dword v129, off, s[0:3], 0 offset:144
	buffer_load_dword v131, off, s[0:3], 0 offset:136
	buffer_load_dword v125, off, s[0:3], 0 offset:128
	buffer_load_dword v132, off, s[0:3], 0 offset:140
	buffer_load_dword v130, off, s[0:3], 0 offset:148
	s_waitcnt vmcnt(23) lgkmcnt(0)
	v_fma_f64 v[113:114], v[133:134], v[117:118], v[113:114]
	s_waitcnt vmcnt(18)
	v_fma_f64 v[133:134], v[135:136], v[119:120], v[113:114]
	ds_read2_b64 v[113:116], v112 offset0:65 offset1:66
	ds_read2_b64 v[117:120], v112 offset0:67 offset1:68
	buffer_load_dword v128, off, s[0:3], 0 offset:156
	s_waitcnt vmcnt(18) lgkmcnt(1)
	v_fma_f64 v[113:114], v[141:142], v[113:114], v[133:134]
	s_waitcnt vmcnt(17)
	v_fma_f64 v[113:114], v[139:140], v[115:116], v[113:114]
	buffer_load_dword v134, off, s[0:3], 0 offset:164
	buffer_load_dword v135, off, s[0:3], 0 offset:184
	;; [unrolled: 1-line block ×8, first 2 shown]
	s_waitcnt vmcnt(24) lgkmcnt(0)
	v_fma_f64 v[113:114], v[137:138], v[117:118], v[113:114]
	s_waitcnt vmcnt(19)
	v_fma_f64 v[121:122], v[121:122], v[119:120], v[113:114]
	ds_read2_b64 v[113:116], v112 offset0:69 offset1:70
	ds_read2_b64 v[117:120], v112 offset0:71 offset1:72
	s_waitcnt vmcnt(18) lgkmcnt(1)
	v_fma_f64 v[113:114], v[145:146], v[113:114], v[121:122]
	s_waitcnt vmcnt(17)
	v_fma_f64 v[113:114], v[143:144], v[115:116], v[113:114]
	buffer_load_dword v122, off, s[0:3], 0 offset:196
	buffer_load_dword v137, off, s[0:3], 0 offset:216
	;; [unrolled: 1-line block ×8, first 2 shown]
	s_waitcnt vmcnt(24) lgkmcnt(0)
	v_fma_f64 v[113:114], v[123:124], v[117:118], v[113:114]
	s_waitcnt vmcnt(19)
	v_fma_f64 v[123:124], v[125:126], v[119:120], v[113:114]
	ds_read2_b64 v[113:116], v112 offset0:73 offset1:74
	ds_read2_b64 v[117:120], v112 offset0:75 offset1:76
	s_waitcnt vmcnt(18) lgkmcnt(1)
	v_fma_f64 v[113:114], v[131:132], v[113:114], v[123:124]
	s_waitcnt vmcnt(17)
	v_fma_f64 v[113:114], v[129:130], v[115:116], v[113:114]
	buffer_load_dword v124, off, s[0:3], 0 offset:228
	buffer_load_dword v125, off, s[0:3], 0 offset:248
	;; [unrolled: 1-line block ×7, first 2 shown]
	s_waitcnt vmcnt(23) lgkmcnt(0)
	v_fma_f64 v[113:114], v[127:128], v[117:118], v[113:114]
	s_waitcnt vmcnt(18)
	v_fma_f64 v[126:127], v[133:134], v[119:120], v[113:114]
	ds_read2_b64 v[113:116], v112 offset0:77 offset1:78
	ds_read2_b64 v[117:120], v112 offset0:79 offset1:80
	s_waitcnt vmcnt(17) lgkmcnt(1)
	v_fma_f64 v[113:114], v[141:142], v[113:114], v[126:127]
	buffer_load_dword v126, off, s[0:3], 0 offset:252
	s_waitcnt vmcnt(17)
	v_fma_f64 v[113:114], v[139:140], v[115:116], v[113:114]
	buffer_load_dword v128, off, s[0:3], 0 offset:260
	buffer_load_dword v133, off, s[0:3], 0 offset:280
	;; [unrolled: 1-line block ×8, first 2 shown]
	s_waitcnt vmcnt(24) lgkmcnt(0)
	v_fma_f64 v[113:114], v[135:136], v[117:118], v[113:114]
	s_waitcnt vmcnt(19)
	v_fma_f64 v[121:122], v[121:122], v[119:120], v[113:114]
	ds_read2_b64 v[113:116], v112 offset0:81 offset1:82
	ds_read2_b64 v[117:120], v112 offset0:83 offset1:84
	s_waitcnt vmcnt(18) lgkmcnt(1)
	v_fma_f64 v[113:114], v[145:146], v[113:114], v[121:122]
	s_waitcnt vmcnt(17)
	v_fma_f64 v[113:114], v[143:144], v[115:116], v[113:114]
	buffer_load_dword v122, off, s[0:3], 0 offset:292
	buffer_load_dword v135, off, s[0:3], 0 offset:312
	;; [unrolled: 1-line block ×8, first 2 shown]
	s_waitcnt vmcnt(24) lgkmcnt(0)
	v_fma_f64 v[113:114], v[137:138], v[117:118], v[113:114]
	s_waitcnt vmcnt(19)
	v_fma_f64 v[123:124], v[123:124], v[119:120], v[113:114]
	ds_read2_b64 v[113:116], v112 offset0:85 offset1:86
	ds_read2_b64 v[117:120], v112 offset0:87 offset1:88
	s_waitcnt vmcnt(18) lgkmcnt(1)
	v_fma_f64 v[113:114], v[131:132], v[113:114], v[123:124]
	s_waitcnt vmcnt(17)
	v_fma_f64 v[113:114], v[129:130], v[115:116], v[113:114]
	buffer_load_dword v124, off, s[0:3], 0 offset:324
	buffer_load_dword v129, off, s[0:3], 0 offset:344
	;; [unrolled: 1-line block ×7, first 2 shown]
	s_waitcnt vmcnt(23) lgkmcnt(0)
	v_fma_f64 v[113:114], v[125:126], v[117:118], v[113:114]
	s_waitcnt vmcnt(18)
	v_fma_f64 v[125:126], v[127:128], v[119:120], v[113:114]
	ds_read2_b64 v[113:116], v112 offset0:89 offset1:90
	ds_read2_b64 v[117:120], v112 offset0:91 offset1:92
	buffer_load_dword v130, off, s[0:3], 0 offset:348
	s_waitcnt vmcnt(18) lgkmcnt(1)
	v_fma_f64 v[113:114], v[141:142], v[113:114], v[125:126]
	s_waitcnt vmcnt(17)
	v_fma_f64 v[113:114], v[139:140], v[115:116], v[113:114]
	buffer_load_dword v126, off, s[0:3], 0 offset:356
	buffer_load_dword v127, off, s[0:3], 0 offset:376
	buffer_load_dword v139, off, s[0:3], 0 offset:368
	buffer_load_dword v141, off, s[0:3], 0 offset:360
	buffer_load_dword v125, off, s[0:3], 0 offset:352
	buffer_load_dword v142, off, s[0:3], 0 offset:364
	buffer_load_dword v140, off, s[0:3], 0 offset:372
	buffer_load_dword v128, off, s[0:3], 0 offset:380
	s_waitcnt vmcnt(24) lgkmcnt(0)
	v_fma_f64 v[113:114], v[133:134], v[117:118], v[113:114]
	s_waitcnt vmcnt(19)
	v_fma_f64 v[121:122], v[121:122], v[119:120], v[113:114]
	ds_read2_b64 v[113:116], v112 offset0:93 offset1:94
	ds_read2_b64 v[117:120], v112 offset0:95 offset1:96
	s_waitcnt vmcnt(18) lgkmcnt(1)
	v_fma_f64 v[113:114], v[145:146], v[113:114], v[121:122]
	s_waitcnt vmcnt(17)
	v_fma_f64 v[113:114], v[143:144], v[115:116], v[113:114]
	buffer_load_dword v134, off, s[0:3], 0 offset:388
	buffer_load_dword v143, off, s[0:3], 0 offset:408
	buffer_load_dword v145, off, s[0:3], 0 offset:400
	buffer_load_dword v147, off, s[0:3], 0 offset:392
	buffer_load_dword v133, off, s[0:3], 0 offset:384
	buffer_load_dword v148, off, s[0:3], 0 offset:396
	buffer_load_dword v146, off, s[0:3], 0 offset:404
	buffer_load_dword v144, off, s[0:3], 0 offset:412
	s_waitcnt vmcnt(24) lgkmcnt(0)
	v_fma_f64 v[113:114], v[135:136], v[117:118], v[113:114]
	s_waitcnt vmcnt(19)
	v_fma_f64 v[121:122], v[123:124], v[119:120], v[113:114]
	ds_read2_b64 v[113:116], v112 offset0:97 offset1:98
	ds_read2_b64 v[117:120], v112 offset0:99 offset1:100
	s_waitcnt vmcnt(18) lgkmcnt(1)
	v_fma_f64 v[113:114], v[137:138], v[113:114], v[121:122]
	s_waitcnt vmcnt(17)
	v_fma_f64 v[114:115], v[131:132], v[115:116], v[113:114]
	buffer_load_dword v124, off, s[0:3], 0 offset:420
	buffer_load_dword v131, off, s[0:3], 0 offset:432
	buffer_load_dword v113, off, s[0:3], 0 offset:424
	buffer_load_dword v123, off, s[0:3], 0 offset:416
	s_waitcnt vmcnt(20) lgkmcnt(0)
	v_fma_f64 v[115:116], v[129:130], v[117:118], v[114:115]
	buffer_load_dword v114, off, s[0:3], 0 offset:428
	buffer_load_dword v132, off, s[0:3], 0 offset:436
	s_waitcnt vmcnt(17)
	v_fma_f64 v[125:126], v[125:126], v[119:120], v[115:116]
	ds_read2_b64 v[115:118], v112 offset0:101 offset1:102
	buffer_load_dword v129, off, s[0:3], 0
	buffer_load_dword v130, off, s[0:3], 0 offset:4
	ds_read2_b64 v[119:122], v112 offset0:103 offset1:104
	s_waitcnt vmcnt(18) lgkmcnt(1)
	v_fma_f64 v[115:116], v[141:142], v[115:116], v[125:126]
	s_waitcnt vmcnt(17)
	v_fma_f64 v[115:116], v[139:140], v[117:118], v[115:116]
	s_waitcnt vmcnt(16) lgkmcnt(0)
	v_fma_f64 v[115:116], v[127:128], v[119:120], v[115:116]
	s_waitcnt vmcnt(11)
	v_fma_f64 v[125:126], v[133:134], v[121:122], v[115:116]
	ds_read2_b64 v[115:118], v112 offset0:105 offset1:106
	ds_read2_b64 v[119:122], v112 offset0:107 offset1:108
	s_waitcnt vmcnt(10) lgkmcnt(1)
	v_fma_f64 v[115:116], v[147:148], v[115:116], v[125:126]
	s_waitcnt vmcnt(9)
	v_fma_f64 v[115:116], v[145:146], v[117:118], v[115:116]
	s_waitcnt vmcnt(8) lgkmcnt(0)
	v_fma_f64 v[115:116], v[143:144], v[119:120], v[115:116]
	s_waitcnt vmcnt(4)
	v_fma_f64 v[119:120], v[123:124], v[121:122], v[115:116]
	ds_read2_b64 v[115:118], v112 offset0:109 offset1:110
	s_waitcnt vmcnt(3) lgkmcnt(0)
	v_fma_f64 v[111:112], v[113:114], v[115:116], v[119:120]
	s_waitcnt vmcnt(2)
	v_fma_f64 v[111:112], v[131:132], v[117:118], v[111:112]
	s_waitcnt vmcnt(0)
	v_add_f64 v[111:112], v[129:130], -v[111:112]
	buffer_store_dword v112, off, s[0:3], 0 offset:4
	buffer_store_dword v111, off, s[0:3], 0
	s_cbranch_vccz .LBB54_446
; %bb.338:
	v_mov_b32_e32 v0, 0
	global_load_dword v111, v0, s[20:21] offset:212
	s_waitcnt vmcnt(0)
	v_add_u32_e32 v111, -1, v111
	v_cmp_ne_u32_e32 vcc, 53, v111
	s_cbranch_vccz .LBB54_340
; %bb.339:
	v_lshlrev_b32_e32 v111, 3, v111
	buffer_load_dword v112, v111, s[0:3], 0 offen
	buffer_load_dword v115, v111, s[0:3], 0 offen offset:4
	s_waitcnt vmcnt(1)
	buffer_store_dword v112, off, s[0:3], 0 offset:424
	s_waitcnt vmcnt(1)
	buffer_store_dword v115, off, s[0:3], 0 offset:428
	buffer_store_dword v113, v111, s[0:3], 0 offen
	buffer_store_dword v114, v111, s[0:3], 0 offen offset:4
.LBB54_340:
	global_load_dword v0, v0, s[20:21] offset:208
	s_waitcnt vmcnt(0)
	v_add_u32_e32 v0, -1, v0
	v_cmp_eq_u32_e32 vcc, 52, v0
	s_cbranch_vccnz .LBB54_342
; %bb.341:
	v_lshlrev_b32_e32 v0, 3, v0
	buffer_load_dword v111, v0, s[0:3], 0 offen
	buffer_load_dword v112, v0, s[0:3], 0 offen offset:4
	buffer_load_dword v113, off, s[0:3], 0 offset:420
	buffer_load_dword v114, off, s[0:3], 0 offset:416
	s_waitcnt vmcnt(3)
	buffer_store_dword v111, off, s[0:3], 0 offset:416
	s_waitcnt vmcnt(3)
	buffer_store_dword v112, off, s[0:3], 0 offset:420
	s_waitcnt vmcnt(3)
	buffer_store_dword v113, v0, s[0:3], 0 offen offset:4
	s_waitcnt vmcnt(3)
	buffer_store_dword v114, v0, s[0:3], 0 offen
.LBB54_342:
	v_mov_b32_e32 v0, 0
	global_load_dword v111, v0, s[20:21] offset:204
	s_waitcnt vmcnt(0)
	v_add_u32_e32 v111, -1, v111
	v_cmp_eq_u32_e32 vcc, 51, v111
	s_cbranch_vccnz .LBB54_344
; %bb.343:
	v_lshlrev_b32_e32 v111, 3, v111
	buffer_load_dword v112, v111, s[0:3], 0 offen
	buffer_load_dword v113, v111, s[0:3], 0 offen offset:4
	buffer_load_dword v114, off, s[0:3], 0 offset:408
	buffer_load_dword v115, off, s[0:3], 0 offset:412
	s_waitcnt vmcnt(3)
	buffer_store_dword v112, off, s[0:3], 0 offset:408
	s_waitcnt vmcnt(3)
	buffer_store_dword v113, off, s[0:3], 0 offset:412
	s_waitcnt vmcnt(3)
	buffer_store_dword v114, v111, s[0:3], 0 offen
	s_waitcnt vmcnt(3)
	buffer_store_dword v115, v111, s[0:3], 0 offen offset:4
.LBB54_344:
	global_load_dword v0, v0, s[20:21] offset:200
	s_waitcnt vmcnt(0)
	v_add_u32_e32 v0, -1, v0
	v_cmp_eq_u32_e32 vcc, 50, v0
	s_cbranch_vccnz .LBB54_346
; %bb.345:
	v_lshlrev_b32_e32 v0, 3, v0
	buffer_load_dword v111, v0, s[0:3], 0 offen
	buffer_load_dword v112, v0, s[0:3], 0 offen offset:4
	buffer_load_dword v113, off, s[0:3], 0 offset:404
	buffer_load_dword v114, off, s[0:3], 0 offset:400
	s_waitcnt vmcnt(3)
	buffer_store_dword v111, off, s[0:3], 0 offset:400
	s_waitcnt vmcnt(3)
	buffer_store_dword v112, off, s[0:3], 0 offset:404
	s_waitcnt vmcnt(3)
	buffer_store_dword v113, v0, s[0:3], 0 offen offset:4
	s_waitcnt vmcnt(3)
	buffer_store_dword v114, v0, s[0:3], 0 offen
.LBB54_346:
	v_mov_b32_e32 v0, 0
	global_load_dword v111, v0, s[20:21] offset:196
	s_waitcnt vmcnt(0)
	v_add_u32_e32 v111, -1, v111
	v_cmp_eq_u32_e32 vcc, 49, v111
	s_cbranch_vccnz .LBB54_348
; %bb.347:
	v_lshlrev_b32_e32 v111, 3, v111
	buffer_load_dword v112, v111, s[0:3], 0 offen
	buffer_load_dword v113, v111, s[0:3], 0 offen offset:4
	buffer_load_dword v114, off, s[0:3], 0 offset:392
	buffer_load_dword v115, off, s[0:3], 0 offset:396
	s_waitcnt vmcnt(3)
	buffer_store_dword v112, off, s[0:3], 0 offset:392
	s_waitcnt vmcnt(3)
	buffer_store_dword v113, off, s[0:3], 0 offset:396
	s_waitcnt vmcnt(3)
	buffer_store_dword v114, v111, s[0:3], 0 offen
	s_waitcnt vmcnt(3)
	buffer_store_dword v115, v111, s[0:3], 0 offen offset:4
.LBB54_348:
	global_load_dword v0, v0, s[20:21] offset:192
	s_waitcnt vmcnt(0)
	v_add_u32_e32 v0, -1, v0
	v_cmp_eq_u32_e32 vcc, 48, v0
	s_cbranch_vccnz .LBB54_350
; %bb.349:
	v_lshlrev_b32_e32 v0, 3, v0
	buffer_load_dword v111, v0, s[0:3], 0 offen
	buffer_load_dword v112, v0, s[0:3], 0 offen offset:4
	buffer_load_dword v113, off, s[0:3], 0 offset:388
	buffer_load_dword v114, off, s[0:3], 0 offset:384
	s_waitcnt vmcnt(3)
	buffer_store_dword v111, off, s[0:3], 0 offset:384
	s_waitcnt vmcnt(3)
	buffer_store_dword v112, off, s[0:3], 0 offset:388
	s_waitcnt vmcnt(3)
	buffer_store_dword v113, v0, s[0:3], 0 offen offset:4
	s_waitcnt vmcnt(3)
	buffer_store_dword v114, v0, s[0:3], 0 offen
.LBB54_350:
	v_mov_b32_e32 v0, 0
	global_load_dword v111, v0, s[20:21] offset:188
	s_waitcnt vmcnt(0)
	v_add_u32_e32 v111, -1, v111
	v_cmp_eq_u32_e32 vcc, 47, v111
	s_cbranch_vccnz .LBB54_352
; %bb.351:
	v_lshlrev_b32_e32 v111, 3, v111
	buffer_load_dword v112, v111, s[0:3], 0 offen
	buffer_load_dword v113, v111, s[0:3], 0 offen offset:4
	buffer_load_dword v114, off, s[0:3], 0 offset:376
	buffer_load_dword v115, off, s[0:3], 0 offset:380
	s_waitcnt vmcnt(3)
	buffer_store_dword v112, off, s[0:3], 0 offset:376
	s_waitcnt vmcnt(3)
	buffer_store_dword v113, off, s[0:3], 0 offset:380
	s_waitcnt vmcnt(3)
	buffer_store_dword v114, v111, s[0:3], 0 offen
	s_waitcnt vmcnt(3)
	buffer_store_dword v115, v111, s[0:3], 0 offen offset:4
.LBB54_352:
	global_load_dword v0, v0, s[20:21] offset:184
	s_waitcnt vmcnt(0)
	v_add_u32_e32 v0, -1, v0
	v_cmp_eq_u32_e32 vcc, 46, v0
	s_cbranch_vccnz .LBB54_354
; %bb.353:
	v_lshlrev_b32_e32 v0, 3, v0
	buffer_load_dword v111, v0, s[0:3], 0 offen
	buffer_load_dword v112, v0, s[0:3], 0 offen offset:4
	buffer_load_dword v113, off, s[0:3], 0 offset:372
	buffer_load_dword v114, off, s[0:3], 0 offset:368
	s_waitcnt vmcnt(3)
	buffer_store_dword v111, off, s[0:3], 0 offset:368
	s_waitcnt vmcnt(3)
	buffer_store_dword v112, off, s[0:3], 0 offset:372
	s_waitcnt vmcnt(3)
	buffer_store_dword v113, v0, s[0:3], 0 offen offset:4
	s_waitcnt vmcnt(3)
	buffer_store_dword v114, v0, s[0:3], 0 offen
.LBB54_354:
	v_mov_b32_e32 v0, 0
	global_load_dword v111, v0, s[20:21] offset:180
	s_waitcnt vmcnt(0)
	v_add_u32_e32 v111, -1, v111
	v_cmp_eq_u32_e32 vcc, 45, v111
	s_cbranch_vccnz .LBB54_356
; %bb.355:
	v_lshlrev_b32_e32 v111, 3, v111
	buffer_load_dword v112, v111, s[0:3], 0 offen
	buffer_load_dword v113, v111, s[0:3], 0 offen offset:4
	buffer_load_dword v114, off, s[0:3], 0 offset:360
	buffer_load_dword v115, off, s[0:3], 0 offset:364
	s_waitcnt vmcnt(3)
	buffer_store_dword v112, off, s[0:3], 0 offset:360
	s_waitcnt vmcnt(3)
	buffer_store_dword v113, off, s[0:3], 0 offset:364
	s_waitcnt vmcnt(3)
	buffer_store_dword v114, v111, s[0:3], 0 offen
	s_waitcnt vmcnt(3)
	buffer_store_dword v115, v111, s[0:3], 0 offen offset:4
.LBB54_356:
	global_load_dword v0, v0, s[20:21] offset:176
	s_waitcnt vmcnt(0)
	v_add_u32_e32 v0, -1, v0
	v_cmp_eq_u32_e32 vcc, 44, v0
	s_cbranch_vccnz .LBB54_358
; %bb.357:
	v_lshlrev_b32_e32 v0, 3, v0
	buffer_load_dword v111, v0, s[0:3], 0 offen
	buffer_load_dword v112, v0, s[0:3], 0 offen offset:4
	buffer_load_dword v113, off, s[0:3], 0 offset:356
	buffer_load_dword v114, off, s[0:3], 0 offset:352
	s_waitcnt vmcnt(3)
	buffer_store_dword v111, off, s[0:3], 0 offset:352
	s_waitcnt vmcnt(3)
	buffer_store_dword v112, off, s[0:3], 0 offset:356
	s_waitcnt vmcnt(3)
	buffer_store_dword v113, v0, s[0:3], 0 offen offset:4
	s_waitcnt vmcnt(3)
	buffer_store_dword v114, v0, s[0:3], 0 offen
.LBB54_358:
	v_mov_b32_e32 v0, 0
	global_load_dword v111, v0, s[20:21] offset:172
	s_waitcnt vmcnt(0)
	v_add_u32_e32 v111, -1, v111
	v_cmp_eq_u32_e32 vcc, 43, v111
	s_cbranch_vccnz .LBB54_360
; %bb.359:
	v_lshlrev_b32_e32 v111, 3, v111
	buffer_load_dword v112, v111, s[0:3], 0 offen
	buffer_load_dword v113, v111, s[0:3], 0 offen offset:4
	buffer_load_dword v114, off, s[0:3], 0 offset:344
	buffer_load_dword v115, off, s[0:3], 0 offset:348
	s_waitcnt vmcnt(3)
	buffer_store_dword v112, off, s[0:3], 0 offset:344
	s_waitcnt vmcnt(3)
	buffer_store_dword v113, off, s[0:3], 0 offset:348
	s_waitcnt vmcnt(3)
	buffer_store_dword v114, v111, s[0:3], 0 offen
	s_waitcnt vmcnt(3)
	buffer_store_dword v115, v111, s[0:3], 0 offen offset:4
.LBB54_360:
	global_load_dword v0, v0, s[20:21] offset:168
	s_waitcnt vmcnt(0)
	v_add_u32_e32 v0, -1, v0
	v_cmp_eq_u32_e32 vcc, 42, v0
	s_cbranch_vccnz .LBB54_362
; %bb.361:
	v_lshlrev_b32_e32 v0, 3, v0
	buffer_load_dword v111, v0, s[0:3], 0 offen
	buffer_load_dword v112, v0, s[0:3], 0 offen offset:4
	buffer_load_dword v113, off, s[0:3], 0 offset:340
	buffer_load_dword v114, off, s[0:3], 0 offset:336
	s_waitcnt vmcnt(3)
	buffer_store_dword v111, off, s[0:3], 0 offset:336
	s_waitcnt vmcnt(3)
	buffer_store_dword v112, off, s[0:3], 0 offset:340
	s_waitcnt vmcnt(3)
	buffer_store_dword v113, v0, s[0:3], 0 offen offset:4
	s_waitcnt vmcnt(3)
	buffer_store_dword v114, v0, s[0:3], 0 offen
.LBB54_362:
	v_mov_b32_e32 v0, 0
	global_load_dword v111, v0, s[20:21] offset:164
	s_waitcnt vmcnt(0)
	v_add_u32_e32 v111, -1, v111
	v_cmp_eq_u32_e32 vcc, 41, v111
	s_cbranch_vccnz .LBB54_364
; %bb.363:
	v_lshlrev_b32_e32 v111, 3, v111
	buffer_load_dword v112, v111, s[0:3], 0 offen
	buffer_load_dword v113, v111, s[0:3], 0 offen offset:4
	buffer_load_dword v114, off, s[0:3], 0 offset:328
	buffer_load_dword v115, off, s[0:3], 0 offset:332
	s_waitcnt vmcnt(3)
	buffer_store_dword v112, off, s[0:3], 0 offset:328
	s_waitcnt vmcnt(3)
	buffer_store_dword v113, off, s[0:3], 0 offset:332
	s_waitcnt vmcnt(3)
	buffer_store_dword v114, v111, s[0:3], 0 offen
	s_waitcnt vmcnt(3)
	buffer_store_dword v115, v111, s[0:3], 0 offen offset:4
.LBB54_364:
	global_load_dword v0, v0, s[20:21] offset:160
	s_waitcnt vmcnt(0)
	v_add_u32_e32 v0, -1, v0
	v_cmp_eq_u32_e32 vcc, 40, v0
	s_cbranch_vccnz .LBB54_366
; %bb.365:
	v_lshlrev_b32_e32 v0, 3, v0
	buffer_load_dword v111, v0, s[0:3], 0 offen
	buffer_load_dword v112, v0, s[0:3], 0 offen offset:4
	buffer_load_dword v113, off, s[0:3], 0 offset:324
	buffer_load_dword v114, off, s[0:3], 0 offset:320
	s_waitcnt vmcnt(3)
	buffer_store_dword v111, off, s[0:3], 0 offset:320
	s_waitcnt vmcnt(3)
	buffer_store_dword v112, off, s[0:3], 0 offset:324
	s_waitcnt vmcnt(3)
	buffer_store_dword v113, v0, s[0:3], 0 offen offset:4
	s_waitcnt vmcnt(3)
	buffer_store_dword v114, v0, s[0:3], 0 offen
.LBB54_366:
	v_mov_b32_e32 v0, 0
	global_load_dword v111, v0, s[20:21] offset:156
	s_waitcnt vmcnt(0)
	v_add_u32_e32 v111, -1, v111
	v_cmp_eq_u32_e32 vcc, 39, v111
	s_cbranch_vccnz .LBB54_368
; %bb.367:
	v_lshlrev_b32_e32 v111, 3, v111
	buffer_load_dword v112, v111, s[0:3], 0 offen
	buffer_load_dword v113, v111, s[0:3], 0 offen offset:4
	buffer_load_dword v114, off, s[0:3], 0 offset:312
	buffer_load_dword v115, off, s[0:3], 0 offset:316
	s_waitcnt vmcnt(3)
	buffer_store_dword v112, off, s[0:3], 0 offset:312
	s_waitcnt vmcnt(3)
	buffer_store_dword v113, off, s[0:3], 0 offset:316
	s_waitcnt vmcnt(3)
	buffer_store_dword v114, v111, s[0:3], 0 offen
	s_waitcnt vmcnt(3)
	buffer_store_dword v115, v111, s[0:3], 0 offen offset:4
.LBB54_368:
	global_load_dword v0, v0, s[20:21] offset:152
	s_waitcnt vmcnt(0)
	v_add_u32_e32 v0, -1, v0
	v_cmp_eq_u32_e32 vcc, 38, v0
	s_cbranch_vccnz .LBB54_370
; %bb.369:
	v_lshlrev_b32_e32 v0, 3, v0
	buffer_load_dword v111, v0, s[0:3], 0 offen
	buffer_load_dword v112, v0, s[0:3], 0 offen offset:4
	buffer_load_dword v113, off, s[0:3], 0 offset:308
	buffer_load_dword v114, off, s[0:3], 0 offset:304
	s_waitcnt vmcnt(3)
	buffer_store_dword v111, off, s[0:3], 0 offset:304
	s_waitcnt vmcnt(3)
	buffer_store_dword v112, off, s[0:3], 0 offset:308
	s_waitcnt vmcnt(3)
	buffer_store_dword v113, v0, s[0:3], 0 offen offset:4
	s_waitcnt vmcnt(3)
	buffer_store_dword v114, v0, s[0:3], 0 offen
.LBB54_370:
	v_mov_b32_e32 v0, 0
	global_load_dword v111, v0, s[20:21] offset:148
	s_waitcnt vmcnt(0)
	v_add_u32_e32 v111, -1, v111
	v_cmp_eq_u32_e32 vcc, 37, v111
	s_cbranch_vccnz .LBB54_372
; %bb.371:
	v_lshlrev_b32_e32 v111, 3, v111
	buffer_load_dword v112, v111, s[0:3], 0 offen
	buffer_load_dword v113, v111, s[0:3], 0 offen offset:4
	buffer_load_dword v114, off, s[0:3], 0 offset:296
	buffer_load_dword v115, off, s[0:3], 0 offset:300
	s_waitcnt vmcnt(3)
	buffer_store_dword v112, off, s[0:3], 0 offset:296
	s_waitcnt vmcnt(3)
	buffer_store_dword v113, off, s[0:3], 0 offset:300
	s_waitcnt vmcnt(3)
	buffer_store_dword v114, v111, s[0:3], 0 offen
	s_waitcnt vmcnt(3)
	buffer_store_dword v115, v111, s[0:3], 0 offen offset:4
.LBB54_372:
	global_load_dword v0, v0, s[20:21] offset:144
	s_waitcnt vmcnt(0)
	v_add_u32_e32 v0, -1, v0
	v_cmp_eq_u32_e32 vcc, 36, v0
	s_cbranch_vccnz .LBB54_374
; %bb.373:
	v_lshlrev_b32_e32 v0, 3, v0
	buffer_load_dword v111, v0, s[0:3], 0 offen
	buffer_load_dword v112, v0, s[0:3], 0 offen offset:4
	buffer_load_dword v113, off, s[0:3], 0 offset:292
	buffer_load_dword v114, off, s[0:3], 0 offset:288
	s_waitcnt vmcnt(3)
	buffer_store_dword v111, off, s[0:3], 0 offset:288
	s_waitcnt vmcnt(3)
	buffer_store_dword v112, off, s[0:3], 0 offset:292
	s_waitcnt vmcnt(3)
	buffer_store_dword v113, v0, s[0:3], 0 offen offset:4
	s_waitcnt vmcnt(3)
	buffer_store_dword v114, v0, s[0:3], 0 offen
.LBB54_374:
	v_mov_b32_e32 v0, 0
	global_load_dword v111, v0, s[20:21] offset:140
	s_waitcnt vmcnt(0)
	v_add_u32_e32 v111, -1, v111
	v_cmp_eq_u32_e32 vcc, 35, v111
	s_cbranch_vccnz .LBB54_376
; %bb.375:
	v_lshlrev_b32_e32 v111, 3, v111
	buffer_load_dword v112, v111, s[0:3], 0 offen
	buffer_load_dword v113, v111, s[0:3], 0 offen offset:4
	buffer_load_dword v114, off, s[0:3], 0 offset:280
	buffer_load_dword v115, off, s[0:3], 0 offset:284
	s_waitcnt vmcnt(3)
	buffer_store_dword v112, off, s[0:3], 0 offset:280
	s_waitcnt vmcnt(3)
	buffer_store_dword v113, off, s[0:3], 0 offset:284
	s_waitcnt vmcnt(3)
	buffer_store_dword v114, v111, s[0:3], 0 offen
	s_waitcnt vmcnt(3)
	buffer_store_dword v115, v111, s[0:3], 0 offen offset:4
.LBB54_376:
	global_load_dword v0, v0, s[20:21] offset:136
	s_waitcnt vmcnt(0)
	v_add_u32_e32 v0, -1, v0
	v_cmp_eq_u32_e32 vcc, 34, v0
	s_cbranch_vccnz .LBB54_378
; %bb.377:
	v_lshlrev_b32_e32 v0, 3, v0
	buffer_load_dword v111, v0, s[0:3], 0 offen
	buffer_load_dword v112, v0, s[0:3], 0 offen offset:4
	buffer_load_dword v113, off, s[0:3], 0 offset:276
	buffer_load_dword v114, off, s[0:3], 0 offset:272
	s_waitcnt vmcnt(3)
	buffer_store_dword v111, off, s[0:3], 0 offset:272
	s_waitcnt vmcnt(3)
	buffer_store_dword v112, off, s[0:3], 0 offset:276
	s_waitcnt vmcnt(3)
	buffer_store_dword v113, v0, s[0:3], 0 offen offset:4
	s_waitcnt vmcnt(3)
	buffer_store_dword v114, v0, s[0:3], 0 offen
.LBB54_378:
	v_mov_b32_e32 v0, 0
	global_load_dword v111, v0, s[20:21] offset:132
	s_waitcnt vmcnt(0)
	v_add_u32_e32 v111, -1, v111
	v_cmp_eq_u32_e32 vcc, 33, v111
	s_cbranch_vccnz .LBB54_380
; %bb.379:
	v_lshlrev_b32_e32 v111, 3, v111
	buffer_load_dword v112, v111, s[0:3], 0 offen
	buffer_load_dword v113, v111, s[0:3], 0 offen offset:4
	buffer_load_dword v114, off, s[0:3], 0 offset:264
	buffer_load_dword v115, off, s[0:3], 0 offset:268
	s_waitcnt vmcnt(3)
	buffer_store_dword v112, off, s[0:3], 0 offset:264
	s_waitcnt vmcnt(3)
	buffer_store_dword v113, off, s[0:3], 0 offset:268
	s_waitcnt vmcnt(3)
	buffer_store_dword v114, v111, s[0:3], 0 offen
	s_waitcnt vmcnt(3)
	buffer_store_dword v115, v111, s[0:3], 0 offen offset:4
.LBB54_380:
	global_load_dword v0, v0, s[20:21] offset:128
	s_waitcnt vmcnt(0)
	v_add_u32_e32 v0, -1, v0
	v_cmp_eq_u32_e32 vcc, 32, v0
	s_cbranch_vccnz .LBB54_382
; %bb.381:
	v_lshlrev_b32_e32 v0, 3, v0
	buffer_load_dword v111, v0, s[0:3], 0 offen
	buffer_load_dword v112, v0, s[0:3], 0 offen offset:4
	buffer_load_dword v113, off, s[0:3], 0 offset:260
	buffer_load_dword v114, off, s[0:3], 0 offset:256
	s_waitcnt vmcnt(3)
	buffer_store_dword v111, off, s[0:3], 0 offset:256
	s_waitcnt vmcnt(3)
	buffer_store_dword v112, off, s[0:3], 0 offset:260
	s_waitcnt vmcnt(3)
	buffer_store_dword v113, v0, s[0:3], 0 offen offset:4
	s_waitcnt vmcnt(3)
	buffer_store_dword v114, v0, s[0:3], 0 offen
.LBB54_382:
	v_mov_b32_e32 v0, 0
	global_load_dword v111, v0, s[20:21] offset:124
	s_waitcnt vmcnt(0)
	v_add_u32_e32 v111, -1, v111
	v_cmp_eq_u32_e32 vcc, 31, v111
	s_cbranch_vccnz .LBB54_384
; %bb.383:
	v_lshlrev_b32_e32 v111, 3, v111
	buffer_load_dword v112, v111, s[0:3], 0 offen
	buffer_load_dword v113, v111, s[0:3], 0 offen offset:4
	buffer_load_dword v114, off, s[0:3], 0 offset:248
	buffer_load_dword v115, off, s[0:3], 0 offset:252
	s_waitcnt vmcnt(3)
	buffer_store_dword v112, off, s[0:3], 0 offset:248
	s_waitcnt vmcnt(3)
	buffer_store_dword v113, off, s[0:3], 0 offset:252
	s_waitcnt vmcnt(3)
	buffer_store_dword v114, v111, s[0:3], 0 offen
	s_waitcnt vmcnt(3)
	buffer_store_dword v115, v111, s[0:3], 0 offen offset:4
.LBB54_384:
	global_load_dword v0, v0, s[20:21] offset:120
	s_waitcnt vmcnt(0)
	v_add_u32_e32 v0, -1, v0
	v_cmp_eq_u32_e32 vcc, 30, v0
	s_cbranch_vccnz .LBB54_386
; %bb.385:
	v_lshlrev_b32_e32 v0, 3, v0
	buffer_load_dword v111, v0, s[0:3], 0 offen
	buffer_load_dword v112, v0, s[0:3], 0 offen offset:4
	buffer_load_dword v113, off, s[0:3], 0 offset:244
	buffer_load_dword v114, off, s[0:3], 0 offset:240
	s_waitcnt vmcnt(3)
	buffer_store_dword v111, off, s[0:3], 0 offset:240
	s_waitcnt vmcnt(3)
	buffer_store_dword v112, off, s[0:3], 0 offset:244
	s_waitcnt vmcnt(3)
	buffer_store_dword v113, v0, s[0:3], 0 offen offset:4
	s_waitcnt vmcnt(3)
	buffer_store_dword v114, v0, s[0:3], 0 offen
.LBB54_386:
	v_mov_b32_e32 v0, 0
	global_load_dword v111, v0, s[20:21] offset:116
	s_waitcnt vmcnt(0)
	v_add_u32_e32 v111, -1, v111
	v_cmp_eq_u32_e32 vcc, 29, v111
	s_cbranch_vccnz .LBB54_388
; %bb.387:
	v_lshlrev_b32_e32 v111, 3, v111
	buffer_load_dword v112, v111, s[0:3], 0 offen
	buffer_load_dword v113, v111, s[0:3], 0 offen offset:4
	buffer_load_dword v114, off, s[0:3], 0 offset:232
	buffer_load_dword v115, off, s[0:3], 0 offset:236
	s_waitcnt vmcnt(3)
	buffer_store_dword v112, off, s[0:3], 0 offset:232
	s_waitcnt vmcnt(3)
	buffer_store_dword v113, off, s[0:3], 0 offset:236
	s_waitcnt vmcnt(3)
	buffer_store_dword v114, v111, s[0:3], 0 offen
	s_waitcnt vmcnt(3)
	buffer_store_dword v115, v111, s[0:3], 0 offen offset:4
.LBB54_388:
	global_load_dword v0, v0, s[20:21] offset:112
	s_waitcnt vmcnt(0)
	v_add_u32_e32 v0, -1, v0
	v_cmp_eq_u32_e32 vcc, 28, v0
	s_cbranch_vccnz .LBB54_390
; %bb.389:
	v_lshlrev_b32_e32 v0, 3, v0
	buffer_load_dword v111, v0, s[0:3], 0 offen
	buffer_load_dword v112, v0, s[0:3], 0 offen offset:4
	buffer_load_dword v113, off, s[0:3], 0 offset:228
	buffer_load_dword v114, off, s[0:3], 0 offset:224
	s_waitcnt vmcnt(3)
	buffer_store_dword v111, off, s[0:3], 0 offset:224
	s_waitcnt vmcnt(3)
	buffer_store_dword v112, off, s[0:3], 0 offset:228
	s_waitcnt vmcnt(3)
	buffer_store_dword v113, v0, s[0:3], 0 offen offset:4
	s_waitcnt vmcnt(3)
	buffer_store_dword v114, v0, s[0:3], 0 offen
.LBB54_390:
	v_mov_b32_e32 v0, 0
	global_load_dword v111, v0, s[20:21] offset:108
	s_waitcnt vmcnt(0)
	v_add_u32_e32 v111, -1, v111
	v_cmp_eq_u32_e32 vcc, 27, v111
	s_cbranch_vccnz .LBB54_392
; %bb.391:
	v_lshlrev_b32_e32 v111, 3, v111
	buffer_load_dword v112, v111, s[0:3], 0 offen
	buffer_load_dword v113, v111, s[0:3], 0 offen offset:4
	buffer_load_dword v114, off, s[0:3], 0 offset:216
	buffer_load_dword v115, off, s[0:3], 0 offset:220
	s_waitcnt vmcnt(3)
	buffer_store_dword v112, off, s[0:3], 0 offset:216
	s_waitcnt vmcnt(3)
	buffer_store_dword v113, off, s[0:3], 0 offset:220
	s_waitcnt vmcnt(3)
	buffer_store_dword v114, v111, s[0:3], 0 offen
	s_waitcnt vmcnt(3)
	buffer_store_dword v115, v111, s[0:3], 0 offen offset:4
.LBB54_392:
	global_load_dword v0, v0, s[20:21] offset:104
	s_waitcnt vmcnt(0)
	v_add_u32_e32 v0, -1, v0
	v_cmp_eq_u32_e32 vcc, 26, v0
	s_cbranch_vccnz .LBB54_394
; %bb.393:
	v_lshlrev_b32_e32 v0, 3, v0
	buffer_load_dword v111, v0, s[0:3], 0 offen
	buffer_load_dword v112, v0, s[0:3], 0 offen offset:4
	buffer_load_dword v113, off, s[0:3], 0 offset:212
	buffer_load_dword v114, off, s[0:3], 0 offset:208
	s_waitcnt vmcnt(3)
	buffer_store_dword v111, off, s[0:3], 0 offset:208
	s_waitcnt vmcnt(3)
	buffer_store_dword v112, off, s[0:3], 0 offset:212
	s_waitcnt vmcnt(3)
	buffer_store_dword v113, v0, s[0:3], 0 offen offset:4
	s_waitcnt vmcnt(3)
	buffer_store_dword v114, v0, s[0:3], 0 offen
.LBB54_394:
	v_mov_b32_e32 v0, 0
	global_load_dword v111, v0, s[20:21] offset:100
	s_waitcnt vmcnt(0)
	v_add_u32_e32 v111, -1, v111
	v_cmp_eq_u32_e32 vcc, 25, v111
	s_cbranch_vccnz .LBB54_396
; %bb.395:
	v_lshlrev_b32_e32 v111, 3, v111
	buffer_load_dword v112, v111, s[0:3], 0 offen
	buffer_load_dword v113, v111, s[0:3], 0 offen offset:4
	buffer_load_dword v114, off, s[0:3], 0 offset:200
	buffer_load_dword v115, off, s[0:3], 0 offset:204
	s_waitcnt vmcnt(3)
	buffer_store_dword v112, off, s[0:3], 0 offset:200
	s_waitcnt vmcnt(3)
	buffer_store_dword v113, off, s[0:3], 0 offset:204
	s_waitcnt vmcnt(3)
	buffer_store_dword v114, v111, s[0:3], 0 offen
	s_waitcnt vmcnt(3)
	buffer_store_dword v115, v111, s[0:3], 0 offen offset:4
.LBB54_396:
	global_load_dword v0, v0, s[20:21] offset:96
	s_waitcnt vmcnt(0)
	v_add_u32_e32 v0, -1, v0
	v_cmp_eq_u32_e32 vcc, 24, v0
	s_cbranch_vccnz .LBB54_398
; %bb.397:
	v_lshlrev_b32_e32 v0, 3, v0
	buffer_load_dword v111, v0, s[0:3], 0 offen
	buffer_load_dword v112, v0, s[0:3], 0 offen offset:4
	buffer_load_dword v113, off, s[0:3], 0 offset:196
	buffer_load_dword v114, off, s[0:3], 0 offset:192
	s_waitcnt vmcnt(3)
	buffer_store_dword v111, off, s[0:3], 0 offset:192
	s_waitcnt vmcnt(3)
	buffer_store_dword v112, off, s[0:3], 0 offset:196
	s_waitcnt vmcnt(3)
	buffer_store_dword v113, v0, s[0:3], 0 offen offset:4
	s_waitcnt vmcnt(3)
	buffer_store_dword v114, v0, s[0:3], 0 offen
.LBB54_398:
	v_mov_b32_e32 v0, 0
	global_load_dword v111, v0, s[20:21] offset:92
	s_waitcnt vmcnt(0)
	v_add_u32_e32 v111, -1, v111
	v_cmp_eq_u32_e32 vcc, 23, v111
	s_cbranch_vccnz .LBB54_400
; %bb.399:
	v_lshlrev_b32_e32 v111, 3, v111
	buffer_load_dword v112, v111, s[0:3], 0 offen
	buffer_load_dword v113, v111, s[0:3], 0 offen offset:4
	buffer_load_dword v114, off, s[0:3], 0 offset:184
	buffer_load_dword v115, off, s[0:3], 0 offset:188
	s_waitcnt vmcnt(3)
	buffer_store_dword v112, off, s[0:3], 0 offset:184
	s_waitcnt vmcnt(3)
	buffer_store_dword v113, off, s[0:3], 0 offset:188
	s_waitcnt vmcnt(3)
	buffer_store_dword v114, v111, s[0:3], 0 offen
	s_waitcnt vmcnt(3)
	buffer_store_dword v115, v111, s[0:3], 0 offen offset:4
.LBB54_400:
	global_load_dword v0, v0, s[20:21] offset:88
	s_waitcnt vmcnt(0)
	v_add_u32_e32 v0, -1, v0
	v_cmp_eq_u32_e32 vcc, 22, v0
	s_cbranch_vccnz .LBB54_402
; %bb.401:
	v_lshlrev_b32_e32 v0, 3, v0
	buffer_load_dword v111, v0, s[0:3], 0 offen
	buffer_load_dword v112, v0, s[0:3], 0 offen offset:4
	buffer_load_dword v113, off, s[0:3], 0 offset:180
	buffer_load_dword v114, off, s[0:3], 0 offset:176
	s_waitcnt vmcnt(3)
	buffer_store_dword v111, off, s[0:3], 0 offset:176
	s_waitcnt vmcnt(3)
	buffer_store_dword v112, off, s[0:3], 0 offset:180
	s_waitcnt vmcnt(3)
	buffer_store_dword v113, v0, s[0:3], 0 offen offset:4
	s_waitcnt vmcnt(3)
	buffer_store_dword v114, v0, s[0:3], 0 offen
.LBB54_402:
	v_mov_b32_e32 v0, 0
	global_load_dword v111, v0, s[20:21] offset:84
	s_waitcnt vmcnt(0)
	v_add_u32_e32 v111, -1, v111
	v_cmp_eq_u32_e32 vcc, 21, v111
	s_cbranch_vccnz .LBB54_404
; %bb.403:
	v_lshlrev_b32_e32 v111, 3, v111
	buffer_load_dword v112, v111, s[0:3], 0 offen
	buffer_load_dword v113, v111, s[0:3], 0 offen offset:4
	buffer_load_dword v114, off, s[0:3], 0 offset:168
	buffer_load_dword v115, off, s[0:3], 0 offset:172
	s_waitcnt vmcnt(3)
	buffer_store_dword v112, off, s[0:3], 0 offset:168
	s_waitcnt vmcnt(3)
	buffer_store_dword v113, off, s[0:3], 0 offset:172
	s_waitcnt vmcnt(3)
	buffer_store_dword v114, v111, s[0:3], 0 offen
	s_waitcnt vmcnt(3)
	buffer_store_dword v115, v111, s[0:3], 0 offen offset:4
.LBB54_404:
	global_load_dword v0, v0, s[20:21] offset:80
	s_waitcnt vmcnt(0)
	v_add_u32_e32 v0, -1, v0
	v_cmp_eq_u32_e32 vcc, 20, v0
	s_cbranch_vccnz .LBB54_406
; %bb.405:
	v_lshlrev_b32_e32 v0, 3, v0
	buffer_load_dword v111, v0, s[0:3], 0 offen
	buffer_load_dword v112, v0, s[0:3], 0 offen offset:4
	buffer_load_dword v113, off, s[0:3], 0 offset:164
	buffer_load_dword v114, off, s[0:3], 0 offset:160
	s_waitcnt vmcnt(3)
	buffer_store_dword v111, off, s[0:3], 0 offset:160
	s_waitcnt vmcnt(3)
	buffer_store_dword v112, off, s[0:3], 0 offset:164
	s_waitcnt vmcnt(3)
	buffer_store_dword v113, v0, s[0:3], 0 offen offset:4
	s_waitcnt vmcnt(3)
	buffer_store_dword v114, v0, s[0:3], 0 offen
.LBB54_406:
	v_mov_b32_e32 v0, 0
	global_load_dword v111, v0, s[20:21] offset:76
	s_waitcnt vmcnt(0)
	v_add_u32_e32 v111, -1, v111
	v_cmp_eq_u32_e32 vcc, 19, v111
	s_cbranch_vccnz .LBB54_408
; %bb.407:
	v_lshlrev_b32_e32 v111, 3, v111
	buffer_load_dword v112, v111, s[0:3], 0 offen
	buffer_load_dword v113, v111, s[0:3], 0 offen offset:4
	buffer_load_dword v114, off, s[0:3], 0 offset:152
	buffer_load_dword v115, off, s[0:3], 0 offset:156
	s_waitcnt vmcnt(3)
	buffer_store_dword v112, off, s[0:3], 0 offset:152
	s_waitcnt vmcnt(3)
	buffer_store_dword v113, off, s[0:3], 0 offset:156
	s_waitcnt vmcnt(3)
	buffer_store_dword v114, v111, s[0:3], 0 offen
	s_waitcnt vmcnt(3)
	buffer_store_dword v115, v111, s[0:3], 0 offen offset:4
.LBB54_408:
	global_load_dword v0, v0, s[20:21] offset:72
	s_waitcnt vmcnt(0)
	v_add_u32_e32 v0, -1, v0
	v_cmp_eq_u32_e32 vcc, 18, v0
	s_cbranch_vccnz .LBB54_410
; %bb.409:
	v_lshlrev_b32_e32 v0, 3, v0
	buffer_load_dword v111, v0, s[0:3], 0 offen
	buffer_load_dword v112, v0, s[0:3], 0 offen offset:4
	buffer_load_dword v113, off, s[0:3], 0 offset:148
	buffer_load_dword v114, off, s[0:3], 0 offset:144
	s_waitcnt vmcnt(3)
	buffer_store_dword v111, off, s[0:3], 0 offset:144
	s_waitcnt vmcnt(3)
	buffer_store_dword v112, off, s[0:3], 0 offset:148
	s_waitcnt vmcnt(3)
	buffer_store_dword v113, v0, s[0:3], 0 offen offset:4
	s_waitcnt vmcnt(3)
	buffer_store_dword v114, v0, s[0:3], 0 offen
.LBB54_410:
	v_mov_b32_e32 v0, 0
	global_load_dword v111, v0, s[20:21] offset:68
	s_waitcnt vmcnt(0)
	v_add_u32_e32 v111, -1, v111
	v_cmp_eq_u32_e32 vcc, 17, v111
	s_cbranch_vccnz .LBB54_412
; %bb.411:
	v_lshlrev_b32_e32 v111, 3, v111
	buffer_load_dword v112, v111, s[0:3], 0 offen
	buffer_load_dword v113, v111, s[0:3], 0 offen offset:4
	buffer_load_dword v114, off, s[0:3], 0 offset:136
	buffer_load_dword v115, off, s[0:3], 0 offset:140
	s_waitcnt vmcnt(3)
	buffer_store_dword v112, off, s[0:3], 0 offset:136
	s_waitcnt vmcnt(3)
	buffer_store_dword v113, off, s[0:3], 0 offset:140
	s_waitcnt vmcnt(3)
	buffer_store_dword v114, v111, s[0:3], 0 offen
	s_waitcnt vmcnt(3)
	buffer_store_dword v115, v111, s[0:3], 0 offen offset:4
.LBB54_412:
	global_load_dword v0, v0, s[20:21] offset:64
	s_waitcnt vmcnt(0)
	v_add_u32_e32 v0, -1, v0
	v_cmp_eq_u32_e32 vcc, 16, v0
	s_cbranch_vccnz .LBB54_414
; %bb.413:
	v_lshlrev_b32_e32 v0, 3, v0
	buffer_load_dword v111, v0, s[0:3], 0 offen
	buffer_load_dword v112, v0, s[0:3], 0 offen offset:4
	buffer_load_dword v113, off, s[0:3], 0 offset:132
	buffer_load_dword v114, off, s[0:3], 0 offset:128
	s_waitcnt vmcnt(3)
	buffer_store_dword v111, off, s[0:3], 0 offset:128
	s_waitcnt vmcnt(3)
	buffer_store_dword v112, off, s[0:3], 0 offset:132
	s_waitcnt vmcnt(3)
	buffer_store_dword v113, v0, s[0:3], 0 offen offset:4
	s_waitcnt vmcnt(3)
	buffer_store_dword v114, v0, s[0:3], 0 offen
.LBB54_414:
	v_mov_b32_e32 v0, 0
	global_load_dword v111, v0, s[20:21] offset:60
	s_waitcnt vmcnt(0)
	v_add_u32_e32 v111, -1, v111
	v_cmp_eq_u32_e32 vcc, 15, v111
	s_cbranch_vccnz .LBB54_416
; %bb.415:
	v_lshlrev_b32_e32 v111, 3, v111
	buffer_load_dword v112, v111, s[0:3], 0 offen
	buffer_load_dword v113, v111, s[0:3], 0 offen offset:4
	buffer_load_dword v114, off, s[0:3], 0 offset:120
	buffer_load_dword v115, off, s[0:3], 0 offset:124
	s_waitcnt vmcnt(3)
	buffer_store_dword v112, off, s[0:3], 0 offset:120
	s_waitcnt vmcnt(3)
	buffer_store_dword v113, off, s[0:3], 0 offset:124
	s_waitcnt vmcnt(3)
	buffer_store_dword v114, v111, s[0:3], 0 offen
	s_waitcnt vmcnt(3)
	buffer_store_dword v115, v111, s[0:3], 0 offen offset:4
.LBB54_416:
	global_load_dword v0, v0, s[20:21] offset:56
	s_waitcnt vmcnt(0)
	v_add_u32_e32 v0, -1, v0
	v_cmp_eq_u32_e32 vcc, 14, v0
	s_cbranch_vccnz .LBB54_418
; %bb.417:
	v_lshlrev_b32_e32 v0, 3, v0
	buffer_load_dword v111, v0, s[0:3], 0 offen
	buffer_load_dword v112, v0, s[0:3], 0 offen offset:4
	buffer_load_dword v113, off, s[0:3], 0 offset:116
	buffer_load_dword v114, off, s[0:3], 0 offset:112
	s_waitcnt vmcnt(3)
	buffer_store_dword v111, off, s[0:3], 0 offset:112
	s_waitcnt vmcnt(3)
	buffer_store_dword v112, off, s[0:3], 0 offset:116
	s_waitcnt vmcnt(3)
	buffer_store_dword v113, v0, s[0:3], 0 offen offset:4
	s_waitcnt vmcnt(3)
	buffer_store_dword v114, v0, s[0:3], 0 offen
.LBB54_418:
	v_mov_b32_e32 v0, 0
	global_load_dword v111, v0, s[20:21] offset:52
	s_waitcnt vmcnt(0)
	v_add_u32_e32 v111, -1, v111
	v_cmp_eq_u32_e32 vcc, 13, v111
	s_cbranch_vccnz .LBB54_420
; %bb.419:
	v_lshlrev_b32_e32 v111, 3, v111
	buffer_load_dword v112, v111, s[0:3], 0 offen
	buffer_load_dword v113, v111, s[0:3], 0 offen offset:4
	buffer_load_dword v114, off, s[0:3], 0 offset:104
	buffer_load_dword v115, off, s[0:3], 0 offset:108
	s_waitcnt vmcnt(3)
	buffer_store_dword v112, off, s[0:3], 0 offset:104
	s_waitcnt vmcnt(3)
	buffer_store_dword v113, off, s[0:3], 0 offset:108
	s_waitcnt vmcnt(3)
	buffer_store_dword v114, v111, s[0:3], 0 offen
	s_waitcnt vmcnt(3)
	buffer_store_dword v115, v111, s[0:3], 0 offen offset:4
.LBB54_420:
	global_load_dword v0, v0, s[20:21] offset:48
	s_waitcnt vmcnt(0)
	v_add_u32_e32 v0, -1, v0
	v_cmp_eq_u32_e32 vcc, 12, v0
	s_cbranch_vccnz .LBB54_422
; %bb.421:
	v_lshlrev_b32_e32 v0, 3, v0
	buffer_load_dword v111, v0, s[0:3], 0 offen
	buffer_load_dword v112, v0, s[0:3], 0 offen offset:4
	buffer_load_dword v113, off, s[0:3], 0 offset:100
	buffer_load_dword v114, off, s[0:3], 0 offset:96
	s_waitcnt vmcnt(3)
	buffer_store_dword v111, off, s[0:3], 0 offset:96
	s_waitcnt vmcnt(3)
	buffer_store_dword v112, off, s[0:3], 0 offset:100
	s_waitcnt vmcnt(3)
	buffer_store_dword v113, v0, s[0:3], 0 offen offset:4
	s_waitcnt vmcnt(3)
	buffer_store_dword v114, v0, s[0:3], 0 offen
.LBB54_422:
	v_mov_b32_e32 v0, 0
	global_load_dword v111, v0, s[20:21] offset:44
	s_waitcnt vmcnt(0)
	v_add_u32_e32 v111, -1, v111
	v_cmp_eq_u32_e32 vcc, 11, v111
	s_cbranch_vccnz .LBB54_424
; %bb.423:
	v_lshlrev_b32_e32 v111, 3, v111
	buffer_load_dword v112, v111, s[0:3], 0 offen
	buffer_load_dword v113, v111, s[0:3], 0 offen offset:4
	buffer_load_dword v114, off, s[0:3], 0 offset:88
	buffer_load_dword v115, off, s[0:3], 0 offset:92
	s_waitcnt vmcnt(3)
	buffer_store_dword v112, off, s[0:3], 0 offset:88
	s_waitcnt vmcnt(3)
	buffer_store_dword v113, off, s[0:3], 0 offset:92
	s_waitcnt vmcnt(3)
	buffer_store_dword v114, v111, s[0:3], 0 offen
	s_waitcnt vmcnt(3)
	buffer_store_dword v115, v111, s[0:3], 0 offen offset:4
.LBB54_424:
	global_load_dword v0, v0, s[20:21] offset:40
	s_waitcnt vmcnt(0)
	v_add_u32_e32 v0, -1, v0
	v_cmp_eq_u32_e32 vcc, 10, v0
	s_cbranch_vccnz .LBB54_426
; %bb.425:
	v_lshlrev_b32_e32 v0, 3, v0
	buffer_load_dword v111, v0, s[0:3], 0 offen
	buffer_load_dword v112, v0, s[0:3], 0 offen offset:4
	buffer_load_dword v113, off, s[0:3], 0 offset:84
	buffer_load_dword v114, off, s[0:3], 0 offset:80
	s_waitcnt vmcnt(3)
	buffer_store_dword v111, off, s[0:3], 0 offset:80
	s_waitcnt vmcnt(3)
	buffer_store_dword v112, off, s[0:3], 0 offset:84
	s_waitcnt vmcnt(3)
	buffer_store_dword v113, v0, s[0:3], 0 offen offset:4
	s_waitcnt vmcnt(3)
	buffer_store_dword v114, v0, s[0:3], 0 offen
.LBB54_426:
	v_mov_b32_e32 v0, 0
	global_load_dword v111, v0, s[20:21] offset:36
	s_waitcnt vmcnt(0)
	v_add_u32_e32 v111, -1, v111
	v_cmp_eq_u32_e32 vcc, 9, v111
	s_cbranch_vccnz .LBB54_428
; %bb.427:
	v_lshlrev_b32_e32 v111, 3, v111
	buffer_load_dword v112, v111, s[0:3], 0 offen
	buffer_load_dword v113, v111, s[0:3], 0 offen offset:4
	buffer_load_dword v114, off, s[0:3], 0 offset:72
	buffer_load_dword v115, off, s[0:3], 0 offset:76
	s_waitcnt vmcnt(3)
	buffer_store_dword v112, off, s[0:3], 0 offset:72
	s_waitcnt vmcnt(3)
	buffer_store_dword v113, off, s[0:3], 0 offset:76
	s_waitcnt vmcnt(3)
	buffer_store_dword v114, v111, s[0:3], 0 offen
	s_waitcnt vmcnt(3)
	buffer_store_dword v115, v111, s[0:3], 0 offen offset:4
.LBB54_428:
	global_load_dword v0, v0, s[20:21] offset:32
	s_waitcnt vmcnt(0)
	v_add_u32_e32 v0, -1, v0
	v_cmp_eq_u32_e32 vcc, 8, v0
	s_cbranch_vccnz .LBB54_430
; %bb.429:
	v_lshlrev_b32_e32 v0, 3, v0
	buffer_load_dword v111, v0, s[0:3], 0 offen
	buffer_load_dword v112, v0, s[0:3], 0 offen offset:4
	buffer_load_dword v113, off, s[0:3], 0 offset:68
	buffer_load_dword v114, off, s[0:3], 0 offset:64
	s_waitcnt vmcnt(3)
	buffer_store_dword v111, off, s[0:3], 0 offset:64
	s_waitcnt vmcnt(3)
	buffer_store_dword v112, off, s[0:3], 0 offset:68
	s_waitcnt vmcnt(3)
	buffer_store_dword v113, v0, s[0:3], 0 offen offset:4
	s_waitcnt vmcnt(3)
	buffer_store_dword v114, v0, s[0:3], 0 offen
.LBB54_430:
	v_mov_b32_e32 v0, 0
	global_load_dword v111, v0, s[20:21] offset:28
	s_waitcnt vmcnt(0)
	v_add_u32_e32 v111, -1, v111
	v_cmp_eq_u32_e32 vcc, 7, v111
	s_cbranch_vccnz .LBB54_432
; %bb.431:
	v_lshlrev_b32_e32 v111, 3, v111
	buffer_load_dword v112, v111, s[0:3], 0 offen
	buffer_load_dword v113, v111, s[0:3], 0 offen offset:4
	buffer_load_dword v114, off, s[0:3], 0 offset:56
	buffer_load_dword v115, off, s[0:3], 0 offset:60
	s_waitcnt vmcnt(3)
	buffer_store_dword v112, off, s[0:3], 0 offset:56
	s_waitcnt vmcnt(3)
	buffer_store_dword v113, off, s[0:3], 0 offset:60
	s_waitcnt vmcnt(3)
	buffer_store_dword v114, v111, s[0:3], 0 offen
	s_waitcnt vmcnt(3)
	buffer_store_dword v115, v111, s[0:3], 0 offen offset:4
.LBB54_432:
	global_load_dword v0, v0, s[20:21] offset:24
	s_waitcnt vmcnt(0)
	v_add_u32_e32 v0, -1, v0
	v_cmp_eq_u32_e32 vcc, 6, v0
	s_cbranch_vccnz .LBB54_434
; %bb.433:
	v_lshlrev_b32_e32 v0, 3, v0
	buffer_load_dword v111, v0, s[0:3], 0 offen
	buffer_load_dword v112, v0, s[0:3], 0 offen offset:4
	buffer_load_dword v113, off, s[0:3], 0 offset:52
	buffer_load_dword v114, off, s[0:3], 0 offset:48
	s_waitcnt vmcnt(3)
	buffer_store_dword v111, off, s[0:3], 0 offset:48
	s_waitcnt vmcnt(3)
	buffer_store_dword v112, off, s[0:3], 0 offset:52
	s_waitcnt vmcnt(3)
	buffer_store_dword v113, v0, s[0:3], 0 offen offset:4
	s_waitcnt vmcnt(3)
	buffer_store_dword v114, v0, s[0:3], 0 offen
.LBB54_434:
	v_mov_b32_e32 v0, 0
	global_load_dword v111, v0, s[20:21] offset:20
	s_waitcnt vmcnt(0)
	v_add_u32_e32 v111, -1, v111
	v_cmp_eq_u32_e32 vcc, 5, v111
	s_cbranch_vccnz .LBB54_436
; %bb.435:
	v_lshlrev_b32_e32 v111, 3, v111
	buffer_load_dword v112, v111, s[0:3], 0 offen
	buffer_load_dword v113, v111, s[0:3], 0 offen offset:4
	buffer_load_dword v114, off, s[0:3], 0 offset:40
	buffer_load_dword v115, off, s[0:3], 0 offset:44
	s_waitcnt vmcnt(3)
	buffer_store_dword v112, off, s[0:3], 0 offset:40
	s_waitcnt vmcnt(3)
	buffer_store_dword v113, off, s[0:3], 0 offset:44
	s_waitcnt vmcnt(3)
	buffer_store_dword v114, v111, s[0:3], 0 offen
	s_waitcnt vmcnt(3)
	buffer_store_dword v115, v111, s[0:3], 0 offen offset:4
.LBB54_436:
	global_load_dword v0, v0, s[20:21] offset:16
	s_waitcnt vmcnt(0)
	v_add_u32_e32 v0, -1, v0
	v_cmp_eq_u32_e32 vcc, 4, v0
	s_cbranch_vccnz .LBB54_438
; %bb.437:
	v_lshlrev_b32_e32 v0, 3, v0
	buffer_load_dword v111, v0, s[0:3], 0 offen
	buffer_load_dword v112, v0, s[0:3], 0 offen offset:4
	buffer_load_dword v113, off, s[0:3], 0 offset:36
	buffer_load_dword v114, off, s[0:3], 0 offset:32
	s_waitcnt vmcnt(3)
	buffer_store_dword v111, off, s[0:3], 0 offset:32
	s_waitcnt vmcnt(3)
	buffer_store_dword v112, off, s[0:3], 0 offset:36
	s_waitcnt vmcnt(3)
	buffer_store_dword v113, v0, s[0:3], 0 offen offset:4
	s_waitcnt vmcnt(3)
	buffer_store_dword v114, v0, s[0:3], 0 offen
.LBB54_438:
	v_mov_b32_e32 v0, 0
	global_load_dword v111, v0, s[20:21] offset:12
	s_waitcnt vmcnt(0)
	v_add_u32_e32 v111, -1, v111
	v_cmp_eq_u32_e32 vcc, 3, v111
	s_cbranch_vccnz .LBB54_440
; %bb.439:
	v_lshlrev_b32_e32 v111, 3, v111
	buffer_load_dword v112, v111, s[0:3], 0 offen
	buffer_load_dword v113, v111, s[0:3], 0 offen offset:4
	buffer_load_dword v114, off, s[0:3], 0 offset:24
	buffer_load_dword v115, off, s[0:3], 0 offset:28
	s_waitcnt vmcnt(3)
	buffer_store_dword v112, off, s[0:3], 0 offset:24
	s_waitcnt vmcnt(3)
	buffer_store_dword v113, off, s[0:3], 0 offset:28
	s_waitcnt vmcnt(3)
	buffer_store_dword v114, v111, s[0:3], 0 offen
	s_waitcnt vmcnt(3)
	buffer_store_dword v115, v111, s[0:3], 0 offen offset:4
.LBB54_440:
	global_load_dword v0, v0, s[20:21] offset:8
	s_waitcnt vmcnt(0)
	v_add_u32_e32 v0, -1, v0
	v_cmp_eq_u32_e32 vcc, 2, v0
	s_cbranch_vccnz .LBB54_442
; %bb.441:
	v_lshlrev_b32_e32 v0, 3, v0
	buffer_load_dword v111, v0, s[0:3], 0 offen
	buffer_load_dword v112, v0, s[0:3], 0 offen offset:4
	buffer_load_dword v113, off, s[0:3], 0 offset:20
	buffer_load_dword v114, off, s[0:3], 0 offset:16
	s_waitcnt vmcnt(3)
	buffer_store_dword v111, off, s[0:3], 0 offset:16
	s_waitcnt vmcnt(3)
	buffer_store_dword v112, off, s[0:3], 0 offset:20
	s_waitcnt vmcnt(3)
	buffer_store_dword v113, v0, s[0:3], 0 offen offset:4
	s_waitcnt vmcnt(3)
	buffer_store_dword v114, v0, s[0:3], 0 offen
.LBB54_442:
	v_mov_b32_e32 v0, 0
	global_load_dword v111, v0, s[20:21] offset:4
	s_waitcnt vmcnt(0)
	v_add_u32_e32 v111, -1, v111
	v_cmp_eq_u32_e32 vcc, 1, v111
	s_cbranch_vccnz .LBB54_444
; %bb.443:
	v_lshlrev_b32_e32 v111, 3, v111
	buffer_load_dword v112, v111, s[0:3], 0 offen
	buffer_load_dword v113, v111, s[0:3], 0 offen offset:4
	buffer_load_dword v114, off, s[0:3], 0 offset:8
	buffer_load_dword v115, off, s[0:3], 0 offset:12
	s_waitcnt vmcnt(3)
	buffer_store_dword v112, off, s[0:3], 0 offset:8
	s_waitcnt vmcnt(3)
	buffer_store_dword v113, off, s[0:3], 0 offset:12
	s_waitcnt vmcnt(3)
	buffer_store_dword v114, v111, s[0:3], 0 offen
	s_waitcnt vmcnt(3)
	buffer_store_dword v115, v111, s[0:3], 0 offen offset:4
.LBB54_444:
	global_load_dword v0, v0, s[20:21]
	s_nop 0
	buffer_load_dword v111, off, s[0:3], 0
	buffer_load_dword v112, off, s[0:3], 0 offset:4
	s_waitcnt vmcnt(2)
	v_add_u32_e32 v0, -1, v0
	v_cmp_eq_u32_e32 vcc, 0, v0
	s_cbranch_vccnz .LBB54_446
; %bb.445:
	v_lshlrev_b32_e32 v0, 3, v0
	buffer_load_dword v113, v0, s[0:3], 0 offen offset:4
	buffer_load_dword v114, v0, s[0:3], 0 offen
	s_waitcnt vmcnt(1)
	buffer_store_dword v113, off, s[0:3], 0 offset:4
	s_waitcnt vmcnt(1)
	buffer_store_dword v114, off, s[0:3], 0
	buffer_store_dword v112, v0, s[0:3], 0 offen offset:4
	buffer_store_dword v111, v0, s[0:3], 0 offen
	buffer_load_dword v111, off, s[0:3], 0
	s_nop 0
	buffer_load_dword v112, off, s[0:3], 0 offset:4
.LBB54_446:
	buffer_load_dword v113, off, s[0:3], 0 offset:8
	buffer_load_dword v114, off, s[0:3], 0 offset:12
	;; [unrolled: 1-line block ×108, first 2 shown]
	s_waitcnt vmcnt(62)
	global_store_dwordx2 v[99:100], v[111:112], off
	global_store_dwordx2 v[103:104], v[113:114], off
	;; [unrolled: 1-line block ×24, first 2 shown]
	s_waitcnt vmcnt(62)
	global_store_dwordx2 v[45:46], v[159:160], off
	global_store_dwordx2 v[47:48], v[161:162], off
	;; [unrolled: 1-line block ×12, first 2 shown]
	s_waitcnt vmcnt(62)
	global_store_dwordx2 v[69:70], v[183:184], off
	global_store_dwordx2 v[71:72], v[185:186], off
	;; [unrolled: 1-line block ×6, first 2 shown]
	s_waitcnt vmcnt(62)
	global_store_dwordx2 v[81:82], v[195:196], off
	global_store_dwordx2 v[83:84], v[197:198], off
	;; [unrolled: 1-line block ×3, first 2 shown]
	s_waitcnt vmcnt(62)
	global_store_dwordx2 v[87:88], v[201:202], off
	s_waitcnt vmcnt(62)
	global_store_dwordx2 v[89:90], v[203:204], off
	;; [unrolled: 2-line block ×10, first 2 shown]
	s_endpgm
	.section	.rodata,"a",@progbits
	.p2align	6, 0x0
	.amdhsa_kernel _ZN9rocsolver6v33100L18getri_kernel_smallILi55EdPdEEvT1_iilPiilS4_bb
		.amdhsa_group_segment_fixed_size 888
		.amdhsa_private_segment_fixed_size 448
		.amdhsa_kernarg_size 60
		.amdhsa_user_sgpr_count 6
		.amdhsa_user_sgpr_private_segment_buffer 1
		.amdhsa_user_sgpr_dispatch_ptr 0
		.amdhsa_user_sgpr_queue_ptr 0
		.amdhsa_user_sgpr_kernarg_segment_ptr 1
		.amdhsa_user_sgpr_dispatch_id 0
		.amdhsa_user_sgpr_flat_scratch_init 0
		.amdhsa_user_sgpr_private_segment_size 0
		.amdhsa_uses_dynamic_stack 0
		.amdhsa_system_sgpr_private_segment_wavefront_offset 1
		.amdhsa_system_sgpr_workgroup_id_x 1
		.amdhsa_system_sgpr_workgroup_id_y 0
		.amdhsa_system_sgpr_workgroup_id_z 0
		.amdhsa_system_sgpr_workgroup_info 0
		.amdhsa_system_vgpr_workitem_id 0
		.amdhsa_next_free_vgpr 221
		.amdhsa_next_free_sgpr 24
		.amdhsa_reserve_vcc 1
		.amdhsa_reserve_flat_scratch 0
		.amdhsa_float_round_mode_32 0
		.amdhsa_float_round_mode_16_64 0
		.amdhsa_float_denorm_mode_32 3
		.amdhsa_float_denorm_mode_16_64 3
		.amdhsa_dx10_clamp 1
		.amdhsa_ieee_mode 1
		.amdhsa_fp16_overflow 0
		.amdhsa_exception_fp_ieee_invalid_op 0
		.amdhsa_exception_fp_denorm_src 0
		.amdhsa_exception_fp_ieee_div_zero 0
		.amdhsa_exception_fp_ieee_overflow 0
		.amdhsa_exception_fp_ieee_underflow 0
		.amdhsa_exception_fp_ieee_inexact 0
		.amdhsa_exception_int_div_zero 0
	.end_amdhsa_kernel
	.section	.text._ZN9rocsolver6v33100L18getri_kernel_smallILi55EdPdEEvT1_iilPiilS4_bb,"axG",@progbits,_ZN9rocsolver6v33100L18getri_kernel_smallILi55EdPdEEvT1_iilPiilS4_bb,comdat
.Lfunc_end54:
	.size	_ZN9rocsolver6v33100L18getri_kernel_smallILi55EdPdEEvT1_iilPiilS4_bb, .Lfunc_end54-_ZN9rocsolver6v33100L18getri_kernel_smallILi55EdPdEEvT1_iilPiilS4_bb
                                        ; -- End function
	.set _ZN9rocsolver6v33100L18getri_kernel_smallILi55EdPdEEvT1_iilPiilS4_bb.num_vgpr, 221
	.set _ZN9rocsolver6v33100L18getri_kernel_smallILi55EdPdEEvT1_iilPiilS4_bb.num_agpr, 0
	.set _ZN9rocsolver6v33100L18getri_kernel_smallILi55EdPdEEvT1_iilPiilS4_bb.numbered_sgpr, 24
	.set _ZN9rocsolver6v33100L18getri_kernel_smallILi55EdPdEEvT1_iilPiilS4_bb.num_named_barrier, 0
	.set _ZN9rocsolver6v33100L18getri_kernel_smallILi55EdPdEEvT1_iilPiilS4_bb.private_seg_size, 448
	.set _ZN9rocsolver6v33100L18getri_kernel_smallILi55EdPdEEvT1_iilPiilS4_bb.uses_vcc, 1
	.set _ZN9rocsolver6v33100L18getri_kernel_smallILi55EdPdEEvT1_iilPiilS4_bb.uses_flat_scratch, 0
	.set _ZN9rocsolver6v33100L18getri_kernel_smallILi55EdPdEEvT1_iilPiilS4_bb.has_dyn_sized_stack, 0
	.set _ZN9rocsolver6v33100L18getri_kernel_smallILi55EdPdEEvT1_iilPiilS4_bb.has_recursion, 0
	.set _ZN9rocsolver6v33100L18getri_kernel_smallILi55EdPdEEvT1_iilPiilS4_bb.has_indirect_call, 0
	.section	.AMDGPU.csdata,"",@progbits
; Kernel info:
; codeLenInByte = 74444
; TotalNumSgprs: 28
; NumVgprs: 221
; ScratchSize: 448
; MemoryBound: 1
; FloatMode: 240
; IeeeMode: 1
; LDSByteSize: 888 bytes/workgroup (compile time only)
; SGPRBlocks: 3
; VGPRBlocks: 55
; NumSGPRsForWavesPerEU: 28
; NumVGPRsForWavesPerEU: 221
; Occupancy: 1
; WaveLimiterHint : 1
; COMPUTE_PGM_RSRC2:SCRATCH_EN: 1
; COMPUTE_PGM_RSRC2:USER_SGPR: 6
; COMPUTE_PGM_RSRC2:TRAP_HANDLER: 0
; COMPUTE_PGM_RSRC2:TGID_X_EN: 1
; COMPUTE_PGM_RSRC2:TGID_Y_EN: 0
; COMPUTE_PGM_RSRC2:TGID_Z_EN: 0
; COMPUTE_PGM_RSRC2:TIDIG_COMP_CNT: 0
	.section	.text._ZN9rocsolver6v33100L18getri_kernel_smallILi56EdPdEEvT1_iilPiilS4_bb,"axG",@progbits,_ZN9rocsolver6v33100L18getri_kernel_smallILi56EdPdEEvT1_iilPiilS4_bb,comdat
	.globl	_ZN9rocsolver6v33100L18getri_kernel_smallILi56EdPdEEvT1_iilPiilS4_bb ; -- Begin function _ZN9rocsolver6v33100L18getri_kernel_smallILi56EdPdEEvT1_iilPiilS4_bb
	.p2align	8
	.type	_ZN9rocsolver6v33100L18getri_kernel_smallILi56EdPdEEvT1_iilPiilS4_bb,@function
_ZN9rocsolver6v33100L18getri_kernel_smallILi56EdPdEEvT1_iilPiilS4_bb: ; @_ZN9rocsolver6v33100L18getri_kernel_smallILi56EdPdEEvT1_iilPiilS4_bb
; %bb.0:
	s_add_u32 s0, s0, s7
	s_addc_u32 s1, s1, 0
	v_cmp_gt_u32_e32 vcc, 56, v0
	s_and_saveexec_b64 s[8:9], vcc
	s_cbranch_execz .LBB55_232
; %bb.1:
	s_load_dword s12, s[4:5], 0x38
	s_load_dwordx4 s[16:19], s[4:5], 0x10
	s_load_dwordx4 s[8:11], s[4:5], 0x28
                                        ; implicit-def: $sgpr20_sgpr21
	s_waitcnt lgkmcnt(0)
	s_bitcmp1_b32 s12, 8
	s_cselect_b64 s[22:23], -1, 0
	s_ashr_i32 s7, s6, 31
	s_bfe_u32 s12, s12, 0x10008
	s_cmp_eq_u32 s12, 0
	s_cbranch_scc1 .LBB55_3
; %bb.2:
	s_load_dword s12, s[4:5], 0x20
	s_mul_i32 s13, s8, s7
	s_mul_hi_u32 s14, s8, s6
	s_mul_i32 s9, s9, s6
	s_add_i32 s14, s14, s13
	s_add_i32 s9, s14, s9
	s_mul_i32 s8, s8, s6
	s_waitcnt lgkmcnt(0)
	s_ashr_i32 s13, s12, 31
	s_lshl_b64 s[8:9], s[8:9], 2
	s_add_u32 s14, s18, s8
	s_addc_u32 s15, s19, s9
	s_lshl_b64 s[8:9], s[12:13], 2
	s_add_u32 s20, s14, s8
	s_addc_u32 s21, s15, s9
.LBB55_3:
	s_load_dwordx4 s[12:15], s[4:5], 0x0
	s_load_dword s8, s[4:5], 0x38
	s_mul_i32 s9, s16, s7
	s_mul_hi_u32 s18, s16, s6
	s_add_i32 s9, s18, s9
	s_waitcnt lgkmcnt(0)
	s_ashr_i32 s5, s14, 31
	s_mov_b32 s4, s14
	s_mul_i32 s14, s17, s6
	s_add_i32 s17, s9, s14
	s_mul_i32 s16, s16, s6
	s_lshl_b64 s[16:17], s[16:17], 3
	s_add_u32 s9, s12, s16
	s_addc_u32 s12, s13, s17
	s_lshl_b64 s[4:5], s[4:5], 3
	s_add_u32 s4, s9, s4
	s_addc_u32 s5, s12, s5
	s_add_i32 s9, s15, s15
	v_add_u32_e32 v3, s9, v0
	v_ashrrev_i32_e32 v4, 31, v3
	v_lshlrev_b64 v[1:2], 3, v[3:4]
	v_add_u32_e32 v5, s15, v3
	v_mov_b32_e32 v4, s5
	v_add_co_u32_e32 v1, vcc, s4, v1
	v_ashrrev_i32_e32 v6, 31, v5
	v_addc_co_u32_e32 v2, vcc, v4, v2, vcc
	v_lshlrev_b64 v[3:4], 3, v[5:6]
	v_add_u32_e32 v7, s15, v5
	v_mov_b32_e32 v6, s5
	v_add_co_u32_e32 v3, vcc, s4, v3
	v_ashrrev_i32_e32 v8, 31, v7
	v_addc_co_u32_e32 v4, vcc, v6, v4, vcc
	;; [unrolled: 6-line block ×8, first 2 shown]
	v_lshlrev_b64 v[17:18], 3, v[19:20]
	v_mov_b32_e32 v21, s5
	v_add_co_u32_e32 v17, vcc, s4, v17
	v_addc_co_u32_e32 v18, vcc, v21, v18, vcc
	v_add_u32_e32 v21, s15, v19
	v_ashrrev_i32_e32 v22, 31, v21
	v_lshlrev_b64 v[19:20], 3, v[21:22]
	v_mov_b32_e32 v23, s5
	v_add_co_u32_e32 v19, vcc, s4, v19
	v_addc_co_u32_e32 v20, vcc, v23, v20, vcc
	v_add_u32_e32 v23, s15, v21
	v_ashrrev_i32_e32 v24, 31, v23
	;; [unrolled: 6-line block ×38, first 2 shown]
	v_lshlrev_b64 v[93:94], 3, v[95:96]
	v_mov_b32_e32 v97, s5
	v_add_co_u32_e32 v93, vcc, s4, v93
	v_addc_co_u32_e32 v94, vcc, v97, v94, vcc
	v_add_u32_e32 v97, s15, v95
	v_lshlrev_b32_e32 v115, 3, v0
	v_ashrrev_i32_e32 v98, 31, v97
	global_load_dwordx2 v[113:114], v115, s[4:5]
	v_lshlrev_b64 v[95:96], 3, v[97:98]
	v_mov_b32_e32 v98, s5
	v_add_co_u32_e32 v101, vcc, s4, v115
	s_ashr_i32 s13, s15, 31
	s_mov_b32 s12, s15
	v_addc_co_u32_e32 v102, vcc, 0, v98, vcc
	s_lshl_b64 s[12:13], s[12:13], 3
	v_mov_b32_e32 v98, s13
	v_add_co_u32_e32 v105, vcc, s12, v101
	v_addc_co_u32_e32 v106, vcc, v102, v98, vcc
	global_load_dwordx2 v[116:117], v[105:106], off
	global_load_dwordx2 v[118:119], v[1:2], off
	;; [unrolled: 1-line block ×8, first 2 shown]
	v_mov_b32_e32 v99, s5
	v_add_co_u32_e32 v95, vcc, s4, v95
	v_addc_co_u32_e32 v96, vcc, v99, v96, vcc
	v_add_u32_e32 v99, s15, v97
	v_ashrrev_i32_e32 v100, 31, v99
	v_lshlrev_b64 v[97:98], 3, v[99:100]
	global_load_dwordx2 v[132:133], v[15:16], off
	global_load_dwordx2 v[134:135], v[17:18], off
	v_mov_b32_e32 v103, s5
	v_add_co_u32_e32 v97, vcc, s4, v97
	v_addc_co_u32_e32 v98, vcc, v103, v98, vcc
	v_add_u32_e32 v103, s15, v99
	v_ashrrev_i32_e32 v104, 31, v103
	v_lshlrev_b64 v[99:100], 3, v[103:104]
	v_mov_b32_e32 v107, s5
	v_add_co_u32_e32 v99, vcc, s4, v99
	v_addc_co_u32_e32 v100, vcc, v107, v100, vcc
	v_add_u32_e32 v107, s15, v103
	global_load_dwordx2 v[136:137], v[19:20], off
	global_load_dwordx2 v[138:139], v[21:22], off
	global_load_dwordx2 v[140:141], v[23:24], off
	global_load_dwordx2 v[142:143], v[25:26], off
	v_ashrrev_i32_e32 v108, 31, v107
	v_lshlrev_b64 v[103:104], 3, v[107:108]
	v_mov_b32_e32 v109, s5
	v_add_co_u32_e32 v103, vcc, s4, v103
	v_addc_co_u32_e32 v104, vcc, v109, v104, vcc
	v_add_u32_e32 v109, s15, v107
	v_ashrrev_i32_e32 v110, 31, v109
	v_lshlrev_b64 v[107:108], 3, v[109:110]
	v_mov_b32_e32 v111, s5
	v_add_co_u32_e32 v107, vcc, s4, v107
	v_addc_co_u32_e32 v108, vcc, v111, v108, vcc
	v_add_u32_e32 v111, s15, v109
	v_ashrrev_i32_e32 v112, 31, v111
	v_lshlrev_b64 v[109:110], 3, v[111:112]
	v_mov_b32_e32 v146, s5
	v_add_co_u32_e32 v109, vcc, s4, v109
	global_load_dwordx2 v[144:145], v[27:28], off
	global_load_dwordx2 v[148:149], v[31:32], off
	global_load_dwordx2 v[150:151], v[33:34], off
	v_addc_co_u32_e32 v110, vcc, v146, v110, vcc
	global_load_dwordx2 v[146:147], v[29:30], off
	global_load_dwordx2 v[152:153], v[35:36], off
	;; [unrolled: 1-line block ×6, first 2 shown]
	v_add_u32_e32 v111, s15, v111
	v_ashrrev_i32_e32 v112, 31, v111
	v_lshlrev_b64 v[111:112], 3, v[111:112]
	v_mov_b32_e32 v162, s5
	v_add_co_u32_e32 v111, vcc, s4, v111
	v_addc_co_u32_e32 v112, vcc, v162, v112, vcc
	global_load_dwordx2 v[162:163], v[45:46], off
	global_load_dwordx2 v[164:165], v[47:48], off
	;; [unrolled: 1-line block ×17, first 2 shown]
	s_bitcmp0_b32 s8, 0
	s_waitcnt vmcnt(40)
	buffer_store_dword v114, off, s[0:3], 0 offset:4
	buffer_store_dword v113, off, s[0:3], 0
	global_load_dwordx2 v[113:114], v[49:50], off
	s_mov_b64 s[8:9], -1
	s_waitcnt vmcnt(42)
	buffer_store_dword v117, off, s[0:3], 0 offset:12
	buffer_store_dword v116, off, s[0:3], 0 offset:8
	global_load_dwordx2 v[116:117], v[53:54], off
	s_waitcnt vmcnt(44)
	buffer_store_dword v119, off, s[0:3], 0 offset:20
	buffer_store_dword v118, off, s[0:3], 0 offset:16
	global_load_dwordx2 v[118:119], v[57:58], off
	s_waitcnt vmcnt(46)
	buffer_store_dword v121, off, s[0:3], 0 offset:28
	buffer_store_dword v120, off, s[0:3], 0 offset:24
	global_load_dwordx2 v[120:121], v[61:62], off
	s_waitcnt vmcnt(48)
	buffer_store_dword v123, off, s[0:3], 0 offset:36
	buffer_store_dword v122, off, s[0:3], 0 offset:32
	global_load_dwordx2 v[122:123], v[65:66], off
	s_waitcnt vmcnt(50)
	buffer_store_dword v125, off, s[0:3], 0 offset:44
	buffer_store_dword v124, off, s[0:3], 0 offset:40
	global_load_dwordx2 v[124:125], v[69:70], off
	s_waitcnt vmcnt(52)
	buffer_store_dword v127, off, s[0:3], 0 offset:52
	buffer_store_dword v126, off, s[0:3], 0 offset:48
	global_load_dwordx2 v[126:127], v[73:74], off
	s_waitcnt vmcnt(54)
	buffer_store_dword v129, off, s[0:3], 0 offset:60
	buffer_store_dword v128, off, s[0:3], 0 offset:56
	global_load_dwordx2 v[128:129], v[77:78], off
	s_waitcnt vmcnt(56)
	buffer_store_dword v131, off, s[0:3], 0 offset:68
	buffer_store_dword v130, off, s[0:3], 0 offset:64
	global_load_dwordx2 v[130:131], v[81:82], off
	s_waitcnt vmcnt(58)
	buffer_store_dword v132, off, s[0:3], 0 offset:72
	buffer_store_dword v133, off, s[0:3], 0 offset:76
	global_load_dwordx2 v[132:133], v[85:86], off
	s_waitcnt vmcnt(60)
	buffer_store_dword v134, off, s[0:3], 0 offset:80
	buffer_store_dword v135, off, s[0:3], 0 offset:84
	global_load_dwordx2 v[134:135], v[89:90], off
	s_waitcnt vmcnt(62)
	buffer_store_dword v136, off, s[0:3], 0 offset:88
	buffer_store_dword v137, off, s[0:3], 0 offset:92
	global_load_dwordx2 v[136:137], v[93:94], off
	s_waitcnt vmcnt(62)
	buffer_store_dword v138, off, s[0:3], 0 offset:96
	buffer_store_dword v139, off, s[0:3], 0 offset:100
	global_load_dwordx2 v[138:139], v[97:98], off
	s_nop 0
	buffer_store_dword v140, off, s[0:3], 0 offset:104
	buffer_store_dword v141, off, s[0:3], 0 offset:108
	global_load_dwordx2 v[140:141], v[103:104], off
	s_nop 0
	buffer_store_dword v143, off, s[0:3], 0 offset:116
	buffer_store_dword v142, off, s[0:3], 0 offset:112
	global_load_dwordx2 v[142:143], v[109:110], off
	s_waitcnt vmcnt(62)
	buffer_store_dword v144, off, s[0:3], 0 offset:120
	buffer_store_dword v145, off, s[0:3], 0 offset:124
	;; [unrolled: 1-line block ×18, first 2 shown]
	s_waitcnt vmcnt(62)
	buffer_store_dword v162, off, s[0:3], 0 offset:192
	buffer_store_dword v163, off, s[0:3], 0 offset:196
	buffer_store_dword v165, off, s[0:3], 0 offset:204
	buffer_store_dword v164, off, s[0:3], 0 offset:200
	s_waitcnt vmcnt(62)
	buffer_store_dword v114, off, s[0:3], 0 offset:212
	buffer_store_dword v113, off, s[0:3], 0 offset:208
	buffer_store_dword v166, off, s[0:3], 0 offset:216
	buffer_store_dword v167, off, s[0:3], 0 offset:220
	;; [unrolled: 5-line block ×3, first 2 shown]
	buffer_store_dword v118, off, s[0:3], 0 offset:240
	buffer_store_dword v119, off, s[0:3], 0 offset:244
	;; [unrolled: 1-line block ×4, first 2 shown]
	s_waitcnt vmcnt(62)
	buffer_store_dword v121, off, s[0:3], 0 offset:260
	buffer_store_dword v120, off, s[0:3], 0 offset:256
	;; [unrolled: 1-line block ×8, first 2 shown]
	s_waitcnt vmcnt(62)
	buffer_store_dword v124, off, s[0:3], 0 offset:288
	buffer_store_dword v125, off, s[0:3], 0 offset:292
	;; [unrolled: 1-line block ×12, first 2 shown]
	s_waitcnt vmcnt(62)
	buffer_store_dword v130, off, s[0:3], 0 offset:336
	buffer_store_dword v131, off, s[0:3], 0 offset:340
	;; [unrolled: 1-line block ×16, first 2 shown]
	s_waitcnt vmcnt(62)
	buffer_store_dword v139, off, s[0:3], 0 offset:404
	buffer_store_dword v138, off, s[0:3], 0 offset:400
	;; [unrolled: 1-line block ×12, first 2 shown]
	s_cbranch_scc1 .LBB55_230
; %bb.4:
	v_cmp_eq_u32_e64 s[4:5], 0, v0
	s_and_saveexec_b64 s[8:9], s[4:5]
; %bb.5:
	v_mov_b32_e32 v113, 0
	ds_write_b32 v113, v113 offset:896
; %bb.6:
	s_or_b64 exec, exec, s[8:9]
	v_mov_b32_e32 v113, 0
	v_lshl_add_u32 v113, v0, 3, v113
	s_waitcnt lgkmcnt(0)
	; wave barrier
	buffer_load_dword v116, v113, s[0:3], 0 offen
	buffer_load_dword v117, v113, s[0:3], 0 offen offset:4
	s_waitcnt vmcnt(0)
	v_cmp_eq_f64_e32 vcc, 0, v[116:117]
	s_and_saveexec_b64 s[12:13], vcc
	s_cbranch_execz .LBB55_10
; %bb.7:
	v_mov_b32_e32 v114, 0
	ds_read_b32 v117, v114 offset:896
	v_add_u32_e32 v116, 1, v0
	s_waitcnt lgkmcnt(0)
	v_readfirstlane_b32 s8, v117
	s_cmp_eq_u32 s8, 0
	s_cselect_b64 s[14:15], -1, 0
	v_cmp_gt_i32_e32 vcc, s8, v116
	s_or_b64 s[14:15], s[14:15], vcc
	s_and_b64 exec, exec, s[14:15]
	s_cbranch_execz .LBB55_10
; %bb.8:
	s_mov_b64 s[14:15], 0
	v_mov_b32_e32 v117, s8
.LBB55_9:                               ; =>This Inner Loop Header: Depth=1
	ds_cmpst_rtn_b32 v117, v114, v117, v116 offset:896
	s_waitcnt lgkmcnt(0)
	v_cmp_ne_u32_e32 vcc, 0, v117
	v_cmp_le_i32_e64 s[8:9], v117, v116
	s_and_b64 s[8:9], vcc, s[8:9]
	s_and_b64 s[8:9], exec, s[8:9]
	s_or_b64 s[14:15], s[8:9], s[14:15]
	s_andn2_b64 exec, exec, s[14:15]
	s_cbranch_execnz .LBB55_9
.LBB55_10:
	s_or_b64 exec, exec, s[12:13]
	v_mov_b32_e32 v116, 0
	; wave barrier
	ds_read_b32 v114, v116 offset:896
	s_and_saveexec_b64 s[8:9], s[4:5]
	s_cbranch_execz .LBB55_12
; %bb.11:
	s_lshl_b64 s[12:13], s[6:7], 2
	s_add_u32 s12, s10, s12
	s_addc_u32 s13, s11, s13
	s_waitcnt lgkmcnt(0)
	global_store_dword v116, v114, s[12:13]
.LBB55_12:
	s_or_b64 exec, exec, s[8:9]
	s_waitcnt lgkmcnt(0)
	v_cmp_ne_u32_e32 vcc, 0, v114
	s_mov_b64 s[8:9], 0
	s_cbranch_vccnz .LBB55_230
; %bb.13:
	buffer_load_dword v116, v113, s[0:3], 0 offen
	buffer_load_dword v117, v113, s[0:3], 0 offen offset:4
	s_waitcnt vmcnt(0)
	v_div_scale_f64 v[118:119], s[8:9], v[116:117], v[116:117], 1.0
	v_rcp_f64_e32 v[120:121], v[118:119]
	v_fma_f64 v[122:123], -v[118:119], v[120:121], 1.0
	v_fma_f64 v[120:121], v[120:121], v[122:123], v[120:121]
	v_div_scale_f64 v[122:123], vcc, 1.0, v[116:117], 1.0
	v_fma_f64 v[124:125], -v[118:119], v[120:121], 1.0
	v_fma_f64 v[120:121], v[120:121], v[124:125], v[120:121]
	v_mul_f64 v[124:125], v[122:123], v[120:121]
	v_fma_f64 v[118:119], -v[118:119], v[124:125], v[122:123]
	v_div_fmas_f64 v[118:119], v[118:119], v[120:121], v[124:125]
	v_div_fixup_f64 v[117:118], v[118:119], v[116:117], 1.0
	v_add_u32_e32 v116, 0x1c0, v115
	buffer_store_dword v118, v113, s[0:3], 0 offen offset:4
	buffer_store_dword v117, v113, s[0:3], 0 offen
	buffer_load_dword v120, off, s[0:3], 0 offset:12
	buffer_load_dword v119, off, s[0:3], 0 offset:8
	v_xor_b32_e32 v118, 0x80000000, v118
	s_waitcnt vmcnt(0)
	ds_write2_b64 v115, v[117:118], v[119:120] offset1:56
	s_waitcnt lgkmcnt(0)
	; wave barrier
	s_and_saveexec_b64 s[8:9], s[4:5]
	s_cbranch_execz .LBB55_15
; %bb.14:
	buffer_load_dword v117, v113, s[0:3], 0 offen
	buffer_load_dword v118, v113, s[0:3], 0 offen offset:4
	ds_read_b64 v[119:120], v116
	v_mov_b32_e32 v114, 0
	ds_read_b64 v[121:122], v114 offset:8
	s_waitcnt vmcnt(0) lgkmcnt(1)
	v_fma_f64 v[117:118], v[117:118], v[119:120], 0
	s_waitcnt lgkmcnt(0)
	v_mul_f64 v[117:118], v[117:118], v[121:122]
	buffer_store_dword v117, off, s[0:3], 0 offset:8
	buffer_store_dword v118, off, s[0:3], 0 offset:12
.LBB55_15:
	s_or_b64 exec, exec, s[8:9]
	; wave barrier
	buffer_load_dword v117, off, s[0:3], 0 offset:16
	buffer_load_dword v118, off, s[0:3], 0 offset:20
	v_cmp_gt_u32_e32 vcc, 2, v0
	s_waitcnt vmcnt(0)
	ds_write_b64 v116, v[117:118]
	s_waitcnt lgkmcnt(0)
	; wave barrier
	s_and_saveexec_b64 s[8:9], vcc
	s_cbranch_execz .LBB55_17
; %bb.16:
	buffer_load_dword v117, v113, s[0:3], 0 offen
	buffer_load_dword v118, v113, s[0:3], 0 offen offset:4
                                        ; kill: killed $vgpr113
	s_nop 0
	buffer_load_dword v113, off, s[0:3], 0 offset:8
	buffer_load_dword v114, off, s[0:3], 0 offset:12
	ds_read_b64 v[119:120], v116
	s_waitcnt vmcnt(2) lgkmcnt(0)
	v_fma_f64 v[121:122], v[117:118], v[119:120], 0
	v_mov_b32_e32 v117, 0
	ds_read2_b64 v[117:120], v117 offset0:2 offset1:57
	s_waitcnt vmcnt(0) lgkmcnt(0)
	v_fma_f64 v[113:114], v[113:114], v[119:120], v[121:122]
	v_cndmask_b32_e64 v114, v122, v114, s[4:5]
	v_cndmask_b32_e64 v113, v121, v113, s[4:5]
	v_mul_f64 v[113:114], v[113:114], v[117:118]
	buffer_store_dword v114, off, s[0:3], 0 offset:20
	buffer_store_dword v113, off, s[0:3], 0 offset:16
.LBB55_17:
	s_or_b64 exec, exec, s[8:9]
	; wave barrier
	buffer_load_dword v113, off, s[0:3], 0 offset:24
	buffer_load_dword v114, off, s[0:3], 0 offset:28
	v_cmp_gt_u32_e32 vcc, 3, v0
	v_add_u32_e32 v117, -1, v0
	s_waitcnt vmcnt(0)
	ds_write_b64 v116, v[113:114]
	s_waitcnt lgkmcnt(0)
	; wave barrier
	s_and_saveexec_b64 s[4:5], vcc
	s_cbranch_execz .LBB55_21
; %bb.18:
	v_mov_b32_e32 v113, 0
	v_add_u32_e32 v118, -1, v0
	v_add_u32_e32 v119, 0x1c0, v115
	v_mov_b32_e32 v120, v115
	v_mov_b32_e32 v114, 0
	s_mov_b64 s[8:9], 0
.LBB55_19:                              ; =>This Inner Loop Header: Depth=1
	buffer_load_dword v121, v120, s[0:3], 0 offen
	buffer_load_dword v122, v120, s[0:3], 0 offen offset:4
	ds_read_b64 v[123:124], v119
	v_add_u32_e32 v118, 1, v118
	v_cmp_lt_u32_e32 vcc, 1, v118
	v_add_u32_e32 v119, 8, v119
	s_or_b64 s[8:9], vcc, s[8:9]
	v_add_u32_e32 v120, 8, v120
	s_waitcnt vmcnt(0) lgkmcnt(0)
	v_fma_f64 v[113:114], v[121:122], v[123:124], v[113:114]
	s_andn2_b64 exec, exec, s[8:9]
	s_cbranch_execnz .LBB55_19
; %bb.20:
	s_or_b64 exec, exec, s[8:9]
	v_mov_b32_e32 v118, 0
	ds_read_b64 v[118:119], v118 offset:24
	s_waitcnt lgkmcnt(0)
	v_mul_f64 v[113:114], v[113:114], v[118:119]
	buffer_store_dword v114, off, s[0:3], 0 offset:28
	buffer_store_dword v113, off, s[0:3], 0 offset:24
.LBB55_21:
	s_or_b64 exec, exec, s[4:5]
	; wave barrier
	buffer_load_dword v113, off, s[0:3], 0 offset:32
	buffer_load_dword v114, off, s[0:3], 0 offset:36
	v_cmp_gt_u32_e32 vcc, 4, v0
	s_waitcnt vmcnt(0)
	ds_write_b64 v116, v[113:114]
	s_waitcnt lgkmcnt(0)
	; wave barrier
	s_and_saveexec_b64 s[4:5], vcc
	s_cbranch_execz .LBB55_25
; %bb.22:
	v_mov_b32_e32 v113, 0
	v_add_u32_e32 v118, -1, v0
	v_add_u32_e32 v119, 0x1c0, v115
	v_mov_b32_e32 v120, v115
	v_mov_b32_e32 v114, 0
	s_mov_b64 s[8:9], 0
.LBB55_23:                              ; =>This Inner Loop Header: Depth=1
	buffer_load_dword v121, v120, s[0:3], 0 offen
	buffer_load_dword v122, v120, s[0:3], 0 offen offset:4
	ds_read_b64 v[123:124], v119
	v_add_u32_e32 v118, 1, v118
	v_cmp_lt_u32_e32 vcc, 2, v118
	v_add_u32_e32 v119, 8, v119
	s_or_b64 s[8:9], vcc, s[8:9]
	v_add_u32_e32 v120, 8, v120
	s_waitcnt vmcnt(0) lgkmcnt(0)
	v_fma_f64 v[113:114], v[121:122], v[123:124], v[113:114]
	s_andn2_b64 exec, exec, s[8:9]
	s_cbranch_execnz .LBB55_23
; %bb.24:
	s_or_b64 exec, exec, s[8:9]
	v_mov_b32_e32 v118, 0
	ds_read_b64 v[118:119], v118 offset:32
	s_waitcnt lgkmcnt(0)
	v_mul_f64 v[113:114], v[113:114], v[118:119]
	buffer_store_dword v114, off, s[0:3], 0 offset:36
	buffer_store_dword v113, off, s[0:3], 0 offset:32
.LBB55_25:
	s_or_b64 exec, exec, s[4:5]
	; wave barrier
	buffer_load_dword v113, off, s[0:3], 0 offset:40
	buffer_load_dword v114, off, s[0:3], 0 offset:44
	v_cmp_gt_u32_e32 vcc, 5, v0
	;; [unrolled: 40-line block ×21, first 2 shown]
	s_waitcnt vmcnt(0)
	ds_write_b64 v116, v[113:114]
	s_waitcnt lgkmcnt(0)
	; wave barrier
	s_and_saveexec_b64 s[4:5], vcc
	s_cbranch_execz .LBB55_105
; %bb.102:
	v_mov_b32_e32 v113, 0
	v_add_u32_e32 v118, -1, v0
	v_add_u32_e32 v119, 0x1c0, v115
	v_mov_b32_e32 v120, v115
	v_mov_b32_e32 v114, 0
	s_mov_b64 s[8:9], 0
.LBB55_103:                             ; =>This Inner Loop Header: Depth=1
	buffer_load_dword v121, v120, s[0:3], 0 offen
	buffer_load_dword v122, v120, s[0:3], 0 offen offset:4
	ds_read_b64 v[123:124], v119
	v_add_u32_e32 v118, 1, v118
	v_cmp_lt_u32_e32 vcc, 22, v118
	v_add_u32_e32 v119, 8, v119
	s_or_b64 s[8:9], vcc, s[8:9]
	v_add_u32_e32 v120, 8, v120
	s_waitcnt vmcnt(0) lgkmcnt(0)
	v_fma_f64 v[113:114], v[121:122], v[123:124], v[113:114]
	s_andn2_b64 exec, exec, s[8:9]
	s_cbranch_execnz .LBB55_103
; %bb.104:
	s_or_b64 exec, exec, s[8:9]
	v_mov_b32_e32 v118, 0
	ds_read_b64 v[118:119], v118 offset:192
	s_waitcnt lgkmcnt(0)
	v_mul_f64 v[113:114], v[113:114], v[118:119]
	buffer_store_dword v114, off, s[0:3], 0 offset:196
	buffer_store_dword v113, off, s[0:3], 0 offset:192
.LBB55_105:
	s_or_b64 exec, exec, s[4:5]
	; wave barrier
	buffer_load_dword v113, off, s[0:3], 0 offset:200
	buffer_load_dword v114, off, s[0:3], 0 offset:204
	v_cmp_gt_u32_e32 vcc, 25, v0
	s_waitcnt vmcnt(0)
	ds_write_b64 v116, v[113:114]
	s_waitcnt lgkmcnt(0)
	; wave barrier
	s_and_saveexec_b64 s[4:5], vcc
	s_cbranch_execz .LBB55_109
; %bb.106:
	v_mov_b32_e32 v113, 0
	v_add_u32_e32 v118, -1, v0
	v_add_u32_e32 v119, 0x1c0, v115
	v_mov_b32_e32 v120, v115
	v_mov_b32_e32 v114, 0
	s_mov_b64 s[8:9], 0
.LBB55_107:                             ; =>This Inner Loop Header: Depth=1
	buffer_load_dword v121, v120, s[0:3], 0 offen
	buffer_load_dword v122, v120, s[0:3], 0 offen offset:4
	ds_read_b64 v[123:124], v119
	v_add_u32_e32 v118, 1, v118
	v_cmp_lt_u32_e32 vcc, 23, v118
	v_add_u32_e32 v119, 8, v119
	s_or_b64 s[8:9], vcc, s[8:9]
	v_add_u32_e32 v120, 8, v120
	s_waitcnt vmcnt(0) lgkmcnt(0)
	v_fma_f64 v[113:114], v[121:122], v[123:124], v[113:114]
	s_andn2_b64 exec, exec, s[8:9]
	s_cbranch_execnz .LBB55_107
; %bb.108:
	s_or_b64 exec, exec, s[8:9]
	v_mov_b32_e32 v118, 0
	ds_read_b64 v[118:119], v118 offset:200
	s_waitcnt lgkmcnt(0)
	v_mul_f64 v[113:114], v[113:114], v[118:119]
	buffer_store_dword v114, off, s[0:3], 0 offset:204
	buffer_store_dword v113, off, s[0:3], 0 offset:200
.LBB55_109:
	s_or_b64 exec, exec, s[4:5]
	; wave barrier
	buffer_load_dword v113, off, s[0:3], 0 offset:208
	buffer_load_dword v114, off, s[0:3], 0 offset:212
	v_cmp_gt_u32_e32 vcc, 26, v0
	;; [unrolled: 40-line block ×30, first 2 shown]
	s_waitcnt vmcnt(0)
	ds_write_b64 v116, v[113:114]
	s_waitcnt lgkmcnt(0)
	; wave barrier
	s_and_saveexec_b64 s[4:5], vcc
	s_cbranch_execz .LBB55_225
; %bb.222:
	v_mov_b32_e32 v113, 0
	v_add_u32_e32 v118, -1, v0
	v_add_u32_e32 v119, 0x1c0, v115
	v_mov_b32_e32 v120, v115
	v_mov_b32_e32 v114, 0
	s_mov_b64 s[8:9], 0
.LBB55_223:                             ; =>This Inner Loop Header: Depth=1
	buffer_load_dword v121, v120, s[0:3], 0 offen
	buffer_load_dword v122, v120, s[0:3], 0 offen offset:4
	ds_read_b64 v[123:124], v119
	v_add_u32_e32 v118, 1, v118
	v_cmp_lt_u32_e32 vcc, 52, v118
	v_add_u32_e32 v119, 8, v119
	s_or_b64 s[8:9], vcc, s[8:9]
	v_add_u32_e32 v120, 8, v120
	s_waitcnt vmcnt(0) lgkmcnt(0)
	v_fma_f64 v[113:114], v[121:122], v[123:124], v[113:114]
	s_andn2_b64 exec, exec, s[8:9]
	s_cbranch_execnz .LBB55_223
; %bb.224:
	s_or_b64 exec, exec, s[8:9]
	v_mov_b32_e32 v118, 0
	ds_read_b64 v[118:119], v118 offset:432
	s_waitcnt lgkmcnt(0)
	v_mul_f64 v[113:114], v[113:114], v[118:119]
	buffer_store_dword v114, off, s[0:3], 0 offset:436
	buffer_store_dword v113, off, s[0:3], 0 offset:432
.LBB55_225:
	s_or_b64 exec, exec, s[4:5]
	; wave barrier
	buffer_load_dword v113, off, s[0:3], 0 offset:440
	buffer_load_dword v114, off, s[0:3], 0 offset:444
	v_cmp_ne_u32_e32 vcc, 55, v0
	s_waitcnt vmcnt(0)
	ds_write_b64 v116, v[113:114]
	s_waitcnt lgkmcnt(0)
	; wave barrier
	s_and_saveexec_b64 s[4:5], vcc
	s_cbranch_execz .LBB55_229
; %bb.226:
	v_mov_b32_e32 v113, 0
	v_add_u32_e32 v116, 0x1c0, v115
	v_mov_b32_e32 v114, 0
	s_mov_b64 s[8:9], 0
.LBB55_227:                             ; =>This Inner Loop Header: Depth=1
	buffer_load_dword v118, v115, s[0:3], 0 offen
	buffer_load_dword v119, v115, s[0:3], 0 offen offset:4
	ds_read_b64 v[120:121], v116
	v_add_u32_e32 v117, 1, v117
	v_cmp_lt_u32_e32 vcc, 53, v117
	v_add_u32_e32 v116, 8, v116
	s_or_b64 s[8:9], vcc, s[8:9]
	v_add_u32_e32 v115, 8, v115
	s_waitcnt vmcnt(0) lgkmcnt(0)
	v_fma_f64 v[113:114], v[118:119], v[120:121], v[113:114]
	s_andn2_b64 exec, exec, s[8:9]
	s_cbranch_execnz .LBB55_227
; %bb.228:
	s_or_b64 exec, exec, s[8:9]
	v_mov_b32_e32 v115, 0
	ds_read_b64 v[115:116], v115 offset:440
	s_waitcnt lgkmcnt(0)
	v_mul_f64 v[113:114], v[113:114], v[115:116]
	buffer_store_dword v114, off, s[0:3], 0 offset:444
	buffer_store_dword v113, off, s[0:3], 0 offset:440
.LBB55_229:
	s_or_b64 exec, exec, s[4:5]
	s_mov_b64 s[8:9], -1
	; wave barrier
.LBB55_230:
	s_and_b64 vcc, exec, s[8:9]
	s_cbranch_vccz .LBB55_232
; %bb.231:
	s_lshl_b64 s[4:5], s[6:7], 2
	s_add_u32 s4, s10, s4
	s_addc_u32 s5, s11, s5
	v_mov_b32_e32 v113, 0
	global_load_dword v113, v113, s[4:5]
	s_waitcnt vmcnt(0)
	v_cmp_ne_u32_e32 vcc, 0, v113
	s_cbranch_vccz .LBB55_233
.LBB55_232:
	s_endpgm
.LBB55_233:
	v_mov_b32_e32 v113, 0x1c0
	v_lshl_add_u32 v113, v0, 3, v113
	v_cmp_eq_u32_e32 vcc, 55, v0
	s_and_saveexec_b64 s[4:5], vcc
	s_cbranch_execz .LBB55_235
; %bb.234:
	buffer_load_dword v114, off, s[0:3], 0 offset:432
	buffer_load_dword v115, off, s[0:3], 0 offset:436
	v_mov_b32_e32 v116, 0
	buffer_store_dword v116, off, s[0:3], 0 offset:432
	buffer_store_dword v116, off, s[0:3], 0 offset:436
	s_waitcnt vmcnt(2)
	ds_write_b64 v113, v[114:115]
.LBB55_235:
	s_or_b64 exec, exec, s[4:5]
	s_waitcnt lgkmcnt(0)
	; wave barrier
	buffer_load_dword v115, off, s[0:3], 0 offset:440
	buffer_load_dword v116, off, s[0:3], 0 offset:444
	;; [unrolled: 1-line block ×4, first 2 shown]
	v_mov_b32_e32 v114, 0
	ds_read_b64 v[119:120], v114 offset:888
	v_cmp_lt_u32_e32 vcc, 53, v0
	s_waitcnt vmcnt(2) lgkmcnt(0)
	v_fma_f64 v[115:116], v[115:116], v[119:120], 0
	s_waitcnt vmcnt(0)
	v_add_f64 v[115:116], v[117:118], -v[115:116]
	buffer_store_dword v115, off, s[0:3], 0 offset:432
	buffer_store_dword v116, off, s[0:3], 0 offset:436
	s_and_saveexec_b64 s[4:5], vcc
	s_cbranch_execz .LBB55_237
; %bb.236:
	buffer_load_dword v115, off, s[0:3], 0 offset:424
	buffer_load_dword v116, off, s[0:3], 0 offset:428
	s_waitcnt vmcnt(0)
	ds_write_b64 v113, v[115:116]
	buffer_store_dword v114, off, s[0:3], 0 offset:424
	buffer_store_dword v114, off, s[0:3], 0 offset:428
.LBB55_237:
	s_or_b64 exec, exec, s[4:5]
	s_waitcnt lgkmcnt(0)
	; wave barrier
	buffer_load_dword v118, off, s[0:3], 0 offset:432
	buffer_load_dword v119, off, s[0:3], 0 offset:436
	;; [unrolled: 1-line block ×6, first 2 shown]
	ds_read_b128 v[114:117], v114 offset:880
	v_cmp_lt_u32_e32 vcc, 52, v0
	s_waitcnt vmcnt(4) lgkmcnt(0)
	v_fma_f64 v[114:115], v[118:119], v[114:115], 0
	s_waitcnt vmcnt(2)
	v_fma_f64 v[114:115], v[120:121], v[116:117], v[114:115]
	s_waitcnt vmcnt(0)
	v_add_f64 v[114:115], v[122:123], -v[114:115]
	buffer_store_dword v114, off, s[0:3], 0 offset:424
	buffer_store_dword v115, off, s[0:3], 0 offset:428
	s_and_saveexec_b64 s[4:5], vcc
	s_cbranch_execz .LBB55_239
; %bb.238:
	buffer_load_dword v114, off, s[0:3], 0 offset:416
	buffer_load_dword v115, off, s[0:3], 0 offset:420
	v_mov_b32_e32 v116, 0
	buffer_store_dword v116, off, s[0:3], 0 offset:416
	buffer_store_dword v116, off, s[0:3], 0 offset:420
	s_waitcnt vmcnt(2)
	ds_write_b64 v113, v[114:115]
.LBB55_239:
	s_or_b64 exec, exec, s[4:5]
	s_waitcnt lgkmcnt(0)
	; wave barrier
	buffer_load_dword v119, off, s[0:3], 0 offset:424
	buffer_load_dword v120, off, s[0:3], 0 offset:428
	;; [unrolled: 1-line block ×8, first 2 shown]
	v_mov_b32_e32 v114, 0
	ds_read2_b64 v[115:118], v114 offset0:109 offset1:110
	v_cmp_lt_u32_e32 vcc, 51, v0
	s_waitcnt vmcnt(6) lgkmcnt(0)
	v_fma_f64 v[115:116], v[119:120], v[115:116], 0
	s_waitcnt vmcnt(4)
	v_fma_f64 v[115:116], v[121:122], v[117:118], v[115:116]
	ds_read_b64 v[117:118], v114 offset:888
	s_waitcnt vmcnt(2) lgkmcnt(0)
	v_fma_f64 v[115:116], v[123:124], v[117:118], v[115:116]
	s_waitcnt vmcnt(0)
	v_add_f64 v[115:116], v[125:126], -v[115:116]
	buffer_store_dword v115, off, s[0:3], 0 offset:416
	buffer_store_dword v116, off, s[0:3], 0 offset:420
	s_and_saveexec_b64 s[4:5], vcc
	s_cbranch_execz .LBB55_241
; %bb.240:
	buffer_load_dword v115, off, s[0:3], 0 offset:408
	buffer_load_dword v116, off, s[0:3], 0 offset:412
	s_waitcnt vmcnt(0)
	ds_write_b64 v113, v[115:116]
	buffer_store_dword v114, off, s[0:3], 0 offset:408
	buffer_store_dword v114, off, s[0:3], 0 offset:412
.LBB55_241:
	s_or_b64 exec, exec, s[4:5]
	s_waitcnt lgkmcnt(0)
	; wave barrier
	buffer_load_dword v123, off, s[0:3], 0 offset:416
	buffer_load_dword v124, off, s[0:3], 0 offset:420
	;; [unrolled: 1-line block ×10, first 2 shown]
	ds_read_b128 v[115:118], v114 offset:864
	ds_read_b128 v[119:122], v114 offset:880
	v_cmp_lt_u32_e32 vcc, 50, v0
	s_waitcnt vmcnt(8) lgkmcnt(1)
	v_fma_f64 v[114:115], v[123:124], v[115:116], 0
	s_waitcnt vmcnt(6)
	v_fma_f64 v[114:115], v[125:126], v[117:118], v[114:115]
	s_waitcnt vmcnt(4) lgkmcnt(0)
	v_fma_f64 v[114:115], v[127:128], v[119:120], v[114:115]
	s_waitcnt vmcnt(2)
	v_fma_f64 v[114:115], v[129:130], v[121:122], v[114:115]
	s_waitcnt vmcnt(0)
	v_add_f64 v[114:115], v[131:132], -v[114:115]
	buffer_store_dword v114, off, s[0:3], 0 offset:408
	buffer_store_dword v115, off, s[0:3], 0 offset:412
	s_and_saveexec_b64 s[4:5], vcc
	s_cbranch_execz .LBB55_243
; %bb.242:
	buffer_load_dword v114, off, s[0:3], 0 offset:400
	buffer_load_dword v115, off, s[0:3], 0 offset:404
	v_mov_b32_e32 v116, 0
	buffer_store_dword v116, off, s[0:3], 0 offset:400
	buffer_store_dword v116, off, s[0:3], 0 offset:404
	s_waitcnt vmcnt(2)
	ds_write_b64 v113, v[114:115]
.LBB55_243:
	s_or_b64 exec, exec, s[4:5]
	s_waitcnt lgkmcnt(0)
	; wave barrier
	buffer_load_dword v123, off, s[0:3], 0 offset:408
	buffer_load_dword v124, off, s[0:3], 0 offset:412
	;; [unrolled: 1-line block ×12, first 2 shown]
	v_mov_b32_e32 v114, 0
	ds_read2_b64 v[115:118], v114 offset0:107 offset1:108
	ds_read2_b64 v[119:122], v114 offset0:109 offset1:110
	v_cmp_lt_u32_e32 vcc, 49, v0
	s_waitcnt vmcnt(10) lgkmcnt(1)
	v_fma_f64 v[115:116], v[123:124], v[115:116], 0
	s_waitcnt vmcnt(8)
	v_fma_f64 v[115:116], v[125:126], v[117:118], v[115:116]
	ds_read_b64 v[117:118], v114 offset:888
	s_waitcnt vmcnt(6) lgkmcnt(1)
	v_fma_f64 v[115:116], v[127:128], v[119:120], v[115:116]
	s_waitcnt vmcnt(4)
	v_fma_f64 v[115:116], v[129:130], v[121:122], v[115:116]
	s_waitcnt vmcnt(2) lgkmcnt(0)
	v_fma_f64 v[115:116], v[131:132], v[117:118], v[115:116]
	s_waitcnt vmcnt(0)
	v_add_f64 v[115:116], v[133:134], -v[115:116]
	buffer_store_dword v115, off, s[0:3], 0 offset:400
	buffer_store_dword v116, off, s[0:3], 0 offset:404
	s_and_saveexec_b64 s[4:5], vcc
	s_cbranch_execz .LBB55_245
; %bb.244:
	buffer_load_dword v115, off, s[0:3], 0 offset:392
	buffer_load_dword v116, off, s[0:3], 0 offset:396
	s_waitcnt vmcnt(0)
	ds_write_b64 v113, v[115:116]
	buffer_store_dword v114, off, s[0:3], 0 offset:392
	buffer_store_dword v114, off, s[0:3], 0 offset:396
.LBB55_245:
	s_or_b64 exec, exec, s[4:5]
	s_waitcnt lgkmcnt(0)
	; wave barrier
	buffer_load_dword v123, off, s[0:3], 0 offset:400
	buffer_load_dword v124, off, s[0:3], 0 offset:404
	;; [unrolled: 1-line block ×14, first 2 shown]
	ds_read_b128 v[115:118], v114 offset:848
	ds_read_b128 v[119:122], v114 offset:864
	v_cmp_lt_u32_e32 vcc, 48, v0
	s_waitcnt vmcnt(12) lgkmcnt(1)
	v_fma_f64 v[115:116], v[123:124], v[115:116], 0
	s_waitcnt vmcnt(10)
	v_fma_f64 v[115:116], v[125:126], v[117:118], v[115:116]
	s_waitcnt vmcnt(8) lgkmcnt(0)
	v_fma_f64 v[115:116], v[127:128], v[119:120], v[115:116]
	s_waitcnt vmcnt(6)
	v_fma_f64 v[118:119], v[129:130], v[121:122], v[115:116]
	ds_read_b128 v[114:117], v114 offset:880
	s_waitcnt vmcnt(4) lgkmcnt(0)
	v_fma_f64 v[114:115], v[131:132], v[114:115], v[118:119]
	s_waitcnt vmcnt(2)
	v_fma_f64 v[114:115], v[133:134], v[116:117], v[114:115]
	s_waitcnt vmcnt(0)
	v_add_f64 v[114:115], v[135:136], -v[114:115]
	buffer_store_dword v114, off, s[0:3], 0 offset:392
	buffer_store_dword v115, off, s[0:3], 0 offset:396
	s_and_saveexec_b64 s[4:5], vcc
	s_cbranch_execz .LBB55_247
; %bb.246:
	buffer_load_dword v114, off, s[0:3], 0 offset:384
	buffer_load_dword v115, off, s[0:3], 0 offset:388
	v_mov_b32_e32 v116, 0
	buffer_store_dword v116, off, s[0:3], 0 offset:384
	buffer_store_dword v116, off, s[0:3], 0 offset:388
	s_waitcnt vmcnt(2)
	ds_write_b64 v113, v[114:115]
.LBB55_247:
	s_or_b64 exec, exec, s[4:5]
	s_waitcnt lgkmcnt(0)
	; wave barrier
	buffer_load_dword v123, off, s[0:3], 0 offset:392
	buffer_load_dword v124, off, s[0:3], 0 offset:396
	buffer_load_dword v125, off, s[0:3], 0 offset:400
	buffer_load_dword v126, off, s[0:3], 0 offset:404
	buffer_load_dword v127, off, s[0:3], 0 offset:408
	buffer_load_dword v128, off, s[0:3], 0 offset:412
	buffer_load_dword v129, off, s[0:3], 0 offset:416
	buffer_load_dword v130, off, s[0:3], 0 offset:420
	buffer_load_dword v131, off, s[0:3], 0 offset:424
	buffer_load_dword v132, off, s[0:3], 0 offset:428
	buffer_load_dword v133, off, s[0:3], 0 offset:432
	buffer_load_dword v134, off, s[0:3], 0 offset:436
	buffer_load_dword v135, off, s[0:3], 0 offset:440
	buffer_load_dword v136, off, s[0:3], 0 offset:444
	buffer_load_dword v137, off, s[0:3], 0 offset:384
	buffer_load_dword v138, off, s[0:3], 0 offset:388
	v_mov_b32_e32 v114, 0
	ds_read2_b64 v[115:118], v114 offset0:105 offset1:106
	ds_read2_b64 v[119:122], v114 offset0:107 offset1:108
	v_cmp_lt_u32_e32 vcc, 47, v0
	s_waitcnt vmcnt(14) lgkmcnt(1)
	v_fma_f64 v[115:116], v[123:124], v[115:116], 0
	s_waitcnt vmcnt(12)
	v_fma_f64 v[115:116], v[125:126], v[117:118], v[115:116]
	s_waitcnt vmcnt(10) lgkmcnt(0)
	v_fma_f64 v[115:116], v[127:128], v[119:120], v[115:116]
	s_waitcnt vmcnt(8)
	v_fma_f64 v[119:120], v[129:130], v[121:122], v[115:116]
	ds_read2_b64 v[115:118], v114 offset0:109 offset1:110
	ds_read_b64 v[121:122], v114 offset:888
	s_waitcnt vmcnt(6) lgkmcnt(1)
	v_fma_f64 v[115:116], v[131:132], v[115:116], v[119:120]
	s_waitcnt vmcnt(4)
	v_fma_f64 v[115:116], v[133:134], v[117:118], v[115:116]
	s_waitcnt vmcnt(2) lgkmcnt(0)
	v_fma_f64 v[115:116], v[135:136], v[121:122], v[115:116]
	s_waitcnt vmcnt(0)
	v_add_f64 v[115:116], v[137:138], -v[115:116]
	buffer_store_dword v115, off, s[0:3], 0 offset:384
	buffer_store_dword v116, off, s[0:3], 0 offset:388
	s_and_saveexec_b64 s[4:5], vcc
	s_cbranch_execz .LBB55_249
; %bb.248:
	buffer_load_dword v115, off, s[0:3], 0 offset:376
	buffer_load_dword v116, off, s[0:3], 0 offset:380
	s_waitcnt vmcnt(0)
	ds_write_b64 v113, v[115:116]
	buffer_store_dword v114, off, s[0:3], 0 offset:376
	buffer_store_dword v114, off, s[0:3], 0 offset:380
.LBB55_249:
	s_or_b64 exec, exec, s[4:5]
	s_waitcnt lgkmcnt(0)
	; wave barrier
	buffer_load_dword v123, off, s[0:3], 0 offset:384
	buffer_load_dword v124, off, s[0:3], 0 offset:388
	;; [unrolled: 1-line block ×18, first 2 shown]
	ds_read_b128 v[115:118], v114 offset:832
	ds_read_b128 v[119:122], v114 offset:848
	v_cmp_lt_u32_e32 vcc, 46, v0
	s_waitcnt vmcnt(16) lgkmcnt(1)
	v_fma_f64 v[115:116], v[123:124], v[115:116], 0
	s_waitcnt vmcnt(14)
	v_fma_f64 v[115:116], v[125:126], v[117:118], v[115:116]
	s_waitcnt vmcnt(12) lgkmcnt(0)
	v_fma_f64 v[115:116], v[127:128], v[119:120], v[115:116]
	s_waitcnt vmcnt(10)
	v_fma_f64 v[123:124], v[129:130], v[121:122], v[115:116]
	ds_read_b128 v[115:118], v114 offset:864
	ds_read_b128 v[119:122], v114 offset:880
	s_waitcnt vmcnt(8) lgkmcnt(1)
	v_fma_f64 v[114:115], v[131:132], v[115:116], v[123:124]
	s_waitcnt vmcnt(6)
	v_fma_f64 v[114:115], v[133:134], v[117:118], v[114:115]
	s_waitcnt vmcnt(4) lgkmcnt(0)
	v_fma_f64 v[114:115], v[135:136], v[119:120], v[114:115]
	s_waitcnt vmcnt(2)
	v_fma_f64 v[114:115], v[137:138], v[121:122], v[114:115]
	s_waitcnt vmcnt(0)
	v_add_f64 v[114:115], v[139:140], -v[114:115]
	buffer_store_dword v114, off, s[0:3], 0 offset:376
	buffer_store_dword v115, off, s[0:3], 0 offset:380
	s_and_saveexec_b64 s[4:5], vcc
	s_cbranch_execz .LBB55_251
; %bb.250:
	buffer_load_dword v114, off, s[0:3], 0 offset:368
	buffer_load_dword v115, off, s[0:3], 0 offset:372
	v_mov_b32_e32 v116, 0
	buffer_store_dword v116, off, s[0:3], 0 offset:368
	buffer_store_dword v116, off, s[0:3], 0 offset:372
	s_waitcnt vmcnt(2)
	ds_write_b64 v113, v[114:115]
.LBB55_251:
	s_or_b64 exec, exec, s[4:5]
	s_waitcnt lgkmcnt(0)
	; wave barrier
	buffer_load_dword v123, off, s[0:3], 0 offset:376
	buffer_load_dword v124, off, s[0:3], 0 offset:380
	;; [unrolled: 1-line block ×20, first 2 shown]
	v_mov_b32_e32 v114, 0
	ds_read2_b64 v[115:118], v114 offset0:103 offset1:104
	ds_read2_b64 v[119:122], v114 offset0:105 offset1:106
	v_cmp_lt_u32_e32 vcc, 45, v0
	s_waitcnt vmcnt(18) lgkmcnt(1)
	v_fma_f64 v[115:116], v[123:124], v[115:116], 0
	s_waitcnt vmcnt(16)
	v_fma_f64 v[115:116], v[125:126], v[117:118], v[115:116]
	s_waitcnt vmcnt(14) lgkmcnt(0)
	v_fma_f64 v[115:116], v[127:128], v[119:120], v[115:116]
	s_waitcnt vmcnt(12)
	v_fma_f64 v[123:124], v[129:130], v[121:122], v[115:116]
	ds_read2_b64 v[115:118], v114 offset0:107 offset1:108
	ds_read2_b64 v[119:122], v114 offset0:109 offset1:110
	s_waitcnt vmcnt(10) lgkmcnt(1)
	v_fma_f64 v[115:116], v[131:132], v[115:116], v[123:124]
	s_waitcnt vmcnt(8)
	v_fma_f64 v[115:116], v[133:134], v[117:118], v[115:116]
	ds_read_b64 v[117:118], v114 offset:888
	s_waitcnt vmcnt(6) lgkmcnt(1)
	v_fma_f64 v[115:116], v[135:136], v[119:120], v[115:116]
	s_waitcnt vmcnt(3)
	v_fma_f64 v[115:116], v[137:138], v[121:122], v[115:116]
	s_waitcnt vmcnt(2) lgkmcnt(0)
	v_fma_f64 v[115:116], v[139:140], v[117:118], v[115:116]
	s_waitcnt vmcnt(0)
	v_add_f64 v[115:116], v[141:142], -v[115:116]
	buffer_store_dword v115, off, s[0:3], 0 offset:368
	buffer_store_dword v116, off, s[0:3], 0 offset:372
	s_and_saveexec_b64 s[4:5], vcc
	s_cbranch_execz .LBB55_253
; %bb.252:
	buffer_load_dword v115, off, s[0:3], 0 offset:360
	buffer_load_dword v116, off, s[0:3], 0 offset:364
	s_waitcnt vmcnt(0)
	ds_write_b64 v113, v[115:116]
	buffer_store_dword v114, off, s[0:3], 0 offset:360
	buffer_store_dword v114, off, s[0:3], 0 offset:364
.LBB55_253:
	s_or_b64 exec, exec, s[4:5]
	s_waitcnt lgkmcnt(0)
	; wave barrier
	buffer_load_dword v123, off, s[0:3], 0 offset:368
	buffer_load_dword v124, off, s[0:3], 0 offset:372
	;; [unrolled: 1-line block ×20, first 2 shown]
	ds_read_b128 v[115:118], v114 offset:816
	buffer_load_dword v143, off, s[0:3], 0 offset:360
	buffer_load_dword v144, off, s[0:3], 0 offset:364
	ds_read_b128 v[119:122], v114 offset:832
	v_cmp_lt_u32_e32 vcc, 44, v0
	s_waitcnt vmcnt(20) lgkmcnt(1)
	v_fma_f64 v[115:116], v[123:124], v[115:116], 0
	s_waitcnt vmcnt(18)
	v_fma_f64 v[115:116], v[125:126], v[117:118], v[115:116]
	s_waitcnt vmcnt(16) lgkmcnt(0)
	v_fma_f64 v[115:116], v[127:128], v[119:120], v[115:116]
	s_waitcnt vmcnt(14)
	v_fma_f64 v[123:124], v[129:130], v[121:122], v[115:116]
	ds_read_b128 v[115:118], v114 offset:848
	ds_read_b128 v[119:122], v114 offset:864
	s_waitcnt vmcnt(12) lgkmcnt(1)
	v_fma_f64 v[115:116], v[131:132], v[115:116], v[123:124]
	s_waitcnt vmcnt(10)
	v_fma_f64 v[115:116], v[133:134], v[117:118], v[115:116]
	s_waitcnt vmcnt(8) lgkmcnt(0)
	v_fma_f64 v[115:116], v[135:136], v[119:120], v[115:116]
	s_waitcnt vmcnt(4)
	v_fma_f64 v[118:119], v[137:138], v[121:122], v[115:116]
	ds_read_b128 v[114:117], v114 offset:880
	s_waitcnt vmcnt(3) lgkmcnt(0)
	v_fma_f64 v[114:115], v[141:142], v[114:115], v[118:119]
	s_waitcnt vmcnt(2)
	v_fma_f64 v[114:115], v[139:140], v[116:117], v[114:115]
	s_waitcnt vmcnt(0)
	v_add_f64 v[114:115], v[143:144], -v[114:115]
	buffer_store_dword v114, off, s[0:3], 0 offset:360
	buffer_store_dword v115, off, s[0:3], 0 offset:364
	s_and_saveexec_b64 s[4:5], vcc
	s_cbranch_execz .LBB55_255
; %bb.254:
	buffer_load_dword v114, off, s[0:3], 0 offset:352
	buffer_load_dword v115, off, s[0:3], 0 offset:356
	v_mov_b32_e32 v116, 0
	buffer_store_dword v116, off, s[0:3], 0 offset:352
	buffer_store_dword v116, off, s[0:3], 0 offset:356
	s_waitcnt vmcnt(2)
	ds_write_b64 v113, v[114:115]
.LBB55_255:
	s_or_b64 exec, exec, s[4:5]
	s_waitcnt lgkmcnt(0)
	; wave barrier
	buffer_load_dword v123, off, s[0:3], 0 offset:360
	buffer_load_dword v124, off, s[0:3], 0 offset:364
	buffer_load_dword v125, off, s[0:3], 0 offset:368
	buffer_load_dword v126, off, s[0:3], 0 offset:372
	buffer_load_dword v127, off, s[0:3], 0 offset:376
	buffer_load_dword v128, off, s[0:3], 0 offset:380
	buffer_load_dword v129, off, s[0:3], 0 offset:384
	buffer_load_dword v130, off, s[0:3], 0 offset:388
	buffer_load_dword v131, off, s[0:3], 0 offset:392
	buffer_load_dword v132, off, s[0:3], 0 offset:396
	buffer_load_dword v133, off, s[0:3], 0 offset:400
	buffer_load_dword v134, off, s[0:3], 0 offset:404
	buffer_load_dword v135, off, s[0:3], 0 offset:408
	buffer_load_dword v136, off, s[0:3], 0 offset:412
	buffer_load_dword v138, off, s[0:3], 0 offset:420
	buffer_load_dword v139, off, s[0:3], 0 offset:440
	buffer_load_dword v141, off, s[0:3], 0 offset:432
	buffer_load_dword v143, off, s[0:3], 0 offset:424
	buffer_load_dword v137, off, s[0:3], 0 offset:416
	buffer_load_dword v144, off, s[0:3], 0 offset:428
	buffer_load_dword v142, off, s[0:3], 0 offset:436
	v_mov_b32_e32 v114, 0
	ds_read2_b64 v[115:118], v114 offset0:101 offset1:102
	ds_read2_b64 v[119:122], v114 offset0:103 offset1:104
	buffer_load_dword v140, off, s[0:3], 0 offset:444
	v_cmp_lt_u32_e32 vcc, 43, v0
	s_waitcnt vmcnt(20) lgkmcnt(1)
	v_fma_f64 v[115:116], v[123:124], v[115:116], 0
	buffer_load_dword v123, off, s[0:3], 0 offset:352
	buffer_load_dword v124, off, s[0:3], 0 offset:356
	s_waitcnt vmcnt(20)
	v_fma_f64 v[115:116], v[125:126], v[117:118], v[115:116]
	s_waitcnt vmcnt(18) lgkmcnt(0)
	v_fma_f64 v[115:116], v[127:128], v[119:120], v[115:116]
	s_waitcnt vmcnt(16)
	v_fma_f64 v[125:126], v[129:130], v[121:122], v[115:116]
	ds_read2_b64 v[115:118], v114 offset0:105 offset1:106
	ds_read2_b64 v[119:122], v114 offset0:107 offset1:108
	s_waitcnt vmcnt(14) lgkmcnt(1)
	v_fma_f64 v[115:116], v[131:132], v[115:116], v[125:126]
	s_waitcnt vmcnt(12)
	v_fma_f64 v[115:116], v[133:134], v[117:118], v[115:116]
	s_waitcnt vmcnt(10) lgkmcnt(0)
	v_fma_f64 v[115:116], v[135:136], v[119:120], v[115:116]
	s_waitcnt vmcnt(5)
	v_fma_f64 v[119:120], v[137:138], v[121:122], v[115:116]
	ds_read2_b64 v[115:118], v114 offset0:109 offset1:110
	ds_read_b64 v[121:122], v114 offset:888
	s_waitcnt vmcnt(4) lgkmcnt(1)
	v_fma_f64 v[115:116], v[143:144], v[115:116], v[119:120]
	s_waitcnt vmcnt(3)
	v_fma_f64 v[115:116], v[141:142], v[117:118], v[115:116]
	s_waitcnt vmcnt(2) lgkmcnt(0)
	v_fma_f64 v[115:116], v[139:140], v[121:122], v[115:116]
	s_waitcnt vmcnt(0)
	v_add_f64 v[115:116], v[123:124], -v[115:116]
	buffer_store_dword v116, off, s[0:3], 0 offset:356
	buffer_store_dword v115, off, s[0:3], 0 offset:352
	s_and_saveexec_b64 s[4:5], vcc
	s_cbranch_execz .LBB55_257
; %bb.256:
	buffer_load_dword v115, off, s[0:3], 0 offset:344
	buffer_load_dword v116, off, s[0:3], 0 offset:348
	s_waitcnt vmcnt(0)
	ds_write_b64 v113, v[115:116]
	buffer_store_dword v114, off, s[0:3], 0 offset:344
	buffer_store_dword v114, off, s[0:3], 0 offset:348
.LBB55_257:
	s_or_b64 exec, exec, s[4:5]
	s_waitcnt lgkmcnt(0)
	; wave barrier
	buffer_load_dword v123, off, s[0:3], 0 offset:352
	buffer_load_dword v124, off, s[0:3], 0 offset:356
	buffer_load_dword v125, off, s[0:3], 0 offset:360
	buffer_load_dword v126, off, s[0:3], 0 offset:364
	buffer_load_dword v127, off, s[0:3], 0 offset:368
	buffer_load_dword v128, off, s[0:3], 0 offset:372
	buffer_load_dword v129, off, s[0:3], 0 offset:376
	buffer_load_dword v130, off, s[0:3], 0 offset:380
	buffer_load_dword v131, off, s[0:3], 0 offset:384
	buffer_load_dword v132, off, s[0:3], 0 offset:388
	buffer_load_dword v133, off, s[0:3], 0 offset:392
	buffer_load_dword v134, off, s[0:3], 0 offset:396
	buffer_load_dword v135, off, s[0:3], 0 offset:400
	buffer_load_dword v136, off, s[0:3], 0 offset:404
	buffer_load_dword v138, off, s[0:3], 0 offset:412
	buffer_load_dword v139, off, s[0:3], 0 offset:432
	buffer_load_dword v141, off, s[0:3], 0 offset:424
	buffer_load_dword v143, off, s[0:3], 0 offset:416
	buffer_load_dword v137, off, s[0:3], 0 offset:408
	buffer_load_dword v144, off, s[0:3], 0 offset:420
	buffer_load_dword v142, off, s[0:3], 0 offset:428
	ds_read_b128 v[115:118], v114 offset:800
	ds_read_b128 v[119:122], v114 offset:816
	buffer_load_dword v140, off, s[0:3], 0 offset:436
	v_cmp_lt_u32_e32 vcc, 42, v0
	s_waitcnt vmcnt(20) lgkmcnt(1)
	v_fma_f64 v[115:116], v[123:124], v[115:116], 0
	buffer_load_dword v124, off, s[0:3], 0 offset:444
	buffer_load_dword v123, off, s[0:3], 0 offset:440
	s_waitcnt vmcnt(20)
	v_fma_f64 v[115:116], v[125:126], v[117:118], v[115:116]
	buffer_load_dword v125, off, s[0:3], 0 offset:344
	buffer_load_dword v126, off, s[0:3], 0 offset:348
	s_waitcnt vmcnt(20) lgkmcnt(0)
	v_fma_f64 v[115:116], v[127:128], v[119:120], v[115:116]
	s_waitcnt vmcnt(18)
	v_fma_f64 v[127:128], v[129:130], v[121:122], v[115:116]
	ds_read_b128 v[115:118], v114 offset:832
	ds_read_b128 v[119:122], v114 offset:848
	s_waitcnt vmcnt(16) lgkmcnt(1)
	v_fma_f64 v[115:116], v[131:132], v[115:116], v[127:128]
	s_waitcnt vmcnt(14)
	v_fma_f64 v[115:116], v[133:134], v[117:118], v[115:116]
	s_waitcnt vmcnt(12) lgkmcnt(0)
	v_fma_f64 v[115:116], v[135:136], v[119:120], v[115:116]
	s_waitcnt vmcnt(7)
	v_fma_f64 v[127:128], v[137:138], v[121:122], v[115:116]
	ds_read_b128 v[115:118], v114 offset:864
	ds_read_b128 v[119:122], v114 offset:880
	s_waitcnt vmcnt(6) lgkmcnt(1)
	v_fma_f64 v[114:115], v[143:144], v[115:116], v[127:128]
	s_waitcnt vmcnt(5)
	v_fma_f64 v[114:115], v[141:142], v[117:118], v[114:115]
	s_waitcnt vmcnt(4) lgkmcnt(0)
	v_fma_f64 v[114:115], v[139:140], v[119:120], v[114:115]
	s_waitcnt vmcnt(2)
	v_fma_f64 v[114:115], v[123:124], v[121:122], v[114:115]
	s_waitcnt vmcnt(0)
	v_add_f64 v[114:115], v[125:126], -v[114:115]
	buffer_store_dword v115, off, s[0:3], 0 offset:348
	buffer_store_dword v114, off, s[0:3], 0 offset:344
	s_and_saveexec_b64 s[4:5], vcc
	s_cbranch_execz .LBB55_259
; %bb.258:
	buffer_load_dword v114, off, s[0:3], 0 offset:336
	buffer_load_dword v115, off, s[0:3], 0 offset:340
	v_mov_b32_e32 v116, 0
	buffer_store_dword v116, off, s[0:3], 0 offset:336
	buffer_store_dword v116, off, s[0:3], 0 offset:340
	s_waitcnt vmcnt(2)
	ds_write_b64 v113, v[114:115]
.LBB55_259:
	s_or_b64 exec, exec, s[4:5]
	s_waitcnt lgkmcnt(0)
	; wave barrier
	buffer_load_dword v123, off, s[0:3], 0 offset:344
	buffer_load_dword v124, off, s[0:3], 0 offset:348
	;; [unrolled: 1-line block ×21, first 2 shown]
	v_mov_b32_e32 v114, 0
	ds_read2_b64 v[115:118], v114 offset0:99 offset1:100
	ds_read2_b64 v[119:122], v114 offset0:101 offset1:102
	buffer_load_dword v140, off, s[0:3], 0 offset:428
	v_cmp_lt_u32_e32 vcc, 41, v0
	s_waitcnt vmcnt(20) lgkmcnt(1)
	v_fma_f64 v[115:116], v[123:124], v[115:116], 0
	s_waitcnt vmcnt(18)
	v_fma_f64 v[115:116], v[125:126], v[117:118], v[115:116]
	buffer_load_dword v124, off, s[0:3], 0 offset:436
	buffer_load_dword v125, off, s[0:3], 0 offset:440
	;; [unrolled: 1-line block ×4, first 2 shown]
	s_waitcnt vmcnt(20) lgkmcnt(0)
	v_fma_f64 v[115:116], v[127:128], v[119:120], v[115:116]
	buffer_load_dword v127, off, s[0:3], 0 offset:336
	buffer_load_dword v128, off, s[0:3], 0 offset:340
	s_waitcnt vmcnt(20)
	v_fma_f64 v[129:130], v[129:130], v[121:122], v[115:116]
	ds_read2_b64 v[115:118], v114 offset0:103 offset1:104
	ds_read2_b64 v[119:122], v114 offset0:105 offset1:106
	s_waitcnt vmcnt(18) lgkmcnt(1)
	v_fma_f64 v[115:116], v[131:132], v[115:116], v[129:130]
	s_waitcnt vmcnt(16)
	v_fma_f64 v[115:116], v[133:134], v[117:118], v[115:116]
	s_waitcnt vmcnt(14) lgkmcnt(0)
	v_fma_f64 v[115:116], v[135:136], v[119:120], v[115:116]
	s_waitcnt vmcnt(9)
	v_fma_f64 v[129:130], v[137:138], v[121:122], v[115:116]
	ds_read2_b64 v[115:118], v114 offset0:107 offset1:108
	ds_read2_b64 v[119:122], v114 offset0:109 offset1:110
	s_waitcnt vmcnt(8) lgkmcnt(1)
	v_fma_f64 v[115:116], v[143:144], v[115:116], v[129:130]
	s_waitcnt vmcnt(7)
	v_fma_f64 v[115:116], v[141:142], v[117:118], v[115:116]
	ds_read_b64 v[117:118], v114 offset:888
	s_waitcnt vmcnt(6) lgkmcnt(1)
	v_fma_f64 v[115:116], v[139:140], v[119:120], v[115:116]
	s_waitcnt vmcnt(3)
	v_fma_f64 v[115:116], v[123:124], v[121:122], v[115:116]
	s_waitcnt vmcnt(2) lgkmcnt(0)
	v_fma_f64 v[115:116], v[125:126], v[117:118], v[115:116]
	s_waitcnt vmcnt(0)
	v_add_f64 v[115:116], v[127:128], -v[115:116]
	buffer_store_dword v116, off, s[0:3], 0 offset:340
	buffer_store_dword v115, off, s[0:3], 0 offset:336
	s_and_saveexec_b64 s[4:5], vcc
	s_cbranch_execz .LBB55_261
; %bb.260:
	buffer_load_dword v115, off, s[0:3], 0 offset:328
	buffer_load_dword v116, off, s[0:3], 0 offset:332
	s_waitcnt vmcnt(0)
	ds_write_b64 v113, v[115:116]
	buffer_store_dword v114, off, s[0:3], 0 offset:328
	buffer_store_dword v114, off, s[0:3], 0 offset:332
.LBB55_261:
	s_or_b64 exec, exec, s[4:5]
	s_waitcnt lgkmcnt(0)
	; wave barrier
	buffer_load_dword v123, off, s[0:3], 0 offset:336
	buffer_load_dword v124, off, s[0:3], 0 offset:340
	;; [unrolled: 1-line block ×22, first 2 shown]
	ds_read_b128 v[115:118], v114 offset:784
	ds_read_b128 v[119:122], v114 offset:800
	v_cmp_lt_u32_e32 vcc, 40, v0
	s_waitcnt vmcnt(20) lgkmcnt(1)
	v_fma_f64 v[115:116], v[123:124], v[115:116], 0
	s_waitcnt vmcnt(18)
	v_fma_f64 v[115:116], v[125:126], v[117:118], v[115:116]
	buffer_load_dword v124, off, s[0:3], 0 offset:428
	buffer_load_dword v125, off, s[0:3], 0 offset:440
	;; [unrolled: 1-line block ×6, first 2 shown]
	s_waitcnt vmcnt(22) lgkmcnt(0)
	v_fma_f64 v[115:116], v[127:128], v[119:120], v[115:116]
	s_waitcnt vmcnt(20)
	v_fma_f64 v[127:128], v[129:130], v[121:122], v[115:116]
	ds_read_b128 v[115:118], v114 offset:816
	buffer_load_dword v129, off, s[0:3], 0 offset:328
	buffer_load_dword v130, off, s[0:3], 0 offset:332
	ds_read_b128 v[119:122], v114 offset:832
	s_waitcnt vmcnt(20) lgkmcnt(1)
	v_fma_f64 v[115:116], v[131:132], v[115:116], v[127:128]
	s_waitcnt vmcnt(18)
	v_fma_f64 v[115:116], v[133:134], v[117:118], v[115:116]
	s_waitcnt vmcnt(16) lgkmcnt(0)
	v_fma_f64 v[115:116], v[135:136], v[119:120], v[115:116]
	s_waitcnt vmcnt(11)
	v_fma_f64 v[127:128], v[137:138], v[121:122], v[115:116]
	ds_read_b128 v[115:118], v114 offset:848
	ds_read_b128 v[119:122], v114 offset:864
	s_waitcnt vmcnt(10) lgkmcnt(1)
	v_fma_f64 v[115:116], v[143:144], v[115:116], v[127:128]
	s_waitcnt vmcnt(9)
	v_fma_f64 v[115:116], v[141:142], v[117:118], v[115:116]
	s_waitcnt vmcnt(8) lgkmcnt(0)
	v_fma_f64 v[115:116], v[139:140], v[119:120], v[115:116]
	s_waitcnt vmcnt(4)
	v_fma_f64 v[118:119], v[123:124], v[121:122], v[115:116]
	ds_read_b128 v[114:117], v114 offset:880
	s_waitcnt vmcnt(3) lgkmcnt(0)
	v_fma_f64 v[114:115], v[145:146], v[114:115], v[118:119]
	s_waitcnt vmcnt(2)
	v_fma_f64 v[114:115], v[125:126], v[116:117], v[114:115]
	s_waitcnt vmcnt(0)
	v_add_f64 v[114:115], v[129:130], -v[114:115]
	buffer_store_dword v115, off, s[0:3], 0 offset:332
	buffer_store_dword v114, off, s[0:3], 0 offset:328
	s_and_saveexec_b64 s[4:5], vcc
	s_cbranch_execz .LBB55_263
; %bb.262:
	buffer_load_dword v114, off, s[0:3], 0 offset:320
	buffer_load_dword v115, off, s[0:3], 0 offset:324
	v_mov_b32_e32 v116, 0
	buffer_store_dword v116, off, s[0:3], 0 offset:320
	buffer_store_dword v116, off, s[0:3], 0 offset:324
	s_waitcnt vmcnt(2)
	ds_write_b64 v113, v[114:115]
.LBB55_263:
	s_or_b64 exec, exec, s[4:5]
	s_waitcnt lgkmcnt(0)
	; wave barrier
	buffer_load_dword v123, off, s[0:3], 0 offset:328
	buffer_load_dword v124, off, s[0:3], 0 offset:332
	;; [unrolled: 1-line block ×22, first 2 shown]
	v_mov_b32_e32 v114, 0
	ds_read2_b64 v[115:118], v114 offset0:97 offset1:98
	ds_read2_b64 v[119:122], v114 offset0:99 offset1:100
	v_cmp_lt_u32_e32 vcc, 39, v0
	s_waitcnt vmcnt(20) lgkmcnt(1)
	v_fma_f64 v[115:116], v[123:124], v[115:116], 0
	s_waitcnt vmcnt(18)
	v_fma_f64 v[115:116], v[125:126], v[117:118], v[115:116]
	buffer_load_dword v124, off, s[0:3], 0 offset:420
	buffer_load_dword v125, off, s[0:3], 0 offset:440
	;; [unrolled: 1-line block ×8, first 2 shown]
	s_waitcnt vmcnt(24) lgkmcnt(0)
	v_fma_f64 v[115:116], v[127:128], v[119:120], v[115:116]
	s_waitcnt vmcnt(22)
	v_fma_f64 v[127:128], v[129:130], v[121:122], v[115:116]
	ds_read2_b64 v[115:118], v114 offset0:101 offset1:102
	ds_read2_b64 v[119:122], v114 offset0:103 offset1:104
	s_waitcnt vmcnt(20) lgkmcnt(1)
	v_fma_f64 v[115:116], v[131:132], v[115:116], v[127:128]
	buffer_load_dword v127, off, s[0:3], 0 offset:320
	buffer_load_dword v128, off, s[0:3], 0 offset:324
	s_waitcnt vmcnt(20)
	v_fma_f64 v[115:116], v[133:134], v[117:118], v[115:116]
	s_waitcnt vmcnt(18) lgkmcnt(0)
	v_fma_f64 v[115:116], v[135:136], v[119:120], v[115:116]
	s_waitcnt vmcnt(13)
	v_fma_f64 v[129:130], v[137:138], v[121:122], v[115:116]
	ds_read2_b64 v[115:118], v114 offset0:105 offset1:106
	ds_read2_b64 v[119:122], v114 offset0:107 offset1:108
	s_waitcnt vmcnt(12) lgkmcnt(1)
	v_fma_f64 v[115:116], v[143:144], v[115:116], v[129:130]
	s_waitcnt vmcnt(11)
	v_fma_f64 v[115:116], v[141:142], v[117:118], v[115:116]
	s_waitcnt vmcnt(10) lgkmcnt(0)
	v_fma_f64 v[115:116], v[139:140], v[119:120], v[115:116]
	s_waitcnt vmcnt(5)
	v_fma_f64 v[119:120], v[123:124], v[121:122], v[115:116]
	ds_read2_b64 v[115:118], v114 offset0:109 offset1:110
	ds_read_b64 v[121:122], v114 offset:888
	s_waitcnt vmcnt(4) lgkmcnt(1)
	v_fma_f64 v[115:116], v[147:148], v[115:116], v[119:120]
	s_waitcnt vmcnt(3)
	v_fma_f64 v[115:116], v[145:146], v[117:118], v[115:116]
	s_waitcnt vmcnt(2) lgkmcnt(0)
	v_fma_f64 v[115:116], v[125:126], v[121:122], v[115:116]
	s_waitcnt vmcnt(0)
	v_add_f64 v[115:116], v[127:128], -v[115:116]
	buffer_store_dword v116, off, s[0:3], 0 offset:324
	buffer_store_dword v115, off, s[0:3], 0 offset:320
	s_and_saveexec_b64 s[4:5], vcc
	s_cbranch_execz .LBB55_265
; %bb.264:
	buffer_load_dword v115, off, s[0:3], 0 offset:312
	buffer_load_dword v116, off, s[0:3], 0 offset:316
	s_waitcnt vmcnt(0)
	ds_write_b64 v113, v[115:116]
	buffer_store_dword v114, off, s[0:3], 0 offset:312
	buffer_store_dword v114, off, s[0:3], 0 offset:316
.LBB55_265:
	s_or_b64 exec, exec, s[4:5]
	s_waitcnt lgkmcnt(0)
	; wave barrier
	buffer_load_dword v123, off, s[0:3], 0 offset:320
	buffer_load_dword v124, off, s[0:3], 0 offset:324
	;; [unrolled: 1-line block ×22, first 2 shown]
	ds_read_b128 v[115:118], v114 offset:768
	ds_read_b128 v[119:122], v114 offset:784
	v_cmp_lt_u32_e32 vcc, 38, v0
	s_waitcnt vmcnt(20) lgkmcnt(1)
	v_fma_f64 v[115:116], v[123:124], v[115:116], 0
	s_waitcnt vmcnt(18)
	v_fma_f64 v[115:116], v[125:126], v[117:118], v[115:116]
	buffer_load_dword v124, off, s[0:3], 0 offset:412
	buffer_load_dword v125, off, s[0:3], 0 offset:432
	;; [unrolled: 1-line block ×8, first 2 shown]
	s_waitcnt vmcnt(24) lgkmcnt(0)
	v_fma_f64 v[115:116], v[127:128], v[119:120], v[115:116]
	s_waitcnt vmcnt(22)
	v_fma_f64 v[127:128], v[129:130], v[121:122], v[115:116]
	ds_read_b128 v[115:118], v114 offset:800
	ds_read_b128 v[119:122], v114 offset:816
	s_waitcnt vmcnt(20) lgkmcnt(1)
	v_fma_f64 v[115:116], v[131:132], v[115:116], v[127:128]
	buffer_load_dword v128, off, s[0:3], 0 offset:444
	buffer_load_dword v127, off, s[0:3], 0 offset:440
	;; [unrolled: 1-line block ×4, first 2 shown]
	s_waitcnt vmcnt(22)
	v_fma_f64 v[115:116], v[133:134], v[117:118], v[115:116]
	s_waitcnt vmcnt(20) lgkmcnt(0)
	v_fma_f64 v[115:116], v[135:136], v[119:120], v[115:116]
	s_waitcnt vmcnt(15)
	v_fma_f64 v[131:132], v[137:138], v[121:122], v[115:116]
	ds_read_b128 v[115:118], v114 offset:832
	ds_read_b128 v[119:122], v114 offset:848
	s_waitcnt vmcnt(14) lgkmcnt(1)
	v_fma_f64 v[115:116], v[143:144], v[115:116], v[131:132]
	s_waitcnt vmcnt(13)
	v_fma_f64 v[115:116], v[141:142], v[117:118], v[115:116]
	s_waitcnt vmcnt(12) lgkmcnt(0)
	v_fma_f64 v[115:116], v[139:140], v[119:120], v[115:116]
	s_waitcnt vmcnt(7)
	v_fma_f64 v[123:124], v[123:124], v[121:122], v[115:116]
	ds_read_b128 v[115:118], v114 offset:864
	ds_read_b128 v[119:122], v114 offset:880
	s_waitcnt vmcnt(6) lgkmcnt(1)
	v_fma_f64 v[114:115], v[147:148], v[115:116], v[123:124]
	s_waitcnt vmcnt(5)
	v_fma_f64 v[114:115], v[145:146], v[117:118], v[114:115]
	s_waitcnt vmcnt(4) lgkmcnt(0)
	v_fma_f64 v[114:115], v[125:126], v[119:120], v[114:115]
	s_waitcnt vmcnt(2)
	v_fma_f64 v[114:115], v[127:128], v[121:122], v[114:115]
	s_waitcnt vmcnt(0)
	v_add_f64 v[114:115], v[129:130], -v[114:115]
	buffer_store_dword v115, off, s[0:3], 0 offset:316
	buffer_store_dword v114, off, s[0:3], 0 offset:312
	s_and_saveexec_b64 s[4:5], vcc
	s_cbranch_execz .LBB55_267
; %bb.266:
	buffer_load_dword v114, off, s[0:3], 0 offset:304
	buffer_load_dword v115, off, s[0:3], 0 offset:308
	v_mov_b32_e32 v116, 0
	buffer_store_dword v116, off, s[0:3], 0 offset:304
	buffer_store_dword v116, off, s[0:3], 0 offset:308
	s_waitcnt vmcnt(2)
	ds_write_b64 v113, v[114:115]
.LBB55_267:
	s_or_b64 exec, exec, s[4:5]
	s_waitcnt lgkmcnt(0)
	; wave barrier
	buffer_load_dword v123, off, s[0:3], 0 offset:312
	buffer_load_dword v124, off, s[0:3], 0 offset:316
	;; [unrolled: 1-line block ×22, first 2 shown]
	v_mov_b32_e32 v114, 0
	ds_read2_b64 v[115:118], v114 offset0:95 offset1:96
	ds_read2_b64 v[119:122], v114 offset0:97 offset1:98
	v_cmp_lt_u32_e32 vcc, 37, v0
	s_waitcnt vmcnt(20) lgkmcnt(1)
	v_fma_f64 v[115:116], v[123:124], v[115:116], 0
	s_waitcnt vmcnt(18)
	v_fma_f64 v[115:116], v[125:126], v[117:118], v[115:116]
	buffer_load_dword v124, off, s[0:3], 0 offset:404
	buffer_load_dword v125, off, s[0:3], 0 offset:424
	;; [unrolled: 1-line block ×7, first 2 shown]
	s_waitcnt vmcnt(23) lgkmcnt(0)
	v_fma_f64 v[115:116], v[127:128], v[119:120], v[115:116]
	s_waitcnt vmcnt(21)
	v_fma_f64 v[126:127], v[129:130], v[121:122], v[115:116]
	ds_read2_b64 v[115:118], v114 offset0:99 offset1:100
	ds_read2_b64 v[119:122], v114 offset0:101 offset1:102
	s_waitcnt vmcnt(19) lgkmcnt(1)
	v_fma_f64 v[115:116], v[131:132], v[115:116], v[126:127]
	buffer_load_dword v126, off, s[0:3], 0 offset:428
	buffer_load_dword v128, off, s[0:3], 0 offset:436
	;; [unrolled: 1-line block ×7, first 2 shown]
	s_waitcnt vmcnt(24)
	v_fma_f64 v[115:116], v[133:134], v[117:118], v[115:116]
	s_waitcnt vmcnt(22) lgkmcnt(0)
	v_fma_f64 v[115:116], v[135:136], v[119:120], v[115:116]
	s_waitcnt vmcnt(17)
	v_fma_f64 v[133:134], v[137:138], v[121:122], v[115:116]
	ds_read2_b64 v[115:118], v114 offset0:103 offset1:104
	ds_read2_b64 v[119:122], v114 offset0:105 offset1:106
	s_waitcnt vmcnt(16) lgkmcnt(1)
	v_fma_f64 v[115:116], v[143:144], v[115:116], v[133:134]
	s_waitcnt vmcnt(15)
	v_fma_f64 v[115:116], v[141:142], v[117:118], v[115:116]
	s_waitcnt vmcnt(14) lgkmcnt(0)
	v_fma_f64 v[115:116], v[139:140], v[119:120], v[115:116]
	s_waitcnt vmcnt(9)
	v_fma_f64 v[123:124], v[123:124], v[121:122], v[115:116]
	ds_read2_b64 v[115:118], v114 offset0:107 offset1:108
	ds_read2_b64 v[119:122], v114 offset0:109 offset1:110
	s_waitcnt vmcnt(8) lgkmcnt(1)
	v_fma_f64 v[115:116], v[147:148], v[115:116], v[123:124]
	s_waitcnt vmcnt(7)
	v_fma_f64 v[115:116], v[145:146], v[117:118], v[115:116]
	ds_read_b64 v[117:118], v114 offset:888
	s_waitcnt vmcnt(6) lgkmcnt(1)
	v_fma_f64 v[115:116], v[125:126], v[119:120], v[115:116]
	s_waitcnt vmcnt(3)
	v_fma_f64 v[115:116], v[127:128], v[121:122], v[115:116]
	s_waitcnt vmcnt(2) lgkmcnt(0)
	v_fma_f64 v[115:116], v[129:130], v[117:118], v[115:116]
	s_waitcnt vmcnt(0)
	v_add_f64 v[115:116], v[131:132], -v[115:116]
	buffer_store_dword v116, off, s[0:3], 0 offset:308
	buffer_store_dword v115, off, s[0:3], 0 offset:304
	s_and_saveexec_b64 s[4:5], vcc
	s_cbranch_execz .LBB55_269
; %bb.268:
	buffer_load_dword v115, off, s[0:3], 0 offset:296
	buffer_load_dword v116, off, s[0:3], 0 offset:300
	s_waitcnt vmcnt(0)
	ds_write_b64 v113, v[115:116]
	buffer_store_dword v114, off, s[0:3], 0 offset:296
	buffer_store_dword v114, off, s[0:3], 0 offset:300
.LBB55_269:
	s_or_b64 exec, exec, s[4:5]
	s_waitcnt lgkmcnt(0)
	; wave barrier
	buffer_load_dword v123, off, s[0:3], 0 offset:304
	buffer_load_dword v124, off, s[0:3], 0 offset:308
	;; [unrolled: 1-line block ×22, first 2 shown]
	ds_read_b128 v[115:118], v114 offset:752
	ds_read_b128 v[119:122], v114 offset:768
	v_cmp_lt_u32_e32 vcc, 36, v0
	s_waitcnt vmcnt(20) lgkmcnt(1)
	v_fma_f64 v[115:116], v[123:124], v[115:116], 0
	s_waitcnt vmcnt(18)
	v_fma_f64 v[115:116], v[125:126], v[117:118], v[115:116]
	buffer_load_dword v124, off, s[0:3], 0 offset:396
	buffer_load_dword v125, off, s[0:3], 0 offset:416
	;; [unrolled: 1-line block ×7, first 2 shown]
	s_waitcnt vmcnt(23) lgkmcnt(0)
	v_fma_f64 v[115:116], v[127:128], v[119:120], v[115:116]
	s_waitcnt vmcnt(21)
	v_fma_f64 v[126:127], v[129:130], v[121:122], v[115:116]
	ds_read_b128 v[115:118], v114 offset:784
	ds_read_b128 v[119:122], v114 offset:800
	s_waitcnt vmcnt(19) lgkmcnt(1)
	v_fma_f64 v[115:116], v[131:132], v[115:116], v[126:127]
	buffer_load_dword v126, off, s[0:3], 0 offset:420
	buffer_load_dword v128, off, s[0:3], 0 offset:428
	;; [unrolled: 1-line block ×7, first 2 shown]
	s_waitcnt vmcnt(24)
	v_fma_f64 v[115:116], v[133:134], v[117:118], v[115:116]
	s_waitcnt vmcnt(22) lgkmcnt(0)
	v_fma_f64 v[115:116], v[135:136], v[119:120], v[115:116]
	s_waitcnt vmcnt(17)
	v_fma_f64 v[133:134], v[137:138], v[121:122], v[115:116]
	ds_read_b128 v[115:118], v114 offset:816
	buffer_load_dword v135, off, s[0:3], 0 offset:296
	buffer_load_dword v136, off, s[0:3], 0 offset:300
	ds_read_b128 v[119:122], v114 offset:832
	s_waitcnt vmcnt(18) lgkmcnt(1)
	v_fma_f64 v[115:116], v[143:144], v[115:116], v[133:134]
	s_waitcnt vmcnt(17)
	v_fma_f64 v[115:116], v[141:142], v[117:118], v[115:116]
	s_waitcnt vmcnt(16) lgkmcnt(0)
	v_fma_f64 v[115:116], v[139:140], v[119:120], v[115:116]
	s_waitcnt vmcnt(11)
	v_fma_f64 v[123:124], v[123:124], v[121:122], v[115:116]
	ds_read_b128 v[115:118], v114 offset:848
	ds_read_b128 v[119:122], v114 offset:864
	s_waitcnt vmcnt(10) lgkmcnt(1)
	v_fma_f64 v[115:116], v[147:148], v[115:116], v[123:124]
	s_waitcnt vmcnt(9)
	v_fma_f64 v[115:116], v[145:146], v[117:118], v[115:116]
	s_waitcnt vmcnt(8) lgkmcnt(0)
	v_fma_f64 v[115:116], v[125:126], v[119:120], v[115:116]
	s_waitcnt vmcnt(4)
	v_fma_f64 v[118:119], v[127:128], v[121:122], v[115:116]
	ds_read_b128 v[114:117], v114 offset:880
	s_waitcnt vmcnt(3) lgkmcnt(0)
	v_fma_f64 v[114:115], v[131:132], v[114:115], v[118:119]
	s_waitcnt vmcnt(2)
	v_fma_f64 v[114:115], v[129:130], v[116:117], v[114:115]
	s_waitcnt vmcnt(0)
	v_add_f64 v[114:115], v[135:136], -v[114:115]
	buffer_store_dword v115, off, s[0:3], 0 offset:300
	buffer_store_dword v114, off, s[0:3], 0 offset:296
	s_and_saveexec_b64 s[4:5], vcc
	s_cbranch_execz .LBB55_271
; %bb.270:
	buffer_load_dword v114, off, s[0:3], 0 offset:288
	buffer_load_dword v115, off, s[0:3], 0 offset:292
	v_mov_b32_e32 v116, 0
	buffer_store_dword v116, off, s[0:3], 0 offset:288
	buffer_store_dword v116, off, s[0:3], 0 offset:292
	s_waitcnt vmcnt(2)
	ds_write_b64 v113, v[114:115]
.LBB55_271:
	s_or_b64 exec, exec, s[4:5]
	s_waitcnt lgkmcnt(0)
	; wave barrier
	buffer_load_dword v123, off, s[0:3], 0 offset:296
	buffer_load_dword v124, off, s[0:3], 0 offset:300
	;; [unrolled: 1-line block ×22, first 2 shown]
	v_mov_b32_e32 v114, 0
	ds_read2_b64 v[115:118], v114 offset0:93 offset1:94
	ds_read2_b64 v[119:122], v114 offset0:95 offset1:96
	v_cmp_lt_u32_e32 vcc, 35, v0
	s_waitcnt vmcnt(20) lgkmcnt(1)
	v_fma_f64 v[115:116], v[123:124], v[115:116], 0
	s_waitcnt vmcnt(18)
	v_fma_f64 v[115:116], v[125:126], v[117:118], v[115:116]
	buffer_load_dword v124, off, s[0:3], 0 offset:388
	buffer_load_dword v125, off, s[0:3], 0 offset:408
	;; [unrolled: 1-line block ×7, first 2 shown]
	s_waitcnt vmcnt(23) lgkmcnt(0)
	v_fma_f64 v[115:116], v[127:128], v[119:120], v[115:116]
	s_waitcnt vmcnt(21)
	v_fma_f64 v[126:127], v[129:130], v[121:122], v[115:116]
	ds_read2_b64 v[115:118], v114 offset0:97 offset1:98
	ds_read2_b64 v[119:122], v114 offset0:99 offset1:100
	s_waitcnt vmcnt(19) lgkmcnt(1)
	v_fma_f64 v[115:116], v[131:132], v[115:116], v[126:127]
	buffer_load_dword v126, off, s[0:3], 0 offset:412
	s_waitcnt vmcnt(18)
	v_fma_f64 v[115:116], v[133:134], v[117:118], v[115:116]
	buffer_load_dword v128, off, s[0:3], 0 offset:420
	buffer_load_dword v129, off, s[0:3], 0 offset:440
	buffer_load_dword v131, off, s[0:3], 0 offset:432
	buffer_load_dword v133, off, s[0:3], 0 offset:424
	buffer_load_dword v127, off, s[0:3], 0 offset:416
	buffer_load_dword v134, off, s[0:3], 0 offset:428
	buffer_load_dword v132, off, s[0:3], 0 offset:436
	buffer_load_dword v130, off, s[0:3], 0 offset:444
	s_waitcnt vmcnt(24) lgkmcnt(0)
	v_fma_f64 v[115:116], v[135:136], v[119:120], v[115:116]
	s_waitcnt vmcnt(19)
	v_fma_f64 v[135:136], v[137:138], v[121:122], v[115:116]
	ds_read2_b64 v[115:118], v114 offset0:101 offset1:102
	ds_read2_b64 v[119:122], v114 offset0:103 offset1:104
	s_waitcnt vmcnt(18) lgkmcnt(1)
	v_fma_f64 v[115:116], v[143:144], v[115:116], v[135:136]
	buffer_load_dword v135, off, s[0:3], 0 offset:288
	buffer_load_dword v136, off, s[0:3], 0 offset:292
	s_waitcnt vmcnt(19)
	v_fma_f64 v[115:116], v[141:142], v[117:118], v[115:116]
	s_waitcnt vmcnt(18) lgkmcnt(0)
	v_fma_f64 v[115:116], v[139:140], v[119:120], v[115:116]
	s_waitcnt vmcnt(13)
	v_fma_f64 v[123:124], v[123:124], v[121:122], v[115:116]
	ds_read2_b64 v[115:118], v114 offset0:105 offset1:106
	ds_read2_b64 v[119:122], v114 offset0:107 offset1:108
	s_waitcnt vmcnt(12) lgkmcnt(1)
	v_fma_f64 v[115:116], v[147:148], v[115:116], v[123:124]
	s_waitcnt vmcnt(11)
	v_fma_f64 v[115:116], v[145:146], v[117:118], v[115:116]
	s_waitcnt vmcnt(10) lgkmcnt(0)
	v_fma_f64 v[115:116], v[125:126], v[119:120], v[115:116]
	s_waitcnt vmcnt(5)
	v_fma_f64 v[119:120], v[127:128], v[121:122], v[115:116]
	ds_read2_b64 v[115:118], v114 offset0:109 offset1:110
	ds_read_b64 v[121:122], v114 offset:888
	s_waitcnt vmcnt(4) lgkmcnt(1)
	v_fma_f64 v[115:116], v[133:134], v[115:116], v[119:120]
	s_waitcnt vmcnt(3)
	v_fma_f64 v[115:116], v[131:132], v[117:118], v[115:116]
	s_waitcnt vmcnt(2) lgkmcnt(0)
	v_fma_f64 v[115:116], v[129:130], v[121:122], v[115:116]
	s_waitcnt vmcnt(0)
	v_add_f64 v[115:116], v[135:136], -v[115:116]
	buffer_store_dword v116, off, s[0:3], 0 offset:292
	buffer_store_dword v115, off, s[0:3], 0 offset:288
	s_and_saveexec_b64 s[4:5], vcc
	s_cbranch_execz .LBB55_273
; %bb.272:
	buffer_load_dword v115, off, s[0:3], 0 offset:280
	buffer_load_dword v116, off, s[0:3], 0 offset:284
	s_waitcnt vmcnt(0)
	ds_write_b64 v113, v[115:116]
	buffer_store_dword v114, off, s[0:3], 0 offset:280
	buffer_store_dword v114, off, s[0:3], 0 offset:284
.LBB55_273:
	s_or_b64 exec, exec, s[4:5]
	s_waitcnt lgkmcnt(0)
	; wave barrier
	buffer_load_dword v123, off, s[0:3], 0 offset:288
	buffer_load_dword v124, off, s[0:3], 0 offset:292
	;; [unrolled: 1-line block ×22, first 2 shown]
	ds_read_b128 v[115:118], v114 offset:736
	ds_read_b128 v[119:122], v114 offset:752
	v_cmp_lt_u32_e32 vcc, 34, v0
	s_waitcnt vmcnt(20) lgkmcnt(1)
	v_fma_f64 v[115:116], v[123:124], v[115:116], 0
	s_waitcnt vmcnt(18)
	v_fma_f64 v[115:116], v[125:126], v[117:118], v[115:116]
	buffer_load_dword v124, off, s[0:3], 0 offset:380
	buffer_load_dword v125, off, s[0:3], 0 offset:400
	;; [unrolled: 1-line block ×7, first 2 shown]
	s_waitcnt vmcnt(23) lgkmcnt(0)
	v_fma_f64 v[115:116], v[127:128], v[119:120], v[115:116]
	s_waitcnt vmcnt(21)
	v_fma_f64 v[126:127], v[129:130], v[121:122], v[115:116]
	ds_read_b128 v[115:118], v114 offset:768
	ds_read_b128 v[119:122], v114 offset:784
	s_waitcnt vmcnt(19) lgkmcnt(1)
	v_fma_f64 v[115:116], v[131:132], v[115:116], v[126:127]
	buffer_load_dword v126, off, s[0:3], 0 offset:404
	s_waitcnt vmcnt(18)
	v_fma_f64 v[115:116], v[133:134], v[117:118], v[115:116]
	buffer_load_dword v128, off, s[0:3], 0 offset:412
	buffer_load_dword v129, off, s[0:3], 0 offset:432
	;; [unrolled: 1-line block ×8, first 2 shown]
	s_waitcnt vmcnt(24) lgkmcnt(0)
	v_fma_f64 v[115:116], v[135:136], v[119:120], v[115:116]
	s_waitcnt vmcnt(19)
	v_fma_f64 v[135:136], v[137:138], v[121:122], v[115:116]
	ds_read_b128 v[115:118], v114 offset:800
	ds_read_b128 v[119:122], v114 offset:816
	s_waitcnt vmcnt(18) lgkmcnt(1)
	v_fma_f64 v[115:116], v[143:144], v[115:116], v[135:136]
	buffer_load_dword v136, off, s[0:3], 0 offset:444
	buffer_load_dword v135, off, s[0:3], 0 offset:440
	;; [unrolled: 1-line block ×4, first 2 shown]
	s_waitcnt vmcnt(21)
	v_fma_f64 v[115:116], v[141:142], v[117:118], v[115:116]
	s_waitcnt vmcnt(20) lgkmcnt(0)
	v_fma_f64 v[115:116], v[139:140], v[119:120], v[115:116]
	s_waitcnt vmcnt(15)
	v_fma_f64 v[123:124], v[123:124], v[121:122], v[115:116]
	ds_read_b128 v[115:118], v114 offset:832
	ds_read_b128 v[119:122], v114 offset:848
	s_waitcnt vmcnt(14) lgkmcnt(1)
	v_fma_f64 v[115:116], v[147:148], v[115:116], v[123:124]
	s_waitcnt vmcnt(13)
	v_fma_f64 v[115:116], v[145:146], v[117:118], v[115:116]
	s_waitcnt vmcnt(12) lgkmcnt(0)
	v_fma_f64 v[115:116], v[125:126], v[119:120], v[115:116]
	s_waitcnt vmcnt(7)
	v_fma_f64 v[123:124], v[127:128], v[121:122], v[115:116]
	ds_read_b128 v[115:118], v114 offset:864
	ds_read_b128 v[119:122], v114 offset:880
	s_waitcnt vmcnt(6) lgkmcnt(1)
	v_fma_f64 v[114:115], v[133:134], v[115:116], v[123:124]
	s_waitcnt vmcnt(5)
	v_fma_f64 v[114:115], v[131:132], v[117:118], v[114:115]
	s_waitcnt vmcnt(4) lgkmcnt(0)
	v_fma_f64 v[114:115], v[129:130], v[119:120], v[114:115]
	s_waitcnt vmcnt(2)
	v_fma_f64 v[114:115], v[135:136], v[121:122], v[114:115]
	s_waitcnt vmcnt(0)
	v_add_f64 v[114:115], v[137:138], -v[114:115]
	buffer_store_dword v115, off, s[0:3], 0 offset:284
	buffer_store_dword v114, off, s[0:3], 0 offset:280
	s_and_saveexec_b64 s[4:5], vcc
	s_cbranch_execz .LBB55_275
; %bb.274:
	buffer_load_dword v114, off, s[0:3], 0 offset:272
	buffer_load_dword v115, off, s[0:3], 0 offset:276
	v_mov_b32_e32 v116, 0
	buffer_store_dword v116, off, s[0:3], 0 offset:272
	buffer_store_dword v116, off, s[0:3], 0 offset:276
	s_waitcnt vmcnt(2)
	ds_write_b64 v113, v[114:115]
.LBB55_275:
	s_or_b64 exec, exec, s[4:5]
	s_waitcnt lgkmcnt(0)
	; wave barrier
	buffer_load_dword v123, off, s[0:3], 0 offset:280
	buffer_load_dword v124, off, s[0:3], 0 offset:284
	;; [unrolled: 1-line block ×21, first 2 shown]
	v_mov_b32_e32 v114, 0
	ds_read2_b64 v[115:118], v114 offset0:91 offset1:92
	ds_read2_b64 v[119:122], v114 offset0:93 offset1:94
	buffer_load_dword v140, off, s[0:3], 0 offset:364
	v_cmp_lt_u32_e32 vcc, 33, v0
	s_waitcnt vmcnt(20) lgkmcnt(1)
	v_fma_f64 v[115:116], v[123:124], v[115:116], 0
	s_waitcnt vmcnt(18)
	v_fma_f64 v[115:116], v[125:126], v[117:118], v[115:116]
	buffer_load_dword v124, off, s[0:3], 0 offset:372
	buffer_load_dword v125, off, s[0:3], 0 offset:392
	;; [unrolled: 1-line block ×7, first 2 shown]
	s_waitcnt vmcnt(23) lgkmcnt(0)
	v_fma_f64 v[115:116], v[127:128], v[119:120], v[115:116]
	s_waitcnt vmcnt(21)
	v_fma_f64 v[126:127], v[129:130], v[121:122], v[115:116]
	ds_read2_b64 v[115:118], v114 offset0:95 offset1:96
	ds_read2_b64 v[119:122], v114 offset0:97 offset1:98
	s_waitcnt vmcnt(19) lgkmcnt(1)
	v_fma_f64 v[115:116], v[131:132], v[115:116], v[126:127]
	buffer_load_dword v126, off, s[0:3], 0 offset:396
	s_waitcnt vmcnt(18)
	v_fma_f64 v[115:116], v[133:134], v[117:118], v[115:116]
	buffer_load_dword v128, off, s[0:3], 0 offset:404
	buffer_load_dword v129, off, s[0:3], 0 offset:424
	;; [unrolled: 1-line block ×7, first 2 shown]
	s_waitcnt vmcnt(23) lgkmcnt(0)
	v_fma_f64 v[115:116], v[135:136], v[119:120], v[115:116]
	s_waitcnt vmcnt(18)
	v_fma_f64 v[135:136], v[137:138], v[121:122], v[115:116]
	ds_read2_b64 v[115:118], v114 offset0:99 offset1:100
	ds_read2_b64 v[119:122], v114 offset0:101 offset1:102
	buffer_load_dword v130, off, s[0:3], 0 offset:428
	s_waitcnt vmcnt(18) lgkmcnt(1)
	v_fma_f64 v[115:116], v[143:144], v[115:116], v[135:136]
	buffer_load_dword v136, off, s[0:3], 0 offset:436
	buffer_load_dword v137, off, s[0:3], 0 offset:440
	;; [unrolled: 1-line block ×4, first 2 shown]
	s_waitcnt vmcnt(21)
	v_fma_f64 v[115:116], v[141:142], v[117:118], v[115:116]
	s_waitcnt vmcnt(20) lgkmcnt(0)
	v_fma_f64 v[115:116], v[139:140], v[119:120], v[115:116]
	buffer_load_dword v139, off, s[0:3], 0 offset:272
	buffer_load_dword v140, off, s[0:3], 0 offset:276
	s_waitcnt vmcnt(17)
	v_fma_f64 v[123:124], v[123:124], v[121:122], v[115:116]
	ds_read2_b64 v[115:118], v114 offset0:103 offset1:104
	ds_read2_b64 v[119:122], v114 offset0:105 offset1:106
	s_waitcnt vmcnt(16) lgkmcnt(1)
	v_fma_f64 v[115:116], v[147:148], v[115:116], v[123:124]
	s_waitcnt vmcnt(15)
	v_fma_f64 v[115:116], v[145:146], v[117:118], v[115:116]
	s_waitcnt vmcnt(14) lgkmcnt(0)
	v_fma_f64 v[115:116], v[125:126], v[119:120], v[115:116]
	s_waitcnt vmcnt(9)
	v_fma_f64 v[123:124], v[127:128], v[121:122], v[115:116]
	ds_read2_b64 v[115:118], v114 offset0:107 offset1:108
	ds_read2_b64 v[119:122], v114 offset0:109 offset1:110
	s_waitcnt vmcnt(8) lgkmcnt(1)
	v_fma_f64 v[115:116], v[133:134], v[115:116], v[123:124]
	s_waitcnt vmcnt(7)
	v_fma_f64 v[115:116], v[131:132], v[117:118], v[115:116]
	ds_read_b64 v[117:118], v114 offset:888
	s_waitcnt vmcnt(6) lgkmcnt(1)
	v_fma_f64 v[115:116], v[129:130], v[119:120], v[115:116]
	s_waitcnt vmcnt(3)
	v_fma_f64 v[115:116], v[135:136], v[121:122], v[115:116]
	s_waitcnt vmcnt(2) lgkmcnt(0)
	v_fma_f64 v[115:116], v[137:138], v[117:118], v[115:116]
	s_waitcnt vmcnt(0)
	v_add_f64 v[115:116], v[139:140], -v[115:116]
	buffer_store_dword v116, off, s[0:3], 0 offset:276
	buffer_store_dword v115, off, s[0:3], 0 offset:272
	s_and_saveexec_b64 s[4:5], vcc
	s_cbranch_execz .LBB55_277
; %bb.276:
	buffer_load_dword v115, off, s[0:3], 0 offset:264
	buffer_load_dword v116, off, s[0:3], 0 offset:268
	s_waitcnt vmcnt(0)
	ds_write_b64 v113, v[115:116]
	buffer_store_dword v114, off, s[0:3], 0 offset:264
	buffer_store_dword v114, off, s[0:3], 0 offset:268
.LBB55_277:
	s_or_b64 exec, exec, s[4:5]
	s_waitcnt lgkmcnt(0)
	; wave barrier
	buffer_load_dword v123, off, s[0:3], 0 offset:272
	buffer_load_dword v124, off, s[0:3], 0 offset:276
	;; [unrolled: 1-line block ×21, first 2 shown]
	ds_read_b128 v[115:118], v114 offset:720
	ds_read_b128 v[119:122], v114 offset:736
	buffer_load_dword v140, off, s[0:3], 0 offset:356
	v_cmp_lt_u32_e32 vcc, 32, v0
	s_waitcnt vmcnt(20) lgkmcnt(1)
	v_fma_f64 v[115:116], v[123:124], v[115:116], 0
	s_waitcnt vmcnt(18)
	v_fma_f64 v[115:116], v[125:126], v[117:118], v[115:116]
	buffer_load_dword v124, off, s[0:3], 0 offset:364
	buffer_load_dword v125, off, s[0:3], 0 offset:384
	buffer_load_dword v145, off, s[0:3], 0 offset:376
	buffer_load_dword v147, off, s[0:3], 0 offset:368
	buffer_load_dword v123, off, s[0:3], 0 offset:360
	buffer_load_dword v148, off, s[0:3], 0 offset:372
	buffer_load_dword v146, off, s[0:3], 0 offset:380
	s_waitcnt vmcnt(23) lgkmcnt(0)
	v_fma_f64 v[115:116], v[127:128], v[119:120], v[115:116]
	s_waitcnt vmcnt(21)
	v_fma_f64 v[126:127], v[129:130], v[121:122], v[115:116]
	ds_read_b128 v[115:118], v114 offset:752
	ds_read_b128 v[119:122], v114 offset:768
	s_waitcnt vmcnt(19) lgkmcnt(1)
	v_fma_f64 v[115:116], v[131:132], v[115:116], v[126:127]
	buffer_load_dword v126, off, s[0:3], 0 offset:388
	s_waitcnt vmcnt(18)
	v_fma_f64 v[115:116], v[133:134], v[117:118], v[115:116]
	buffer_load_dword v128, off, s[0:3], 0 offset:396
	buffer_load_dword v129, off, s[0:3], 0 offset:416
	;; [unrolled: 1-line block ×8, first 2 shown]
	s_waitcnt vmcnt(24) lgkmcnt(0)
	v_fma_f64 v[115:116], v[135:136], v[119:120], v[115:116]
	s_waitcnt vmcnt(19)
	v_fma_f64 v[135:136], v[137:138], v[121:122], v[115:116]
	ds_read_b128 v[115:118], v114 offset:784
	ds_read_b128 v[119:122], v114 offset:800
	s_waitcnt vmcnt(18) lgkmcnt(1)
	v_fma_f64 v[115:116], v[143:144], v[115:116], v[135:136]
	s_waitcnt vmcnt(17)
	v_fma_f64 v[115:116], v[141:142], v[117:118], v[115:116]
	buffer_load_dword v136, off, s[0:3], 0 offset:428
	buffer_load_dword v137, off, s[0:3], 0 offset:440
	;; [unrolled: 1-line block ×6, first 2 shown]
	s_waitcnt vmcnt(22) lgkmcnt(0)
	v_fma_f64 v[115:116], v[139:140], v[119:120], v[115:116]
	s_waitcnt vmcnt(17)
	v_fma_f64 v[123:124], v[123:124], v[121:122], v[115:116]
	ds_read_b128 v[115:118], v114 offset:816
	buffer_load_dword v139, off, s[0:3], 0 offset:264
	buffer_load_dword v140, off, s[0:3], 0 offset:268
	ds_read_b128 v[119:122], v114 offset:832
	s_waitcnt vmcnt(18) lgkmcnt(1)
	v_fma_f64 v[115:116], v[147:148], v[115:116], v[123:124]
	s_waitcnt vmcnt(17)
	v_fma_f64 v[115:116], v[145:146], v[117:118], v[115:116]
	s_waitcnt vmcnt(16) lgkmcnt(0)
	v_fma_f64 v[115:116], v[125:126], v[119:120], v[115:116]
	s_waitcnt vmcnt(11)
	v_fma_f64 v[123:124], v[127:128], v[121:122], v[115:116]
	ds_read_b128 v[115:118], v114 offset:848
	ds_read_b128 v[119:122], v114 offset:864
	s_waitcnt vmcnt(10) lgkmcnt(1)
	v_fma_f64 v[115:116], v[133:134], v[115:116], v[123:124]
	s_waitcnt vmcnt(9)
	v_fma_f64 v[115:116], v[131:132], v[117:118], v[115:116]
	s_waitcnt vmcnt(8) lgkmcnt(0)
	v_fma_f64 v[115:116], v[129:130], v[119:120], v[115:116]
	s_waitcnt vmcnt(4)
	v_fma_f64 v[118:119], v[135:136], v[121:122], v[115:116]
	ds_read_b128 v[114:117], v114 offset:880
	s_waitcnt vmcnt(3) lgkmcnt(0)
	v_fma_f64 v[114:115], v[141:142], v[114:115], v[118:119]
	s_waitcnt vmcnt(2)
	v_fma_f64 v[114:115], v[137:138], v[116:117], v[114:115]
	s_waitcnt vmcnt(0)
	v_add_f64 v[114:115], v[139:140], -v[114:115]
	buffer_store_dword v115, off, s[0:3], 0 offset:268
	buffer_store_dword v114, off, s[0:3], 0 offset:264
	s_and_saveexec_b64 s[4:5], vcc
	s_cbranch_execz .LBB55_279
; %bb.278:
	buffer_load_dword v114, off, s[0:3], 0 offset:256
	buffer_load_dword v115, off, s[0:3], 0 offset:260
	v_mov_b32_e32 v116, 0
	buffer_store_dword v116, off, s[0:3], 0 offset:256
	buffer_store_dword v116, off, s[0:3], 0 offset:260
	s_waitcnt vmcnt(2)
	ds_write_b64 v113, v[114:115]
.LBB55_279:
	s_or_b64 exec, exec, s[4:5]
	s_waitcnt lgkmcnt(0)
	; wave barrier
	buffer_load_dword v123, off, s[0:3], 0 offset:264
	buffer_load_dword v124, off, s[0:3], 0 offset:268
	;; [unrolled: 1-line block ×21, first 2 shown]
	v_mov_b32_e32 v114, 0
	ds_read2_b64 v[115:118], v114 offset0:89 offset1:90
	ds_read2_b64 v[119:122], v114 offset0:91 offset1:92
	buffer_load_dword v140, off, s[0:3], 0 offset:348
	v_cmp_lt_u32_e32 vcc, 31, v0
	s_waitcnt vmcnt(20) lgkmcnt(1)
	v_fma_f64 v[115:116], v[123:124], v[115:116], 0
	s_waitcnt vmcnt(18)
	v_fma_f64 v[115:116], v[125:126], v[117:118], v[115:116]
	buffer_load_dword v124, off, s[0:3], 0 offset:356
	buffer_load_dword v125, off, s[0:3], 0 offset:376
	;; [unrolled: 1-line block ×7, first 2 shown]
	s_waitcnt vmcnt(23) lgkmcnt(0)
	v_fma_f64 v[115:116], v[127:128], v[119:120], v[115:116]
	s_waitcnt vmcnt(21)
	v_fma_f64 v[126:127], v[129:130], v[121:122], v[115:116]
	ds_read2_b64 v[115:118], v114 offset0:93 offset1:94
	ds_read2_b64 v[119:122], v114 offset0:95 offset1:96
	s_waitcnt vmcnt(19) lgkmcnt(1)
	v_fma_f64 v[115:116], v[131:132], v[115:116], v[126:127]
	buffer_load_dword v126, off, s[0:3], 0 offset:380
	s_waitcnt vmcnt(18)
	v_fma_f64 v[115:116], v[133:134], v[117:118], v[115:116]
	buffer_load_dword v128, off, s[0:3], 0 offset:388
	buffer_load_dword v129, off, s[0:3], 0 offset:408
	buffer_load_dword v131, off, s[0:3], 0 offset:400
	buffer_load_dword v133, off, s[0:3], 0 offset:392
	buffer_load_dword v127, off, s[0:3], 0 offset:384
	buffer_load_dword v134, off, s[0:3], 0 offset:396
	buffer_load_dword v132, off, s[0:3], 0 offset:404
	buffer_load_dword v130, off, s[0:3], 0 offset:412
	s_waitcnt vmcnt(24) lgkmcnt(0)
	v_fma_f64 v[115:116], v[135:136], v[119:120], v[115:116]
	s_waitcnt vmcnt(19)
	v_fma_f64 v[135:136], v[137:138], v[121:122], v[115:116]
	ds_read2_b64 v[115:118], v114 offset0:97 offset1:98
	ds_read2_b64 v[119:122], v114 offset0:99 offset1:100
	s_waitcnt vmcnt(18) lgkmcnt(1)
	v_fma_f64 v[115:116], v[143:144], v[115:116], v[135:136]
	s_waitcnt vmcnt(17)
	v_fma_f64 v[115:116], v[141:142], v[117:118], v[115:116]
	buffer_load_dword v136, off, s[0:3], 0 offset:420
	buffer_load_dword v137, off, s[0:3], 0 offset:440
	buffer_load_dword v141, off, s[0:3], 0 offset:432
	buffer_load_dword v143, off, s[0:3], 0 offset:424
	buffer_load_dword v135, off, s[0:3], 0 offset:416
	buffer_load_dword v144, off, s[0:3], 0 offset:428
	buffer_load_dword v142, off, s[0:3], 0 offset:436
	buffer_load_dword v138, off, s[0:3], 0 offset:444
	s_waitcnt vmcnt(24) lgkmcnt(0)
	v_fma_f64 v[115:116], v[139:140], v[119:120], v[115:116]
	s_waitcnt vmcnt(19)
	v_fma_f64 v[123:124], v[123:124], v[121:122], v[115:116]
	ds_read2_b64 v[115:118], v114 offset0:101 offset1:102
	ds_read2_b64 v[119:122], v114 offset0:103 offset1:104
	s_waitcnt vmcnt(18) lgkmcnt(1)
	v_fma_f64 v[115:116], v[147:148], v[115:116], v[123:124]
	buffer_load_dword v123, off, s[0:3], 0 offset:256
	buffer_load_dword v124, off, s[0:3], 0 offset:260
	s_waitcnt vmcnt(19)
	v_fma_f64 v[115:116], v[145:146], v[117:118], v[115:116]
	s_waitcnt vmcnt(18) lgkmcnt(0)
	v_fma_f64 v[115:116], v[125:126], v[119:120], v[115:116]
	s_waitcnt vmcnt(13)
	v_fma_f64 v[125:126], v[127:128], v[121:122], v[115:116]
	ds_read2_b64 v[115:118], v114 offset0:105 offset1:106
	ds_read2_b64 v[119:122], v114 offset0:107 offset1:108
	s_waitcnt vmcnt(12) lgkmcnt(1)
	v_fma_f64 v[115:116], v[133:134], v[115:116], v[125:126]
	s_waitcnt vmcnt(11)
	v_fma_f64 v[115:116], v[131:132], v[117:118], v[115:116]
	s_waitcnt vmcnt(10) lgkmcnt(0)
	v_fma_f64 v[115:116], v[129:130], v[119:120], v[115:116]
	s_waitcnt vmcnt(5)
	v_fma_f64 v[119:120], v[135:136], v[121:122], v[115:116]
	ds_read2_b64 v[115:118], v114 offset0:109 offset1:110
	ds_read_b64 v[121:122], v114 offset:888
	s_waitcnt vmcnt(4) lgkmcnt(1)
	v_fma_f64 v[115:116], v[143:144], v[115:116], v[119:120]
	s_waitcnt vmcnt(3)
	v_fma_f64 v[115:116], v[141:142], v[117:118], v[115:116]
	s_waitcnt vmcnt(2) lgkmcnt(0)
	v_fma_f64 v[115:116], v[137:138], v[121:122], v[115:116]
	s_waitcnt vmcnt(0)
	v_add_f64 v[115:116], v[123:124], -v[115:116]
	buffer_store_dword v116, off, s[0:3], 0 offset:260
	buffer_store_dword v115, off, s[0:3], 0 offset:256
	s_and_saveexec_b64 s[4:5], vcc
	s_cbranch_execz .LBB55_281
; %bb.280:
	buffer_load_dword v115, off, s[0:3], 0 offset:248
	buffer_load_dword v116, off, s[0:3], 0 offset:252
	s_waitcnt vmcnt(0)
	ds_write_b64 v113, v[115:116]
	buffer_store_dword v114, off, s[0:3], 0 offset:248
	buffer_store_dword v114, off, s[0:3], 0 offset:252
.LBB55_281:
	s_or_b64 exec, exec, s[4:5]
	s_waitcnt lgkmcnt(0)
	; wave barrier
	buffer_load_dword v123, off, s[0:3], 0 offset:256
	buffer_load_dword v124, off, s[0:3], 0 offset:260
	;; [unrolled: 1-line block ×21, first 2 shown]
	ds_read_b128 v[115:118], v114 offset:704
	ds_read_b128 v[119:122], v114 offset:720
	buffer_load_dword v140, off, s[0:3], 0 offset:340
	v_cmp_lt_u32_e32 vcc, 30, v0
	s_waitcnt vmcnt(20) lgkmcnt(1)
	v_fma_f64 v[115:116], v[123:124], v[115:116], 0
	s_waitcnt vmcnt(18)
	v_fma_f64 v[115:116], v[125:126], v[117:118], v[115:116]
	buffer_load_dword v124, off, s[0:3], 0 offset:348
	buffer_load_dword v125, off, s[0:3], 0 offset:368
	buffer_load_dword v145, off, s[0:3], 0 offset:360
	buffer_load_dword v147, off, s[0:3], 0 offset:352
	buffer_load_dword v123, off, s[0:3], 0 offset:344
	buffer_load_dword v148, off, s[0:3], 0 offset:356
	buffer_load_dword v146, off, s[0:3], 0 offset:364
	s_waitcnt vmcnt(23) lgkmcnt(0)
	v_fma_f64 v[115:116], v[127:128], v[119:120], v[115:116]
	s_waitcnt vmcnt(21)
	v_fma_f64 v[126:127], v[129:130], v[121:122], v[115:116]
	ds_read_b128 v[115:118], v114 offset:736
	ds_read_b128 v[119:122], v114 offset:752
	s_waitcnt vmcnt(19) lgkmcnt(1)
	v_fma_f64 v[115:116], v[131:132], v[115:116], v[126:127]
	buffer_load_dword v126, off, s[0:3], 0 offset:372
	s_waitcnt vmcnt(18)
	v_fma_f64 v[115:116], v[133:134], v[117:118], v[115:116]
	buffer_load_dword v128, off, s[0:3], 0 offset:380
	buffer_load_dword v129, off, s[0:3], 0 offset:400
	;; [unrolled: 1-line block ×8, first 2 shown]
	s_waitcnt vmcnt(24) lgkmcnt(0)
	v_fma_f64 v[115:116], v[135:136], v[119:120], v[115:116]
	s_waitcnt vmcnt(19)
	v_fma_f64 v[135:136], v[137:138], v[121:122], v[115:116]
	ds_read_b128 v[115:118], v114 offset:768
	ds_read_b128 v[119:122], v114 offset:784
	s_waitcnt vmcnt(18) lgkmcnt(1)
	v_fma_f64 v[115:116], v[143:144], v[115:116], v[135:136]
	s_waitcnt vmcnt(17)
	v_fma_f64 v[115:116], v[141:142], v[117:118], v[115:116]
	buffer_load_dword v136, off, s[0:3], 0 offset:412
	buffer_load_dword v137, off, s[0:3], 0 offset:432
	;; [unrolled: 1-line block ×8, first 2 shown]
	s_waitcnt vmcnt(24) lgkmcnt(0)
	v_fma_f64 v[115:116], v[139:140], v[119:120], v[115:116]
	s_waitcnt vmcnt(19)
	v_fma_f64 v[123:124], v[123:124], v[121:122], v[115:116]
	ds_read_b128 v[115:118], v114 offset:800
	ds_read_b128 v[119:122], v114 offset:816
	s_waitcnt vmcnt(18) lgkmcnt(1)
	v_fma_f64 v[115:116], v[147:148], v[115:116], v[123:124]
	buffer_load_dword v124, off, s[0:3], 0 offset:444
	buffer_load_dword v123, off, s[0:3], 0 offset:440
	;; [unrolled: 1-line block ×4, first 2 shown]
	s_waitcnt vmcnt(21)
	v_fma_f64 v[115:116], v[145:146], v[117:118], v[115:116]
	s_waitcnt vmcnt(20) lgkmcnt(0)
	v_fma_f64 v[115:116], v[125:126], v[119:120], v[115:116]
	s_waitcnt vmcnt(15)
	v_fma_f64 v[125:126], v[127:128], v[121:122], v[115:116]
	ds_read_b128 v[115:118], v114 offset:832
	ds_read_b128 v[119:122], v114 offset:848
	s_waitcnt vmcnt(14) lgkmcnt(1)
	v_fma_f64 v[115:116], v[133:134], v[115:116], v[125:126]
	s_waitcnt vmcnt(13)
	v_fma_f64 v[115:116], v[131:132], v[117:118], v[115:116]
	s_waitcnt vmcnt(12) lgkmcnt(0)
	v_fma_f64 v[115:116], v[129:130], v[119:120], v[115:116]
	s_waitcnt vmcnt(7)
	v_fma_f64 v[125:126], v[135:136], v[121:122], v[115:116]
	ds_read_b128 v[115:118], v114 offset:864
	ds_read_b128 v[119:122], v114 offset:880
	s_waitcnt vmcnt(6) lgkmcnt(1)
	v_fma_f64 v[114:115], v[143:144], v[115:116], v[125:126]
	s_waitcnt vmcnt(5)
	v_fma_f64 v[114:115], v[141:142], v[117:118], v[114:115]
	s_waitcnt vmcnt(4) lgkmcnt(0)
	v_fma_f64 v[114:115], v[137:138], v[119:120], v[114:115]
	s_waitcnt vmcnt(2)
	v_fma_f64 v[114:115], v[123:124], v[121:122], v[114:115]
	s_waitcnt vmcnt(0)
	v_add_f64 v[114:115], v[139:140], -v[114:115]
	buffer_store_dword v115, off, s[0:3], 0 offset:252
	buffer_store_dword v114, off, s[0:3], 0 offset:248
	s_and_saveexec_b64 s[4:5], vcc
	s_cbranch_execz .LBB55_283
; %bb.282:
	buffer_load_dword v114, off, s[0:3], 0 offset:240
	buffer_load_dword v115, off, s[0:3], 0 offset:244
	v_mov_b32_e32 v116, 0
	buffer_store_dword v116, off, s[0:3], 0 offset:240
	buffer_store_dword v116, off, s[0:3], 0 offset:244
	s_waitcnt vmcnt(2)
	ds_write_b64 v113, v[114:115]
.LBB55_283:
	s_or_b64 exec, exec, s[4:5]
	s_waitcnt lgkmcnt(0)
	; wave barrier
	buffer_load_dword v123, off, s[0:3], 0 offset:248
	buffer_load_dword v124, off, s[0:3], 0 offset:252
	;; [unrolled: 1-line block ×21, first 2 shown]
	v_mov_b32_e32 v114, 0
	ds_read2_b64 v[115:118], v114 offset0:87 offset1:88
	ds_read2_b64 v[119:122], v114 offset0:89 offset1:90
	buffer_load_dword v140, off, s[0:3], 0 offset:332
	v_cmp_lt_u32_e32 vcc, 29, v0
	s_waitcnt vmcnt(20) lgkmcnt(1)
	v_fma_f64 v[115:116], v[123:124], v[115:116], 0
	s_waitcnt vmcnt(18)
	v_fma_f64 v[115:116], v[125:126], v[117:118], v[115:116]
	buffer_load_dword v124, off, s[0:3], 0 offset:340
	buffer_load_dword v125, off, s[0:3], 0 offset:360
	;; [unrolled: 1-line block ×7, first 2 shown]
	s_waitcnt vmcnt(23) lgkmcnt(0)
	v_fma_f64 v[115:116], v[127:128], v[119:120], v[115:116]
	s_waitcnt vmcnt(21)
	v_fma_f64 v[126:127], v[129:130], v[121:122], v[115:116]
	ds_read2_b64 v[115:118], v114 offset0:91 offset1:92
	ds_read2_b64 v[119:122], v114 offset0:93 offset1:94
	s_waitcnt vmcnt(19) lgkmcnt(1)
	v_fma_f64 v[115:116], v[131:132], v[115:116], v[126:127]
	buffer_load_dword v126, off, s[0:3], 0 offset:364
	s_waitcnt vmcnt(18)
	v_fma_f64 v[115:116], v[133:134], v[117:118], v[115:116]
	buffer_load_dword v128, off, s[0:3], 0 offset:372
	buffer_load_dword v129, off, s[0:3], 0 offset:392
	;; [unrolled: 1-line block ×8, first 2 shown]
	s_waitcnt vmcnt(24) lgkmcnt(0)
	v_fma_f64 v[115:116], v[135:136], v[119:120], v[115:116]
	s_waitcnt vmcnt(19)
	v_fma_f64 v[135:136], v[137:138], v[121:122], v[115:116]
	ds_read2_b64 v[115:118], v114 offset0:95 offset1:96
	ds_read2_b64 v[119:122], v114 offset0:97 offset1:98
	s_waitcnt vmcnt(18) lgkmcnt(1)
	v_fma_f64 v[115:116], v[143:144], v[115:116], v[135:136]
	s_waitcnt vmcnt(17)
	v_fma_f64 v[115:116], v[141:142], v[117:118], v[115:116]
	buffer_load_dword v136, off, s[0:3], 0 offset:404
	buffer_load_dword v137, off, s[0:3], 0 offset:424
	;; [unrolled: 1-line block ×7, first 2 shown]
	s_waitcnt vmcnt(23) lgkmcnt(0)
	v_fma_f64 v[115:116], v[139:140], v[119:120], v[115:116]
	s_waitcnt vmcnt(18)
	v_fma_f64 v[123:124], v[123:124], v[121:122], v[115:116]
	ds_read2_b64 v[115:118], v114 offset0:99 offset1:100
	ds_read2_b64 v[119:122], v114 offset0:101 offset1:102
	buffer_load_dword v138, off, s[0:3], 0 offset:428
	s_waitcnt vmcnt(18) lgkmcnt(1)
	v_fma_f64 v[115:116], v[147:148], v[115:116], v[123:124]
	buffer_load_dword v124, off, s[0:3], 0 offset:436
	buffer_load_dword v139, off, s[0:3], 0 offset:440
	buffer_load_dword v123, off, s[0:3], 0 offset:432
	buffer_load_dword v140, off, s[0:3], 0 offset:444
	s_waitcnt vmcnt(21)
	v_fma_f64 v[115:116], v[145:146], v[117:118], v[115:116]
	s_waitcnt vmcnt(20) lgkmcnt(0)
	v_fma_f64 v[115:116], v[125:126], v[119:120], v[115:116]
	buffer_load_dword v125, off, s[0:3], 0 offset:240
	buffer_load_dword v126, off, s[0:3], 0 offset:244
	s_waitcnt vmcnt(17)
	v_fma_f64 v[127:128], v[127:128], v[121:122], v[115:116]
	ds_read2_b64 v[115:118], v114 offset0:103 offset1:104
	ds_read2_b64 v[119:122], v114 offset0:105 offset1:106
	s_waitcnt vmcnt(16) lgkmcnt(1)
	v_fma_f64 v[115:116], v[133:134], v[115:116], v[127:128]
	s_waitcnt vmcnt(15)
	v_fma_f64 v[115:116], v[131:132], v[117:118], v[115:116]
	s_waitcnt vmcnt(14) lgkmcnt(0)
	v_fma_f64 v[115:116], v[129:130], v[119:120], v[115:116]
	s_waitcnt vmcnt(9)
	v_fma_f64 v[127:128], v[135:136], v[121:122], v[115:116]
	ds_read2_b64 v[115:118], v114 offset0:107 offset1:108
	ds_read2_b64 v[119:122], v114 offset0:109 offset1:110
	s_waitcnt vmcnt(8) lgkmcnt(1)
	v_fma_f64 v[115:116], v[143:144], v[115:116], v[127:128]
	s_waitcnt vmcnt(7)
	v_fma_f64 v[115:116], v[141:142], v[117:118], v[115:116]
	ds_read_b64 v[117:118], v114 offset:888
	s_waitcnt vmcnt(6) lgkmcnt(1)
	v_fma_f64 v[115:116], v[137:138], v[119:120], v[115:116]
	s_waitcnt vmcnt(3)
	v_fma_f64 v[115:116], v[123:124], v[121:122], v[115:116]
	s_waitcnt vmcnt(2) lgkmcnt(0)
	v_fma_f64 v[115:116], v[139:140], v[117:118], v[115:116]
	s_waitcnt vmcnt(0)
	v_add_f64 v[115:116], v[125:126], -v[115:116]
	buffer_store_dword v116, off, s[0:3], 0 offset:244
	buffer_store_dword v115, off, s[0:3], 0 offset:240
	s_and_saveexec_b64 s[4:5], vcc
	s_cbranch_execz .LBB55_285
; %bb.284:
	buffer_load_dword v115, off, s[0:3], 0 offset:232
	buffer_load_dword v116, off, s[0:3], 0 offset:236
	s_waitcnt vmcnt(0)
	ds_write_b64 v113, v[115:116]
	buffer_store_dword v114, off, s[0:3], 0 offset:232
	buffer_store_dword v114, off, s[0:3], 0 offset:236
.LBB55_285:
	s_or_b64 exec, exec, s[4:5]
	s_waitcnt lgkmcnt(0)
	; wave barrier
	buffer_load_dword v123, off, s[0:3], 0 offset:240
	buffer_load_dword v124, off, s[0:3], 0 offset:244
	;; [unrolled: 1-line block ×22, first 2 shown]
	ds_read_b128 v[115:118], v114 offset:688
	ds_read_b128 v[119:122], v114 offset:704
	v_cmp_lt_u32_e32 vcc, 28, v0
	s_waitcnt vmcnt(20) lgkmcnt(1)
	v_fma_f64 v[115:116], v[123:124], v[115:116], 0
	s_waitcnt vmcnt(18)
	v_fma_f64 v[115:116], v[125:126], v[117:118], v[115:116]
	buffer_load_dword v124, off, s[0:3], 0 offset:332
	buffer_load_dword v125, off, s[0:3], 0 offset:352
	;; [unrolled: 1-line block ×7, first 2 shown]
	s_waitcnt vmcnt(23) lgkmcnt(0)
	v_fma_f64 v[115:116], v[127:128], v[119:120], v[115:116]
	s_waitcnt vmcnt(21)
	v_fma_f64 v[126:127], v[129:130], v[121:122], v[115:116]
	ds_read_b128 v[115:118], v114 offset:720
	ds_read_b128 v[119:122], v114 offset:736
	s_waitcnt vmcnt(19) lgkmcnt(1)
	v_fma_f64 v[115:116], v[131:132], v[115:116], v[126:127]
	buffer_load_dword v126, off, s[0:3], 0 offset:356
	s_waitcnt vmcnt(18)
	v_fma_f64 v[115:116], v[133:134], v[117:118], v[115:116]
	buffer_load_dword v128, off, s[0:3], 0 offset:364
	buffer_load_dword v129, off, s[0:3], 0 offset:384
	;; [unrolled: 1-line block ×8, first 2 shown]
	s_waitcnt vmcnt(24) lgkmcnt(0)
	v_fma_f64 v[115:116], v[135:136], v[119:120], v[115:116]
	s_waitcnt vmcnt(19)
	v_fma_f64 v[135:136], v[137:138], v[121:122], v[115:116]
	ds_read_b128 v[115:118], v114 offset:752
	ds_read_b128 v[119:122], v114 offset:768
	s_waitcnt vmcnt(18) lgkmcnt(1)
	v_fma_f64 v[115:116], v[143:144], v[115:116], v[135:136]
	s_waitcnt vmcnt(17)
	v_fma_f64 v[115:116], v[141:142], v[117:118], v[115:116]
	buffer_load_dword v136, off, s[0:3], 0 offset:396
	buffer_load_dword v137, off, s[0:3], 0 offset:416
	;; [unrolled: 1-line block ×8, first 2 shown]
	s_waitcnt vmcnt(24) lgkmcnt(0)
	v_fma_f64 v[115:116], v[139:140], v[119:120], v[115:116]
	s_waitcnt vmcnt(19)
	v_fma_f64 v[123:124], v[123:124], v[121:122], v[115:116]
	ds_read_b128 v[115:118], v114 offset:784
	ds_read_b128 v[119:122], v114 offset:800
	s_waitcnt vmcnt(18) lgkmcnt(1)
	v_fma_f64 v[115:116], v[147:148], v[115:116], v[123:124]
	s_waitcnt vmcnt(17)
	v_fma_f64 v[115:116], v[145:146], v[117:118], v[115:116]
	buffer_load_dword v124, off, s[0:3], 0 offset:428
	buffer_load_dword v139, off, s[0:3], 0 offset:440
	;; [unrolled: 1-line block ×6, first 2 shown]
	s_waitcnt vmcnt(22) lgkmcnt(0)
	v_fma_f64 v[115:116], v[125:126], v[119:120], v[115:116]
	s_waitcnt vmcnt(17)
	v_fma_f64 v[125:126], v[127:128], v[121:122], v[115:116]
	ds_read_b128 v[115:118], v114 offset:816
	buffer_load_dword v127, off, s[0:3], 0 offset:232
	buffer_load_dword v128, off, s[0:3], 0 offset:236
	ds_read_b128 v[119:122], v114 offset:832
	s_waitcnt vmcnt(18) lgkmcnt(1)
	v_fma_f64 v[115:116], v[133:134], v[115:116], v[125:126]
	s_waitcnt vmcnt(17)
	v_fma_f64 v[115:116], v[131:132], v[117:118], v[115:116]
	s_waitcnt vmcnt(16) lgkmcnt(0)
	v_fma_f64 v[115:116], v[129:130], v[119:120], v[115:116]
	s_waitcnt vmcnt(11)
	v_fma_f64 v[125:126], v[135:136], v[121:122], v[115:116]
	ds_read_b128 v[115:118], v114 offset:848
	ds_read_b128 v[119:122], v114 offset:864
	s_waitcnt vmcnt(10) lgkmcnt(1)
	v_fma_f64 v[115:116], v[143:144], v[115:116], v[125:126]
	s_waitcnt vmcnt(9)
	v_fma_f64 v[115:116], v[141:142], v[117:118], v[115:116]
	s_waitcnt vmcnt(8) lgkmcnt(0)
	v_fma_f64 v[115:116], v[137:138], v[119:120], v[115:116]
	s_waitcnt vmcnt(4)
	v_fma_f64 v[118:119], v[123:124], v[121:122], v[115:116]
	ds_read_b128 v[114:117], v114 offset:880
	s_waitcnt vmcnt(3) lgkmcnt(0)
	v_fma_f64 v[114:115], v[145:146], v[114:115], v[118:119]
	s_waitcnt vmcnt(2)
	v_fma_f64 v[114:115], v[139:140], v[116:117], v[114:115]
	s_waitcnt vmcnt(0)
	v_add_f64 v[114:115], v[127:128], -v[114:115]
	buffer_store_dword v115, off, s[0:3], 0 offset:236
	buffer_store_dword v114, off, s[0:3], 0 offset:232
	s_and_saveexec_b64 s[4:5], vcc
	s_cbranch_execz .LBB55_287
; %bb.286:
	buffer_load_dword v114, off, s[0:3], 0 offset:224
	buffer_load_dword v115, off, s[0:3], 0 offset:228
	v_mov_b32_e32 v116, 0
	buffer_store_dword v116, off, s[0:3], 0 offset:224
	buffer_store_dword v116, off, s[0:3], 0 offset:228
	s_waitcnt vmcnt(2)
	ds_write_b64 v113, v[114:115]
.LBB55_287:
	s_or_b64 exec, exec, s[4:5]
	s_waitcnt lgkmcnt(0)
	; wave barrier
	buffer_load_dword v123, off, s[0:3], 0 offset:232
	buffer_load_dword v124, off, s[0:3], 0 offset:236
	buffer_load_dword v125, off, s[0:3], 0 offset:240
	buffer_load_dword v126, off, s[0:3], 0 offset:244
	buffer_load_dword v127, off, s[0:3], 0 offset:248
	buffer_load_dword v128, off, s[0:3], 0 offset:252
	buffer_load_dword v129, off, s[0:3], 0 offset:256
	buffer_load_dword v130, off, s[0:3], 0 offset:260
	buffer_load_dword v131, off, s[0:3], 0 offset:264
	buffer_load_dword v132, off, s[0:3], 0 offset:268
	buffer_load_dword v133, off, s[0:3], 0 offset:272
	buffer_load_dword v134, off, s[0:3], 0 offset:276
	buffer_load_dword v135, off, s[0:3], 0 offset:280
	buffer_load_dword v136, off, s[0:3], 0 offset:284
	buffer_load_dword v138, off, s[0:3], 0 offset:292
	buffer_load_dword v139, off, s[0:3], 0 offset:312
	buffer_load_dword v141, off, s[0:3], 0 offset:304
	buffer_load_dword v143, off, s[0:3], 0 offset:296
	buffer_load_dword v137, off, s[0:3], 0 offset:288
	buffer_load_dword v144, off, s[0:3], 0 offset:300
	buffer_load_dword v142, off, s[0:3], 0 offset:308
	buffer_load_dword v140, off, s[0:3], 0 offset:316
	v_mov_b32_e32 v114, 0
	ds_read2_b64 v[115:118], v114 offset0:85 offset1:86
	ds_read2_b64 v[119:122], v114 offset0:87 offset1:88
	v_cmp_lt_u32_e32 vcc, 27, v0
	s_waitcnt vmcnt(20) lgkmcnt(1)
	v_fma_f64 v[115:116], v[123:124], v[115:116], 0
	s_waitcnt vmcnt(18)
	v_fma_f64 v[115:116], v[125:126], v[117:118], v[115:116]
	buffer_load_dword v124, off, s[0:3], 0 offset:324
	buffer_load_dword v125, off, s[0:3], 0 offset:344
	;; [unrolled: 1-line block ×7, first 2 shown]
	s_waitcnt vmcnt(23) lgkmcnt(0)
	v_fma_f64 v[115:116], v[127:128], v[119:120], v[115:116]
	s_waitcnt vmcnt(21)
	v_fma_f64 v[126:127], v[129:130], v[121:122], v[115:116]
	ds_read2_b64 v[115:118], v114 offset0:89 offset1:90
	ds_read2_b64 v[119:122], v114 offset0:91 offset1:92
	s_waitcnt vmcnt(19) lgkmcnt(1)
	v_fma_f64 v[115:116], v[131:132], v[115:116], v[126:127]
	buffer_load_dword v126, off, s[0:3], 0 offset:348
	s_waitcnt vmcnt(18)
	v_fma_f64 v[115:116], v[133:134], v[117:118], v[115:116]
	buffer_load_dword v128, off, s[0:3], 0 offset:356
	buffer_load_dword v129, off, s[0:3], 0 offset:376
	buffer_load_dword v131, off, s[0:3], 0 offset:368
	buffer_load_dword v133, off, s[0:3], 0 offset:360
	buffer_load_dword v127, off, s[0:3], 0 offset:352
	buffer_load_dword v134, off, s[0:3], 0 offset:364
	buffer_load_dword v132, off, s[0:3], 0 offset:372
	buffer_load_dword v130, off, s[0:3], 0 offset:380
	s_waitcnt vmcnt(24) lgkmcnt(0)
	v_fma_f64 v[115:116], v[135:136], v[119:120], v[115:116]
	s_waitcnt vmcnt(19)
	v_fma_f64 v[135:136], v[137:138], v[121:122], v[115:116]
	ds_read2_b64 v[115:118], v114 offset0:93 offset1:94
	ds_read2_b64 v[119:122], v114 offset0:95 offset1:96
	s_waitcnt vmcnt(18) lgkmcnt(1)
	v_fma_f64 v[115:116], v[143:144], v[115:116], v[135:136]
	s_waitcnt vmcnt(17)
	v_fma_f64 v[115:116], v[141:142], v[117:118], v[115:116]
	buffer_load_dword v136, off, s[0:3], 0 offset:388
	buffer_load_dword v137, off, s[0:3], 0 offset:408
	buffer_load_dword v141, off, s[0:3], 0 offset:400
	buffer_load_dword v143, off, s[0:3], 0 offset:392
	buffer_load_dword v135, off, s[0:3], 0 offset:384
	buffer_load_dword v144, off, s[0:3], 0 offset:396
	buffer_load_dword v142, off, s[0:3], 0 offset:404
	buffer_load_dword v138, off, s[0:3], 0 offset:412
	s_waitcnt vmcnt(24) lgkmcnt(0)
	v_fma_f64 v[115:116], v[139:140], v[119:120], v[115:116]
	s_waitcnt vmcnt(19)
	v_fma_f64 v[123:124], v[123:124], v[121:122], v[115:116]
	ds_read2_b64 v[115:118], v114 offset0:97 offset1:98
	ds_read2_b64 v[119:122], v114 offset0:99 offset1:100
	s_waitcnt vmcnt(18) lgkmcnt(1)
	v_fma_f64 v[115:116], v[147:148], v[115:116], v[123:124]
	s_waitcnt vmcnt(17)
	v_fma_f64 v[115:116], v[145:146], v[117:118], v[115:116]
	buffer_load_dword v124, off, s[0:3], 0 offset:420
	buffer_load_dword v139, off, s[0:3], 0 offset:440
	buffer_load_dword v145, off, s[0:3], 0 offset:432
	buffer_load_dword v147, off, s[0:3], 0 offset:424
	buffer_load_dword v123, off, s[0:3], 0 offset:416
	buffer_load_dword v148, off, s[0:3], 0 offset:428
	buffer_load_dword v146, off, s[0:3], 0 offset:436
	buffer_load_dword v140, off, s[0:3], 0 offset:444
	s_waitcnt vmcnt(24) lgkmcnt(0)
	v_fma_f64 v[115:116], v[125:126], v[119:120], v[115:116]
	s_waitcnt vmcnt(19)
	v_fma_f64 v[125:126], v[127:128], v[121:122], v[115:116]
	ds_read2_b64 v[115:118], v114 offset0:101 offset1:102
	ds_read2_b64 v[119:122], v114 offset0:103 offset1:104
	s_waitcnt vmcnt(18) lgkmcnt(1)
	v_fma_f64 v[115:116], v[133:134], v[115:116], v[125:126]
	buffer_load_dword v125, off, s[0:3], 0 offset:224
	buffer_load_dword v126, off, s[0:3], 0 offset:228
	s_waitcnt vmcnt(19)
	v_fma_f64 v[115:116], v[131:132], v[117:118], v[115:116]
	s_waitcnt vmcnt(18) lgkmcnt(0)
	v_fma_f64 v[115:116], v[129:130], v[119:120], v[115:116]
	s_waitcnt vmcnt(13)
	v_fma_f64 v[127:128], v[135:136], v[121:122], v[115:116]
	ds_read2_b64 v[115:118], v114 offset0:105 offset1:106
	ds_read2_b64 v[119:122], v114 offset0:107 offset1:108
	s_waitcnt vmcnt(12) lgkmcnt(1)
	v_fma_f64 v[115:116], v[143:144], v[115:116], v[127:128]
	s_waitcnt vmcnt(11)
	v_fma_f64 v[115:116], v[141:142], v[117:118], v[115:116]
	s_waitcnt vmcnt(10) lgkmcnt(0)
	v_fma_f64 v[115:116], v[137:138], v[119:120], v[115:116]
	s_waitcnt vmcnt(5)
	v_fma_f64 v[119:120], v[123:124], v[121:122], v[115:116]
	ds_read2_b64 v[115:118], v114 offset0:109 offset1:110
	ds_read_b64 v[121:122], v114 offset:888
	s_waitcnt vmcnt(4) lgkmcnt(1)
	v_fma_f64 v[115:116], v[147:148], v[115:116], v[119:120]
	s_waitcnt vmcnt(3)
	v_fma_f64 v[115:116], v[145:146], v[117:118], v[115:116]
	s_waitcnt vmcnt(2) lgkmcnt(0)
	v_fma_f64 v[115:116], v[139:140], v[121:122], v[115:116]
	s_waitcnt vmcnt(0)
	v_add_f64 v[115:116], v[125:126], -v[115:116]
	buffer_store_dword v116, off, s[0:3], 0 offset:228
	buffer_store_dword v115, off, s[0:3], 0 offset:224
	s_and_saveexec_b64 s[4:5], vcc
	s_cbranch_execz .LBB55_289
; %bb.288:
	buffer_load_dword v115, off, s[0:3], 0 offset:216
	buffer_load_dword v116, off, s[0:3], 0 offset:220
	s_waitcnt vmcnt(0)
	ds_write_b64 v113, v[115:116]
	buffer_store_dword v114, off, s[0:3], 0 offset:216
	buffer_store_dword v114, off, s[0:3], 0 offset:220
.LBB55_289:
	s_or_b64 exec, exec, s[4:5]
	s_waitcnt lgkmcnt(0)
	; wave barrier
	buffer_load_dword v123, off, s[0:3], 0 offset:224
	buffer_load_dword v124, off, s[0:3], 0 offset:228
	;; [unrolled: 1-line block ×22, first 2 shown]
	ds_read_b128 v[115:118], v114 offset:672
	ds_read_b128 v[119:122], v114 offset:688
	v_cmp_lt_u32_e32 vcc, 26, v0
	s_waitcnt vmcnt(20) lgkmcnt(1)
	v_fma_f64 v[115:116], v[123:124], v[115:116], 0
	s_waitcnt vmcnt(18)
	v_fma_f64 v[115:116], v[125:126], v[117:118], v[115:116]
	buffer_load_dword v124, off, s[0:3], 0 offset:316
	buffer_load_dword v125, off, s[0:3], 0 offset:336
	buffer_load_dword v145, off, s[0:3], 0 offset:328
	buffer_load_dword v147, off, s[0:3], 0 offset:320
	buffer_load_dword v123, off, s[0:3], 0 offset:312
	buffer_load_dword v148, off, s[0:3], 0 offset:324
	buffer_load_dword v146, off, s[0:3], 0 offset:332
	s_waitcnt vmcnt(23) lgkmcnt(0)
	v_fma_f64 v[115:116], v[127:128], v[119:120], v[115:116]
	s_waitcnt vmcnt(21)
	v_fma_f64 v[126:127], v[129:130], v[121:122], v[115:116]
	ds_read_b128 v[115:118], v114 offset:704
	ds_read_b128 v[119:122], v114 offset:720
	s_waitcnt vmcnt(19) lgkmcnt(1)
	v_fma_f64 v[115:116], v[131:132], v[115:116], v[126:127]
	buffer_load_dword v126, off, s[0:3], 0 offset:340
	s_waitcnt vmcnt(18)
	v_fma_f64 v[115:116], v[133:134], v[117:118], v[115:116]
	buffer_load_dword v128, off, s[0:3], 0 offset:348
	buffer_load_dword v129, off, s[0:3], 0 offset:368
	buffer_load_dword v131, off, s[0:3], 0 offset:360
	buffer_load_dword v133, off, s[0:3], 0 offset:352
	buffer_load_dword v127, off, s[0:3], 0 offset:344
	buffer_load_dword v134, off, s[0:3], 0 offset:356
	buffer_load_dword v132, off, s[0:3], 0 offset:364
	buffer_load_dword v130, off, s[0:3], 0 offset:372
	s_waitcnt vmcnt(24) lgkmcnt(0)
	v_fma_f64 v[115:116], v[135:136], v[119:120], v[115:116]
	s_waitcnt vmcnt(19)
	v_fma_f64 v[135:136], v[137:138], v[121:122], v[115:116]
	ds_read_b128 v[115:118], v114 offset:736
	ds_read_b128 v[119:122], v114 offset:752
	s_waitcnt vmcnt(18) lgkmcnt(1)
	v_fma_f64 v[115:116], v[143:144], v[115:116], v[135:136]
	s_waitcnt vmcnt(17)
	v_fma_f64 v[115:116], v[141:142], v[117:118], v[115:116]
	buffer_load_dword v136, off, s[0:3], 0 offset:380
	buffer_load_dword v137, off, s[0:3], 0 offset:400
	buffer_load_dword v141, off, s[0:3], 0 offset:392
	buffer_load_dword v143, off, s[0:3], 0 offset:384
	buffer_load_dword v135, off, s[0:3], 0 offset:376
	buffer_load_dword v144, off, s[0:3], 0 offset:388
	buffer_load_dword v142, off, s[0:3], 0 offset:396
	buffer_load_dword v138, off, s[0:3], 0 offset:404
	s_waitcnt vmcnt(24) lgkmcnt(0)
	v_fma_f64 v[115:116], v[139:140], v[119:120], v[115:116]
	s_waitcnt vmcnt(19)
	v_fma_f64 v[123:124], v[123:124], v[121:122], v[115:116]
	ds_read_b128 v[115:118], v114 offset:768
	ds_read_b128 v[119:122], v114 offset:784
	s_waitcnt vmcnt(18) lgkmcnt(1)
	v_fma_f64 v[115:116], v[147:148], v[115:116], v[123:124]
	;; [unrolled: 18-line block ×3, first 2 shown]
	buffer_load_dword v126, off, s[0:3], 0 offset:444
	buffer_load_dword v125, off, s[0:3], 0 offset:440
	;; [unrolled: 1-line block ×4, first 2 shown]
	s_waitcnt vmcnt(21)
	v_fma_f64 v[115:116], v[131:132], v[117:118], v[115:116]
	s_waitcnt vmcnt(20) lgkmcnt(0)
	v_fma_f64 v[115:116], v[129:130], v[119:120], v[115:116]
	s_waitcnt vmcnt(15)
	v_fma_f64 v[129:130], v[135:136], v[121:122], v[115:116]
	ds_read_b128 v[115:118], v114 offset:832
	ds_read_b128 v[119:122], v114 offset:848
	s_waitcnt vmcnt(14) lgkmcnt(1)
	v_fma_f64 v[115:116], v[143:144], v[115:116], v[129:130]
	s_waitcnt vmcnt(13)
	v_fma_f64 v[115:116], v[141:142], v[117:118], v[115:116]
	s_waitcnt vmcnt(12) lgkmcnt(0)
	v_fma_f64 v[115:116], v[137:138], v[119:120], v[115:116]
	s_waitcnt vmcnt(7)
	v_fma_f64 v[123:124], v[123:124], v[121:122], v[115:116]
	ds_read_b128 v[115:118], v114 offset:864
	ds_read_b128 v[119:122], v114 offset:880
	s_waitcnt vmcnt(6) lgkmcnt(1)
	v_fma_f64 v[114:115], v[147:148], v[115:116], v[123:124]
	s_waitcnt vmcnt(5)
	v_fma_f64 v[114:115], v[145:146], v[117:118], v[114:115]
	s_waitcnt vmcnt(4) lgkmcnt(0)
	v_fma_f64 v[114:115], v[139:140], v[119:120], v[114:115]
	s_waitcnt vmcnt(2)
	v_fma_f64 v[114:115], v[125:126], v[121:122], v[114:115]
	s_waitcnt vmcnt(0)
	v_add_f64 v[114:115], v[127:128], -v[114:115]
	buffer_store_dword v115, off, s[0:3], 0 offset:220
	buffer_store_dword v114, off, s[0:3], 0 offset:216
	s_and_saveexec_b64 s[4:5], vcc
	s_cbranch_execz .LBB55_291
; %bb.290:
	buffer_load_dword v114, off, s[0:3], 0 offset:208
	buffer_load_dword v115, off, s[0:3], 0 offset:212
	v_mov_b32_e32 v116, 0
	buffer_store_dword v116, off, s[0:3], 0 offset:208
	buffer_store_dword v116, off, s[0:3], 0 offset:212
	s_waitcnt vmcnt(2)
	ds_write_b64 v113, v[114:115]
.LBB55_291:
	s_or_b64 exec, exec, s[4:5]
	s_waitcnt lgkmcnt(0)
	; wave barrier
	buffer_load_dword v123, off, s[0:3], 0 offset:216
	buffer_load_dword v124, off, s[0:3], 0 offset:220
	;; [unrolled: 1-line block ×22, first 2 shown]
	v_mov_b32_e32 v114, 0
	ds_read2_b64 v[115:118], v114 offset0:83 offset1:84
	ds_read2_b64 v[119:122], v114 offset0:85 offset1:86
	v_cmp_lt_u32_e32 vcc, 25, v0
	s_waitcnt vmcnt(20) lgkmcnt(1)
	v_fma_f64 v[115:116], v[123:124], v[115:116], 0
	s_waitcnt vmcnt(18)
	v_fma_f64 v[115:116], v[125:126], v[117:118], v[115:116]
	buffer_load_dword v124, off, s[0:3], 0 offset:308
	buffer_load_dword v125, off, s[0:3], 0 offset:328
	;; [unrolled: 1-line block ×7, first 2 shown]
	s_waitcnt vmcnt(23) lgkmcnt(0)
	v_fma_f64 v[115:116], v[127:128], v[119:120], v[115:116]
	s_waitcnt vmcnt(21)
	v_fma_f64 v[126:127], v[129:130], v[121:122], v[115:116]
	ds_read2_b64 v[115:118], v114 offset0:87 offset1:88
	ds_read2_b64 v[119:122], v114 offset0:89 offset1:90
	s_waitcnt vmcnt(19) lgkmcnt(1)
	v_fma_f64 v[115:116], v[131:132], v[115:116], v[126:127]
	buffer_load_dword v126, off, s[0:3], 0 offset:332
	s_waitcnt vmcnt(18)
	v_fma_f64 v[115:116], v[133:134], v[117:118], v[115:116]
	buffer_load_dword v128, off, s[0:3], 0 offset:340
	buffer_load_dword v129, off, s[0:3], 0 offset:360
	buffer_load_dword v131, off, s[0:3], 0 offset:352
	buffer_load_dword v133, off, s[0:3], 0 offset:344
	buffer_load_dword v127, off, s[0:3], 0 offset:336
	buffer_load_dword v134, off, s[0:3], 0 offset:348
	buffer_load_dword v132, off, s[0:3], 0 offset:356
	s_waitcnt vmcnt(23) lgkmcnt(0)
	v_fma_f64 v[115:116], v[135:136], v[119:120], v[115:116]
	s_waitcnt vmcnt(18)
	v_fma_f64 v[135:136], v[137:138], v[121:122], v[115:116]
	ds_read2_b64 v[115:118], v114 offset0:91 offset1:92
	ds_read2_b64 v[119:122], v114 offset0:93 offset1:94
	buffer_load_dword v130, off, s[0:3], 0 offset:364
	s_waitcnt vmcnt(18) lgkmcnt(1)
	v_fma_f64 v[115:116], v[143:144], v[115:116], v[135:136]
	s_waitcnt vmcnt(17)
	v_fma_f64 v[115:116], v[141:142], v[117:118], v[115:116]
	buffer_load_dword v136, off, s[0:3], 0 offset:372
	buffer_load_dword v137, off, s[0:3], 0 offset:392
	;; [unrolled: 1-line block ×8, first 2 shown]
	s_waitcnt vmcnt(24) lgkmcnt(0)
	v_fma_f64 v[115:116], v[139:140], v[119:120], v[115:116]
	s_waitcnt vmcnt(19)
	v_fma_f64 v[123:124], v[123:124], v[121:122], v[115:116]
	ds_read2_b64 v[115:118], v114 offset0:95 offset1:96
	ds_read2_b64 v[119:122], v114 offset0:97 offset1:98
	s_waitcnt vmcnt(18) lgkmcnt(1)
	v_fma_f64 v[115:116], v[147:148], v[115:116], v[123:124]
	s_waitcnt vmcnt(17)
	v_fma_f64 v[115:116], v[145:146], v[117:118], v[115:116]
	buffer_load_dword v124, off, s[0:3], 0 offset:404
	buffer_load_dword v139, off, s[0:3], 0 offset:424
	;; [unrolled: 1-line block ×7, first 2 shown]
	s_waitcnt vmcnt(23) lgkmcnt(0)
	v_fma_f64 v[115:116], v[125:126], v[119:120], v[115:116]
	s_waitcnt vmcnt(18)
	v_fma_f64 v[125:126], v[127:128], v[121:122], v[115:116]
	ds_read2_b64 v[115:118], v114 offset0:99 offset1:100
	ds_read2_b64 v[119:122], v114 offset0:101 offset1:102
	buffer_load_dword v140, off, s[0:3], 0 offset:428
	s_waitcnt vmcnt(18) lgkmcnt(1)
	v_fma_f64 v[115:116], v[133:134], v[115:116], v[125:126]
	buffer_load_dword v126, off, s[0:3], 0 offset:436
	buffer_load_dword v127, off, s[0:3], 0 offset:440
	;; [unrolled: 1-line block ×4, first 2 shown]
	s_waitcnt vmcnt(21)
	v_fma_f64 v[115:116], v[131:132], v[117:118], v[115:116]
	s_waitcnt vmcnt(20) lgkmcnt(0)
	v_fma_f64 v[115:116], v[129:130], v[119:120], v[115:116]
	buffer_load_dword v129, off, s[0:3], 0 offset:208
	buffer_load_dword v130, off, s[0:3], 0 offset:212
	s_waitcnt vmcnt(17)
	v_fma_f64 v[131:132], v[135:136], v[121:122], v[115:116]
	ds_read2_b64 v[115:118], v114 offset0:103 offset1:104
	ds_read2_b64 v[119:122], v114 offset0:105 offset1:106
	s_waitcnt vmcnt(16) lgkmcnt(1)
	v_fma_f64 v[115:116], v[143:144], v[115:116], v[131:132]
	s_waitcnt vmcnt(15)
	v_fma_f64 v[115:116], v[141:142], v[117:118], v[115:116]
	s_waitcnt vmcnt(14) lgkmcnt(0)
	v_fma_f64 v[115:116], v[137:138], v[119:120], v[115:116]
	s_waitcnt vmcnt(9)
	v_fma_f64 v[123:124], v[123:124], v[121:122], v[115:116]
	ds_read2_b64 v[115:118], v114 offset0:107 offset1:108
	ds_read2_b64 v[119:122], v114 offset0:109 offset1:110
	s_waitcnt vmcnt(8) lgkmcnt(1)
	v_fma_f64 v[115:116], v[147:148], v[115:116], v[123:124]
	s_waitcnt vmcnt(7)
	v_fma_f64 v[115:116], v[145:146], v[117:118], v[115:116]
	ds_read_b64 v[117:118], v114 offset:888
	s_waitcnt vmcnt(6) lgkmcnt(1)
	v_fma_f64 v[115:116], v[139:140], v[119:120], v[115:116]
	s_waitcnt vmcnt(3)
	v_fma_f64 v[115:116], v[125:126], v[121:122], v[115:116]
	s_waitcnt vmcnt(2) lgkmcnt(0)
	v_fma_f64 v[115:116], v[127:128], v[117:118], v[115:116]
	s_waitcnt vmcnt(0)
	v_add_f64 v[115:116], v[129:130], -v[115:116]
	buffer_store_dword v116, off, s[0:3], 0 offset:212
	buffer_store_dword v115, off, s[0:3], 0 offset:208
	s_and_saveexec_b64 s[4:5], vcc
	s_cbranch_execz .LBB55_293
; %bb.292:
	buffer_load_dword v115, off, s[0:3], 0 offset:200
	buffer_load_dword v116, off, s[0:3], 0 offset:204
	s_waitcnt vmcnt(0)
	ds_write_b64 v113, v[115:116]
	buffer_store_dword v114, off, s[0:3], 0 offset:200
	buffer_store_dword v114, off, s[0:3], 0 offset:204
.LBB55_293:
	s_or_b64 exec, exec, s[4:5]
	s_waitcnt lgkmcnt(0)
	; wave barrier
	buffer_load_dword v123, off, s[0:3], 0 offset:208
	buffer_load_dword v124, off, s[0:3], 0 offset:212
	;; [unrolled: 1-line block ×22, first 2 shown]
	ds_read_b128 v[115:118], v114 offset:656
	ds_read_b128 v[119:122], v114 offset:672
	v_cmp_lt_u32_e32 vcc, 24, v0
	s_waitcnt vmcnt(20) lgkmcnt(1)
	v_fma_f64 v[115:116], v[123:124], v[115:116], 0
	s_waitcnt vmcnt(18)
	v_fma_f64 v[115:116], v[125:126], v[117:118], v[115:116]
	buffer_load_dword v124, off, s[0:3], 0 offset:300
	buffer_load_dword v125, off, s[0:3], 0 offset:320
	;; [unrolled: 1-line block ×7, first 2 shown]
	s_waitcnt vmcnt(23) lgkmcnt(0)
	v_fma_f64 v[115:116], v[127:128], v[119:120], v[115:116]
	s_waitcnt vmcnt(21)
	v_fma_f64 v[126:127], v[129:130], v[121:122], v[115:116]
	ds_read_b128 v[115:118], v114 offset:688
	ds_read_b128 v[119:122], v114 offset:704
	s_waitcnt vmcnt(19) lgkmcnt(1)
	v_fma_f64 v[115:116], v[131:132], v[115:116], v[126:127]
	buffer_load_dword v126, off, s[0:3], 0 offset:324
	s_waitcnt vmcnt(18)
	v_fma_f64 v[115:116], v[133:134], v[117:118], v[115:116]
	buffer_load_dword v128, off, s[0:3], 0 offset:332
	buffer_load_dword v129, off, s[0:3], 0 offset:352
	;; [unrolled: 1-line block ×7, first 2 shown]
	s_waitcnt vmcnt(23) lgkmcnt(0)
	v_fma_f64 v[115:116], v[135:136], v[119:120], v[115:116]
	s_waitcnt vmcnt(18)
	v_fma_f64 v[135:136], v[137:138], v[121:122], v[115:116]
	ds_read_b128 v[115:118], v114 offset:720
	ds_read_b128 v[119:122], v114 offset:736
	buffer_load_dword v130, off, s[0:3], 0 offset:356
	s_waitcnt vmcnt(18) lgkmcnt(1)
	v_fma_f64 v[115:116], v[143:144], v[115:116], v[135:136]
	s_waitcnt vmcnt(17)
	v_fma_f64 v[115:116], v[141:142], v[117:118], v[115:116]
	buffer_load_dword v136, off, s[0:3], 0 offset:364
	buffer_load_dword v137, off, s[0:3], 0 offset:384
	;; [unrolled: 1-line block ×8, first 2 shown]
	s_waitcnt vmcnt(24) lgkmcnt(0)
	v_fma_f64 v[115:116], v[139:140], v[119:120], v[115:116]
	s_waitcnt vmcnt(19)
	v_fma_f64 v[123:124], v[123:124], v[121:122], v[115:116]
	ds_read_b128 v[115:118], v114 offset:752
	ds_read_b128 v[119:122], v114 offset:768
	s_waitcnt vmcnt(18) lgkmcnt(1)
	v_fma_f64 v[115:116], v[147:148], v[115:116], v[123:124]
	s_waitcnt vmcnt(17)
	v_fma_f64 v[115:116], v[145:146], v[117:118], v[115:116]
	buffer_load_dword v124, off, s[0:3], 0 offset:396
	buffer_load_dword v139, off, s[0:3], 0 offset:416
	;; [unrolled: 1-line block ×8, first 2 shown]
	s_waitcnt vmcnt(24) lgkmcnt(0)
	v_fma_f64 v[115:116], v[125:126], v[119:120], v[115:116]
	s_waitcnt vmcnt(19)
	v_fma_f64 v[125:126], v[127:128], v[121:122], v[115:116]
	ds_read_b128 v[115:118], v114 offset:784
	ds_read_b128 v[119:122], v114 offset:800
	s_waitcnt vmcnt(18) lgkmcnt(1)
	v_fma_f64 v[115:116], v[133:134], v[115:116], v[125:126]
	s_waitcnt vmcnt(17)
	v_fma_f64 v[115:116], v[131:132], v[117:118], v[115:116]
	buffer_load_dword v126, off, s[0:3], 0 offset:428
	buffer_load_dword v127, off, s[0:3], 0 offset:440
	;; [unrolled: 1-line block ×6, first 2 shown]
	s_waitcnt vmcnt(22) lgkmcnt(0)
	v_fma_f64 v[115:116], v[129:130], v[119:120], v[115:116]
	s_waitcnt vmcnt(17)
	v_fma_f64 v[129:130], v[135:136], v[121:122], v[115:116]
	ds_read_b128 v[115:118], v114 offset:816
	buffer_load_dword v133, off, s[0:3], 0 offset:200
	buffer_load_dword v134, off, s[0:3], 0 offset:204
	ds_read_b128 v[119:122], v114 offset:832
	s_waitcnt vmcnt(18) lgkmcnt(1)
	v_fma_f64 v[115:116], v[143:144], v[115:116], v[129:130]
	s_waitcnt vmcnt(17)
	v_fma_f64 v[115:116], v[141:142], v[117:118], v[115:116]
	s_waitcnt vmcnt(16) lgkmcnt(0)
	v_fma_f64 v[115:116], v[137:138], v[119:120], v[115:116]
	s_waitcnt vmcnt(11)
	v_fma_f64 v[123:124], v[123:124], v[121:122], v[115:116]
	ds_read_b128 v[115:118], v114 offset:848
	ds_read_b128 v[119:122], v114 offset:864
	s_waitcnt vmcnt(10) lgkmcnt(1)
	v_fma_f64 v[115:116], v[147:148], v[115:116], v[123:124]
	s_waitcnt vmcnt(9)
	v_fma_f64 v[115:116], v[145:146], v[117:118], v[115:116]
	s_waitcnt vmcnt(8) lgkmcnt(0)
	v_fma_f64 v[115:116], v[139:140], v[119:120], v[115:116]
	s_waitcnt vmcnt(4)
	v_fma_f64 v[118:119], v[125:126], v[121:122], v[115:116]
	ds_read_b128 v[114:117], v114 offset:880
	s_waitcnt vmcnt(3) lgkmcnt(0)
	v_fma_f64 v[114:115], v[131:132], v[114:115], v[118:119]
	s_waitcnt vmcnt(2)
	v_fma_f64 v[114:115], v[127:128], v[116:117], v[114:115]
	s_waitcnt vmcnt(0)
	v_add_f64 v[114:115], v[133:134], -v[114:115]
	buffer_store_dword v115, off, s[0:3], 0 offset:204
	buffer_store_dword v114, off, s[0:3], 0 offset:200
	s_and_saveexec_b64 s[4:5], vcc
	s_cbranch_execz .LBB55_295
; %bb.294:
	buffer_load_dword v114, off, s[0:3], 0 offset:192
	buffer_load_dword v115, off, s[0:3], 0 offset:196
	v_mov_b32_e32 v116, 0
	buffer_store_dword v116, off, s[0:3], 0 offset:192
	buffer_store_dword v116, off, s[0:3], 0 offset:196
	s_waitcnt vmcnt(2)
	ds_write_b64 v113, v[114:115]
.LBB55_295:
	s_or_b64 exec, exec, s[4:5]
	s_waitcnt lgkmcnt(0)
	; wave barrier
	buffer_load_dword v123, off, s[0:3], 0 offset:200
	buffer_load_dword v124, off, s[0:3], 0 offset:204
	;; [unrolled: 1-line block ×22, first 2 shown]
	v_mov_b32_e32 v114, 0
	ds_read2_b64 v[115:118], v114 offset0:81 offset1:82
	ds_read2_b64 v[119:122], v114 offset0:83 offset1:84
	v_cmp_lt_u32_e32 vcc, 23, v0
	s_waitcnt vmcnt(20) lgkmcnt(1)
	v_fma_f64 v[115:116], v[123:124], v[115:116], 0
	s_waitcnt vmcnt(18)
	v_fma_f64 v[115:116], v[125:126], v[117:118], v[115:116]
	buffer_load_dword v124, off, s[0:3], 0 offset:292
	buffer_load_dword v125, off, s[0:3], 0 offset:312
	;; [unrolled: 1-line block ×7, first 2 shown]
	s_waitcnt vmcnt(23) lgkmcnt(0)
	v_fma_f64 v[115:116], v[127:128], v[119:120], v[115:116]
	s_waitcnt vmcnt(21)
	v_fma_f64 v[126:127], v[129:130], v[121:122], v[115:116]
	ds_read2_b64 v[115:118], v114 offset0:85 offset1:86
	ds_read2_b64 v[119:122], v114 offset0:87 offset1:88
	s_waitcnt vmcnt(19) lgkmcnt(1)
	v_fma_f64 v[115:116], v[131:132], v[115:116], v[126:127]
	buffer_load_dword v126, off, s[0:3], 0 offset:316
	s_waitcnt vmcnt(18)
	v_fma_f64 v[115:116], v[133:134], v[117:118], v[115:116]
	buffer_load_dword v128, off, s[0:3], 0 offset:324
	buffer_load_dword v129, off, s[0:3], 0 offset:344
	;; [unrolled: 1-line block ×7, first 2 shown]
	s_waitcnt vmcnt(23) lgkmcnt(0)
	v_fma_f64 v[115:116], v[135:136], v[119:120], v[115:116]
	s_waitcnt vmcnt(18)
	v_fma_f64 v[135:136], v[137:138], v[121:122], v[115:116]
	ds_read2_b64 v[115:118], v114 offset0:89 offset1:90
	ds_read2_b64 v[119:122], v114 offset0:91 offset1:92
	buffer_load_dword v130, off, s[0:3], 0 offset:348
	s_waitcnt vmcnt(18) lgkmcnt(1)
	v_fma_f64 v[115:116], v[143:144], v[115:116], v[135:136]
	s_waitcnt vmcnt(17)
	v_fma_f64 v[115:116], v[141:142], v[117:118], v[115:116]
	buffer_load_dword v136, off, s[0:3], 0 offset:356
	buffer_load_dword v137, off, s[0:3], 0 offset:376
	buffer_load_dword v141, off, s[0:3], 0 offset:368
	buffer_load_dword v143, off, s[0:3], 0 offset:360
	buffer_load_dword v135, off, s[0:3], 0 offset:352
	buffer_load_dword v144, off, s[0:3], 0 offset:364
	buffer_load_dword v142, off, s[0:3], 0 offset:372
	buffer_load_dword v138, off, s[0:3], 0 offset:380
	s_waitcnt vmcnt(24) lgkmcnt(0)
	v_fma_f64 v[115:116], v[139:140], v[119:120], v[115:116]
	s_waitcnt vmcnt(19)
	v_fma_f64 v[123:124], v[123:124], v[121:122], v[115:116]
	ds_read2_b64 v[115:118], v114 offset0:93 offset1:94
	ds_read2_b64 v[119:122], v114 offset0:95 offset1:96
	s_waitcnt vmcnt(18) lgkmcnt(1)
	v_fma_f64 v[115:116], v[147:148], v[115:116], v[123:124]
	s_waitcnt vmcnt(17)
	v_fma_f64 v[115:116], v[145:146], v[117:118], v[115:116]
	buffer_load_dword v124, off, s[0:3], 0 offset:388
	buffer_load_dword v139, off, s[0:3], 0 offset:408
	buffer_load_dword v145, off, s[0:3], 0 offset:400
	buffer_load_dword v147, off, s[0:3], 0 offset:392
	buffer_load_dword v123, off, s[0:3], 0 offset:384
	buffer_load_dword v148, off, s[0:3], 0 offset:396
	buffer_load_dword v146, off, s[0:3], 0 offset:404
	buffer_load_dword v140, off, s[0:3], 0 offset:412
	s_waitcnt vmcnt(24) lgkmcnt(0)
	v_fma_f64 v[115:116], v[125:126], v[119:120], v[115:116]
	s_waitcnt vmcnt(19)
	v_fma_f64 v[125:126], v[127:128], v[121:122], v[115:116]
	ds_read2_b64 v[115:118], v114 offset0:97 offset1:98
	ds_read2_b64 v[119:122], v114 offset0:99 offset1:100
	;; [unrolled: 18-line block ×3, first 2 shown]
	s_waitcnt vmcnt(18) lgkmcnt(1)
	v_fma_f64 v[115:116], v[143:144], v[115:116], v[129:130]
	buffer_load_dword v129, off, s[0:3], 0 offset:192
	buffer_load_dword v130, off, s[0:3], 0 offset:196
	s_waitcnt vmcnt(19)
	v_fma_f64 v[115:116], v[141:142], v[117:118], v[115:116]
	s_waitcnt vmcnt(18) lgkmcnt(0)
	v_fma_f64 v[115:116], v[137:138], v[119:120], v[115:116]
	s_waitcnt vmcnt(13)
	v_fma_f64 v[123:124], v[123:124], v[121:122], v[115:116]
	ds_read2_b64 v[115:118], v114 offset0:105 offset1:106
	ds_read2_b64 v[119:122], v114 offset0:107 offset1:108
	s_waitcnt vmcnt(12) lgkmcnt(1)
	v_fma_f64 v[115:116], v[147:148], v[115:116], v[123:124]
	s_waitcnt vmcnt(11)
	v_fma_f64 v[115:116], v[145:146], v[117:118], v[115:116]
	s_waitcnt vmcnt(10) lgkmcnt(0)
	v_fma_f64 v[115:116], v[139:140], v[119:120], v[115:116]
	s_waitcnt vmcnt(5)
	v_fma_f64 v[119:120], v[125:126], v[121:122], v[115:116]
	ds_read2_b64 v[115:118], v114 offset0:109 offset1:110
	ds_read_b64 v[121:122], v114 offset:888
	s_waitcnt vmcnt(4) lgkmcnt(1)
	v_fma_f64 v[115:116], v[133:134], v[115:116], v[119:120]
	s_waitcnt vmcnt(3)
	v_fma_f64 v[115:116], v[131:132], v[117:118], v[115:116]
	s_waitcnt vmcnt(2) lgkmcnt(0)
	v_fma_f64 v[115:116], v[127:128], v[121:122], v[115:116]
	s_waitcnt vmcnt(0)
	v_add_f64 v[115:116], v[129:130], -v[115:116]
	buffer_store_dword v116, off, s[0:3], 0 offset:196
	buffer_store_dword v115, off, s[0:3], 0 offset:192
	s_and_saveexec_b64 s[4:5], vcc
	s_cbranch_execz .LBB55_297
; %bb.296:
	buffer_load_dword v115, off, s[0:3], 0 offset:184
	buffer_load_dword v116, off, s[0:3], 0 offset:188
	s_waitcnt vmcnt(0)
	ds_write_b64 v113, v[115:116]
	buffer_store_dword v114, off, s[0:3], 0 offset:184
	buffer_store_dword v114, off, s[0:3], 0 offset:188
.LBB55_297:
	s_or_b64 exec, exec, s[4:5]
	s_waitcnt lgkmcnt(0)
	; wave barrier
	buffer_load_dword v123, off, s[0:3], 0 offset:192
	buffer_load_dword v124, off, s[0:3], 0 offset:196
	;; [unrolled: 1-line block ×22, first 2 shown]
	ds_read_b128 v[115:118], v114 offset:640
	ds_read_b128 v[119:122], v114 offset:656
	v_cmp_lt_u32_e32 vcc, 22, v0
	s_waitcnt vmcnt(20) lgkmcnt(1)
	v_fma_f64 v[115:116], v[123:124], v[115:116], 0
	s_waitcnt vmcnt(18)
	v_fma_f64 v[115:116], v[125:126], v[117:118], v[115:116]
	buffer_load_dword v124, off, s[0:3], 0 offset:284
	buffer_load_dword v125, off, s[0:3], 0 offset:304
	;; [unrolled: 1-line block ×7, first 2 shown]
	s_waitcnt vmcnt(23) lgkmcnt(0)
	v_fma_f64 v[115:116], v[127:128], v[119:120], v[115:116]
	s_waitcnt vmcnt(21)
	v_fma_f64 v[126:127], v[129:130], v[121:122], v[115:116]
	ds_read_b128 v[115:118], v114 offset:672
	ds_read_b128 v[119:122], v114 offset:688
	s_waitcnt vmcnt(19) lgkmcnt(1)
	v_fma_f64 v[115:116], v[131:132], v[115:116], v[126:127]
	buffer_load_dword v126, off, s[0:3], 0 offset:308
	s_waitcnt vmcnt(18)
	v_fma_f64 v[115:116], v[133:134], v[117:118], v[115:116]
	buffer_load_dword v128, off, s[0:3], 0 offset:316
	buffer_load_dword v129, off, s[0:3], 0 offset:336
	;; [unrolled: 1-line block ×7, first 2 shown]
	s_waitcnt vmcnt(23) lgkmcnt(0)
	v_fma_f64 v[115:116], v[135:136], v[119:120], v[115:116]
	s_waitcnt vmcnt(18)
	v_fma_f64 v[135:136], v[137:138], v[121:122], v[115:116]
	ds_read_b128 v[115:118], v114 offset:704
	ds_read_b128 v[119:122], v114 offset:720
	buffer_load_dword v130, off, s[0:3], 0 offset:340
	s_waitcnt vmcnt(18) lgkmcnt(1)
	v_fma_f64 v[115:116], v[143:144], v[115:116], v[135:136]
	s_waitcnt vmcnt(17)
	v_fma_f64 v[115:116], v[141:142], v[117:118], v[115:116]
	buffer_load_dword v136, off, s[0:3], 0 offset:348
	buffer_load_dword v137, off, s[0:3], 0 offset:368
	buffer_load_dword v141, off, s[0:3], 0 offset:360
	buffer_load_dword v143, off, s[0:3], 0 offset:352
	buffer_load_dword v135, off, s[0:3], 0 offset:344
	buffer_load_dword v144, off, s[0:3], 0 offset:356
	buffer_load_dword v142, off, s[0:3], 0 offset:364
	buffer_load_dword v138, off, s[0:3], 0 offset:372
	s_waitcnt vmcnt(24) lgkmcnt(0)
	v_fma_f64 v[115:116], v[139:140], v[119:120], v[115:116]
	s_waitcnt vmcnt(19)
	v_fma_f64 v[123:124], v[123:124], v[121:122], v[115:116]
	ds_read_b128 v[115:118], v114 offset:736
	ds_read_b128 v[119:122], v114 offset:752
	s_waitcnt vmcnt(18) lgkmcnt(1)
	v_fma_f64 v[115:116], v[147:148], v[115:116], v[123:124]
	s_waitcnt vmcnt(17)
	v_fma_f64 v[115:116], v[145:146], v[117:118], v[115:116]
	buffer_load_dword v124, off, s[0:3], 0 offset:380
	buffer_load_dword v139, off, s[0:3], 0 offset:400
	buffer_load_dword v145, off, s[0:3], 0 offset:392
	buffer_load_dword v147, off, s[0:3], 0 offset:384
	buffer_load_dword v123, off, s[0:3], 0 offset:376
	buffer_load_dword v148, off, s[0:3], 0 offset:388
	buffer_load_dword v146, off, s[0:3], 0 offset:396
	buffer_load_dword v140, off, s[0:3], 0 offset:404
	s_waitcnt vmcnt(24) lgkmcnt(0)
	v_fma_f64 v[115:116], v[125:126], v[119:120], v[115:116]
	s_waitcnt vmcnt(19)
	v_fma_f64 v[125:126], v[127:128], v[121:122], v[115:116]
	ds_read_b128 v[115:118], v114 offset:768
	ds_read_b128 v[119:122], v114 offset:784
	;; [unrolled: 18-line block ×3, first 2 shown]
	s_waitcnt vmcnt(18) lgkmcnt(1)
	v_fma_f64 v[115:116], v[143:144], v[115:116], v[129:130]
	buffer_load_dword v130, off, s[0:3], 0 offset:444
	buffer_load_dword v129, off, s[0:3], 0 offset:440
	buffer_load_dword v135, off, s[0:3], 0 offset:184
	buffer_load_dword v136, off, s[0:3], 0 offset:188
	s_waitcnt vmcnt(21)
	v_fma_f64 v[115:116], v[141:142], v[117:118], v[115:116]
	s_waitcnt vmcnt(20) lgkmcnt(0)
	v_fma_f64 v[115:116], v[137:138], v[119:120], v[115:116]
	s_waitcnt vmcnt(15)
	v_fma_f64 v[123:124], v[123:124], v[121:122], v[115:116]
	ds_read_b128 v[115:118], v114 offset:832
	ds_read_b128 v[119:122], v114 offset:848
	s_waitcnt vmcnt(14) lgkmcnt(1)
	v_fma_f64 v[115:116], v[147:148], v[115:116], v[123:124]
	s_waitcnt vmcnt(13)
	v_fma_f64 v[115:116], v[145:146], v[117:118], v[115:116]
	s_waitcnt vmcnt(12) lgkmcnt(0)
	v_fma_f64 v[115:116], v[139:140], v[119:120], v[115:116]
	s_waitcnt vmcnt(7)
	v_fma_f64 v[123:124], v[125:126], v[121:122], v[115:116]
	ds_read_b128 v[115:118], v114 offset:864
	ds_read_b128 v[119:122], v114 offset:880
	s_waitcnt vmcnt(6) lgkmcnt(1)
	v_fma_f64 v[114:115], v[133:134], v[115:116], v[123:124]
	s_waitcnt vmcnt(5)
	v_fma_f64 v[114:115], v[131:132], v[117:118], v[114:115]
	s_waitcnt vmcnt(4) lgkmcnt(0)
	v_fma_f64 v[114:115], v[127:128], v[119:120], v[114:115]
	s_waitcnt vmcnt(2)
	v_fma_f64 v[114:115], v[129:130], v[121:122], v[114:115]
	s_waitcnt vmcnt(0)
	v_add_f64 v[114:115], v[135:136], -v[114:115]
	buffer_store_dword v115, off, s[0:3], 0 offset:188
	buffer_store_dword v114, off, s[0:3], 0 offset:184
	s_and_saveexec_b64 s[4:5], vcc
	s_cbranch_execz .LBB55_299
; %bb.298:
	buffer_load_dword v114, off, s[0:3], 0 offset:176
	buffer_load_dword v115, off, s[0:3], 0 offset:180
	v_mov_b32_e32 v116, 0
	buffer_store_dword v116, off, s[0:3], 0 offset:176
	buffer_store_dword v116, off, s[0:3], 0 offset:180
	s_waitcnt vmcnt(2)
	ds_write_b64 v113, v[114:115]
.LBB55_299:
	s_or_b64 exec, exec, s[4:5]
	s_waitcnt lgkmcnt(0)
	; wave barrier
	buffer_load_dword v123, off, s[0:3], 0 offset:184
	buffer_load_dword v124, off, s[0:3], 0 offset:188
	;; [unrolled: 1-line block ×21, first 2 shown]
	v_mov_b32_e32 v114, 0
	ds_read2_b64 v[115:118], v114 offset0:79 offset1:80
	ds_read2_b64 v[119:122], v114 offset0:81 offset1:82
	buffer_load_dword v140, off, s[0:3], 0 offset:268
	v_cmp_lt_u32_e32 vcc, 21, v0
	s_waitcnt vmcnt(20) lgkmcnt(1)
	v_fma_f64 v[115:116], v[123:124], v[115:116], 0
	s_waitcnt vmcnt(18)
	v_fma_f64 v[115:116], v[125:126], v[117:118], v[115:116]
	buffer_load_dword v124, off, s[0:3], 0 offset:276
	buffer_load_dword v125, off, s[0:3], 0 offset:296
	;; [unrolled: 1-line block ×7, first 2 shown]
	s_waitcnt vmcnt(23) lgkmcnt(0)
	v_fma_f64 v[115:116], v[127:128], v[119:120], v[115:116]
	s_waitcnt vmcnt(21)
	v_fma_f64 v[126:127], v[129:130], v[121:122], v[115:116]
	ds_read2_b64 v[115:118], v114 offset0:83 offset1:84
	ds_read2_b64 v[119:122], v114 offset0:85 offset1:86
	s_waitcnt vmcnt(19) lgkmcnt(1)
	v_fma_f64 v[115:116], v[131:132], v[115:116], v[126:127]
	buffer_load_dword v126, off, s[0:3], 0 offset:300
	s_waitcnt vmcnt(18)
	v_fma_f64 v[115:116], v[133:134], v[117:118], v[115:116]
	buffer_load_dword v128, off, s[0:3], 0 offset:308
	buffer_load_dword v129, off, s[0:3], 0 offset:328
	;; [unrolled: 1-line block ×7, first 2 shown]
	s_waitcnt vmcnt(23) lgkmcnt(0)
	v_fma_f64 v[115:116], v[135:136], v[119:120], v[115:116]
	s_waitcnt vmcnt(18)
	v_fma_f64 v[135:136], v[137:138], v[121:122], v[115:116]
	ds_read2_b64 v[115:118], v114 offset0:87 offset1:88
	ds_read2_b64 v[119:122], v114 offset0:89 offset1:90
	buffer_load_dword v130, off, s[0:3], 0 offset:332
	s_waitcnt vmcnt(18) lgkmcnt(1)
	v_fma_f64 v[115:116], v[143:144], v[115:116], v[135:136]
	s_waitcnt vmcnt(17)
	v_fma_f64 v[115:116], v[141:142], v[117:118], v[115:116]
	buffer_load_dword v136, off, s[0:3], 0 offset:340
	buffer_load_dword v137, off, s[0:3], 0 offset:360
	;; [unrolled: 1-line block ×7, first 2 shown]
	s_waitcnt vmcnt(23) lgkmcnt(0)
	v_fma_f64 v[115:116], v[139:140], v[119:120], v[115:116]
	s_waitcnt vmcnt(18)
	v_fma_f64 v[123:124], v[123:124], v[121:122], v[115:116]
	ds_read2_b64 v[115:118], v114 offset0:91 offset1:92
	ds_read2_b64 v[119:122], v114 offset0:93 offset1:94
	buffer_load_dword v138, off, s[0:3], 0 offset:364
	s_waitcnt vmcnt(18) lgkmcnt(1)
	v_fma_f64 v[115:116], v[147:148], v[115:116], v[123:124]
	s_waitcnt vmcnt(17)
	v_fma_f64 v[115:116], v[145:146], v[117:118], v[115:116]
	buffer_load_dword v124, off, s[0:3], 0 offset:372
	buffer_load_dword v139, off, s[0:3], 0 offset:392
	;; [unrolled: 1-line block ×8, first 2 shown]
	s_waitcnt vmcnt(24) lgkmcnt(0)
	v_fma_f64 v[115:116], v[125:126], v[119:120], v[115:116]
	s_waitcnt vmcnt(19)
	v_fma_f64 v[125:126], v[127:128], v[121:122], v[115:116]
	ds_read2_b64 v[115:118], v114 offset0:95 offset1:96
	ds_read2_b64 v[119:122], v114 offset0:97 offset1:98
	s_waitcnt vmcnt(18) lgkmcnt(1)
	v_fma_f64 v[115:116], v[133:134], v[115:116], v[125:126]
	s_waitcnt vmcnt(17)
	v_fma_f64 v[115:116], v[131:132], v[117:118], v[115:116]
	buffer_load_dword v126, off, s[0:3], 0 offset:404
	buffer_load_dword v127, off, s[0:3], 0 offset:424
	;; [unrolled: 1-line block ×7, first 2 shown]
	s_waitcnt vmcnt(23) lgkmcnt(0)
	v_fma_f64 v[115:116], v[129:130], v[119:120], v[115:116]
	s_waitcnt vmcnt(18)
	v_fma_f64 v[128:129], v[135:136], v[121:122], v[115:116]
	ds_read2_b64 v[115:118], v114 offset0:99 offset1:100
	ds_read2_b64 v[119:122], v114 offset0:101 offset1:102
	s_waitcnt vmcnt(17) lgkmcnt(1)
	v_fma_f64 v[115:116], v[143:144], v[115:116], v[128:129]
	buffer_load_dword v128, off, s[0:3], 0 offset:428
	buffer_load_dword v130, off, s[0:3], 0 offset:436
	;; [unrolled: 1-line block ×5, first 2 shown]
	s_waitcnt vmcnt(21)
	v_fma_f64 v[115:116], v[141:142], v[117:118], v[115:116]
	s_waitcnt vmcnt(20) lgkmcnt(0)
	v_fma_f64 v[115:116], v[137:138], v[119:120], v[115:116]
	buffer_load_dword v137, off, s[0:3], 0 offset:176
	buffer_load_dword v138, off, s[0:3], 0 offset:180
	s_waitcnt vmcnt(17)
	v_fma_f64 v[123:124], v[123:124], v[121:122], v[115:116]
	ds_read2_b64 v[115:118], v114 offset0:103 offset1:104
	ds_read2_b64 v[119:122], v114 offset0:105 offset1:106
	s_waitcnt vmcnt(16) lgkmcnt(1)
	v_fma_f64 v[115:116], v[147:148], v[115:116], v[123:124]
	s_waitcnt vmcnt(15)
	v_fma_f64 v[115:116], v[145:146], v[117:118], v[115:116]
	s_waitcnt vmcnt(14) lgkmcnt(0)
	v_fma_f64 v[115:116], v[139:140], v[119:120], v[115:116]
	s_waitcnt vmcnt(9)
	v_fma_f64 v[123:124], v[125:126], v[121:122], v[115:116]
	ds_read2_b64 v[115:118], v114 offset0:107 offset1:108
	ds_read2_b64 v[119:122], v114 offset0:109 offset1:110
	s_waitcnt vmcnt(8) lgkmcnt(1)
	v_fma_f64 v[115:116], v[133:134], v[115:116], v[123:124]
	s_waitcnt vmcnt(7)
	v_fma_f64 v[115:116], v[131:132], v[117:118], v[115:116]
	ds_read_b64 v[117:118], v114 offset:888
	s_waitcnt vmcnt(6) lgkmcnt(1)
	v_fma_f64 v[115:116], v[127:128], v[119:120], v[115:116]
	s_waitcnt vmcnt(3)
	v_fma_f64 v[115:116], v[129:130], v[121:122], v[115:116]
	s_waitcnt vmcnt(2) lgkmcnt(0)
	v_fma_f64 v[115:116], v[135:136], v[117:118], v[115:116]
	s_waitcnt vmcnt(0)
	v_add_f64 v[115:116], v[137:138], -v[115:116]
	buffer_store_dword v116, off, s[0:3], 0 offset:180
	buffer_store_dword v115, off, s[0:3], 0 offset:176
	s_and_saveexec_b64 s[4:5], vcc
	s_cbranch_execz .LBB55_301
; %bb.300:
	buffer_load_dword v115, off, s[0:3], 0 offset:168
	buffer_load_dword v116, off, s[0:3], 0 offset:172
	s_waitcnt vmcnt(0)
	ds_write_b64 v113, v[115:116]
	buffer_store_dword v114, off, s[0:3], 0 offset:168
	buffer_store_dword v114, off, s[0:3], 0 offset:172
.LBB55_301:
	s_or_b64 exec, exec, s[4:5]
	s_waitcnt lgkmcnt(0)
	; wave barrier
	buffer_load_dword v123, off, s[0:3], 0 offset:176
	buffer_load_dword v124, off, s[0:3], 0 offset:180
	;; [unrolled: 1-line block ×21, first 2 shown]
	ds_read_b128 v[115:118], v114 offset:624
	ds_read_b128 v[119:122], v114 offset:640
	buffer_load_dword v140, off, s[0:3], 0 offset:260
	v_cmp_lt_u32_e32 vcc, 20, v0
	s_waitcnt vmcnt(20) lgkmcnt(1)
	v_fma_f64 v[115:116], v[123:124], v[115:116], 0
	s_waitcnt vmcnt(18)
	v_fma_f64 v[115:116], v[125:126], v[117:118], v[115:116]
	buffer_load_dword v124, off, s[0:3], 0 offset:268
	buffer_load_dword v125, off, s[0:3], 0 offset:288
	;; [unrolled: 1-line block ×7, first 2 shown]
	s_waitcnt vmcnt(23) lgkmcnt(0)
	v_fma_f64 v[115:116], v[127:128], v[119:120], v[115:116]
	s_waitcnt vmcnt(21)
	v_fma_f64 v[126:127], v[129:130], v[121:122], v[115:116]
	ds_read_b128 v[115:118], v114 offset:656
	ds_read_b128 v[119:122], v114 offset:672
	s_waitcnt vmcnt(19) lgkmcnt(1)
	v_fma_f64 v[115:116], v[131:132], v[115:116], v[126:127]
	buffer_load_dword v126, off, s[0:3], 0 offset:292
	s_waitcnt vmcnt(18)
	v_fma_f64 v[115:116], v[133:134], v[117:118], v[115:116]
	buffer_load_dword v128, off, s[0:3], 0 offset:300
	buffer_load_dword v129, off, s[0:3], 0 offset:320
	;; [unrolled: 1-line block ×8, first 2 shown]
	s_waitcnt vmcnt(24) lgkmcnt(0)
	v_fma_f64 v[115:116], v[135:136], v[119:120], v[115:116]
	s_waitcnt vmcnt(19)
	v_fma_f64 v[135:136], v[137:138], v[121:122], v[115:116]
	ds_read_b128 v[115:118], v114 offset:688
	ds_read_b128 v[119:122], v114 offset:704
	s_waitcnt vmcnt(18) lgkmcnt(1)
	v_fma_f64 v[115:116], v[143:144], v[115:116], v[135:136]
	s_waitcnt vmcnt(17)
	v_fma_f64 v[115:116], v[141:142], v[117:118], v[115:116]
	buffer_load_dword v136, off, s[0:3], 0 offset:332
	buffer_load_dword v137, off, s[0:3], 0 offset:352
	;; [unrolled: 1-line block ×7, first 2 shown]
	s_waitcnt vmcnt(23) lgkmcnt(0)
	v_fma_f64 v[115:116], v[139:140], v[119:120], v[115:116]
	s_waitcnt vmcnt(18)
	v_fma_f64 v[123:124], v[123:124], v[121:122], v[115:116]
	ds_read_b128 v[115:118], v114 offset:720
	ds_read_b128 v[119:122], v114 offset:736
	buffer_load_dword v138, off, s[0:3], 0 offset:356
	s_waitcnt vmcnt(18) lgkmcnt(1)
	v_fma_f64 v[115:116], v[147:148], v[115:116], v[123:124]
	s_waitcnt vmcnt(17)
	v_fma_f64 v[115:116], v[145:146], v[117:118], v[115:116]
	buffer_load_dword v124, off, s[0:3], 0 offset:364
	buffer_load_dword v139, off, s[0:3], 0 offset:384
	;; [unrolled: 1-line block ×8, first 2 shown]
	s_waitcnt vmcnt(24) lgkmcnt(0)
	v_fma_f64 v[115:116], v[125:126], v[119:120], v[115:116]
	s_waitcnt vmcnt(19)
	v_fma_f64 v[125:126], v[127:128], v[121:122], v[115:116]
	ds_read_b128 v[115:118], v114 offset:752
	ds_read_b128 v[119:122], v114 offset:768
	s_waitcnt vmcnt(18) lgkmcnt(1)
	v_fma_f64 v[115:116], v[133:134], v[115:116], v[125:126]
	s_waitcnt vmcnt(17)
	v_fma_f64 v[115:116], v[131:132], v[117:118], v[115:116]
	buffer_load_dword v126, off, s[0:3], 0 offset:396
	buffer_load_dword v127, off, s[0:3], 0 offset:416
	;; [unrolled: 1-line block ×7, first 2 shown]
	s_waitcnt vmcnt(23) lgkmcnt(0)
	v_fma_f64 v[115:116], v[129:130], v[119:120], v[115:116]
	s_waitcnt vmcnt(18)
	v_fma_f64 v[128:129], v[135:136], v[121:122], v[115:116]
	ds_read_b128 v[115:118], v114 offset:784
	ds_read_b128 v[119:122], v114 offset:800
	s_waitcnt vmcnt(17) lgkmcnt(1)
	v_fma_f64 v[115:116], v[143:144], v[115:116], v[128:129]
	buffer_load_dword v128, off, s[0:3], 0 offset:420
	s_waitcnt vmcnt(17)
	v_fma_f64 v[115:116], v[141:142], v[117:118], v[115:116]
	buffer_load_dword v130, off, s[0:3], 0 offset:428
	buffer_load_dword v135, off, s[0:3], 0 offset:440
	;; [unrolled: 1-line block ×6, first 2 shown]
	s_waitcnt vmcnt(22) lgkmcnt(0)
	v_fma_f64 v[115:116], v[137:138], v[119:120], v[115:116]
	s_waitcnt vmcnt(17)
	v_fma_f64 v[123:124], v[123:124], v[121:122], v[115:116]
	ds_read_b128 v[115:118], v114 offset:816
	buffer_load_dword v137, off, s[0:3], 0 offset:168
	buffer_load_dword v138, off, s[0:3], 0 offset:172
	ds_read_b128 v[119:122], v114 offset:832
	s_waitcnt vmcnt(18) lgkmcnt(1)
	v_fma_f64 v[115:116], v[147:148], v[115:116], v[123:124]
	s_waitcnt vmcnt(17)
	v_fma_f64 v[115:116], v[145:146], v[117:118], v[115:116]
	s_waitcnt vmcnt(16) lgkmcnt(0)
	v_fma_f64 v[115:116], v[139:140], v[119:120], v[115:116]
	s_waitcnt vmcnt(11)
	v_fma_f64 v[123:124], v[125:126], v[121:122], v[115:116]
	ds_read_b128 v[115:118], v114 offset:848
	ds_read_b128 v[119:122], v114 offset:864
	s_waitcnt vmcnt(10) lgkmcnt(1)
	v_fma_f64 v[115:116], v[133:134], v[115:116], v[123:124]
	s_waitcnt vmcnt(9)
	v_fma_f64 v[115:116], v[131:132], v[117:118], v[115:116]
	s_waitcnt vmcnt(8) lgkmcnt(0)
	v_fma_f64 v[115:116], v[127:128], v[119:120], v[115:116]
	s_waitcnt vmcnt(4)
	v_fma_f64 v[118:119], v[129:130], v[121:122], v[115:116]
	ds_read_b128 v[114:117], v114 offset:880
	s_waitcnt vmcnt(3) lgkmcnt(0)
	v_fma_f64 v[114:115], v[141:142], v[114:115], v[118:119]
	s_waitcnt vmcnt(2)
	v_fma_f64 v[114:115], v[135:136], v[116:117], v[114:115]
	s_waitcnt vmcnt(0)
	v_add_f64 v[114:115], v[137:138], -v[114:115]
	buffer_store_dword v115, off, s[0:3], 0 offset:172
	buffer_store_dword v114, off, s[0:3], 0 offset:168
	s_and_saveexec_b64 s[4:5], vcc
	s_cbranch_execz .LBB55_303
; %bb.302:
	buffer_load_dword v114, off, s[0:3], 0 offset:160
	buffer_load_dword v115, off, s[0:3], 0 offset:164
	v_mov_b32_e32 v116, 0
	buffer_store_dword v116, off, s[0:3], 0 offset:160
	buffer_store_dword v116, off, s[0:3], 0 offset:164
	s_waitcnt vmcnt(2)
	ds_write_b64 v113, v[114:115]
.LBB55_303:
	s_or_b64 exec, exec, s[4:5]
	s_waitcnt lgkmcnt(0)
	; wave barrier
	buffer_load_dword v123, off, s[0:3], 0 offset:168
	buffer_load_dword v124, off, s[0:3], 0 offset:172
	;; [unrolled: 1-line block ×21, first 2 shown]
	v_mov_b32_e32 v114, 0
	ds_read2_b64 v[115:118], v114 offset0:77 offset1:78
	ds_read2_b64 v[119:122], v114 offset0:79 offset1:80
	buffer_load_dword v140, off, s[0:3], 0 offset:252
	v_cmp_lt_u32_e32 vcc, 19, v0
	s_waitcnt vmcnt(20) lgkmcnt(1)
	v_fma_f64 v[115:116], v[123:124], v[115:116], 0
	s_waitcnt vmcnt(18)
	v_fma_f64 v[115:116], v[125:126], v[117:118], v[115:116]
	buffer_load_dword v124, off, s[0:3], 0 offset:260
	buffer_load_dword v125, off, s[0:3], 0 offset:280
	;; [unrolled: 1-line block ×7, first 2 shown]
	s_waitcnt vmcnt(23) lgkmcnt(0)
	v_fma_f64 v[115:116], v[127:128], v[119:120], v[115:116]
	s_waitcnt vmcnt(21)
	v_fma_f64 v[126:127], v[129:130], v[121:122], v[115:116]
	ds_read2_b64 v[115:118], v114 offset0:81 offset1:82
	ds_read2_b64 v[119:122], v114 offset0:83 offset1:84
	s_waitcnt vmcnt(19) lgkmcnt(1)
	v_fma_f64 v[115:116], v[131:132], v[115:116], v[126:127]
	buffer_load_dword v126, off, s[0:3], 0 offset:284
	s_waitcnt vmcnt(18)
	v_fma_f64 v[115:116], v[133:134], v[117:118], v[115:116]
	buffer_load_dword v128, off, s[0:3], 0 offset:292
	buffer_load_dword v129, off, s[0:3], 0 offset:312
	;; [unrolled: 1-line block ×8, first 2 shown]
	s_waitcnt vmcnt(24) lgkmcnt(0)
	v_fma_f64 v[115:116], v[135:136], v[119:120], v[115:116]
	s_waitcnt vmcnt(19)
	v_fma_f64 v[135:136], v[137:138], v[121:122], v[115:116]
	ds_read2_b64 v[115:118], v114 offset0:85 offset1:86
	ds_read2_b64 v[119:122], v114 offset0:87 offset1:88
	s_waitcnt vmcnt(18) lgkmcnt(1)
	v_fma_f64 v[115:116], v[143:144], v[115:116], v[135:136]
	s_waitcnt vmcnt(17)
	v_fma_f64 v[115:116], v[141:142], v[117:118], v[115:116]
	buffer_load_dword v136, off, s[0:3], 0 offset:324
	buffer_load_dword v137, off, s[0:3], 0 offset:344
	;; [unrolled: 1-line block ×7, first 2 shown]
	s_waitcnt vmcnt(23) lgkmcnt(0)
	v_fma_f64 v[115:116], v[139:140], v[119:120], v[115:116]
	s_waitcnt vmcnt(18)
	v_fma_f64 v[123:124], v[123:124], v[121:122], v[115:116]
	ds_read2_b64 v[115:118], v114 offset0:89 offset1:90
	ds_read2_b64 v[119:122], v114 offset0:91 offset1:92
	buffer_load_dword v138, off, s[0:3], 0 offset:348
	s_waitcnt vmcnt(18) lgkmcnt(1)
	v_fma_f64 v[115:116], v[147:148], v[115:116], v[123:124]
	s_waitcnt vmcnt(17)
	v_fma_f64 v[115:116], v[145:146], v[117:118], v[115:116]
	buffer_load_dword v124, off, s[0:3], 0 offset:356
	buffer_load_dword v139, off, s[0:3], 0 offset:376
	;; [unrolled: 1-line block ×8, first 2 shown]
	s_waitcnt vmcnt(24) lgkmcnt(0)
	v_fma_f64 v[115:116], v[125:126], v[119:120], v[115:116]
	s_waitcnt vmcnt(19)
	v_fma_f64 v[125:126], v[127:128], v[121:122], v[115:116]
	ds_read2_b64 v[115:118], v114 offset0:93 offset1:94
	ds_read2_b64 v[119:122], v114 offset0:95 offset1:96
	s_waitcnt vmcnt(18) lgkmcnt(1)
	v_fma_f64 v[115:116], v[133:134], v[115:116], v[125:126]
	s_waitcnt vmcnt(17)
	v_fma_f64 v[115:116], v[131:132], v[117:118], v[115:116]
	buffer_load_dword v126, off, s[0:3], 0 offset:388
	buffer_load_dword v127, off, s[0:3], 0 offset:408
	;; [unrolled: 1-line block ×7, first 2 shown]
	s_waitcnt vmcnt(23) lgkmcnt(0)
	v_fma_f64 v[115:116], v[129:130], v[119:120], v[115:116]
	s_waitcnt vmcnt(18)
	v_fma_f64 v[128:129], v[135:136], v[121:122], v[115:116]
	ds_read2_b64 v[115:118], v114 offset0:97 offset1:98
	ds_read2_b64 v[119:122], v114 offset0:99 offset1:100
	s_waitcnt vmcnt(17) lgkmcnt(1)
	v_fma_f64 v[115:116], v[143:144], v[115:116], v[128:129]
	buffer_load_dword v128, off, s[0:3], 0 offset:412
	s_waitcnt vmcnt(17)
	v_fma_f64 v[115:116], v[141:142], v[117:118], v[115:116]
	buffer_load_dword v130, off, s[0:3], 0 offset:420
	buffer_load_dword v135, off, s[0:3], 0 offset:440
	;; [unrolled: 1-line block ×8, first 2 shown]
	s_waitcnt vmcnt(24) lgkmcnt(0)
	v_fma_f64 v[115:116], v[137:138], v[119:120], v[115:116]
	s_waitcnt vmcnt(19)
	v_fma_f64 v[123:124], v[123:124], v[121:122], v[115:116]
	ds_read2_b64 v[115:118], v114 offset0:101 offset1:102
	ds_read2_b64 v[119:122], v114 offset0:103 offset1:104
	s_waitcnt vmcnt(18) lgkmcnt(1)
	v_fma_f64 v[115:116], v[147:148], v[115:116], v[123:124]
	buffer_load_dword v123, off, s[0:3], 0 offset:160
	buffer_load_dword v124, off, s[0:3], 0 offset:164
	s_waitcnt vmcnt(19)
	v_fma_f64 v[115:116], v[145:146], v[117:118], v[115:116]
	s_waitcnt vmcnt(18) lgkmcnt(0)
	v_fma_f64 v[115:116], v[139:140], v[119:120], v[115:116]
	s_waitcnt vmcnt(13)
	v_fma_f64 v[125:126], v[125:126], v[121:122], v[115:116]
	ds_read2_b64 v[115:118], v114 offset0:105 offset1:106
	ds_read2_b64 v[119:122], v114 offset0:107 offset1:108
	s_waitcnt vmcnt(12) lgkmcnt(1)
	v_fma_f64 v[115:116], v[133:134], v[115:116], v[125:126]
	s_waitcnt vmcnt(11)
	v_fma_f64 v[115:116], v[131:132], v[117:118], v[115:116]
	s_waitcnt vmcnt(10) lgkmcnt(0)
	v_fma_f64 v[115:116], v[127:128], v[119:120], v[115:116]
	s_waitcnt vmcnt(5)
	v_fma_f64 v[119:120], v[129:130], v[121:122], v[115:116]
	ds_read2_b64 v[115:118], v114 offset0:109 offset1:110
	ds_read_b64 v[121:122], v114 offset:888
	s_waitcnt vmcnt(4) lgkmcnt(1)
	v_fma_f64 v[115:116], v[143:144], v[115:116], v[119:120]
	s_waitcnt vmcnt(3)
	v_fma_f64 v[115:116], v[141:142], v[117:118], v[115:116]
	s_waitcnt vmcnt(2) lgkmcnt(0)
	v_fma_f64 v[115:116], v[135:136], v[121:122], v[115:116]
	s_waitcnt vmcnt(0)
	v_add_f64 v[115:116], v[123:124], -v[115:116]
	buffer_store_dword v116, off, s[0:3], 0 offset:164
	buffer_store_dword v115, off, s[0:3], 0 offset:160
	s_and_saveexec_b64 s[4:5], vcc
	s_cbranch_execz .LBB55_305
; %bb.304:
	buffer_load_dword v115, off, s[0:3], 0 offset:152
	buffer_load_dword v116, off, s[0:3], 0 offset:156
	s_waitcnt vmcnt(0)
	ds_write_b64 v113, v[115:116]
	buffer_store_dword v114, off, s[0:3], 0 offset:152
	buffer_store_dword v114, off, s[0:3], 0 offset:156
.LBB55_305:
	s_or_b64 exec, exec, s[4:5]
	s_waitcnt lgkmcnt(0)
	; wave barrier
	buffer_load_dword v123, off, s[0:3], 0 offset:160
	buffer_load_dword v124, off, s[0:3], 0 offset:164
	buffer_load_dword v125, off, s[0:3], 0 offset:168
	buffer_load_dword v126, off, s[0:3], 0 offset:172
	buffer_load_dword v127, off, s[0:3], 0 offset:176
	buffer_load_dword v128, off, s[0:3], 0 offset:180
	buffer_load_dword v129, off, s[0:3], 0 offset:184
	buffer_load_dword v130, off, s[0:3], 0 offset:188
	buffer_load_dword v131, off, s[0:3], 0 offset:192
	buffer_load_dword v132, off, s[0:3], 0 offset:196
	buffer_load_dword v133, off, s[0:3], 0 offset:200
	buffer_load_dword v134, off, s[0:3], 0 offset:204
	buffer_load_dword v135, off, s[0:3], 0 offset:208
	buffer_load_dword v136, off, s[0:3], 0 offset:212
	buffer_load_dword v138, off, s[0:3], 0 offset:220
	buffer_load_dword v139, off, s[0:3], 0 offset:240
	buffer_load_dword v141, off, s[0:3], 0 offset:232
	buffer_load_dword v143, off, s[0:3], 0 offset:224
	buffer_load_dword v137, off, s[0:3], 0 offset:216
	buffer_load_dword v144, off, s[0:3], 0 offset:228
	buffer_load_dword v142, off, s[0:3], 0 offset:236
	ds_read_b128 v[115:118], v114 offset:608
	ds_read_b128 v[119:122], v114 offset:624
	buffer_load_dword v140, off, s[0:3], 0 offset:244
	v_cmp_lt_u32_e32 vcc, 18, v0
	s_waitcnt vmcnt(20) lgkmcnt(1)
	v_fma_f64 v[115:116], v[123:124], v[115:116], 0
	s_waitcnt vmcnt(18)
	v_fma_f64 v[115:116], v[125:126], v[117:118], v[115:116]
	buffer_load_dword v124, off, s[0:3], 0 offset:252
	buffer_load_dword v125, off, s[0:3], 0 offset:272
	;; [unrolled: 1-line block ×7, first 2 shown]
	s_waitcnt vmcnt(23) lgkmcnt(0)
	v_fma_f64 v[115:116], v[127:128], v[119:120], v[115:116]
	s_waitcnt vmcnt(21)
	v_fma_f64 v[126:127], v[129:130], v[121:122], v[115:116]
	ds_read_b128 v[115:118], v114 offset:640
	ds_read_b128 v[119:122], v114 offset:656
	s_waitcnt vmcnt(19) lgkmcnt(1)
	v_fma_f64 v[115:116], v[131:132], v[115:116], v[126:127]
	buffer_load_dword v126, off, s[0:3], 0 offset:276
	s_waitcnt vmcnt(18)
	v_fma_f64 v[115:116], v[133:134], v[117:118], v[115:116]
	buffer_load_dword v128, off, s[0:3], 0 offset:284
	buffer_load_dword v129, off, s[0:3], 0 offset:304
	;; [unrolled: 1-line block ×8, first 2 shown]
	s_waitcnt vmcnt(24) lgkmcnt(0)
	v_fma_f64 v[115:116], v[135:136], v[119:120], v[115:116]
	s_waitcnt vmcnt(19)
	v_fma_f64 v[135:136], v[137:138], v[121:122], v[115:116]
	ds_read_b128 v[115:118], v114 offset:672
	ds_read_b128 v[119:122], v114 offset:688
	s_waitcnt vmcnt(18) lgkmcnt(1)
	v_fma_f64 v[115:116], v[143:144], v[115:116], v[135:136]
	s_waitcnt vmcnt(17)
	v_fma_f64 v[115:116], v[141:142], v[117:118], v[115:116]
	buffer_load_dword v136, off, s[0:3], 0 offset:316
	buffer_load_dword v137, off, s[0:3], 0 offset:336
	;; [unrolled: 1-line block ×7, first 2 shown]
	s_waitcnt vmcnt(23) lgkmcnt(0)
	v_fma_f64 v[115:116], v[139:140], v[119:120], v[115:116]
	s_waitcnt vmcnt(18)
	v_fma_f64 v[123:124], v[123:124], v[121:122], v[115:116]
	ds_read_b128 v[115:118], v114 offset:704
	ds_read_b128 v[119:122], v114 offset:720
	buffer_load_dword v138, off, s[0:3], 0 offset:340
	s_waitcnt vmcnt(18) lgkmcnt(1)
	v_fma_f64 v[115:116], v[147:148], v[115:116], v[123:124]
	s_waitcnt vmcnt(17)
	v_fma_f64 v[115:116], v[145:146], v[117:118], v[115:116]
	buffer_load_dword v124, off, s[0:3], 0 offset:348
	buffer_load_dword v139, off, s[0:3], 0 offset:368
	buffer_load_dword v145, off, s[0:3], 0 offset:360
	buffer_load_dword v147, off, s[0:3], 0 offset:352
	buffer_load_dword v123, off, s[0:3], 0 offset:344
	buffer_load_dword v148, off, s[0:3], 0 offset:356
	buffer_load_dword v146, off, s[0:3], 0 offset:364
	buffer_load_dword v140, off, s[0:3], 0 offset:372
	s_waitcnt vmcnt(24) lgkmcnt(0)
	v_fma_f64 v[115:116], v[125:126], v[119:120], v[115:116]
	s_waitcnt vmcnt(19)
	v_fma_f64 v[125:126], v[127:128], v[121:122], v[115:116]
	ds_read_b128 v[115:118], v114 offset:736
	ds_read_b128 v[119:122], v114 offset:752
	s_waitcnt vmcnt(18) lgkmcnt(1)
	v_fma_f64 v[115:116], v[133:134], v[115:116], v[125:126]
	s_waitcnt vmcnt(17)
	v_fma_f64 v[115:116], v[131:132], v[117:118], v[115:116]
	buffer_load_dword v126, off, s[0:3], 0 offset:380
	buffer_load_dword v127, off, s[0:3], 0 offset:400
	;; [unrolled: 1-line block ×7, first 2 shown]
	s_waitcnt vmcnt(23) lgkmcnt(0)
	v_fma_f64 v[115:116], v[129:130], v[119:120], v[115:116]
	s_waitcnt vmcnt(18)
	v_fma_f64 v[128:129], v[135:136], v[121:122], v[115:116]
	ds_read_b128 v[115:118], v114 offset:768
	ds_read_b128 v[119:122], v114 offset:784
	s_waitcnt vmcnt(17) lgkmcnt(1)
	v_fma_f64 v[115:116], v[143:144], v[115:116], v[128:129]
	buffer_load_dword v128, off, s[0:3], 0 offset:404
	s_waitcnt vmcnt(17)
	v_fma_f64 v[115:116], v[141:142], v[117:118], v[115:116]
	buffer_load_dword v130, off, s[0:3], 0 offset:412
	buffer_load_dword v135, off, s[0:3], 0 offset:432
	;; [unrolled: 1-line block ×8, first 2 shown]
	s_waitcnt vmcnt(24) lgkmcnt(0)
	v_fma_f64 v[115:116], v[137:138], v[119:120], v[115:116]
	s_waitcnt vmcnt(19)
	v_fma_f64 v[123:124], v[123:124], v[121:122], v[115:116]
	ds_read_b128 v[115:118], v114 offset:800
	ds_read_b128 v[119:122], v114 offset:816
	s_waitcnt vmcnt(18) lgkmcnt(1)
	v_fma_f64 v[115:116], v[147:148], v[115:116], v[123:124]
	buffer_load_dword v124, off, s[0:3], 0 offset:444
	buffer_load_dword v123, off, s[0:3], 0 offset:440
	;; [unrolled: 1-line block ×4, first 2 shown]
	s_waitcnt vmcnt(21)
	v_fma_f64 v[115:116], v[145:146], v[117:118], v[115:116]
	s_waitcnt vmcnt(20) lgkmcnt(0)
	v_fma_f64 v[115:116], v[139:140], v[119:120], v[115:116]
	s_waitcnt vmcnt(15)
	v_fma_f64 v[125:126], v[125:126], v[121:122], v[115:116]
	ds_read_b128 v[115:118], v114 offset:832
	ds_read_b128 v[119:122], v114 offset:848
	s_waitcnt vmcnt(14) lgkmcnt(1)
	v_fma_f64 v[115:116], v[133:134], v[115:116], v[125:126]
	s_waitcnt vmcnt(13)
	v_fma_f64 v[115:116], v[131:132], v[117:118], v[115:116]
	s_waitcnt vmcnt(12) lgkmcnt(0)
	v_fma_f64 v[115:116], v[127:128], v[119:120], v[115:116]
	s_waitcnt vmcnt(7)
	v_fma_f64 v[125:126], v[129:130], v[121:122], v[115:116]
	ds_read_b128 v[115:118], v114 offset:864
	ds_read_b128 v[119:122], v114 offset:880
	s_waitcnt vmcnt(6) lgkmcnt(1)
	v_fma_f64 v[114:115], v[143:144], v[115:116], v[125:126]
	s_waitcnt vmcnt(5)
	v_fma_f64 v[114:115], v[141:142], v[117:118], v[114:115]
	s_waitcnt vmcnt(4) lgkmcnt(0)
	v_fma_f64 v[114:115], v[135:136], v[119:120], v[114:115]
	s_waitcnt vmcnt(2)
	v_fma_f64 v[114:115], v[123:124], v[121:122], v[114:115]
	s_waitcnt vmcnt(0)
	v_add_f64 v[114:115], v[137:138], -v[114:115]
	buffer_store_dword v115, off, s[0:3], 0 offset:156
	buffer_store_dword v114, off, s[0:3], 0 offset:152
	s_and_saveexec_b64 s[4:5], vcc
	s_cbranch_execz .LBB55_307
; %bb.306:
	buffer_load_dword v114, off, s[0:3], 0 offset:144
	buffer_load_dword v115, off, s[0:3], 0 offset:148
	v_mov_b32_e32 v116, 0
	buffer_store_dword v116, off, s[0:3], 0 offset:144
	buffer_store_dword v116, off, s[0:3], 0 offset:148
	s_waitcnt vmcnt(2)
	ds_write_b64 v113, v[114:115]
.LBB55_307:
	s_or_b64 exec, exec, s[4:5]
	s_waitcnt lgkmcnt(0)
	; wave barrier
	buffer_load_dword v123, off, s[0:3], 0 offset:152
	buffer_load_dword v124, off, s[0:3], 0 offset:156
	;; [unrolled: 1-line block ×21, first 2 shown]
	v_mov_b32_e32 v114, 0
	ds_read2_b64 v[115:118], v114 offset0:75 offset1:76
	ds_read2_b64 v[119:122], v114 offset0:77 offset1:78
	buffer_load_dword v140, off, s[0:3], 0 offset:236
	v_cmp_lt_u32_e32 vcc, 17, v0
	s_waitcnt vmcnt(20) lgkmcnt(1)
	v_fma_f64 v[115:116], v[123:124], v[115:116], 0
	s_waitcnt vmcnt(18)
	v_fma_f64 v[115:116], v[125:126], v[117:118], v[115:116]
	buffer_load_dword v124, off, s[0:3], 0 offset:244
	buffer_load_dword v125, off, s[0:3], 0 offset:264
	;; [unrolled: 1-line block ×7, first 2 shown]
	s_waitcnt vmcnt(23) lgkmcnt(0)
	v_fma_f64 v[115:116], v[127:128], v[119:120], v[115:116]
	s_waitcnt vmcnt(21)
	v_fma_f64 v[126:127], v[129:130], v[121:122], v[115:116]
	ds_read2_b64 v[115:118], v114 offset0:79 offset1:80
	ds_read2_b64 v[119:122], v114 offset0:81 offset1:82
	s_waitcnt vmcnt(19) lgkmcnt(1)
	v_fma_f64 v[115:116], v[131:132], v[115:116], v[126:127]
	buffer_load_dword v126, off, s[0:3], 0 offset:268
	s_waitcnt vmcnt(18)
	v_fma_f64 v[115:116], v[133:134], v[117:118], v[115:116]
	buffer_load_dword v128, off, s[0:3], 0 offset:276
	buffer_load_dword v129, off, s[0:3], 0 offset:296
	;; [unrolled: 1-line block ×8, first 2 shown]
	s_waitcnt vmcnt(24) lgkmcnt(0)
	v_fma_f64 v[115:116], v[135:136], v[119:120], v[115:116]
	s_waitcnt vmcnt(19)
	v_fma_f64 v[135:136], v[137:138], v[121:122], v[115:116]
	ds_read2_b64 v[115:118], v114 offset0:83 offset1:84
	ds_read2_b64 v[119:122], v114 offset0:85 offset1:86
	s_waitcnt vmcnt(18) lgkmcnt(1)
	v_fma_f64 v[115:116], v[143:144], v[115:116], v[135:136]
	s_waitcnt vmcnt(17)
	v_fma_f64 v[115:116], v[141:142], v[117:118], v[115:116]
	buffer_load_dword v136, off, s[0:3], 0 offset:308
	buffer_load_dword v137, off, s[0:3], 0 offset:328
	;; [unrolled: 1-line block ×7, first 2 shown]
	s_waitcnt vmcnt(23) lgkmcnt(0)
	v_fma_f64 v[115:116], v[139:140], v[119:120], v[115:116]
	s_waitcnt vmcnt(18)
	v_fma_f64 v[123:124], v[123:124], v[121:122], v[115:116]
	ds_read2_b64 v[115:118], v114 offset0:87 offset1:88
	ds_read2_b64 v[119:122], v114 offset0:89 offset1:90
	buffer_load_dword v138, off, s[0:3], 0 offset:332
	s_waitcnt vmcnt(18) lgkmcnt(1)
	v_fma_f64 v[115:116], v[147:148], v[115:116], v[123:124]
	s_waitcnt vmcnt(17)
	v_fma_f64 v[115:116], v[145:146], v[117:118], v[115:116]
	buffer_load_dword v124, off, s[0:3], 0 offset:340
	buffer_load_dword v139, off, s[0:3], 0 offset:360
	;; [unrolled: 1-line block ×7, first 2 shown]
	s_waitcnt vmcnt(23) lgkmcnt(0)
	v_fma_f64 v[115:116], v[125:126], v[119:120], v[115:116]
	s_waitcnt vmcnt(18)
	v_fma_f64 v[125:126], v[127:128], v[121:122], v[115:116]
	ds_read2_b64 v[115:118], v114 offset0:91 offset1:92
	ds_read2_b64 v[119:122], v114 offset0:93 offset1:94
	buffer_load_dword v140, off, s[0:3], 0 offset:364
	s_waitcnt vmcnt(18) lgkmcnt(1)
	v_fma_f64 v[115:116], v[133:134], v[115:116], v[125:126]
	s_waitcnt vmcnt(17)
	v_fma_f64 v[115:116], v[131:132], v[117:118], v[115:116]
	buffer_load_dword v126, off, s[0:3], 0 offset:372
	buffer_load_dword v127, off, s[0:3], 0 offset:392
	;; [unrolled: 1-line block ×7, first 2 shown]
	s_waitcnt vmcnt(23) lgkmcnt(0)
	v_fma_f64 v[115:116], v[129:130], v[119:120], v[115:116]
	s_waitcnt vmcnt(18)
	v_fma_f64 v[128:129], v[135:136], v[121:122], v[115:116]
	ds_read2_b64 v[115:118], v114 offset0:95 offset1:96
	ds_read2_b64 v[119:122], v114 offset0:97 offset1:98
	s_waitcnt vmcnt(17) lgkmcnt(1)
	v_fma_f64 v[115:116], v[143:144], v[115:116], v[128:129]
	buffer_load_dword v128, off, s[0:3], 0 offset:396
	s_waitcnt vmcnt(17)
	v_fma_f64 v[115:116], v[141:142], v[117:118], v[115:116]
	buffer_load_dword v130, off, s[0:3], 0 offset:404
	buffer_load_dword v135, off, s[0:3], 0 offset:424
	;; [unrolled: 1-line block ×7, first 2 shown]
	s_waitcnt vmcnt(23) lgkmcnt(0)
	v_fma_f64 v[115:116], v[137:138], v[119:120], v[115:116]
	s_waitcnt vmcnt(18)
	v_fma_f64 v[123:124], v[123:124], v[121:122], v[115:116]
	ds_read2_b64 v[115:118], v114 offset0:99 offset1:100
	ds_read2_b64 v[119:122], v114 offset0:101 offset1:102
	buffer_load_dword v136, off, s[0:3], 0 offset:428
	s_waitcnt vmcnt(18) lgkmcnt(1)
	v_fma_f64 v[115:116], v[147:148], v[115:116], v[123:124]
	buffer_load_dword v124, off, s[0:3], 0 offset:436
	buffer_load_dword v137, off, s[0:3], 0 offset:440
	;; [unrolled: 1-line block ×4, first 2 shown]
	s_waitcnt vmcnt(21)
	v_fma_f64 v[115:116], v[145:146], v[117:118], v[115:116]
	s_waitcnt vmcnt(20) lgkmcnt(0)
	v_fma_f64 v[115:116], v[139:140], v[119:120], v[115:116]
	buffer_load_dword v139, off, s[0:3], 0 offset:144
	buffer_load_dword v140, off, s[0:3], 0 offset:148
	s_waitcnt vmcnt(17)
	v_fma_f64 v[125:126], v[125:126], v[121:122], v[115:116]
	ds_read2_b64 v[115:118], v114 offset0:103 offset1:104
	ds_read2_b64 v[119:122], v114 offset0:105 offset1:106
	s_waitcnt vmcnt(16) lgkmcnt(1)
	v_fma_f64 v[115:116], v[133:134], v[115:116], v[125:126]
	s_waitcnt vmcnt(15)
	v_fma_f64 v[115:116], v[131:132], v[117:118], v[115:116]
	s_waitcnt vmcnt(14) lgkmcnt(0)
	v_fma_f64 v[115:116], v[127:128], v[119:120], v[115:116]
	s_waitcnt vmcnt(9)
	v_fma_f64 v[125:126], v[129:130], v[121:122], v[115:116]
	ds_read2_b64 v[115:118], v114 offset0:107 offset1:108
	ds_read2_b64 v[119:122], v114 offset0:109 offset1:110
	s_waitcnt vmcnt(8) lgkmcnt(1)
	v_fma_f64 v[115:116], v[143:144], v[115:116], v[125:126]
	s_waitcnt vmcnt(7)
	v_fma_f64 v[115:116], v[141:142], v[117:118], v[115:116]
	ds_read_b64 v[117:118], v114 offset:888
	s_waitcnt vmcnt(6) lgkmcnt(1)
	v_fma_f64 v[115:116], v[135:136], v[119:120], v[115:116]
	s_waitcnt vmcnt(3)
	v_fma_f64 v[115:116], v[123:124], v[121:122], v[115:116]
	s_waitcnt vmcnt(2) lgkmcnt(0)
	v_fma_f64 v[115:116], v[137:138], v[117:118], v[115:116]
	s_waitcnt vmcnt(0)
	v_add_f64 v[115:116], v[139:140], -v[115:116]
	buffer_store_dword v116, off, s[0:3], 0 offset:148
	buffer_store_dword v115, off, s[0:3], 0 offset:144
	s_and_saveexec_b64 s[4:5], vcc
	s_cbranch_execz .LBB55_309
; %bb.308:
	buffer_load_dword v115, off, s[0:3], 0 offset:136
	buffer_load_dword v116, off, s[0:3], 0 offset:140
	s_waitcnt vmcnt(0)
	ds_write_b64 v113, v[115:116]
	buffer_store_dword v114, off, s[0:3], 0 offset:136
	buffer_store_dword v114, off, s[0:3], 0 offset:140
.LBB55_309:
	s_or_b64 exec, exec, s[4:5]
	s_waitcnt lgkmcnt(0)
	; wave barrier
	buffer_load_dword v123, off, s[0:3], 0 offset:144
	buffer_load_dword v124, off, s[0:3], 0 offset:148
	;; [unrolled: 1-line block ×22, first 2 shown]
	ds_read_b128 v[115:118], v114 offset:592
	ds_read_b128 v[119:122], v114 offset:608
	v_cmp_lt_u32_e32 vcc, 16, v0
	s_waitcnt vmcnt(20) lgkmcnt(1)
	v_fma_f64 v[115:116], v[123:124], v[115:116], 0
	s_waitcnt vmcnt(18)
	v_fma_f64 v[115:116], v[125:126], v[117:118], v[115:116]
	buffer_load_dword v124, off, s[0:3], 0 offset:236
	buffer_load_dword v125, off, s[0:3], 0 offset:256
	;; [unrolled: 1-line block ×7, first 2 shown]
	s_waitcnt vmcnt(23) lgkmcnt(0)
	v_fma_f64 v[115:116], v[127:128], v[119:120], v[115:116]
	s_waitcnt vmcnt(21)
	v_fma_f64 v[126:127], v[129:130], v[121:122], v[115:116]
	ds_read_b128 v[115:118], v114 offset:624
	ds_read_b128 v[119:122], v114 offset:640
	s_waitcnt vmcnt(19) lgkmcnt(1)
	v_fma_f64 v[115:116], v[131:132], v[115:116], v[126:127]
	buffer_load_dword v126, off, s[0:3], 0 offset:260
	s_waitcnt vmcnt(18)
	v_fma_f64 v[115:116], v[133:134], v[117:118], v[115:116]
	buffer_load_dword v128, off, s[0:3], 0 offset:268
	buffer_load_dword v129, off, s[0:3], 0 offset:288
	;; [unrolled: 1-line block ×8, first 2 shown]
	s_waitcnt vmcnt(24) lgkmcnt(0)
	v_fma_f64 v[115:116], v[135:136], v[119:120], v[115:116]
	s_waitcnt vmcnt(19)
	v_fma_f64 v[135:136], v[137:138], v[121:122], v[115:116]
	ds_read_b128 v[115:118], v114 offset:656
	ds_read_b128 v[119:122], v114 offset:672
	s_waitcnt vmcnt(18) lgkmcnt(1)
	v_fma_f64 v[115:116], v[143:144], v[115:116], v[135:136]
	s_waitcnt vmcnt(17)
	v_fma_f64 v[115:116], v[141:142], v[117:118], v[115:116]
	buffer_load_dword v136, off, s[0:3], 0 offset:300
	buffer_load_dword v137, off, s[0:3], 0 offset:320
	;; [unrolled: 1-line block ×8, first 2 shown]
	s_waitcnt vmcnt(24) lgkmcnt(0)
	v_fma_f64 v[115:116], v[139:140], v[119:120], v[115:116]
	s_waitcnt vmcnt(19)
	v_fma_f64 v[123:124], v[123:124], v[121:122], v[115:116]
	ds_read_b128 v[115:118], v114 offset:688
	ds_read_b128 v[119:122], v114 offset:704
	s_waitcnt vmcnt(18) lgkmcnt(1)
	v_fma_f64 v[115:116], v[147:148], v[115:116], v[123:124]
	s_waitcnt vmcnt(17)
	v_fma_f64 v[115:116], v[145:146], v[117:118], v[115:116]
	buffer_load_dword v124, off, s[0:3], 0 offset:332
	buffer_load_dword v139, off, s[0:3], 0 offset:352
	;; [unrolled: 1-line block ×7, first 2 shown]
	s_waitcnt vmcnt(23) lgkmcnt(0)
	v_fma_f64 v[115:116], v[125:126], v[119:120], v[115:116]
	s_waitcnt vmcnt(18)
	v_fma_f64 v[125:126], v[127:128], v[121:122], v[115:116]
	ds_read_b128 v[115:118], v114 offset:720
	ds_read_b128 v[119:122], v114 offset:736
	buffer_load_dword v140, off, s[0:3], 0 offset:356
	s_waitcnt vmcnt(18) lgkmcnt(1)
	v_fma_f64 v[115:116], v[133:134], v[115:116], v[125:126]
	s_waitcnt vmcnt(17)
	v_fma_f64 v[115:116], v[131:132], v[117:118], v[115:116]
	buffer_load_dword v126, off, s[0:3], 0 offset:364
	buffer_load_dword v127, off, s[0:3], 0 offset:384
	;; [unrolled: 1-line block ×7, first 2 shown]
	s_waitcnt vmcnt(23) lgkmcnt(0)
	v_fma_f64 v[115:116], v[129:130], v[119:120], v[115:116]
	s_waitcnt vmcnt(18)
	v_fma_f64 v[128:129], v[135:136], v[121:122], v[115:116]
	ds_read_b128 v[115:118], v114 offset:752
	ds_read_b128 v[119:122], v114 offset:768
	s_waitcnt vmcnt(17) lgkmcnt(1)
	v_fma_f64 v[115:116], v[143:144], v[115:116], v[128:129]
	buffer_load_dword v128, off, s[0:3], 0 offset:388
	s_waitcnt vmcnt(17)
	v_fma_f64 v[115:116], v[141:142], v[117:118], v[115:116]
	buffer_load_dword v130, off, s[0:3], 0 offset:396
	buffer_load_dword v135, off, s[0:3], 0 offset:416
	;; [unrolled: 1-line block ×8, first 2 shown]
	s_waitcnt vmcnt(24) lgkmcnt(0)
	v_fma_f64 v[115:116], v[137:138], v[119:120], v[115:116]
	s_waitcnt vmcnt(19)
	v_fma_f64 v[123:124], v[123:124], v[121:122], v[115:116]
	ds_read_b128 v[115:118], v114 offset:784
	ds_read_b128 v[119:122], v114 offset:800
	s_waitcnt vmcnt(18) lgkmcnt(1)
	v_fma_f64 v[115:116], v[147:148], v[115:116], v[123:124]
	s_waitcnt vmcnt(17)
	v_fma_f64 v[115:116], v[145:146], v[117:118], v[115:116]
	buffer_load_dword v124, off, s[0:3], 0 offset:428
	buffer_load_dword v137, off, s[0:3], 0 offset:440
	;; [unrolled: 1-line block ×6, first 2 shown]
	s_waitcnt vmcnt(22) lgkmcnt(0)
	v_fma_f64 v[115:116], v[139:140], v[119:120], v[115:116]
	s_waitcnt vmcnt(17)
	v_fma_f64 v[125:126], v[125:126], v[121:122], v[115:116]
	ds_read_b128 v[115:118], v114 offset:816
	buffer_load_dword v139, off, s[0:3], 0 offset:136
	buffer_load_dword v140, off, s[0:3], 0 offset:140
	ds_read_b128 v[119:122], v114 offset:832
	s_waitcnt vmcnt(18) lgkmcnt(1)
	v_fma_f64 v[115:116], v[133:134], v[115:116], v[125:126]
	s_waitcnt vmcnt(17)
	v_fma_f64 v[115:116], v[131:132], v[117:118], v[115:116]
	s_waitcnt vmcnt(16) lgkmcnt(0)
	v_fma_f64 v[115:116], v[127:128], v[119:120], v[115:116]
	s_waitcnt vmcnt(11)
	v_fma_f64 v[125:126], v[129:130], v[121:122], v[115:116]
	ds_read_b128 v[115:118], v114 offset:848
	ds_read_b128 v[119:122], v114 offset:864
	s_waitcnt vmcnt(10) lgkmcnt(1)
	v_fma_f64 v[115:116], v[143:144], v[115:116], v[125:126]
	s_waitcnt vmcnt(9)
	v_fma_f64 v[115:116], v[141:142], v[117:118], v[115:116]
	s_waitcnt vmcnt(8) lgkmcnt(0)
	v_fma_f64 v[115:116], v[135:136], v[119:120], v[115:116]
	s_waitcnt vmcnt(4)
	v_fma_f64 v[118:119], v[123:124], v[121:122], v[115:116]
	ds_read_b128 v[114:117], v114 offset:880
	s_waitcnt vmcnt(3) lgkmcnt(0)
	v_fma_f64 v[114:115], v[145:146], v[114:115], v[118:119]
	s_waitcnt vmcnt(2)
	v_fma_f64 v[114:115], v[137:138], v[116:117], v[114:115]
	s_waitcnt vmcnt(0)
	v_add_f64 v[114:115], v[139:140], -v[114:115]
	buffer_store_dword v115, off, s[0:3], 0 offset:140
	buffer_store_dword v114, off, s[0:3], 0 offset:136
	s_and_saveexec_b64 s[4:5], vcc
	s_cbranch_execz .LBB55_311
; %bb.310:
	buffer_load_dword v114, off, s[0:3], 0 offset:128
	buffer_load_dword v115, off, s[0:3], 0 offset:132
	v_mov_b32_e32 v116, 0
	buffer_store_dword v116, off, s[0:3], 0 offset:128
	buffer_store_dword v116, off, s[0:3], 0 offset:132
	s_waitcnt vmcnt(2)
	ds_write_b64 v113, v[114:115]
.LBB55_311:
	s_or_b64 exec, exec, s[4:5]
	s_waitcnt lgkmcnt(0)
	; wave barrier
	buffer_load_dword v123, off, s[0:3], 0 offset:136
	buffer_load_dword v124, off, s[0:3], 0 offset:140
	buffer_load_dword v125, off, s[0:3], 0 offset:144
	buffer_load_dword v126, off, s[0:3], 0 offset:148
	buffer_load_dword v127, off, s[0:3], 0 offset:152
	buffer_load_dword v128, off, s[0:3], 0 offset:156
	buffer_load_dword v129, off, s[0:3], 0 offset:160
	buffer_load_dword v130, off, s[0:3], 0 offset:164
	buffer_load_dword v131, off, s[0:3], 0 offset:168
	buffer_load_dword v132, off, s[0:3], 0 offset:172
	buffer_load_dword v133, off, s[0:3], 0 offset:176
	buffer_load_dword v134, off, s[0:3], 0 offset:180
	buffer_load_dword v135, off, s[0:3], 0 offset:184
	buffer_load_dword v136, off, s[0:3], 0 offset:188
	buffer_load_dword v138, off, s[0:3], 0 offset:196
	buffer_load_dword v139, off, s[0:3], 0 offset:216
	buffer_load_dword v141, off, s[0:3], 0 offset:208
	buffer_load_dword v143, off, s[0:3], 0 offset:200
	buffer_load_dword v137, off, s[0:3], 0 offset:192
	buffer_load_dword v144, off, s[0:3], 0 offset:204
	buffer_load_dword v142, off, s[0:3], 0 offset:212
	buffer_load_dword v140, off, s[0:3], 0 offset:220
	v_mov_b32_e32 v114, 0
	ds_read2_b64 v[115:118], v114 offset0:73 offset1:74
	ds_read2_b64 v[119:122], v114 offset0:75 offset1:76
	v_cmp_lt_u32_e32 vcc, 15, v0
	s_waitcnt vmcnt(20) lgkmcnt(1)
	v_fma_f64 v[115:116], v[123:124], v[115:116], 0
	s_waitcnt vmcnt(18)
	v_fma_f64 v[115:116], v[125:126], v[117:118], v[115:116]
	buffer_load_dword v124, off, s[0:3], 0 offset:228
	buffer_load_dword v125, off, s[0:3], 0 offset:248
	;; [unrolled: 1-line block ×7, first 2 shown]
	s_waitcnt vmcnt(23) lgkmcnt(0)
	v_fma_f64 v[115:116], v[127:128], v[119:120], v[115:116]
	s_waitcnt vmcnt(21)
	v_fma_f64 v[126:127], v[129:130], v[121:122], v[115:116]
	ds_read2_b64 v[115:118], v114 offset0:77 offset1:78
	ds_read2_b64 v[119:122], v114 offset0:79 offset1:80
	s_waitcnt vmcnt(19) lgkmcnt(1)
	v_fma_f64 v[115:116], v[131:132], v[115:116], v[126:127]
	buffer_load_dword v126, off, s[0:3], 0 offset:252
	s_waitcnt vmcnt(18)
	v_fma_f64 v[115:116], v[133:134], v[117:118], v[115:116]
	buffer_load_dword v128, off, s[0:3], 0 offset:260
	buffer_load_dword v129, off, s[0:3], 0 offset:280
	;; [unrolled: 1-line block ×8, first 2 shown]
	s_waitcnt vmcnt(24) lgkmcnt(0)
	v_fma_f64 v[115:116], v[135:136], v[119:120], v[115:116]
	s_waitcnt vmcnt(19)
	v_fma_f64 v[135:136], v[137:138], v[121:122], v[115:116]
	ds_read2_b64 v[115:118], v114 offset0:81 offset1:82
	ds_read2_b64 v[119:122], v114 offset0:83 offset1:84
	s_waitcnt vmcnt(18) lgkmcnt(1)
	v_fma_f64 v[115:116], v[143:144], v[115:116], v[135:136]
	s_waitcnt vmcnt(17)
	v_fma_f64 v[115:116], v[141:142], v[117:118], v[115:116]
	buffer_load_dword v136, off, s[0:3], 0 offset:292
	buffer_load_dword v137, off, s[0:3], 0 offset:312
	;; [unrolled: 1-line block ×8, first 2 shown]
	s_waitcnt vmcnt(24) lgkmcnt(0)
	v_fma_f64 v[115:116], v[139:140], v[119:120], v[115:116]
	s_waitcnt vmcnt(19)
	v_fma_f64 v[123:124], v[123:124], v[121:122], v[115:116]
	ds_read2_b64 v[115:118], v114 offset0:85 offset1:86
	ds_read2_b64 v[119:122], v114 offset0:87 offset1:88
	s_waitcnt vmcnt(18) lgkmcnt(1)
	v_fma_f64 v[115:116], v[147:148], v[115:116], v[123:124]
	s_waitcnt vmcnt(17)
	v_fma_f64 v[115:116], v[145:146], v[117:118], v[115:116]
	buffer_load_dword v124, off, s[0:3], 0 offset:324
	buffer_load_dword v139, off, s[0:3], 0 offset:344
	;; [unrolled: 1-line block ×7, first 2 shown]
	s_waitcnt vmcnt(23) lgkmcnt(0)
	v_fma_f64 v[115:116], v[125:126], v[119:120], v[115:116]
	s_waitcnt vmcnt(18)
	v_fma_f64 v[125:126], v[127:128], v[121:122], v[115:116]
	ds_read2_b64 v[115:118], v114 offset0:89 offset1:90
	ds_read2_b64 v[119:122], v114 offset0:91 offset1:92
	buffer_load_dword v140, off, s[0:3], 0 offset:348
	s_waitcnt vmcnt(18) lgkmcnt(1)
	v_fma_f64 v[115:116], v[133:134], v[115:116], v[125:126]
	s_waitcnt vmcnt(17)
	v_fma_f64 v[115:116], v[131:132], v[117:118], v[115:116]
	buffer_load_dword v126, off, s[0:3], 0 offset:356
	buffer_load_dword v127, off, s[0:3], 0 offset:376
	;; [unrolled: 1-line block ×7, first 2 shown]
	s_waitcnt vmcnt(23) lgkmcnt(0)
	v_fma_f64 v[115:116], v[129:130], v[119:120], v[115:116]
	s_waitcnt vmcnt(18)
	v_fma_f64 v[128:129], v[135:136], v[121:122], v[115:116]
	ds_read2_b64 v[115:118], v114 offset0:93 offset1:94
	ds_read2_b64 v[119:122], v114 offset0:95 offset1:96
	s_waitcnt vmcnt(17) lgkmcnt(1)
	v_fma_f64 v[115:116], v[143:144], v[115:116], v[128:129]
	buffer_load_dword v128, off, s[0:3], 0 offset:380
	s_waitcnt vmcnt(17)
	v_fma_f64 v[115:116], v[141:142], v[117:118], v[115:116]
	buffer_load_dword v130, off, s[0:3], 0 offset:388
	buffer_load_dword v135, off, s[0:3], 0 offset:408
	;; [unrolled: 1-line block ×8, first 2 shown]
	s_waitcnt vmcnt(24) lgkmcnt(0)
	v_fma_f64 v[115:116], v[137:138], v[119:120], v[115:116]
	s_waitcnt vmcnt(19)
	v_fma_f64 v[123:124], v[123:124], v[121:122], v[115:116]
	ds_read2_b64 v[115:118], v114 offset0:97 offset1:98
	ds_read2_b64 v[119:122], v114 offset0:99 offset1:100
	s_waitcnt vmcnt(18) lgkmcnt(1)
	v_fma_f64 v[115:116], v[147:148], v[115:116], v[123:124]
	s_waitcnt vmcnt(17)
	v_fma_f64 v[115:116], v[145:146], v[117:118], v[115:116]
	buffer_load_dword v124, off, s[0:3], 0 offset:420
	buffer_load_dword v137, off, s[0:3], 0 offset:440
	;; [unrolled: 1-line block ×8, first 2 shown]
	s_waitcnt vmcnt(24) lgkmcnt(0)
	v_fma_f64 v[115:116], v[139:140], v[119:120], v[115:116]
	s_waitcnt vmcnt(19)
	v_fma_f64 v[125:126], v[125:126], v[121:122], v[115:116]
	ds_read2_b64 v[115:118], v114 offset0:101 offset1:102
	ds_read2_b64 v[119:122], v114 offset0:103 offset1:104
	s_waitcnt vmcnt(18) lgkmcnt(1)
	v_fma_f64 v[115:116], v[133:134], v[115:116], v[125:126]
	buffer_load_dword v125, off, s[0:3], 0 offset:128
	buffer_load_dword v126, off, s[0:3], 0 offset:132
	s_waitcnt vmcnt(19)
	v_fma_f64 v[115:116], v[131:132], v[117:118], v[115:116]
	s_waitcnt vmcnt(18) lgkmcnt(0)
	v_fma_f64 v[115:116], v[127:128], v[119:120], v[115:116]
	s_waitcnt vmcnt(13)
	v_fma_f64 v[127:128], v[129:130], v[121:122], v[115:116]
	ds_read2_b64 v[115:118], v114 offset0:105 offset1:106
	ds_read2_b64 v[119:122], v114 offset0:107 offset1:108
	s_waitcnt vmcnt(12) lgkmcnt(1)
	v_fma_f64 v[115:116], v[143:144], v[115:116], v[127:128]
	s_waitcnt vmcnt(11)
	v_fma_f64 v[115:116], v[141:142], v[117:118], v[115:116]
	s_waitcnt vmcnt(10) lgkmcnt(0)
	v_fma_f64 v[115:116], v[135:136], v[119:120], v[115:116]
	s_waitcnt vmcnt(5)
	v_fma_f64 v[119:120], v[123:124], v[121:122], v[115:116]
	ds_read2_b64 v[115:118], v114 offset0:109 offset1:110
	ds_read_b64 v[121:122], v114 offset:888
	s_waitcnt vmcnt(4) lgkmcnt(1)
	v_fma_f64 v[115:116], v[147:148], v[115:116], v[119:120]
	s_waitcnt vmcnt(3)
	v_fma_f64 v[115:116], v[145:146], v[117:118], v[115:116]
	s_waitcnt vmcnt(2) lgkmcnt(0)
	v_fma_f64 v[115:116], v[137:138], v[121:122], v[115:116]
	s_waitcnt vmcnt(0)
	v_add_f64 v[115:116], v[125:126], -v[115:116]
	buffer_store_dword v116, off, s[0:3], 0 offset:132
	buffer_store_dword v115, off, s[0:3], 0 offset:128
	s_and_saveexec_b64 s[4:5], vcc
	s_cbranch_execz .LBB55_313
; %bb.312:
	buffer_load_dword v115, off, s[0:3], 0 offset:120
	buffer_load_dword v116, off, s[0:3], 0 offset:124
	s_waitcnt vmcnt(0)
	ds_write_b64 v113, v[115:116]
	buffer_store_dword v114, off, s[0:3], 0 offset:120
	buffer_store_dword v114, off, s[0:3], 0 offset:124
.LBB55_313:
	s_or_b64 exec, exec, s[4:5]
	s_waitcnt lgkmcnt(0)
	; wave barrier
	buffer_load_dword v123, off, s[0:3], 0 offset:128
	buffer_load_dword v124, off, s[0:3], 0 offset:132
	;; [unrolled: 1-line block ×22, first 2 shown]
	ds_read_b128 v[115:118], v114 offset:576
	ds_read_b128 v[119:122], v114 offset:592
	v_cmp_lt_u32_e32 vcc, 14, v0
	s_waitcnt vmcnt(20) lgkmcnt(1)
	v_fma_f64 v[115:116], v[123:124], v[115:116], 0
	s_waitcnt vmcnt(18)
	v_fma_f64 v[115:116], v[125:126], v[117:118], v[115:116]
	buffer_load_dword v124, off, s[0:3], 0 offset:220
	buffer_load_dword v125, off, s[0:3], 0 offset:240
	;; [unrolled: 1-line block ×7, first 2 shown]
	s_waitcnt vmcnt(23) lgkmcnt(0)
	v_fma_f64 v[115:116], v[127:128], v[119:120], v[115:116]
	s_waitcnt vmcnt(21)
	v_fma_f64 v[126:127], v[129:130], v[121:122], v[115:116]
	ds_read_b128 v[115:118], v114 offset:608
	ds_read_b128 v[119:122], v114 offset:624
	s_waitcnt vmcnt(19) lgkmcnt(1)
	v_fma_f64 v[115:116], v[131:132], v[115:116], v[126:127]
	buffer_load_dword v126, off, s[0:3], 0 offset:244
	s_waitcnt vmcnt(18)
	v_fma_f64 v[115:116], v[133:134], v[117:118], v[115:116]
	buffer_load_dword v128, off, s[0:3], 0 offset:252
	buffer_load_dword v129, off, s[0:3], 0 offset:272
	;; [unrolled: 1-line block ×8, first 2 shown]
	s_waitcnt vmcnt(24) lgkmcnt(0)
	v_fma_f64 v[115:116], v[135:136], v[119:120], v[115:116]
	s_waitcnt vmcnt(19)
	v_fma_f64 v[135:136], v[137:138], v[121:122], v[115:116]
	ds_read_b128 v[115:118], v114 offset:640
	ds_read_b128 v[119:122], v114 offset:656
	s_waitcnt vmcnt(18) lgkmcnt(1)
	v_fma_f64 v[115:116], v[143:144], v[115:116], v[135:136]
	s_waitcnt vmcnt(17)
	v_fma_f64 v[115:116], v[141:142], v[117:118], v[115:116]
	buffer_load_dword v136, off, s[0:3], 0 offset:284
	buffer_load_dword v137, off, s[0:3], 0 offset:304
	buffer_load_dword v141, off, s[0:3], 0 offset:296
	buffer_load_dword v143, off, s[0:3], 0 offset:288
	buffer_load_dword v135, off, s[0:3], 0 offset:280
	buffer_load_dword v144, off, s[0:3], 0 offset:292
	buffer_load_dword v142, off, s[0:3], 0 offset:300
	buffer_load_dword v138, off, s[0:3], 0 offset:308
	s_waitcnt vmcnt(24) lgkmcnt(0)
	v_fma_f64 v[115:116], v[139:140], v[119:120], v[115:116]
	s_waitcnt vmcnt(19)
	v_fma_f64 v[123:124], v[123:124], v[121:122], v[115:116]
	ds_read_b128 v[115:118], v114 offset:672
	ds_read_b128 v[119:122], v114 offset:688
	s_waitcnt vmcnt(18) lgkmcnt(1)
	v_fma_f64 v[115:116], v[147:148], v[115:116], v[123:124]
	s_waitcnt vmcnt(17)
	v_fma_f64 v[115:116], v[145:146], v[117:118], v[115:116]
	buffer_load_dword v124, off, s[0:3], 0 offset:316
	buffer_load_dword v139, off, s[0:3], 0 offset:336
	;; [unrolled: 1-line block ×7, first 2 shown]
	s_waitcnt vmcnt(23) lgkmcnt(0)
	v_fma_f64 v[115:116], v[125:126], v[119:120], v[115:116]
	s_waitcnt vmcnt(18)
	v_fma_f64 v[125:126], v[127:128], v[121:122], v[115:116]
	ds_read_b128 v[115:118], v114 offset:704
	ds_read_b128 v[119:122], v114 offset:720
	buffer_load_dword v140, off, s[0:3], 0 offset:340
	s_waitcnt vmcnt(18) lgkmcnt(1)
	v_fma_f64 v[115:116], v[133:134], v[115:116], v[125:126]
	s_waitcnt vmcnt(17)
	v_fma_f64 v[115:116], v[131:132], v[117:118], v[115:116]
	buffer_load_dword v126, off, s[0:3], 0 offset:348
	buffer_load_dword v127, off, s[0:3], 0 offset:368
	;; [unrolled: 1-line block ×7, first 2 shown]
	s_waitcnt vmcnt(23) lgkmcnt(0)
	v_fma_f64 v[115:116], v[129:130], v[119:120], v[115:116]
	s_waitcnt vmcnt(18)
	v_fma_f64 v[128:129], v[135:136], v[121:122], v[115:116]
	ds_read_b128 v[115:118], v114 offset:736
	ds_read_b128 v[119:122], v114 offset:752
	s_waitcnt vmcnt(17) lgkmcnt(1)
	v_fma_f64 v[115:116], v[143:144], v[115:116], v[128:129]
	buffer_load_dword v128, off, s[0:3], 0 offset:372
	s_waitcnt vmcnt(17)
	v_fma_f64 v[115:116], v[141:142], v[117:118], v[115:116]
	buffer_load_dword v130, off, s[0:3], 0 offset:380
	buffer_load_dword v135, off, s[0:3], 0 offset:400
	;; [unrolled: 1-line block ×8, first 2 shown]
	s_waitcnt vmcnt(24) lgkmcnt(0)
	v_fma_f64 v[115:116], v[137:138], v[119:120], v[115:116]
	s_waitcnt vmcnt(19)
	v_fma_f64 v[123:124], v[123:124], v[121:122], v[115:116]
	ds_read_b128 v[115:118], v114 offset:768
	ds_read_b128 v[119:122], v114 offset:784
	s_waitcnt vmcnt(18) lgkmcnt(1)
	v_fma_f64 v[115:116], v[147:148], v[115:116], v[123:124]
	s_waitcnt vmcnt(17)
	v_fma_f64 v[115:116], v[145:146], v[117:118], v[115:116]
	buffer_load_dword v124, off, s[0:3], 0 offset:412
	buffer_load_dword v137, off, s[0:3], 0 offset:432
	;; [unrolled: 1-line block ×8, first 2 shown]
	s_waitcnt vmcnt(24) lgkmcnt(0)
	v_fma_f64 v[115:116], v[139:140], v[119:120], v[115:116]
	s_waitcnt vmcnt(19)
	v_fma_f64 v[125:126], v[125:126], v[121:122], v[115:116]
	ds_read_b128 v[115:118], v114 offset:800
	ds_read_b128 v[119:122], v114 offset:816
	s_waitcnt vmcnt(18) lgkmcnt(1)
	v_fma_f64 v[115:116], v[133:134], v[115:116], v[125:126]
	buffer_load_dword v126, off, s[0:3], 0 offset:444
	buffer_load_dword v125, off, s[0:3], 0 offset:440
	s_waitcnt vmcnt(19)
	v_fma_f64 v[115:116], v[131:132], v[117:118], v[115:116]
	buffer_load_dword v131, off, s[0:3], 0 offset:120
	buffer_load_dword v132, off, s[0:3], 0 offset:124
	s_waitcnt vmcnt(20) lgkmcnt(0)
	v_fma_f64 v[115:116], v[127:128], v[119:120], v[115:116]
	s_waitcnt vmcnt(15)
	v_fma_f64 v[127:128], v[129:130], v[121:122], v[115:116]
	ds_read_b128 v[115:118], v114 offset:832
	ds_read_b128 v[119:122], v114 offset:848
	s_waitcnt vmcnt(14) lgkmcnt(1)
	v_fma_f64 v[115:116], v[143:144], v[115:116], v[127:128]
	s_waitcnt vmcnt(13)
	v_fma_f64 v[115:116], v[141:142], v[117:118], v[115:116]
	s_waitcnt vmcnt(12) lgkmcnt(0)
	v_fma_f64 v[115:116], v[135:136], v[119:120], v[115:116]
	s_waitcnt vmcnt(7)
	v_fma_f64 v[123:124], v[123:124], v[121:122], v[115:116]
	ds_read_b128 v[115:118], v114 offset:864
	ds_read_b128 v[119:122], v114 offset:880
	s_waitcnt vmcnt(6) lgkmcnt(1)
	v_fma_f64 v[114:115], v[147:148], v[115:116], v[123:124]
	s_waitcnt vmcnt(5)
	v_fma_f64 v[114:115], v[145:146], v[117:118], v[114:115]
	s_waitcnt vmcnt(4) lgkmcnt(0)
	v_fma_f64 v[114:115], v[137:138], v[119:120], v[114:115]
	s_waitcnt vmcnt(2)
	v_fma_f64 v[114:115], v[125:126], v[121:122], v[114:115]
	s_waitcnt vmcnt(0)
	v_add_f64 v[114:115], v[131:132], -v[114:115]
	buffer_store_dword v115, off, s[0:3], 0 offset:124
	buffer_store_dword v114, off, s[0:3], 0 offset:120
	s_and_saveexec_b64 s[4:5], vcc
	s_cbranch_execz .LBB55_315
; %bb.314:
	buffer_load_dword v114, off, s[0:3], 0 offset:112
	buffer_load_dword v115, off, s[0:3], 0 offset:116
	v_mov_b32_e32 v116, 0
	buffer_store_dword v116, off, s[0:3], 0 offset:112
	buffer_store_dword v116, off, s[0:3], 0 offset:116
	s_waitcnt vmcnt(2)
	ds_write_b64 v113, v[114:115]
.LBB55_315:
	s_or_b64 exec, exec, s[4:5]
	s_waitcnt lgkmcnt(0)
	; wave barrier
	buffer_load_dword v123, off, s[0:3], 0 offset:120
	buffer_load_dword v124, off, s[0:3], 0 offset:124
	;; [unrolled: 1-line block ×22, first 2 shown]
	v_mov_b32_e32 v114, 0
	ds_read2_b64 v[115:118], v114 offset0:71 offset1:72
	ds_read2_b64 v[119:122], v114 offset0:73 offset1:74
	v_cmp_lt_u32_e32 vcc, 13, v0
	s_waitcnt vmcnt(20) lgkmcnt(1)
	v_fma_f64 v[115:116], v[123:124], v[115:116], 0
	s_waitcnt vmcnt(18)
	v_fma_f64 v[115:116], v[125:126], v[117:118], v[115:116]
	buffer_load_dword v124, off, s[0:3], 0 offset:212
	buffer_load_dword v125, off, s[0:3], 0 offset:232
	buffer_load_dword v145, off, s[0:3], 0 offset:224
	buffer_load_dword v147, off, s[0:3], 0 offset:216
	buffer_load_dword v123, off, s[0:3], 0 offset:208
	buffer_load_dword v148, off, s[0:3], 0 offset:220
	buffer_load_dword v146, off, s[0:3], 0 offset:228
	s_waitcnt vmcnt(23) lgkmcnt(0)
	v_fma_f64 v[115:116], v[127:128], v[119:120], v[115:116]
	s_waitcnt vmcnt(21)
	v_fma_f64 v[126:127], v[129:130], v[121:122], v[115:116]
	ds_read2_b64 v[115:118], v114 offset0:75 offset1:76
	ds_read2_b64 v[119:122], v114 offset0:77 offset1:78
	s_waitcnt vmcnt(19) lgkmcnt(1)
	v_fma_f64 v[115:116], v[131:132], v[115:116], v[126:127]
	buffer_load_dword v126, off, s[0:3], 0 offset:236
	s_waitcnt vmcnt(18)
	v_fma_f64 v[115:116], v[133:134], v[117:118], v[115:116]
	buffer_load_dword v128, off, s[0:3], 0 offset:244
	buffer_load_dword v129, off, s[0:3], 0 offset:264
	;; [unrolled: 1-line block ×7, first 2 shown]
	s_waitcnt vmcnt(23) lgkmcnt(0)
	v_fma_f64 v[115:116], v[135:136], v[119:120], v[115:116]
	s_waitcnt vmcnt(18)
	v_fma_f64 v[135:136], v[137:138], v[121:122], v[115:116]
	ds_read2_b64 v[115:118], v114 offset0:79 offset1:80
	ds_read2_b64 v[119:122], v114 offset0:81 offset1:82
	buffer_load_dword v130, off, s[0:3], 0 offset:268
	s_waitcnt vmcnt(18) lgkmcnt(1)
	v_fma_f64 v[115:116], v[143:144], v[115:116], v[135:136]
	s_waitcnt vmcnt(17)
	v_fma_f64 v[115:116], v[141:142], v[117:118], v[115:116]
	buffer_load_dword v136, off, s[0:3], 0 offset:276
	buffer_load_dword v137, off, s[0:3], 0 offset:296
	;; [unrolled: 1-line block ×8, first 2 shown]
	s_waitcnt vmcnt(24) lgkmcnt(0)
	v_fma_f64 v[115:116], v[139:140], v[119:120], v[115:116]
	s_waitcnt vmcnt(19)
	v_fma_f64 v[123:124], v[123:124], v[121:122], v[115:116]
	ds_read2_b64 v[115:118], v114 offset0:83 offset1:84
	ds_read2_b64 v[119:122], v114 offset0:85 offset1:86
	s_waitcnt vmcnt(18) lgkmcnt(1)
	v_fma_f64 v[115:116], v[147:148], v[115:116], v[123:124]
	s_waitcnt vmcnt(17)
	v_fma_f64 v[115:116], v[145:146], v[117:118], v[115:116]
	buffer_load_dword v124, off, s[0:3], 0 offset:308
	buffer_load_dword v139, off, s[0:3], 0 offset:328
	;; [unrolled: 1-line block ×7, first 2 shown]
	s_waitcnt vmcnt(23) lgkmcnt(0)
	v_fma_f64 v[115:116], v[125:126], v[119:120], v[115:116]
	s_waitcnt vmcnt(18)
	v_fma_f64 v[125:126], v[127:128], v[121:122], v[115:116]
	ds_read2_b64 v[115:118], v114 offset0:87 offset1:88
	ds_read2_b64 v[119:122], v114 offset0:89 offset1:90
	buffer_load_dword v140, off, s[0:3], 0 offset:332
	s_waitcnt vmcnt(18) lgkmcnt(1)
	v_fma_f64 v[115:116], v[133:134], v[115:116], v[125:126]
	s_waitcnt vmcnt(17)
	v_fma_f64 v[115:116], v[131:132], v[117:118], v[115:116]
	buffer_load_dword v126, off, s[0:3], 0 offset:340
	buffer_load_dword v127, off, s[0:3], 0 offset:360
	;; [unrolled: 1-line block ×7, first 2 shown]
	s_waitcnt vmcnt(23) lgkmcnt(0)
	v_fma_f64 v[115:116], v[129:130], v[119:120], v[115:116]
	s_waitcnt vmcnt(18)
	v_fma_f64 v[128:129], v[135:136], v[121:122], v[115:116]
	ds_read2_b64 v[115:118], v114 offset0:91 offset1:92
	ds_read2_b64 v[119:122], v114 offset0:93 offset1:94
	s_waitcnt vmcnt(17) lgkmcnt(1)
	v_fma_f64 v[115:116], v[143:144], v[115:116], v[128:129]
	buffer_load_dword v128, off, s[0:3], 0 offset:364
	s_waitcnt vmcnt(17)
	v_fma_f64 v[115:116], v[141:142], v[117:118], v[115:116]
	buffer_load_dword v130, off, s[0:3], 0 offset:372
	buffer_load_dword v135, off, s[0:3], 0 offset:392
	;; [unrolled: 1-line block ×8, first 2 shown]
	s_waitcnt vmcnt(24) lgkmcnt(0)
	v_fma_f64 v[115:116], v[137:138], v[119:120], v[115:116]
	s_waitcnt vmcnt(19)
	v_fma_f64 v[123:124], v[123:124], v[121:122], v[115:116]
	ds_read2_b64 v[115:118], v114 offset0:95 offset1:96
	ds_read2_b64 v[119:122], v114 offset0:97 offset1:98
	s_waitcnt vmcnt(18) lgkmcnt(1)
	v_fma_f64 v[115:116], v[147:148], v[115:116], v[123:124]
	s_waitcnt vmcnt(17)
	v_fma_f64 v[115:116], v[145:146], v[117:118], v[115:116]
	buffer_load_dword v124, off, s[0:3], 0 offset:404
	buffer_load_dword v137, off, s[0:3], 0 offset:424
	;; [unrolled: 1-line block ×7, first 2 shown]
	s_waitcnt vmcnt(23) lgkmcnt(0)
	v_fma_f64 v[115:116], v[139:140], v[119:120], v[115:116]
	s_waitcnt vmcnt(18)
	v_fma_f64 v[125:126], v[125:126], v[121:122], v[115:116]
	ds_read2_b64 v[115:118], v114 offset0:99 offset1:100
	ds_read2_b64 v[119:122], v114 offset0:101 offset1:102
	buffer_load_dword v138, off, s[0:3], 0 offset:428
	s_waitcnt vmcnt(18) lgkmcnt(1)
	v_fma_f64 v[115:116], v[133:134], v[115:116], v[125:126]
	s_waitcnt vmcnt(17)
	v_fma_f64 v[115:116], v[131:132], v[117:118], v[115:116]
	buffer_load_dword v126, off, s[0:3], 0 offset:436
	buffer_load_dword v131, off, s[0:3], 0 offset:440
	;; [unrolled: 1-line block ×4, first 2 shown]
	s_waitcnt vmcnt(20) lgkmcnt(0)
	v_fma_f64 v[115:116], v[127:128], v[119:120], v[115:116]
	buffer_load_dword v127, off, s[0:3], 0 offset:112
	buffer_load_dword v128, off, s[0:3], 0 offset:116
	s_waitcnt vmcnt(17)
	v_fma_f64 v[129:130], v[129:130], v[121:122], v[115:116]
	ds_read2_b64 v[115:118], v114 offset0:103 offset1:104
	ds_read2_b64 v[119:122], v114 offset0:105 offset1:106
	s_waitcnt vmcnt(16) lgkmcnt(1)
	v_fma_f64 v[115:116], v[143:144], v[115:116], v[129:130]
	s_waitcnt vmcnt(15)
	v_fma_f64 v[115:116], v[141:142], v[117:118], v[115:116]
	s_waitcnt vmcnt(14) lgkmcnt(0)
	v_fma_f64 v[115:116], v[135:136], v[119:120], v[115:116]
	s_waitcnt vmcnt(9)
	v_fma_f64 v[123:124], v[123:124], v[121:122], v[115:116]
	ds_read2_b64 v[115:118], v114 offset0:107 offset1:108
	ds_read2_b64 v[119:122], v114 offset0:109 offset1:110
	s_waitcnt vmcnt(8) lgkmcnt(1)
	v_fma_f64 v[115:116], v[147:148], v[115:116], v[123:124]
	s_waitcnt vmcnt(7)
	v_fma_f64 v[115:116], v[145:146], v[117:118], v[115:116]
	ds_read_b64 v[117:118], v114 offset:888
	s_waitcnt vmcnt(6) lgkmcnt(1)
	v_fma_f64 v[115:116], v[137:138], v[119:120], v[115:116]
	s_waitcnt vmcnt(3)
	v_fma_f64 v[115:116], v[125:126], v[121:122], v[115:116]
	s_waitcnt vmcnt(2) lgkmcnt(0)
	v_fma_f64 v[115:116], v[131:132], v[117:118], v[115:116]
	s_waitcnt vmcnt(0)
	v_add_f64 v[115:116], v[127:128], -v[115:116]
	buffer_store_dword v116, off, s[0:3], 0 offset:116
	buffer_store_dword v115, off, s[0:3], 0 offset:112
	s_and_saveexec_b64 s[4:5], vcc
	s_cbranch_execz .LBB55_317
; %bb.316:
	buffer_load_dword v115, off, s[0:3], 0 offset:104
	buffer_load_dword v116, off, s[0:3], 0 offset:108
	s_waitcnt vmcnt(0)
	ds_write_b64 v113, v[115:116]
	buffer_store_dword v114, off, s[0:3], 0 offset:104
	buffer_store_dword v114, off, s[0:3], 0 offset:108
.LBB55_317:
	s_or_b64 exec, exec, s[4:5]
	s_waitcnt lgkmcnt(0)
	; wave barrier
	buffer_load_dword v123, off, s[0:3], 0 offset:112
	buffer_load_dword v124, off, s[0:3], 0 offset:116
	;; [unrolled: 1-line block ×22, first 2 shown]
	ds_read_b128 v[115:118], v114 offset:560
	ds_read_b128 v[119:122], v114 offset:576
	v_cmp_lt_u32_e32 vcc, 12, v0
	s_waitcnt vmcnt(20) lgkmcnt(1)
	v_fma_f64 v[115:116], v[123:124], v[115:116], 0
	s_waitcnt vmcnt(18)
	v_fma_f64 v[115:116], v[125:126], v[117:118], v[115:116]
	buffer_load_dword v124, off, s[0:3], 0 offset:204
	buffer_load_dword v125, off, s[0:3], 0 offset:224
	;; [unrolled: 1-line block ×7, first 2 shown]
	s_waitcnt vmcnt(23) lgkmcnt(0)
	v_fma_f64 v[115:116], v[127:128], v[119:120], v[115:116]
	s_waitcnt vmcnt(21)
	v_fma_f64 v[126:127], v[129:130], v[121:122], v[115:116]
	ds_read_b128 v[115:118], v114 offset:592
	ds_read_b128 v[119:122], v114 offset:608
	s_waitcnt vmcnt(19) lgkmcnt(1)
	v_fma_f64 v[115:116], v[131:132], v[115:116], v[126:127]
	buffer_load_dword v126, off, s[0:3], 0 offset:228
	s_waitcnt vmcnt(18)
	v_fma_f64 v[115:116], v[133:134], v[117:118], v[115:116]
	buffer_load_dword v128, off, s[0:3], 0 offset:236
	buffer_load_dword v129, off, s[0:3], 0 offset:256
	buffer_load_dword v131, off, s[0:3], 0 offset:248
	buffer_load_dword v133, off, s[0:3], 0 offset:240
	buffer_load_dword v127, off, s[0:3], 0 offset:232
	buffer_load_dword v134, off, s[0:3], 0 offset:244
	buffer_load_dword v132, off, s[0:3], 0 offset:252
	s_waitcnt vmcnt(23) lgkmcnt(0)
	v_fma_f64 v[115:116], v[135:136], v[119:120], v[115:116]
	s_waitcnt vmcnt(18)
	v_fma_f64 v[135:136], v[137:138], v[121:122], v[115:116]
	ds_read_b128 v[115:118], v114 offset:624
	ds_read_b128 v[119:122], v114 offset:640
	buffer_load_dword v130, off, s[0:3], 0 offset:260
	s_waitcnt vmcnt(18) lgkmcnt(1)
	v_fma_f64 v[115:116], v[143:144], v[115:116], v[135:136]
	s_waitcnt vmcnt(17)
	v_fma_f64 v[115:116], v[141:142], v[117:118], v[115:116]
	buffer_load_dword v136, off, s[0:3], 0 offset:268
	buffer_load_dword v137, off, s[0:3], 0 offset:288
	;; [unrolled: 1-line block ×8, first 2 shown]
	s_waitcnt vmcnt(24) lgkmcnt(0)
	v_fma_f64 v[115:116], v[139:140], v[119:120], v[115:116]
	s_waitcnt vmcnt(19)
	v_fma_f64 v[123:124], v[123:124], v[121:122], v[115:116]
	ds_read_b128 v[115:118], v114 offset:656
	ds_read_b128 v[119:122], v114 offset:672
	s_waitcnt vmcnt(18) lgkmcnt(1)
	v_fma_f64 v[115:116], v[147:148], v[115:116], v[123:124]
	s_waitcnt vmcnt(17)
	v_fma_f64 v[115:116], v[145:146], v[117:118], v[115:116]
	buffer_load_dword v124, off, s[0:3], 0 offset:300
	buffer_load_dword v139, off, s[0:3], 0 offset:320
	;; [unrolled: 1-line block ×8, first 2 shown]
	s_waitcnt vmcnt(24) lgkmcnt(0)
	v_fma_f64 v[115:116], v[125:126], v[119:120], v[115:116]
	s_waitcnt vmcnt(19)
	v_fma_f64 v[125:126], v[127:128], v[121:122], v[115:116]
	ds_read_b128 v[115:118], v114 offset:688
	ds_read_b128 v[119:122], v114 offset:704
	s_waitcnt vmcnt(18) lgkmcnt(1)
	v_fma_f64 v[115:116], v[133:134], v[115:116], v[125:126]
	s_waitcnt vmcnt(17)
	v_fma_f64 v[115:116], v[131:132], v[117:118], v[115:116]
	buffer_load_dword v126, off, s[0:3], 0 offset:332
	buffer_load_dword v127, off, s[0:3], 0 offset:352
	;; [unrolled: 1-line block ×7, first 2 shown]
	s_waitcnt vmcnt(23) lgkmcnt(0)
	v_fma_f64 v[115:116], v[129:130], v[119:120], v[115:116]
	s_waitcnt vmcnt(18)
	v_fma_f64 v[128:129], v[135:136], v[121:122], v[115:116]
	ds_read_b128 v[115:118], v114 offset:720
	ds_read_b128 v[119:122], v114 offset:736
	s_waitcnt vmcnt(17) lgkmcnt(1)
	v_fma_f64 v[115:116], v[143:144], v[115:116], v[128:129]
	buffer_load_dword v128, off, s[0:3], 0 offset:356
	s_waitcnt vmcnt(17)
	v_fma_f64 v[115:116], v[141:142], v[117:118], v[115:116]
	buffer_load_dword v130, off, s[0:3], 0 offset:364
	buffer_load_dword v135, off, s[0:3], 0 offset:384
	;; [unrolled: 1-line block ×8, first 2 shown]
	s_waitcnt vmcnt(24) lgkmcnt(0)
	v_fma_f64 v[115:116], v[137:138], v[119:120], v[115:116]
	s_waitcnt vmcnt(19)
	v_fma_f64 v[123:124], v[123:124], v[121:122], v[115:116]
	ds_read_b128 v[115:118], v114 offset:752
	ds_read_b128 v[119:122], v114 offset:768
	s_waitcnt vmcnt(18) lgkmcnt(1)
	v_fma_f64 v[115:116], v[147:148], v[115:116], v[123:124]
	s_waitcnt vmcnt(17)
	v_fma_f64 v[115:116], v[145:146], v[117:118], v[115:116]
	buffer_load_dword v124, off, s[0:3], 0 offset:396
	buffer_load_dword v137, off, s[0:3], 0 offset:416
	;; [unrolled: 1-line block ×8, first 2 shown]
	s_waitcnt vmcnt(24) lgkmcnt(0)
	v_fma_f64 v[115:116], v[139:140], v[119:120], v[115:116]
	s_waitcnt vmcnt(19)
	v_fma_f64 v[125:126], v[125:126], v[121:122], v[115:116]
	ds_read_b128 v[115:118], v114 offset:784
	ds_read_b128 v[119:122], v114 offset:800
	s_waitcnt vmcnt(18) lgkmcnt(1)
	v_fma_f64 v[115:116], v[133:134], v[115:116], v[125:126]
	s_waitcnt vmcnt(17)
	v_fma_f64 v[115:116], v[131:132], v[117:118], v[115:116]
	buffer_load_dword v126, off, s[0:3], 0 offset:428
	buffer_load_dword v131, off, s[0:3], 0 offset:440
	;; [unrolled: 1-line block ×6, first 2 shown]
	s_waitcnt vmcnt(22) lgkmcnt(0)
	v_fma_f64 v[115:116], v[127:128], v[119:120], v[115:116]
	s_waitcnt vmcnt(17)
	v_fma_f64 v[127:128], v[129:130], v[121:122], v[115:116]
	ds_read_b128 v[115:118], v114 offset:816
	buffer_load_dword v129, off, s[0:3], 0 offset:104
	buffer_load_dword v130, off, s[0:3], 0 offset:108
	ds_read_b128 v[119:122], v114 offset:832
	s_waitcnt vmcnt(18) lgkmcnt(1)
	v_fma_f64 v[115:116], v[143:144], v[115:116], v[127:128]
	s_waitcnt vmcnt(17)
	v_fma_f64 v[115:116], v[141:142], v[117:118], v[115:116]
	s_waitcnt vmcnt(16) lgkmcnt(0)
	v_fma_f64 v[115:116], v[135:136], v[119:120], v[115:116]
	s_waitcnt vmcnt(11)
	v_fma_f64 v[123:124], v[123:124], v[121:122], v[115:116]
	ds_read_b128 v[115:118], v114 offset:848
	ds_read_b128 v[119:122], v114 offset:864
	s_waitcnt vmcnt(10) lgkmcnt(1)
	v_fma_f64 v[115:116], v[147:148], v[115:116], v[123:124]
	s_waitcnt vmcnt(9)
	v_fma_f64 v[115:116], v[145:146], v[117:118], v[115:116]
	s_waitcnt vmcnt(8) lgkmcnt(0)
	v_fma_f64 v[115:116], v[137:138], v[119:120], v[115:116]
	s_waitcnt vmcnt(4)
	v_fma_f64 v[118:119], v[125:126], v[121:122], v[115:116]
	ds_read_b128 v[114:117], v114 offset:880
	s_waitcnt vmcnt(3) lgkmcnt(0)
	v_fma_f64 v[114:115], v[133:134], v[114:115], v[118:119]
	s_waitcnt vmcnt(2)
	v_fma_f64 v[114:115], v[131:132], v[116:117], v[114:115]
	s_waitcnt vmcnt(0)
	v_add_f64 v[114:115], v[129:130], -v[114:115]
	buffer_store_dword v115, off, s[0:3], 0 offset:108
	buffer_store_dword v114, off, s[0:3], 0 offset:104
	s_and_saveexec_b64 s[4:5], vcc
	s_cbranch_execz .LBB55_319
; %bb.318:
	buffer_load_dword v114, off, s[0:3], 0 offset:96
	buffer_load_dword v115, off, s[0:3], 0 offset:100
	v_mov_b32_e32 v116, 0
	buffer_store_dword v116, off, s[0:3], 0 offset:96
	buffer_store_dword v116, off, s[0:3], 0 offset:100
	s_waitcnt vmcnt(2)
	ds_write_b64 v113, v[114:115]
.LBB55_319:
	s_or_b64 exec, exec, s[4:5]
	s_waitcnt lgkmcnt(0)
	; wave barrier
	buffer_load_dword v123, off, s[0:3], 0 offset:104
	buffer_load_dword v124, off, s[0:3], 0 offset:108
	;; [unrolled: 1-line block ×22, first 2 shown]
	v_mov_b32_e32 v114, 0
	ds_read2_b64 v[115:118], v114 offset0:69 offset1:70
	ds_read2_b64 v[119:122], v114 offset0:71 offset1:72
	v_cmp_lt_u32_e32 vcc, 11, v0
	s_waitcnt vmcnt(20) lgkmcnt(1)
	v_fma_f64 v[115:116], v[123:124], v[115:116], 0
	s_waitcnt vmcnt(18)
	v_fma_f64 v[115:116], v[125:126], v[117:118], v[115:116]
	buffer_load_dword v124, off, s[0:3], 0 offset:196
	buffer_load_dword v125, off, s[0:3], 0 offset:216
	buffer_load_dword v145, off, s[0:3], 0 offset:208
	buffer_load_dword v147, off, s[0:3], 0 offset:200
	buffer_load_dword v123, off, s[0:3], 0 offset:192
	buffer_load_dword v148, off, s[0:3], 0 offset:204
	buffer_load_dword v146, off, s[0:3], 0 offset:212
	s_waitcnt vmcnt(23) lgkmcnt(0)
	v_fma_f64 v[115:116], v[127:128], v[119:120], v[115:116]
	s_waitcnt vmcnt(21)
	v_fma_f64 v[126:127], v[129:130], v[121:122], v[115:116]
	ds_read2_b64 v[115:118], v114 offset0:73 offset1:74
	ds_read2_b64 v[119:122], v114 offset0:75 offset1:76
	s_waitcnt vmcnt(19) lgkmcnt(1)
	v_fma_f64 v[115:116], v[131:132], v[115:116], v[126:127]
	buffer_load_dword v126, off, s[0:3], 0 offset:220
	s_waitcnt vmcnt(18)
	v_fma_f64 v[115:116], v[133:134], v[117:118], v[115:116]
	buffer_load_dword v128, off, s[0:3], 0 offset:228
	buffer_load_dword v129, off, s[0:3], 0 offset:248
	;; [unrolled: 1-line block ×7, first 2 shown]
	s_waitcnt vmcnt(23) lgkmcnt(0)
	v_fma_f64 v[115:116], v[135:136], v[119:120], v[115:116]
	s_waitcnt vmcnt(18)
	v_fma_f64 v[135:136], v[137:138], v[121:122], v[115:116]
	ds_read2_b64 v[115:118], v114 offset0:77 offset1:78
	ds_read2_b64 v[119:122], v114 offset0:79 offset1:80
	buffer_load_dword v130, off, s[0:3], 0 offset:252
	s_waitcnt vmcnt(18) lgkmcnt(1)
	v_fma_f64 v[115:116], v[143:144], v[115:116], v[135:136]
	s_waitcnt vmcnt(17)
	v_fma_f64 v[115:116], v[141:142], v[117:118], v[115:116]
	buffer_load_dword v136, off, s[0:3], 0 offset:260
	buffer_load_dword v137, off, s[0:3], 0 offset:280
	;; [unrolled: 1-line block ×8, first 2 shown]
	s_waitcnt vmcnt(24) lgkmcnt(0)
	v_fma_f64 v[115:116], v[139:140], v[119:120], v[115:116]
	s_waitcnt vmcnt(19)
	v_fma_f64 v[123:124], v[123:124], v[121:122], v[115:116]
	ds_read2_b64 v[115:118], v114 offset0:81 offset1:82
	ds_read2_b64 v[119:122], v114 offset0:83 offset1:84
	s_waitcnt vmcnt(18) lgkmcnt(1)
	v_fma_f64 v[115:116], v[147:148], v[115:116], v[123:124]
	s_waitcnt vmcnt(17)
	v_fma_f64 v[115:116], v[145:146], v[117:118], v[115:116]
	buffer_load_dword v124, off, s[0:3], 0 offset:292
	buffer_load_dword v139, off, s[0:3], 0 offset:312
	;; [unrolled: 1-line block ×8, first 2 shown]
	s_waitcnt vmcnt(24) lgkmcnt(0)
	v_fma_f64 v[115:116], v[125:126], v[119:120], v[115:116]
	s_waitcnt vmcnt(19)
	v_fma_f64 v[125:126], v[127:128], v[121:122], v[115:116]
	ds_read2_b64 v[115:118], v114 offset0:85 offset1:86
	ds_read2_b64 v[119:122], v114 offset0:87 offset1:88
	s_waitcnt vmcnt(18) lgkmcnt(1)
	v_fma_f64 v[115:116], v[133:134], v[115:116], v[125:126]
	s_waitcnt vmcnt(17)
	v_fma_f64 v[115:116], v[131:132], v[117:118], v[115:116]
	buffer_load_dword v126, off, s[0:3], 0 offset:324
	buffer_load_dword v127, off, s[0:3], 0 offset:344
	;; [unrolled: 1-line block ×7, first 2 shown]
	s_waitcnt vmcnt(23) lgkmcnt(0)
	v_fma_f64 v[115:116], v[129:130], v[119:120], v[115:116]
	s_waitcnt vmcnt(18)
	v_fma_f64 v[128:129], v[135:136], v[121:122], v[115:116]
	ds_read2_b64 v[115:118], v114 offset0:89 offset1:90
	ds_read2_b64 v[119:122], v114 offset0:91 offset1:92
	s_waitcnt vmcnt(17) lgkmcnt(1)
	v_fma_f64 v[115:116], v[143:144], v[115:116], v[128:129]
	buffer_load_dword v128, off, s[0:3], 0 offset:348
	s_waitcnt vmcnt(17)
	v_fma_f64 v[115:116], v[141:142], v[117:118], v[115:116]
	buffer_load_dword v130, off, s[0:3], 0 offset:356
	buffer_load_dword v135, off, s[0:3], 0 offset:376
	buffer_load_dword v141, off, s[0:3], 0 offset:368
	buffer_load_dword v143, off, s[0:3], 0 offset:360
	buffer_load_dword v129, off, s[0:3], 0 offset:352
	buffer_load_dword v144, off, s[0:3], 0 offset:364
	buffer_load_dword v142, off, s[0:3], 0 offset:372
	buffer_load_dword v136, off, s[0:3], 0 offset:380
	s_waitcnt vmcnt(24) lgkmcnt(0)
	v_fma_f64 v[115:116], v[137:138], v[119:120], v[115:116]
	s_waitcnt vmcnt(19)
	v_fma_f64 v[123:124], v[123:124], v[121:122], v[115:116]
	ds_read2_b64 v[115:118], v114 offset0:93 offset1:94
	ds_read2_b64 v[119:122], v114 offset0:95 offset1:96
	s_waitcnt vmcnt(18) lgkmcnt(1)
	v_fma_f64 v[115:116], v[147:148], v[115:116], v[123:124]
	s_waitcnt vmcnt(17)
	v_fma_f64 v[115:116], v[145:146], v[117:118], v[115:116]
	buffer_load_dword v124, off, s[0:3], 0 offset:388
	buffer_load_dword v137, off, s[0:3], 0 offset:408
	buffer_load_dword v145, off, s[0:3], 0 offset:400
	buffer_load_dword v147, off, s[0:3], 0 offset:392
	buffer_load_dword v123, off, s[0:3], 0 offset:384
	buffer_load_dword v148, off, s[0:3], 0 offset:396
	buffer_load_dword v146, off, s[0:3], 0 offset:404
	buffer_load_dword v138, off, s[0:3], 0 offset:412
	s_waitcnt vmcnt(24) lgkmcnt(0)
	v_fma_f64 v[115:116], v[139:140], v[119:120], v[115:116]
	s_waitcnt vmcnt(19)
	v_fma_f64 v[125:126], v[125:126], v[121:122], v[115:116]
	ds_read2_b64 v[115:118], v114 offset0:97 offset1:98
	ds_read2_b64 v[119:122], v114 offset0:99 offset1:100
	s_waitcnt vmcnt(18) lgkmcnt(1)
	v_fma_f64 v[115:116], v[133:134], v[115:116], v[125:126]
	;; [unrolled: 18-line block ×3, first 2 shown]
	buffer_load_dword v127, off, s[0:3], 0 offset:96
	buffer_load_dword v128, off, s[0:3], 0 offset:100
	s_waitcnt vmcnt(19)
	v_fma_f64 v[115:116], v[141:142], v[117:118], v[115:116]
	s_waitcnt vmcnt(18) lgkmcnt(0)
	v_fma_f64 v[115:116], v[135:136], v[119:120], v[115:116]
	s_waitcnt vmcnt(13)
	v_fma_f64 v[123:124], v[123:124], v[121:122], v[115:116]
	ds_read2_b64 v[115:118], v114 offset0:105 offset1:106
	ds_read2_b64 v[119:122], v114 offset0:107 offset1:108
	s_waitcnt vmcnt(12) lgkmcnt(1)
	v_fma_f64 v[115:116], v[147:148], v[115:116], v[123:124]
	s_waitcnt vmcnt(11)
	v_fma_f64 v[115:116], v[145:146], v[117:118], v[115:116]
	s_waitcnt vmcnt(10) lgkmcnt(0)
	v_fma_f64 v[115:116], v[137:138], v[119:120], v[115:116]
	s_waitcnt vmcnt(5)
	v_fma_f64 v[119:120], v[125:126], v[121:122], v[115:116]
	ds_read2_b64 v[115:118], v114 offset0:109 offset1:110
	ds_read_b64 v[121:122], v114 offset:888
	s_waitcnt vmcnt(4) lgkmcnt(1)
	v_fma_f64 v[115:116], v[139:140], v[115:116], v[119:120]
	s_waitcnt vmcnt(3)
	v_fma_f64 v[115:116], v[133:134], v[117:118], v[115:116]
	s_waitcnt vmcnt(2) lgkmcnt(0)
	v_fma_f64 v[115:116], v[131:132], v[121:122], v[115:116]
	s_waitcnt vmcnt(0)
	v_add_f64 v[115:116], v[127:128], -v[115:116]
	buffer_store_dword v116, off, s[0:3], 0 offset:100
	buffer_store_dword v115, off, s[0:3], 0 offset:96
	s_and_saveexec_b64 s[4:5], vcc
	s_cbranch_execz .LBB55_321
; %bb.320:
	buffer_load_dword v115, off, s[0:3], 0 offset:88
	buffer_load_dword v116, off, s[0:3], 0 offset:92
	s_waitcnt vmcnt(0)
	ds_write_b64 v113, v[115:116]
	buffer_store_dword v114, off, s[0:3], 0 offset:88
	buffer_store_dword v114, off, s[0:3], 0 offset:92
.LBB55_321:
	s_or_b64 exec, exec, s[4:5]
	s_waitcnt lgkmcnt(0)
	; wave barrier
	buffer_load_dword v123, off, s[0:3], 0 offset:96
	buffer_load_dword v124, off, s[0:3], 0 offset:100
	;; [unrolled: 1-line block ×22, first 2 shown]
	ds_read_b128 v[115:118], v114 offset:544
	ds_read_b128 v[119:122], v114 offset:560
	v_cmp_lt_u32_e32 vcc, 10, v0
	s_waitcnt vmcnt(20) lgkmcnt(1)
	v_fma_f64 v[115:116], v[123:124], v[115:116], 0
	s_waitcnt vmcnt(18)
	v_fma_f64 v[115:116], v[125:126], v[117:118], v[115:116]
	buffer_load_dword v124, off, s[0:3], 0 offset:188
	buffer_load_dword v125, off, s[0:3], 0 offset:208
	;; [unrolled: 1-line block ×7, first 2 shown]
	s_waitcnt vmcnt(23) lgkmcnt(0)
	v_fma_f64 v[115:116], v[127:128], v[119:120], v[115:116]
	s_waitcnt vmcnt(21)
	v_fma_f64 v[126:127], v[129:130], v[121:122], v[115:116]
	ds_read_b128 v[115:118], v114 offset:576
	ds_read_b128 v[119:122], v114 offset:592
	s_waitcnt vmcnt(19) lgkmcnt(1)
	v_fma_f64 v[115:116], v[131:132], v[115:116], v[126:127]
	buffer_load_dword v126, off, s[0:3], 0 offset:212
	s_waitcnt vmcnt(18)
	v_fma_f64 v[115:116], v[133:134], v[117:118], v[115:116]
	buffer_load_dword v128, off, s[0:3], 0 offset:220
	buffer_load_dword v129, off, s[0:3], 0 offset:240
	;; [unrolled: 1-line block ×7, first 2 shown]
	s_waitcnt vmcnt(23) lgkmcnt(0)
	v_fma_f64 v[115:116], v[135:136], v[119:120], v[115:116]
	s_waitcnt vmcnt(18)
	v_fma_f64 v[135:136], v[137:138], v[121:122], v[115:116]
	ds_read_b128 v[115:118], v114 offset:608
	ds_read_b128 v[119:122], v114 offset:624
	buffer_load_dword v130, off, s[0:3], 0 offset:244
	s_waitcnt vmcnt(18) lgkmcnt(1)
	v_fma_f64 v[115:116], v[143:144], v[115:116], v[135:136]
	s_waitcnt vmcnt(17)
	v_fma_f64 v[115:116], v[141:142], v[117:118], v[115:116]
	buffer_load_dword v136, off, s[0:3], 0 offset:252
	buffer_load_dword v137, off, s[0:3], 0 offset:272
	;; [unrolled: 1-line block ×8, first 2 shown]
	s_waitcnt vmcnt(24) lgkmcnt(0)
	v_fma_f64 v[115:116], v[139:140], v[119:120], v[115:116]
	s_waitcnt vmcnt(19)
	v_fma_f64 v[123:124], v[123:124], v[121:122], v[115:116]
	ds_read_b128 v[115:118], v114 offset:640
	ds_read_b128 v[119:122], v114 offset:656
	s_waitcnt vmcnt(18) lgkmcnt(1)
	v_fma_f64 v[115:116], v[147:148], v[115:116], v[123:124]
	s_waitcnt vmcnt(17)
	v_fma_f64 v[115:116], v[145:146], v[117:118], v[115:116]
	buffer_load_dword v124, off, s[0:3], 0 offset:284
	buffer_load_dword v139, off, s[0:3], 0 offset:304
	;; [unrolled: 1-line block ×8, first 2 shown]
	s_waitcnt vmcnt(24) lgkmcnt(0)
	v_fma_f64 v[115:116], v[125:126], v[119:120], v[115:116]
	s_waitcnt vmcnt(19)
	v_fma_f64 v[125:126], v[127:128], v[121:122], v[115:116]
	ds_read_b128 v[115:118], v114 offset:672
	ds_read_b128 v[119:122], v114 offset:688
	s_waitcnt vmcnt(18) lgkmcnt(1)
	v_fma_f64 v[115:116], v[133:134], v[115:116], v[125:126]
	s_waitcnt vmcnt(17)
	v_fma_f64 v[115:116], v[131:132], v[117:118], v[115:116]
	buffer_load_dword v126, off, s[0:3], 0 offset:316
	buffer_load_dword v127, off, s[0:3], 0 offset:336
	;; [unrolled: 1-line block ×7, first 2 shown]
	s_waitcnt vmcnt(23) lgkmcnt(0)
	v_fma_f64 v[115:116], v[129:130], v[119:120], v[115:116]
	s_waitcnt vmcnt(18)
	v_fma_f64 v[128:129], v[135:136], v[121:122], v[115:116]
	ds_read_b128 v[115:118], v114 offset:704
	ds_read_b128 v[119:122], v114 offset:720
	s_waitcnt vmcnt(17) lgkmcnt(1)
	v_fma_f64 v[115:116], v[143:144], v[115:116], v[128:129]
	buffer_load_dword v128, off, s[0:3], 0 offset:340
	s_waitcnt vmcnt(17)
	v_fma_f64 v[115:116], v[141:142], v[117:118], v[115:116]
	buffer_load_dword v130, off, s[0:3], 0 offset:348
	buffer_load_dword v135, off, s[0:3], 0 offset:368
	buffer_load_dword v141, off, s[0:3], 0 offset:360
	buffer_load_dword v143, off, s[0:3], 0 offset:352
	buffer_load_dword v129, off, s[0:3], 0 offset:344
	buffer_load_dword v144, off, s[0:3], 0 offset:356
	buffer_load_dword v142, off, s[0:3], 0 offset:364
	buffer_load_dword v136, off, s[0:3], 0 offset:372
	s_waitcnt vmcnt(24) lgkmcnt(0)
	v_fma_f64 v[115:116], v[137:138], v[119:120], v[115:116]
	s_waitcnt vmcnt(19)
	v_fma_f64 v[123:124], v[123:124], v[121:122], v[115:116]
	ds_read_b128 v[115:118], v114 offset:736
	ds_read_b128 v[119:122], v114 offset:752
	s_waitcnt vmcnt(18) lgkmcnt(1)
	v_fma_f64 v[115:116], v[147:148], v[115:116], v[123:124]
	s_waitcnt vmcnt(17)
	v_fma_f64 v[115:116], v[145:146], v[117:118], v[115:116]
	buffer_load_dword v124, off, s[0:3], 0 offset:380
	buffer_load_dword v137, off, s[0:3], 0 offset:400
	buffer_load_dword v145, off, s[0:3], 0 offset:392
	buffer_load_dword v147, off, s[0:3], 0 offset:384
	buffer_load_dword v123, off, s[0:3], 0 offset:376
	buffer_load_dword v148, off, s[0:3], 0 offset:388
	buffer_load_dword v146, off, s[0:3], 0 offset:396
	buffer_load_dword v138, off, s[0:3], 0 offset:404
	s_waitcnt vmcnt(24) lgkmcnt(0)
	v_fma_f64 v[115:116], v[139:140], v[119:120], v[115:116]
	s_waitcnt vmcnt(19)
	v_fma_f64 v[125:126], v[125:126], v[121:122], v[115:116]
	ds_read_b128 v[115:118], v114 offset:768
	ds_read_b128 v[119:122], v114 offset:784
	s_waitcnt vmcnt(18) lgkmcnt(1)
	v_fma_f64 v[115:116], v[133:134], v[115:116], v[125:126]
	;; [unrolled: 18-line block ×3, first 2 shown]
	buffer_load_dword v128, off, s[0:3], 0 offset:444
	buffer_load_dword v127, off, s[0:3], 0 offset:440
	;; [unrolled: 1-line block ×4, first 2 shown]
	s_waitcnt vmcnt(21)
	v_fma_f64 v[115:116], v[141:142], v[117:118], v[115:116]
	s_waitcnt vmcnt(20) lgkmcnt(0)
	v_fma_f64 v[115:116], v[135:136], v[119:120], v[115:116]
	s_waitcnt vmcnt(15)
	v_fma_f64 v[123:124], v[123:124], v[121:122], v[115:116]
	ds_read_b128 v[115:118], v114 offset:832
	ds_read_b128 v[119:122], v114 offset:848
	s_waitcnt vmcnt(14) lgkmcnt(1)
	v_fma_f64 v[115:116], v[147:148], v[115:116], v[123:124]
	s_waitcnt vmcnt(13)
	v_fma_f64 v[115:116], v[145:146], v[117:118], v[115:116]
	s_waitcnt vmcnt(12) lgkmcnt(0)
	v_fma_f64 v[115:116], v[137:138], v[119:120], v[115:116]
	s_waitcnt vmcnt(7)
	v_fma_f64 v[123:124], v[125:126], v[121:122], v[115:116]
	ds_read_b128 v[115:118], v114 offset:864
	ds_read_b128 v[119:122], v114 offset:880
	s_waitcnt vmcnt(6) lgkmcnt(1)
	v_fma_f64 v[114:115], v[139:140], v[115:116], v[123:124]
	s_waitcnt vmcnt(5)
	v_fma_f64 v[114:115], v[133:134], v[117:118], v[114:115]
	s_waitcnt vmcnt(4) lgkmcnt(0)
	v_fma_f64 v[114:115], v[131:132], v[119:120], v[114:115]
	s_waitcnt vmcnt(2)
	v_fma_f64 v[114:115], v[127:128], v[121:122], v[114:115]
	s_waitcnt vmcnt(0)
	v_add_f64 v[114:115], v[129:130], -v[114:115]
	buffer_store_dword v115, off, s[0:3], 0 offset:92
	buffer_store_dword v114, off, s[0:3], 0 offset:88
	s_and_saveexec_b64 s[4:5], vcc
	s_cbranch_execz .LBB55_323
; %bb.322:
	buffer_load_dword v114, off, s[0:3], 0 offset:80
	buffer_load_dword v115, off, s[0:3], 0 offset:84
	v_mov_b32_e32 v116, 0
	buffer_store_dword v116, off, s[0:3], 0 offset:80
	buffer_store_dword v116, off, s[0:3], 0 offset:84
	s_waitcnt vmcnt(2)
	ds_write_b64 v113, v[114:115]
.LBB55_323:
	s_or_b64 exec, exec, s[4:5]
	s_waitcnt lgkmcnt(0)
	; wave barrier
	buffer_load_dword v123, off, s[0:3], 0 offset:88
	buffer_load_dword v124, off, s[0:3], 0 offset:92
	buffer_load_dword v125, off, s[0:3], 0 offset:96
	buffer_load_dword v126, off, s[0:3], 0 offset:100
	buffer_load_dword v127, off, s[0:3], 0 offset:104
	buffer_load_dword v128, off, s[0:3], 0 offset:108
	buffer_load_dword v129, off, s[0:3], 0 offset:112
	buffer_load_dword v130, off, s[0:3], 0 offset:116
	buffer_load_dword v131, off, s[0:3], 0 offset:120
	buffer_load_dword v132, off, s[0:3], 0 offset:124
	buffer_load_dword v133, off, s[0:3], 0 offset:128
	buffer_load_dword v134, off, s[0:3], 0 offset:132
	buffer_load_dword v135, off, s[0:3], 0 offset:136
	buffer_load_dword v136, off, s[0:3], 0 offset:140
	buffer_load_dword v138, off, s[0:3], 0 offset:148
	buffer_load_dword v139, off, s[0:3], 0 offset:168
	buffer_load_dword v141, off, s[0:3], 0 offset:160
	buffer_load_dword v143, off, s[0:3], 0 offset:152
	buffer_load_dword v137, off, s[0:3], 0 offset:144
	buffer_load_dword v144, off, s[0:3], 0 offset:156
	buffer_load_dword v142, off, s[0:3], 0 offset:164
	v_mov_b32_e32 v114, 0
	ds_read2_b64 v[115:118], v114 offset0:67 offset1:68
	ds_read2_b64 v[119:122], v114 offset0:69 offset1:70
	buffer_load_dword v140, off, s[0:3], 0 offset:172
	v_cmp_lt_u32_e32 vcc, 9, v0
	s_waitcnt vmcnt(20) lgkmcnt(1)
	v_fma_f64 v[115:116], v[123:124], v[115:116], 0
	s_waitcnt vmcnt(18)
	v_fma_f64 v[115:116], v[125:126], v[117:118], v[115:116]
	buffer_load_dword v124, off, s[0:3], 0 offset:180
	buffer_load_dword v125, off, s[0:3], 0 offset:200
	buffer_load_dword v145, off, s[0:3], 0 offset:192
	buffer_load_dword v147, off, s[0:3], 0 offset:184
	buffer_load_dword v123, off, s[0:3], 0 offset:176
	buffer_load_dword v148, off, s[0:3], 0 offset:188
	buffer_load_dword v146, off, s[0:3], 0 offset:196
	s_waitcnt vmcnt(23) lgkmcnt(0)
	v_fma_f64 v[115:116], v[127:128], v[119:120], v[115:116]
	s_waitcnt vmcnt(21)
	v_fma_f64 v[126:127], v[129:130], v[121:122], v[115:116]
	ds_read2_b64 v[115:118], v114 offset0:71 offset1:72
	ds_read2_b64 v[119:122], v114 offset0:73 offset1:74
	s_waitcnt vmcnt(19) lgkmcnt(1)
	v_fma_f64 v[115:116], v[131:132], v[115:116], v[126:127]
	buffer_load_dword v126, off, s[0:3], 0 offset:204
	s_waitcnt vmcnt(18)
	v_fma_f64 v[115:116], v[133:134], v[117:118], v[115:116]
	buffer_load_dword v128, off, s[0:3], 0 offset:212
	buffer_load_dword v129, off, s[0:3], 0 offset:232
	;; [unrolled: 1-line block ×7, first 2 shown]
	s_waitcnt vmcnt(23) lgkmcnt(0)
	v_fma_f64 v[115:116], v[135:136], v[119:120], v[115:116]
	s_waitcnt vmcnt(18)
	v_fma_f64 v[135:136], v[137:138], v[121:122], v[115:116]
	ds_read2_b64 v[115:118], v114 offset0:75 offset1:76
	ds_read2_b64 v[119:122], v114 offset0:77 offset1:78
	buffer_load_dword v130, off, s[0:3], 0 offset:236
	s_waitcnt vmcnt(18) lgkmcnt(1)
	v_fma_f64 v[115:116], v[143:144], v[115:116], v[135:136]
	s_waitcnt vmcnt(17)
	v_fma_f64 v[115:116], v[141:142], v[117:118], v[115:116]
	buffer_load_dword v136, off, s[0:3], 0 offset:244
	buffer_load_dword v137, off, s[0:3], 0 offset:264
	;; [unrolled: 1-line block ×7, first 2 shown]
	s_waitcnt vmcnt(23) lgkmcnt(0)
	v_fma_f64 v[115:116], v[139:140], v[119:120], v[115:116]
	s_waitcnt vmcnt(18)
	v_fma_f64 v[123:124], v[123:124], v[121:122], v[115:116]
	ds_read2_b64 v[115:118], v114 offset0:79 offset1:80
	ds_read2_b64 v[119:122], v114 offset0:81 offset1:82
	buffer_load_dword v138, off, s[0:3], 0 offset:268
	s_waitcnt vmcnt(18) lgkmcnt(1)
	v_fma_f64 v[115:116], v[147:148], v[115:116], v[123:124]
	s_waitcnt vmcnt(17)
	v_fma_f64 v[115:116], v[145:146], v[117:118], v[115:116]
	buffer_load_dword v124, off, s[0:3], 0 offset:276
	buffer_load_dword v139, off, s[0:3], 0 offset:296
	;; [unrolled: 1-line block ×8, first 2 shown]
	s_waitcnt vmcnt(24) lgkmcnt(0)
	v_fma_f64 v[115:116], v[125:126], v[119:120], v[115:116]
	s_waitcnt vmcnt(19)
	v_fma_f64 v[125:126], v[127:128], v[121:122], v[115:116]
	ds_read2_b64 v[115:118], v114 offset0:83 offset1:84
	ds_read2_b64 v[119:122], v114 offset0:85 offset1:86
	s_waitcnt vmcnt(18) lgkmcnt(1)
	v_fma_f64 v[115:116], v[133:134], v[115:116], v[125:126]
	s_waitcnt vmcnt(17)
	v_fma_f64 v[115:116], v[131:132], v[117:118], v[115:116]
	buffer_load_dword v126, off, s[0:3], 0 offset:308
	buffer_load_dword v127, off, s[0:3], 0 offset:328
	;; [unrolled: 1-line block ×7, first 2 shown]
	s_waitcnt vmcnt(23) lgkmcnt(0)
	v_fma_f64 v[115:116], v[129:130], v[119:120], v[115:116]
	s_waitcnt vmcnt(18)
	v_fma_f64 v[128:129], v[135:136], v[121:122], v[115:116]
	ds_read2_b64 v[115:118], v114 offset0:87 offset1:88
	ds_read2_b64 v[119:122], v114 offset0:89 offset1:90
	s_waitcnt vmcnt(17) lgkmcnt(1)
	v_fma_f64 v[115:116], v[143:144], v[115:116], v[128:129]
	buffer_load_dword v128, off, s[0:3], 0 offset:332
	s_waitcnt vmcnt(17)
	v_fma_f64 v[115:116], v[141:142], v[117:118], v[115:116]
	buffer_load_dword v130, off, s[0:3], 0 offset:340
	buffer_load_dword v135, off, s[0:3], 0 offset:360
	buffer_load_dword v141, off, s[0:3], 0 offset:352
	buffer_load_dword v143, off, s[0:3], 0 offset:344
	buffer_load_dword v129, off, s[0:3], 0 offset:336
	buffer_load_dword v144, off, s[0:3], 0 offset:348
	buffer_load_dword v142, off, s[0:3], 0 offset:356
	s_waitcnt vmcnt(23) lgkmcnt(0)
	v_fma_f64 v[115:116], v[137:138], v[119:120], v[115:116]
	s_waitcnt vmcnt(18)
	v_fma_f64 v[123:124], v[123:124], v[121:122], v[115:116]
	ds_read2_b64 v[115:118], v114 offset0:91 offset1:92
	ds_read2_b64 v[119:122], v114 offset0:93 offset1:94
	buffer_load_dword v136, off, s[0:3], 0 offset:364
	s_waitcnt vmcnt(18) lgkmcnt(1)
	v_fma_f64 v[115:116], v[147:148], v[115:116], v[123:124]
	s_waitcnt vmcnt(17)
	v_fma_f64 v[115:116], v[145:146], v[117:118], v[115:116]
	buffer_load_dword v124, off, s[0:3], 0 offset:372
	buffer_load_dword v137, off, s[0:3], 0 offset:392
	;; [unrolled: 1-line block ×8, first 2 shown]
	s_waitcnt vmcnt(24) lgkmcnt(0)
	v_fma_f64 v[115:116], v[139:140], v[119:120], v[115:116]
	s_waitcnt vmcnt(19)
	v_fma_f64 v[125:126], v[125:126], v[121:122], v[115:116]
	ds_read2_b64 v[115:118], v114 offset0:95 offset1:96
	ds_read2_b64 v[119:122], v114 offset0:97 offset1:98
	s_waitcnt vmcnt(18) lgkmcnt(1)
	v_fma_f64 v[115:116], v[133:134], v[115:116], v[125:126]
	s_waitcnt vmcnt(17)
	v_fma_f64 v[115:116], v[131:132], v[117:118], v[115:116]
	buffer_load_dword v126, off, s[0:3], 0 offset:404
	buffer_load_dword v131, off, s[0:3], 0 offset:424
	;; [unrolled: 1-line block ×7, first 2 shown]
	s_waitcnt vmcnt(23) lgkmcnt(0)
	v_fma_f64 v[115:116], v[127:128], v[119:120], v[115:116]
	s_waitcnt vmcnt(18)
	v_fma_f64 v[127:128], v[129:130], v[121:122], v[115:116]
	ds_read2_b64 v[115:118], v114 offset0:99 offset1:100
	ds_read2_b64 v[119:122], v114 offset0:101 offset1:102
	buffer_load_dword v132, off, s[0:3], 0 offset:428
	s_waitcnt vmcnt(18) lgkmcnt(1)
	v_fma_f64 v[115:116], v[143:144], v[115:116], v[127:128]
	buffer_load_dword v128, off, s[0:3], 0 offset:436
	buffer_load_dword v129, off, s[0:3], 0 offset:440
	;; [unrolled: 1-line block ×4, first 2 shown]
	s_waitcnt vmcnt(21)
	v_fma_f64 v[115:116], v[141:142], v[117:118], v[115:116]
	s_waitcnt vmcnt(20) lgkmcnt(0)
	v_fma_f64 v[115:116], v[135:136], v[119:120], v[115:116]
	buffer_load_dword v135, off, s[0:3], 0 offset:80
	buffer_load_dword v136, off, s[0:3], 0 offset:84
	s_waitcnt vmcnt(17)
	v_fma_f64 v[123:124], v[123:124], v[121:122], v[115:116]
	ds_read2_b64 v[115:118], v114 offset0:103 offset1:104
	ds_read2_b64 v[119:122], v114 offset0:105 offset1:106
	s_waitcnt vmcnt(16) lgkmcnt(1)
	v_fma_f64 v[115:116], v[147:148], v[115:116], v[123:124]
	s_waitcnt vmcnt(15)
	v_fma_f64 v[115:116], v[145:146], v[117:118], v[115:116]
	s_waitcnt vmcnt(14) lgkmcnt(0)
	v_fma_f64 v[115:116], v[137:138], v[119:120], v[115:116]
	s_waitcnt vmcnt(9)
	v_fma_f64 v[123:124], v[125:126], v[121:122], v[115:116]
	ds_read2_b64 v[115:118], v114 offset0:107 offset1:108
	ds_read2_b64 v[119:122], v114 offset0:109 offset1:110
	s_waitcnt vmcnt(8) lgkmcnt(1)
	v_fma_f64 v[115:116], v[139:140], v[115:116], v[123:124]
	s_waitcnt vmcnt(7)
	v_fma_f64 v[115:116], v[133:134], v[117:118], v[115:116]
	ds_read_b64 v[117:118], v114 offset:888
	s_waitcnt vmcnt(6) lgkmcnt(1)
	v_fma_f64 v[115:116], v[131:132], v[119:120], v[115:116]
	s_waitcnt vmcnt(3)
	v_fma_f64 v[115:116], v[127:128], v[121:122], v[115:116]
	s_waitcnt vmcnt(2) lgkmcnt(0)
	v_fma_f64 v[115:116], v[129:130], v[117:118], v[115:116]
	s_waitcnt vmcnt(0)
	v_add_f64 v[115:116], v[135:136], -v[115:116]
	buffer_store_dword v116, off, s[0:3], 0 offset:84
	buffer_store_dword v115, off, s[0:3], 0 offset:80
	s_and_saveexec_b64 s[4:5], vcc
	s_cbranch_execz .LBB55_325
; %bb.324:
	buffer_load_dword v115, off, s[0:3], 0 offset:72
	buffer_load_dword v116, off, s[0:3], 0 offset:76
	s_waitcnt vmcnt(0)
	ds_write_b64 v113, v[115:116]
	buffer_store_dword v114, off, s[0:3], 0 offset:72
	buffer_store_dword v114, off, s[0:3], 0 offset:76
.LBB55_325:
	s_or_b64 exec, exec, s[4:5]
	s_waitcnt lgkmcnt(0)
	; wave barrier
	buffer_load_dword v123, off, s[0:3], 0 offset:80
	buffer_load_dword v124, off, s[0:3], 0 offset:84
	;; [unrolled: 1-line block ×21, first 2 shown]
	ds_read_b128 v[115:118], v114 offset:528
	ds_read_b128 v[119:122], v114 offset:544
	buffer_load_dword v140, off, s[0:3], 0 offset:164
	v_cmp_lt_u32_e32 vcc, 8, v0
	s_waitcnt vmcnt(20) lgkmcnt(1)
	v_fma_f64 v[115:116], v[123:124], v[115:116], 0
	s_waitcnt vmcnt(18)
	v_fma_f64 v[115:116], v[125:126], v[117:118], v[115:116]
	buffer_load_dword v124, off, s[0:3], 0 offset:172
	buffer_load_dword v125, off, s[0:3], 0 offset:192
	;; [unrolled: 1-line block ×7, first 2 shown]
	s_waitcnt vmcnt(23) lgkmcnt(0)
	v_fma_f64 v[115:116], v[127:128], v[119:120], v[115:116]
	s_waitcnt vmcnt(21)
	v_fma_f64 v[126:127], v[129:130], v[121:122], v[115:116]
	ds_read_b128 v[115:118], v114 offset:560
	ds_read_b128 v[119:122], v114 offset:576
	s_waitcnt vmcnt(19) lgkmcnt(1)
	v_fma_f64 v[115:116], v[131:132], v[115:116], v[126:127]
	buffer_load_dword v126, off, s[0:3], 0 offset:196
	s_waitcnt vmcnt(18)
	v_fma_f64 v[115:116], v[133:134], v[117:118], v[115:116]
	buffer_load_dword v128, off, s[0:3], 0 offset:204
	buffer_load_dword v129, off, s[0:3], 0 offset:224
	;; [unrolled: 1-line block ×8, first 2 shown]
	s_waitcnt vmcnt(24) lgkmcnt(0)
	v_fma_f64 v[115:116], v[135:136], v[119:120], v[115:116]
	s_waitcnt vmcnt(19)
	v_fma_f64 v[135:136], v[137:138], v[121:122], v[115:116]
	ds_read_b128 v[115:118], v114 offset:592
	ds_read_b128 v[119:122], v114 offset:608
	s_waitcnt vmcnt(18) lgkmcnt(1)
	v_fma_f64 v[115:116], v[143:144], v[115:116], v[135:136]
	s_waitcnt vmcnt(17)
	v_fma_f64 v[115:116], v[141:142], v[117:118], v[115:116]
	buffer_load_dword v136, off, s[0:3], 0 offset:236
	buffer_load_dword v137, off, s[0:3], 0 offset:256
	buffer_load_dword v141, off, s[0:3], 0 offset:248
	buffer_load_dword v143, off, s[0:3], 0 offset:240
	buffer_load_dword v135, off, s[0:3], 0 offset:232
	buffer_load_dword v144, off, s[0:3], 0 offset:244
	buffer_load_dword v142, off, s[0:3], 0 offset:252
	s_waitcnt vmcnt(23) lgkmcnt(0)
	v_fma_f64 v[115:116], v[139:140], v[119:120], v[115:116]
	s_waitcnt vmcnt(18)
	v_fma_f64 v[123:124], v[123:124], v[121:122], v[115:116]
	ds_read_b128 v[115:118], v114 offset:624
	ds_read_b128 v[119:122], v114 offset:640
	buffer_load_dword v138, off, s[0:3], 0 offset:260
	s_waitcnt vmcnt(18) lgkmcnt(1)
	v_fma_f64 v[115:116], v[147:148], v[115:116], v[123:124]
	s_waitcnt vmcnt(17)
	v_fma_f64 v[115:116], v[145:146], v[117:118], v[115:116]
	buffer_load_dword v124, off, s[0:3], 0 offset:268
	buffer_load_dword v139, off, s[0:3], 0 offset:288
	;; [unrolled: 1-line block ×8, first 2 shown]
	s_waitcnt vmcnt(24) lgkmcnt(0)
	v_fma_f64 v[115:116], v[125:126], v[119:120], v[115:116]
	s_waitcnt vmcnt(19)
	v_fma_f64 v[125:126], v[127:128], v[121:122], v[115:116]
	ds_read_b128 v[115:118], v114 offset:656
	ds_read_b128 v[119:122], v114 offset:672
	s_waitcnt vmcnt(18) lgkmcnt(1)
	v_fma_f64 v[115:116], v[133:134], v[115:116], v[125:126]
	s_waitcnt vmcnt(17)
	v_fma_f64 v[115:116], v[131:132], v[117:118], v[115:116]
	buffer_load_dword v126, off, s[0:3], 0 offset:300
	buffer_load_dword v127, off, s[0:3], 0 offset:320
	;; [unrolled: 1-line block ×7, first 2 shown]
	s_waitcnt vmcnt(23) lgkmcnt(0)
	v_fma_f64 v[115:116], v[129:130], v[119:120], v[115:116]
	s_waitcnt vmcnt(18)
	v_fma_f64 v[128:129], v[135:136], v[121:122], v[115:116]
	ds_read_b128 v[115:118], v114 offset:688
	ds_read_b128 v[119:122], v114 offset:704
	s_waitcnt vmcnt(17) lgkmcnt(1)
	v_fma_f64 v[115:116], v[143:144], v[115:116], v[128:129]
	buffer_load_dword v128, off, s[0:3], 0 offset:324
	s_waitcnt vmcnt(17)
	v_fma_f64 v[115:116], v[141:142], v[117:118], v[115:116]
	buffer_load_dword v130, off, s[0:3], 0 offset:332
	buffer_load_dword v135, off, s[0:3], 0 offset:352
	;; [unrolled: 1-line block ×7, first 2 shown]
	s_waitcnt vmcnt(23) lgkmcnt(0)
	v_fma_f64 v[115:116], v[137:138], v[119:120], v[115:116]
	s_waitcnt vmcnt(18)
	v_fma_f64 v[123:124], v[123:124], v[121:122], v[115:116]
	ds_read_b128 v[115:118], v114 offset:720
	ds_read_b128 v[119:122], v114 offset:736
	buffer_load_dword v136, off, s[0:3], 0 offset:356
	s_waitcnt vmcnt(18) lgkmcnt(1)
	v_fma_f64 v[115:116], v[147:148], v[115:116], v[123:124]
	s_waitcnt vmcnt(17)
	v_fma_f64 v[115:116], v[145:146], v[117:118], v[115:116]
	buffer_load_dword v124, off, s[0:3], 0 offset:364
	buffer_load_dword v137, off, s[0:3], 0 offset:384
	;; [unrolled: 1-line block ×8, first 2 shown]
	s_waitcnt vmcnt(24) lgkmcnt(0)
	v_fma_f64 v[115:116], v[139:140], v[119:120], v[115:116]
	s_waitcnt vmcnt(19)
	v_fma_f64 v[125:126], v[125:126], v[121:122], v[115:116]
	ds_read_b128 v[115:118], v114 offset:752
	ds_read_b128 v[119:122], v114 offset:768
	s_waitcnt vmcnt(18) lgkmcnt(1)
	v_fma_f64 v[115:116], v[133:134], v[115:116], v[125:126]
	s_waitcnt vmcnt(17)
	v_fma_f64 v[115:116], v[131:132], v[117:118], v[115:116]
	buffer_load_dword v126, off, s[0:3], 0 offset:396
	buffer_load_dword v131, off, s[0:3], 0 offset:416
	;; [unrolled: 1-line block ×8, first 2 shown]
	s_waitcnt vmcnt(24) lgkmcnt(0)
	v_fma_f64 v[115:116], v[127:128], v[119:120], v[115:116]
	s_waitcnt vmcnt(19)
	v_fma_f64 v[127:128], v[129:130], v[121:122], v[115:116]
	ds_read_b128 v[115:118], v114 offset:784
	ds_read_b128 v[119:122], v114 offset:800
	s_waitcnt vmcnt(18) lgkmcnt(1)
	v_fma_f64 v[115:116], v[143:144], v[115:116], v[127:128]
	s_waitcnt vmcnt(17)
	v_fma_f64 v[115:116], v[141:142], v[117:118], v[115:116]
	buffer_load_dword v128, off, s[0:3], 0 offset:428
	buffer_load_dword v129, off, s[0:3], 0 offset:440
	;; [unrolled: 1-line block ×6, first 2 shown]
	s_waitcnt vmcnt(22) lgkmcnt(0)
	v_fma_f64 v[115:116], v[135:136], v[119:120], v[115:116]
	s_waitcnt vmcnt(17)
	v_fma_f64 v[123:124], v[123:124], v[121:122], v[115:116]
	ds_read_b128 v[115:118], v114 offset:816
	buffer_load_dword v135, off, s[0:3], 0 offset:72
	buffer_load_dword v136, off, s[0:3], 0 offset:76
	ds_read_b128 v[119:122], v114 offset:832
	s_waitcnt vmcnt(18) lgkmcnt(1)
	v_fma_f64 v[115:116], v[147:148], v[115:116], v[123:124]
	s_waitcnt vmcnt(17)
	v_fma_f64 v[115:116], v[145:146], v[117:118], v[115:116]
	s_waitcnt vmcnt(16) lgkmcnt(0)
	v_fma_f64 v[115:116], v[137:138], v[119:120], v[115:116]
	s_waitcnt vmcnt(11)
	v_fma_f64 v[123:124], v[125:126], v[121:122], v[115:116]
	ds_read_b128 v[115:118], v114 offset:848
	ds_read_b128 v[119:122], v114 offset:864
	s_waitcnt vmcnt(10) lgkmcnt(1)
	v_fma_f64 v[115:116], v[139:140], v[115:116], v[123:124]
	s_waitcnt vmcnt(9)
	v_fma_f64 v[115:116], v[133:134], v[117:118], v[115:116]
	s_waitcnt vmcnt(8) lgkmcnt(0)
	v_fma_f64 v[115:116], v[131:132], v[119:120], v[115:116]
	s_waitcnt vmcnt(4)
	v_fma_f64 v[118:119], v[127:128], v[121:122], v[115:116]
	ds_read_b128 v[114:117], v114 offset:880
	s_waitcnt vmcnt(3) lgkmcnt(0)
	v_fma_f64 v[114:115], v[141:142], v[114:115], v[118:119]
	s_waitcnt vmcnt(2)
	v_fma_f64 v[114:115], v[129:130], v[116:117], v[114:115]
	s_waitcnt vmcnt(0)
	v_add_f64 v[114:115], v[135:136], -v[114:115]
	buffer_store_dword v115, off, s[0:3], 0 offset:76
	buffer_store_dword v114, off, s[0:3], 0 offset:72
	s_and_saveexec_b64 s[4:5], vcc
	s_cbranch_execz .LBB55_327
; %bb.326:
	buffer_load_dword v114, off, s[0:3], 0 offset:64
	buffer_load_dword v115, off, s[0:3], 0 offset:68
	v_mov_b32_e32 v116, 0
	buffer_store_dword v116, off, s[0:3], 0 offset:64
	buffer_store_dword v116, off, s[0:3], 0 offset:68
	s_waitcnt vmcnt(2)
	ds_write_b64 v113, v[114:115]
.LBB55_327:
	s_or_b64 exec, exec, s[4:5]
	s_waitcnt lgkmcnt(0)
	; wave barrier
	buffer_load_dword v123, off, s[0:3], 0 offset:72
	buffer_load_dword v124, off, s[0:3], 0 offset:76
	;; [unrolled: 1-line block ×21, first 2 shown]
	v_mov_b32_e32 v114, 0
	ds_read2_b64 v[115:118], v114 offset0:65 offset1:66
	ds_read2_b64 v[119:122], v114 offset0:67 offset1:68
	buffer_load_dword v140, off, s[0:3], 0 offset:156
	v_cmp_lt_u32_e32 vcc, 7, v0
	s_waitcnt vmcnt(20) lgkmcnt(1)
	v_fma_f64 v[115:116], v[123:124], v[115:116], 0
	s_waitcnt vmcnt(18)
	v_fma_f64 v[115:116], v[125:126], v[117:118], v[115:116]
	buffer_load_dword v124, off, s[0:3], 0 offset:164
	buffer_load_dword v125, off, s[0:3], 0 offset:184
	;; [unrolled: 1-line block ×7, first 2 shown]
	s_waitcnt vmcnt(23) lgkmcnt(0)
	v_fma_f64 v[115:116], v[127:128], v[119:120], v[115:116]
	s_waitcnt vmcnt(21)
	v_fma_f64 v[126:127], v[129:130], v[121:122], v[115:116]
	ds_read2_b64 v[115:118], v114 offset0:69 offset1:70
	ds_read2_b64 v[119:122], v114 offset0:71 offset1:72
	s_waitcnt vmcnt(19) lgkmcnt(1)
	v_fma_f64 v[115:116], v[131:132], v[115:116], v[126:127]
	buffer_load_dword v126, off, s[0:3], 0 offset:188
	s_waitcnt vmcnt(18)
	v_fma_f64 v[115:116], v[133:134], v[117:118], v[115:116]
	buffer_load_dword v128, off, s[0:3], 0 offset:196
	buffer_load_dword v129, off, s[0:3], 0 offset:216
	buffer_load_dword v131, off, s[0:3], 0 offset:208
	buffer_load_dword v133, off, s[0:3], 0 offset:200
	buffer_load_dword v127, off, s[0:3], 0 offset:192
	buffer_load_dword v134, off, s[0:3], 0 offset:204
	buffer_load_dword v132, off, s[0:3], 0 offset:212
	buffer_load_dword v130, off, s[0:3], 0 offset:220
	s_waitcnt vmcnt(24) lgkmcnt(0)
	v_fma_f64 v[115:116], v[135:136], v[119:120], v[115:116]
	s_waitcnt vmcnt(19)
	v_fma_f64 v[135:136], v[137:138], v[121:122], v[115:116]
	ds_read2_b64 v[115:118], v114 offset0:73 offset1:74
	ds_read2_b64 v[119:122], v114 offset0:75 offset1:76
	s_waitcnt vmcnt(18) lgkmcnt(1)
	v_fma_f64 v[115:116], v[143:144], v[115:116], v[135:136]
	s_waitcnt vmcnt(17)
	v_fma_f64 v[115:116], v[141:142], v[117:118], v[115:116]
	buffer_load_dword v136, off, s[0:3], 0 offset:228
	buffer_load_dword v137, off, s[0:3], 0 offset:248
	buffer_load_dword v141, off, s[0:3], 0 offset:240
	buffer_load_dword v143, off, s[0:3], 0 offset:232
	buffer_load_dword v135, off, s[0:3], 0 offset:224
	buffer_load_dword v144, off, s[0:3], 0 offset:236
	buffer_load_dword v142, off, s[0:3], 0 offset:244
	s_waitcnt vmcnt(23) lgkmcnt(0)
	v_fma_f64 v[115:116], v[139:140], v[119:120], v[115:116]
	s_waitcnt vmcnt(18)
	v_fma_f64 v[123:124], v[123:124], v[121:122], v[115:116]
	ds_read2_b64 v[115:118], v114 offset0:77 offset1:78
	ds_read2_b64 v[119:122], v114 offset0:79 offset1:80
	buffer_load_dword v138, off, s[0:3], 0 offset:252
	s_waitcnt vmcnt(18) lgkmcnt(1)
	v_fma_f64 v[115:116], v[147:148], v[115:116], v[123:124]
	s_waitcnt vmcnt(17)
	v_fma_f64 v[115:116], v[145:146], v[117:118], v[115:116]
	buffer_load_dword v124, off, s[0:3], 0 offset:260
	buffer_load_dword v139, off, s[0:3], 0 offset:280
	;; [unrolled: 1-line block ×8, first 2 shown]
	s_waitcnt vmcnt(24) lgkmcnt(0)
	v_fma_f64 v[115:116], v[125:126], v[119:120], v[115:116]
	s_waitcnt vmcnt(19)
	v_fma_f64 v[125:126], v[127:128], v[121:122], v[115:116]
	ds_read2_b64 v[115:118], v114 offset0:81 offset1:82
	ds_read2_b64 v[119:122], v114 offset0:83 offset1:84
	s_waitcnt vmcnt(18) lgkmcnt(1)
	v_fma_f64 v[115:116], v[133:134], v[115:116], v[125:126]
	s_waitcnt vmcnt(17)
	v_fma_f64 v[115:116], v[131:132], v[117:118], v[115:116]
	buffer_load_dword v126, off, s[0:3], 0 offset:292
	buffer_load_dword v127, off, s[0:3], 0 offset:312
	;; [unrolled: 1-line block ×7, first 2 shown]
	s_waitcnt vmcnt(23) lgkmcnt(0)
	v_fma_f64 v[115:116], v[129:130], v[119:120], v[115:116]
	s_waitcnt vmcnt(18)
	v_fma_f64 v[128:129], v[135:136], v[121:122], v[115:116]
	ds_read2_b64 v[115:118], v114 offset0:85 offset1:86
	ds_read2_b64 v[119:122], v114 offset0:87 offset1:88
	s_waitcnt vmcnt(17) lgkmcnt(1)
	v_fma_f64 v[115:116], v[143:144], v[115:116], v[128:129]
	buffer_load_dword v128, off, s[0:3], 0 offset:316
	s_waitcnt vmcnt(17)
	v_fma_f64 v[115:116], v[141:142], v[117:118], v[115:116]
	buffer_load_dword v130, off, s[0:3], 0 offset:324
	buffer_load_dword v135, off, s[0:3], 0 offset:344
	;; [unrolled: 1-line block ×7, first 2 shown]
	s_waitcnt vmcnt(23) lgkmcnt(0)
	v_fma_f64 v[115:116], v[137:138], v[119:120], v[115:116]
	s_waitcnt vmcnt(18)
	v_fma_f64 v[123:124], v[123:124], v[121:122], v[115:116]
	ds_read2_b64 v[115:118], v114 offset0:89 offset1:90
	ds_read2_b64 v[119:122], v114 offset0:91 offset1:92
	buffer_load_dword v136, off, s[0:3], 0 offset:348
	s_waitcnt vmcnt(18) lgkmcnt(1)
	v_fma_f64 v[115:116], v[147:148], v[115:116], v[123:124]
	s_waitcnt vmcnt(17)
	v_fma_f64 v[115:116], v[145:146], v[117:118], v[115:116]
	buffer_load_dword v124, off, s[0:3], 0 offset:356
	buffer_load_dword v137, off, s[0:3], 0 offset:376
	buffer_load_dword v145, off, s[0:3], 0 offset:368
	buffer_load_dword v147, off, s[0:3], 0 offset:360
	buffer_load_dword v123, off, s[0:3], 0 offset:352
	buffer_load_dword v148, off, s[0:3], 0 offset:364
	buffer_load_dword v146, off, s[0:3], 0 offset:372
	buffer_load_dword v138, off, s[0:3], 0 offset:380
	s_waitcnt vmcnt(24) lgkmcnt(0)
	v_fma_f64 v[115:116], v[139:140], v[119:120], v[115:116]
	s_waitcnt vmcnt(19)
	v_fma_f64 v[125:126], v[125:126], v[121:122], v[115:116]
	ds_read2_b64 v[115:118], v114 offset0:93 offset1:94
	ds_read2_b64 v[119:122], v114 offset0:95 offset1:96
	s_waitcnt vmcnt(18) lgkmcnt(1)
	v_fma_f64 v[115:116], v[133:134], v[115:116], v[125:126]
	s_waitcnt vmcnt(17)
	v_fma_f64 v[115:116], v[131:132], v[117:118], v[115:116]
	buffer_load_dword v126, off, s[0:3], 0 offset:388
	buffer_load_dword v131, off, s[0:3], 0 offset:408
	buffer_load_dword v133, off, s[0:3], 0 offset:400
	buffer_load_dword v139, off, s[0:3], 0 offset:392
	buffer_load_dword v125, off, s[0:3], 0 offset:384
	buffer_load_dword v140, off, s[0:3], 0 offset:396
	buffer_load_dword v134, off, s[0:3], 0 offset:404
	buffer_load_dword v132, off, s[0:3], 0 offset:412
	s_waitcnt vmcnt(24) lgkmcnt(0)
	v_fma_f64 v[115:116], v[127:128], v[119:120], v[115:116]
	s_waitcnt vmcnt(19)
	v_fma_f64 v[127:128], v[129:130], v[121:122], v[115:116]
	ds_read2_b64 v[115:118], v114 offset0:97 offset1:98
	ds_read2_b64 v[119:122], v114 offset0:99 offset1:100
	;; [unrolled: 18-line block ×3, first 2 shown]
	s_waitcnt vmcnt(18) lgkmcnt(1)
	v_fma_f64 v[115:116], v[147:148], v[115:116], v[123:124]
	buffer_load_dword v123, off, s[0:3], 0 offset:64
	buffer_load_dword v124, off, s[0:3], 0 offset:68
	s_waitcnt vmcnt(19)
	v_fma_f64 v[115:116], v[145:146], v[117:118], v[115:116]
	s_waitcnt vmcnt(18) lgkmcnt(0)
	v_fma_f64 v[115:116], v[137:138], v[119:120], v[115:116]
	s_waitcnt vmcnt(13)
	v_fma_f64 v[125:126], v[125:126], v[121:122], v[115:116]
	ds_read2_b64 v[115:118], v114 offset0:105 offset1:106
	ds_read2_b64 v[119:122], v114 offset0:107 offset1:108
	s_waitcnt vmcnt(12) lgkmcnt(1)
	v_fma_f64 v[115:116], v[139:140], v[115:116], v[125:126]
	s_waitcnt vmcnt(11)
	v_fma_f64 v[115:116], v[133:134], v[117:118], v[115:116]
	s_waitcnt vmcnt(10) lgkmcnt(0)
	v_fma_f64 v[115:116], v[131:132], v[119:120], v[115:116]
	s_waitcnt vmcnt(5)
	v_fma_f64 v[119:120], v[127:128], v[121:122], v[115:116]
	ds_read2_b64 v[115:118], v114 offset0:109 offset1:110
	ds_read_b64 v[121:122], v114 offset:888
	s_waitcnt vmcnt(4) lgkmcnt(1)
	v_fma_f64 v[115:116], v[143:144], v[115:116], v[119:120]
	s_waitcnt vmcnt(3)
	v_fma_f64 v[115:116], v[141:142], v[117:118], v[115:116]
	s_waitcnt vmcnt(2) lgkmcnt(0)
	v_fma_f64 v[115:116], v[129:130], v[121:122], v[115:116]
	s_waitcnt vmcnt(0)
	v_add_f64 v[115:116], v[123:124], -v[115:116]
	buffer_store_dword v116, off, s[0:3], 0 offset:68
	buffer_store_dword v115, off, s[0:3], 0 offset:64
	s_and_saveexec_b64 s[4:5], vcc
	s_cbranch_execz .LBB55_329
; %bb.328:
	buffer_load_dword v115, off, s[0:3], 0 offset:56
	buffer_load_dword v116, off, s[0:3], 0 offset:60
	s_waitcnt vmcnt(0)
	ds_write_b64 v113, v[115:116]
	buffer_store_dword v114, off, s[0:3], 0 offset:56
	buffer_store_dword v114, off, s[0:3], 0 offset:60
.LBB55_329:
	s_or_b64 exec, exec, s[4:5]
	s_waitcnt lgkmcnt(0)
	; wave barrier
	buffer_load_dword v123, off, s[0:3], 0 offset:64
	buffer_load_dword v124, off, s[0:3], 0 offset:68
	;; [unrolled: 1-line block ×21, first 2 shown]
	ds_read_b128 v[115:118], v114 offset:512
	ds_read_b128 v[119:122], v114 offset:528
	buffer_load_dword v140, off, s[0:3], 0 offset:148
	v_cmp_lt_u32_e32 vcc, 6, v0
	s_waitcnt vmcnt(20) lgkmcnt(1)
	v_fma_f64 v[115:116], v[123:124], v[115:116], 0
	s_waitcnt vmcnt(18)
	v_fma_f64 v[115:116], v[125:126], v[117:118], v[115:116]
	buffer_load_dword v124, off, s[0:3], 0 offset:156
	buffer_load_dword v125, off, s[0:3], 0 offset:176
	;; [unrolled: 1-line block ×7, first 2 shown]
	s_waitcnt vmcnt(23) lgkmcnt(0)
	v_fma_f64 v[115:116], v[127:128], v[119:120], v[115:116]
	s_waitcnt vmcnt(21)
	v_fma_f64 v[126:127], v[129:130], v[121:122], v[115:116]
	ds_read_b128 v[115:118], v114 offset:544
	ds_read_b128 v[119:122], v114 offset:560
	s_waitcnt vmcnt(19) lgkmcnt(1)
	v_fma_f64 v[115:116], v[131:132], v[115:116], v[126:127]
	buffer_load_dword v126, off, s[0:3], 0 offset:180
	s_waitcnt vmcnt(18)
	v_fma_f64 v[115:116], v[133:134], v[117:118], v[115:116]
	buffer_load_dword v128, off, s[0:3], 0 offset:188
	buffer_load_dword v129, off, s[0:3], 0 offset:208
	;; [unrolled: 1-line block ×8, first 2 shown]
	s_waitcnt vmcnt(24) lgkmcnt(0)
	v_fma_f64 v[115:116], v[135:136], v[119:120], v[115:116]
	s_waitcnt vmcnt(19)
	v_fma_f64 v[135:136], v[137:138], v[121:122], v[115:116]
	ds_read_b128 v[115:118], v114 offset:576
	ds_read_b128 v[119:122], v114 offset:592
	s_waitcnt vmcnt(18) lgkmcnt(1)
	v_fma_f64 v[115:116], v[143:144], v[115:116], v[135:136]
	s_waitcnt vmcnt(17)
	v_fma_f64 v[115:116], v[141:142], v[117:118], v[115:116]
	buffer_load_dword v136, off, s[0:3], 0 offset:220
	buffer_load_dword v137, off, s[0:3], 0 offset:240
	;; [unrolled: 1-line block ×7, first 2 shown]
	s_waitcnt vmcnt(23) lgkmcnt(0)
	v_fma_f64 v[115:116], v[139:140], v[119:120], v[115:116]
	s_waitcnt vmcnt(18)
	v_fma_f64 v[123:124], v[123:124], v[121:122], v[115:116]
	ds_read_b128 v[115:118], v114 offset:608
	ds_read_b128 v[119:122], v114 offset:624
	buffer_load_dword v138, off, s[0:3], 0 offset:244
	s_waitcnt vmcnt(18) lgkmcnt(1)
	v_fma_f64 v[115:116], v[147:148], v[115:116], v[123:124]
	s_waitcnt vmcnt(17)
	v_fma_f64 v[115:116], v[145:146], v[117:118], v[115:116]
	buffer_load_dword v124, off, s[0:3], 0 offset:252
	buffer_load_dword v139, off, s[0:3], 0 offset:272
	;; [unrolled: 1-line block ×8, first 2 shown]
	s_waitcnt vmcnt(24) lgkmcnt(0)
	v_fma_f64 v[115:116], v[125:126], v[119:120], v[115:116]
	s_waitcnt vmcnt(19)
	v_fma_f64 v[125:126], v[127:128], v[121:122], v[115:116]
	ds_read_b128 v[115:118], v114 offset:640
	ds_read_b128 v[119:122], v114 offset:656
	s_waitcnt vmcnt(18) lgkmcnt(1)
	v_fma_f64 v[115:116], v[133:134], v[115:116], v[125:126]
	s_waitcnt vmcnt(17)
	v_fma_f64 v[115:116], v[131:132], v[117:118], v[115:116]
	buffer_load_dword v126, off, s[0:3], 0 offset:284
	buffer_load_dword v127, off, s[0:3], 0 offset:304
	;; [unrolled: 1-line block ×7, first 2 shown]
	s_waitcnt vmcnt(23) lgkmcnt(0)
	v_fma_f64 v[115:116], v[129:130], v[119:120], v[115:116]
	s_waitcnt vmcnt(18)
	v_fma_f64 v[128:129], v[135:136], v[121:122], v[115:116]
	ds_read_b128 v[115:118], v114 offset:672
	ds_read_b128 v[119:122], v114 offset:688
	s_waitcnt vmcnt(17) lgkmcnt(1)
	v_fma_f64 v[115:116], v[143:144], v[115:116], v[128:129]
	buffer_load_dword v128, off, s[0:3], 0 offset:308
	s_waitcnt vmcnt(17)
	v_fma_f64 v[115:116], v[141:142], v[117:118], v[115:116]
	buffer_load_dword v130, off, s[0:3], 0 offset:316
	buffer_load_dword v135, off, s[0:3], 0 offset:336
	;; [unrolled: 1-line block ×7, first 2 shown]
	s_waitcnt vmcnt(23) lgkmcnt(0)
	v_fma_f64 v[115:116], v[137:138], v[119:120], v[115:116]
	s_waitcnt vmcnt(18)
	v_fma_f64 v[123:124], v[123:124], v[121:122], v[115:116]
	ds_read_b128 v[115:118], v114 offset:704
	ds_read_b128 v[119:122], v114 offset:720
	buffer_load_dword v136, off, s[0:3], 0 offset:340
	s_waitcnt vmcnt(18) lgkmcnt(1)
	v_fma_f64 v[115:116], v[147:148], v[115:116], v[123:124]
	s_waitcnt vmcnt(17)
	v_fma_f64 v[115:116], v[145:146], v[117:118], v[115:116]
	buffer_load_dword v124, off, s[0:3], 0 offset:348
	buffer_load_dword v137, off, s[0:3], 0 offset:368
	buffer_load_dword v145, off, s[0:3], 0 offset:360
	buffer_load_dword v147, off, s[0:3], 0 offset:352
	buffer_load_dword v123, off, s[0:3], 0 offset:344
	buffer_load_dword v148, off, s[0:3], 0 offset:356
	buffer_load_dword v146, off, s[0:3], 0 offset:364
	buffer_load_dword v138, off, s[0:3], 0 offset:372
	s_waitcnt vmcnt(24) lgkmcnt(0)
	v_fma_f64 v[115:116], v[139:140], v[119:120], v[115:116]
	s_waitcnt vmcnt(19)
	v_fma_f64 v[125:126], v[125:126], v[121:122], v[115:116]
	ds_read_b128 v[115:118], v114 offset:736
	ds_read_b128 v[119:122], v114 offset:752
	s_waitcnt vmcnt(18) lgkmcnt(1)
	v_fma_f64 v[115:116], v[133:134], v[115:116], v[125:126]
	s_waitcnt vmcnt(17)
	v_fma_f64 v[115:116], v[131:132], v[117:118], v[115:116]
	buffer_load_dword v126, off, s[0:3], 0 offset:380
	buffer_load_dword v131, off, s[0:3], 0 offset:400
	buffer_load_dword v133, off, s[0:3], 0 offset:392
	buffer_load_dword v139, off, s[0:3], 0 offset:384
	buffer_load_dword v125, off, s[0:3], 0 offset:376
	buffer_load_dword v140, off, s[0:3], 0 offset:388
	buffer_load_dword v134, off, s[0:3], 0 offset:396
	buffer_load_dword v132, off, s[0:3], 0 offset:404
	s_waitcnt vmcnt(24) lgkmcnt(0)
	v_fma_f64 v[115:116], v[127:128], v[119:120], v[115:116]
	s_waitcnt vmcnt(19)
	v_fma_f64 v[127:128], v[129:130], v[121:122], v[115:116]
	ds_read_b128 v[115:118], v114 offset:768
	ds_read_b128 v[119:122], v114 offset:784
	;; [unrolled: 18-line block ×3, first 2 shown]
	s_waitcnt vmcnt(18) lgkmcnt(1)
	v_fma_f64 v[115:116], v[147:148], v[115:116], v[123:124]
	buffer_load_dword v124, off, s[0:3], 0 offset:444
	buffer_load_dword v123, off, s[0:3], 0 offset:440
	buffer_load_dword v135, off, s[0:3], 0 offset:56
	buffer_load_dword v136, off, s[0:3], 0 offset:60
	s_waitcnt vmcnt(21)
	v_fma_f64 v[115:116], v[145:146], v[117:118], v[115:116]
	s_waitcnt vmcnt(20) lgkmcnt(0)
	v_fma_f64 v[115:116], v[137:138], v[119:120], v[115:116]
	s_waitcnt vmcnt(15)
	v_fma_f64 v[125:126], v[125:126], v[121:122], v[115:116]
	ds_read_b128 v[115:118], v114 offset:832
	ds_read_b128 v[119:122], v114 offset:848
	s_waitcnt vmcnt(14) lgkmcnt(1)
	v_fma_f64 v[115:116], v[139:140], v[115:116], v[125:126]
	s_waitcnt vmcnt(13)
	v_fma_f64 v[115:116], v[133:134], v[117:118], v[115:116]
	s_waitcnt vmcnt(12) lgkmcnt(0)
	v_fma_f64 v[115:116], v[131:132], v[119:120], v[115:116]
	s_waitcnt vmcnt(7)
	v_fma_f64 v[125:126], v[127:128], v[121:122], v[115:116]
	ds_read_b128 v[115:118], v114 offset:864
	ds_read_b128 v[119:122], v114 offset:880
	s_waitcnt vmcnt(6) lgkmcnt(1)
	v_fma_f64 v[114:115], v[143:144], v[115:116], v[125:126]
	s_waitcnt vmcnt(5)
	v_fma_f64 v[114:115], v[141:142], v[117:118], v[114:115]
	s_waitcnt vmcnt(4) lgkmcnt(0)
	v_fma_f64 v[114:115], v[129:130], v[119:120], v[114:115]
	s_waitcnt vmcnt(2)
	v_fma_f64 v[114:115], v[123:124], v[121:122], v[114:115]
	s_waitcnt vmcnt(0)
	v_add_f64 v[114:115], v[135:136], -v[114:115]
	buffer_store_dword v115, off, s[0:3], 0 offset:60
	buffer_store_dword v114, off, s[0:3], 0 offset:56
	s_and_saveexec_b64 s[4:5], vcc
	s_cbranch_execz .LBB55_331
; %bb.330:
	buffer_load_dword v114, off, s[0:3], 0 offset:48
	buffer_load_dword v115, off, s[0:3], 0 offset:52
	v_mov_b32_e32 v116, 0
	buffer_store_dword v116, off, s[0:3], 0 offset:48
	buffer_store_dword v116, off, s[0:3], 0 offset:52
	s_waitcnt vmcnt(2)
	ds_write_b64 v113, v[114:115]
.LBB55_331:
	s_or_b64 exec, exec, s[4:5]
	s_waitcnt lgkmcnt(0)
	; wave barrier
	buffer_load_dword v123, off, s[0:3], 0 offset:56
	buffer_load_dword v124, off, s[0:3], 0 offset:60
	;; [unrolled: 1-line block ×21, first 2 shown]
	v_mov_b32_e32 v114, 0
	ds_read2_b64 v[115:118], v114 offset0:63 offset1:64
	ds_read2_b64 v[119:122], v114 offset0:65 offset1:66
	buffer_load_dword v140, off, s[0:3], 0 offset:140
	v_cmp_lt_u32_e32 vcc, 5, v0
	s_waitcnt vmcnt(20) lgkmcnt(1)
	v_fma_f64 v[115:116], v[123:124], v[115:116], 0
	s_waitcnt vmcnt(18)
	v_fma_f64 v[115:116], v[125:126], v[117:118], v[115:116]
	buffer_load_dword v124, off, s[0:3], 0 offset:148
	buffer_load_dword v125, off, s[0:3], 0 offset:168
	;; [unrolled: 1-line block ×7, first 2 shown]
	s_waitcnt vmcnt(23) lgkmcnt(0)
	v_fma_f64 v[115:116], v[127:128], v[119:120], v[115:116]
	s_waitcnt vmcnt(21)
	v_fma_f64 v[126:127], v[129:130], v[121:122], v[115:116]
	ds_read2_b64 v[115:118], v114 offset0:67 offset1:68
	ds_read2_b64 v[119:122], v114 offset0:69 offset1:70
	s_waitcnt vmcnt(19) lgkmcnt(1)
	v_fma_f64 v[115:116], v[131:132], v[115:116], v[126:127]
	buffer_load_dword v126, off, s[0:3], 0 offset:172
	s_waitcnt vmcnt(18)
	v_fma_f64 v[115:116], v[133:134], v[117:118], v[115:116]
	buffer_load_dword v128, off, s[0:3], 0 offset:180
	buffer_load_dword v129, off, s[0:3], 0 offset:200
	;; [unrolled: 1-line block ×8, first 2 shown]
	s_waitcnt vmcnt(24) lgkmcnt(0)
	v_fma_f64 v[115:116], v[135:136], v[119:120], v[115:116]
	s_waitcnt vmcnt(19)
	v_fma_f64 v[135:136], v[137:138], v[121:122], v[115:116]
	ds_read2_b64 v[115:118], v114 offset0:71 offset1:72
	ds_read2_b64 v[119:122], v114 offset0:73 offset1:74
	s_waitcnt vmcnt(18) lgkmcnt(1)
	v_fma_f64 v[115:116], v[143:144], v[115:116], v[135:136]
	s_waitcnt vmcnt(17)
	v_fma_f64 v[115:116], v[141:142], v[117:118], v[115:116]
	buffer_load_dword v136, off, s[0:3], 0 offset:212
	buffer_load_dword v137, off, s[0:3], 0 offset:232
	;; [unrolled: 1-line block ×7, first 2 shown]
	s_waitcnt vmcnt(23) lgkmcnt(0)
	v_fma_f64 v[115:116], v[139:140], v[119:120], v[115:116]
	s_waitcnt vmcnt(18)
	v_fma_f64 v[123:124], v[123:124], v[121:122], v[115:116]
	ds_read2_b64 v[115:118], v114 offset0:75 offset1:76
	ds_read2_b64 v[119:122], v114 offset0:77 offset1:78
	buffer_load_dword v138, off, s[0:3], 0 offset:236
	s_waitcnt vmcnt(18) lgkmcnt(1)
	v_fma_f64 v[115:116], v[147:148], v[115:116], v[123:124]
	s_waitcnt vmcnt(17)
	v_fma_f64 v[115:116], v[145:146], v[117:118], v[115:116]
	buffer_load_dword v124, off, s[0:3], 0 offset:244
	buffer_load_dword v139, off, s[0:3], 0 offset:264
	buffer_load_dword v145, off, s[0:3], 0 offset:256
	buffer_load_dword v147, off, s[0:3], 0 offset:248
	buffer_load_dword v123, off, s[0:3], 0 offset:240
	buffer_load_dword v148, off, s[0:3], 0 offset:252
	buffer_load_dword v146, off, s[0:3], 0 offset:260
	s_waitcnt vmcnt(23) lgkmcnt(0)
	v_fma_f64 v[115:116], v[125:126], v[119:120], v[115:116]
	s_waitcnt vmcnt(18)
	v_fma_f64 v[125:126], v[127:128], v[121:122], v[115:116]
	ds_read2_b64 v[115:118], v114 offset0:79 offset1:80
	ds_read2_b64 v[119:122], v114 offset0:81 offset1:82
	buffer_load_dword v140, off, s[0:3], 0 offset:268
	s_waitcnt vmcnt(18) lgkmcnt(1)
	v_fma_f64 v[115:116], v[133:134], v[115:116], v[125:126]
	s_waitcnt vmcnt(17)
	v_fma_f64 v[115:116], v[131:132], v[117:118], v[115:116]
	buffer_load_dword v126, off, s[0:3], 0 offset:276
	buffer_load_dword v127, off, s[0:3], 0 offset:296
	;; [unrolled: 1-line block ×7, first 2 shown]
	s_waitcnt vmcnt(23) lgkmcnt(0)
	v_fma_f64 v[115:116], v[129:130], v[119:120], v[115:116]
	s_waitcnt vmcnt(18)
	v_fma_f64 v[128:129], v[135:136], v[121:122], v[115:116]
	ds_read2_b64 v[115:118], v114 offset0:83 offset1:84
	ds_read2_b64 v[119:122], v114 offset0:85 offset1:86
	s_waitcnt vmcnt(17) lgkmcnt(1)
	v_fma_f64 v[115:116], v[143:144], v[115:116], v[128:129]
	buffer_load_dword v128, off, s[0:3], 0 offset:300
	s_waitcnt vmcnt(17)
	v_fma_f64 v[115:116], v[141:142], v[117:118], v[115:116]
	buffer_load_dword v130, off, s[0:3], 0 offset:308
	buffer_load_dword v135, off, s[0:3], 0 offset:328
	;; [unrolled: 1-line block ×7, first 2 shown]
	s_waitcnt vmcnt(23) lgkmcnt(0)
	v_fma_f64 v[115:116], v[137:138], v[119:120], v[115:116]
	s_waitcnt vmcnt(18)
	v_fma_f64 v[123:124], v[123:124], v[121:122], v[115:116]
	ds_read2_b64 v[115:118], v114 offset0:87 offset1:88
	ds_read2_b64 v[119:122], v114 offset0:89 offset1:90
	buffer_load_dword v136, off, s[0:3], 0 offset:332
	s_waitcnt vmcnt(18) lgkmcnt(1)
	v_fma_f64 v[115:116], v[147:148], v[115:116], v[123:124]
	s_waitcnt vmcnt(17)
	v_fma_f64 v[115:116], v[145:146], v[117:118], v[115:116]
	buffer_load_dword v124, off, s[0:3], 0 offset:340
	buffer_load_dword v137, off, s[0:3], 0 offset:360
	buffer_load_dword v145, off, s[0:3], 0 offset:352
	buffer_load_dword v147, off, s[0:3], 0 offset:344
	buffer_load_dword v123, off, s[0:3], 0 offset:336
	buffer_load_dword v148, off, s[0:3], 0 offset:348
	buffer_load_dword v146, off, s[0:3], 0 offset:356
	s_waitcnt vmcnt(23) lgkmcnt(0)
	v_fma_f64 v[115:116], v[139:140], v[119:120], v[115:116]
	s_waitcnt vmcnt(18)
	v_fma_f64 v[125:126], v[125:126], v[121:122], v[115:116]
	ds_read2_b64 v[115:118], v114 offset0:91 offset1:92
	ds_read2_b64 v[119:122], v114 offset0:93 offset1:94
	buffer_load_dword v138, off, s[0:3], 0 offset:364
	s_waitcnt vmcnt(18) lgkmcnt(1)
	v_fma_f64 v[115:116], v[133:134], v[115:116], v[125:126]
	s_waitcnt vmcnt(17)
	v_fma_f64 v[115:116], v[131:132], v[117:118], v[115:116]
	buffer_load_dword v126, off, s[0:3], 0 offset:372
	buffer_load_dword v131, off, s[0:3], 0 offset:392
	;; [unrolled: 1-line block ×8, first 2 shown]
	s_waitcnt vmcnt(24) lgkmcnt(0)
	v_fma_f64 v[115:116], v[127:128], v[119:120], v[115:116]
	s_waitcnt vmcnt(19)
	v_fma_f64 v[127:128], v[129:130], v[121:122], v[115:116]
	ds_read2_b64 v[115:118], v114 offset0:95 offset1:96
	ds_read2_b64 v[119:122], v114 offset0:97 offset1:98
	s_waitcnt vmcnt(18) lgkmcnt(1)
	v_fma_f64 v[115:116], v[143:144], v[115:116], v[127:128]
	s_waitcnt vmcnt(17)
	v_fma_f64 v[115:116], v[141:142], v[117:118], v[115:116]
	buffer_load_dword v128, off, s[0:3], 0 offset:404
	buffer_load_dword v129, off, s[0:3], 0 offset:424
	;; [unrolled: 1-line block ×7, first 2 shown]
	s_waitcnt vmcnt(23) lgkmcnt(0)
	v_fma_f64 v[115:116], v[135:136], v[119:120], v[115:116]
	s_waitcnt vmcnt(18)
	v_fma_f64 v[123:124], v[123:124], v[121:122], v[115:116]
	ds_read2_b64 v[115:118], v114 offset0:99 offset1:100
	ds_read2_b64 v[119:122], v114 offset0:101 offset1:102
	buffer_load_dword v130, off, s[0:3], 0 offset:428
	s_waitcnt vmcnt(18) lgkmcnt(1)
	v_fma_f64 v[115:116], v[147:148], v[115:116], v[123:124]
	buffer_load_dword v124, off, s[0:3], 0 offset:436
	buffer_load_dword v135, off, s[0:3], 0 offset:440
	;; [unrolled: 1-line block ×4, first 2 shown]
	s_waitcnt vmcnt(21)
	v_fma_f64 v[115:116], v[145:146], v[117:118], v[115:116]
	s_waitcnt vmcnt(20) lgkmcnt(0)
	v_fma_f64 v[115:116], v[137:138], v[119:120], v[115:116]
	buffer_load_dword v137, off, s[0:3], 0 offset:48
	buffer_load_dword v138, off, s[0:3], 0 offset:52
	s_waitcnt vmcnt(17)
	v_fma_f64 v[125:126], v[125:126], v[121:122], v[115:116]
	ds_read2_b64 v[115:118], v114 offset0:103 offset1:104
	ds_read2_b64 v[119:122], v114 offset0:105 offset1:106
	s_waitcnt vmcnt(16) lgkmcnt(1)
	v_fma_f64 v[115:116], v[139:140], v[115:116], v[125:126]
	s_waitcnt vmcnt(15)
	v_fma_f64 v[115:116], v[133:134], v[117:118], v[115:116]
	s_waitcnt vmcnt(14) lgkmcnt(0)
	v_fma_f64 v[115:116], v[131:132], v[119:120], v[115:116]
	s_waitcnt vmcnt(9)
	v_fma_f64 v[125:126], v[127:128], v[121:122], v[115:116]
	ds_read2_b64 v[115:118], v114 offset0:107 offset1:108
	ds_read2_b64 v[119:122], v114 offset0:109 offset1:110
	s_waitcnt vmcnt(8) lgkmcnt(1)
	v_fma_f64 v[115:116], v[143:144], v[115:116], v[125:126]
	s_waitcnt vmcnt(7)
	v_fma_f64 v[115:116], v[141:142], v[117:118], v[115:116]
	ds_read_b64 v[117:118], v114 offset:888
	s_waitcnt vmcnt(6) lgkmcnt(1)
	v_fma_f64 v[115:116], v[129:130], v[119:120], v[115:116]
	s_waitcnt vmcnt(3)
	v_fma_f64 v[115:116], v[123:124], v[121:122], v[115:116]
	s_waitcnt vmcnt(2) lgkmcnt(0)
	v_fma_f64 v[115:116], v[135:136], v[117:118], v[115:116]
	s_waitcnt vmcnt(0)
	v_add_f64 v[115:116], v[137:138], -v[115:116]
	buffer_store_dword v116, off, s[0:3], 0 offset:52
	buffer_store_dword v115, off, s[0:3], 0 offset:48
	s_and_saveexec_b64 s[4:5], vcc
	s_cbranch_execz .LBB55_333
; %bb.332:
	buffer_load_dword v115, off, s[0:3], 0 offset:40
	buffer_load_dword v116, off, s[0:3], 0 offset:44
	s_waitcnt vmcnt(0)
	ds_write_b64 v113, v[115:116]
	buffer_store_dword v114, off, s[0:3], 0 offset:40
	buffer_store_dword v114, off, s[0:3], 0 offset:44
.LBB55_333:
	s_or_b64 exec, exec, s[4:5]
	s_waitcnt lgkmcnt(0)
	; wave barrier
	buffer_load_dword v123, off, s[0:3], 0 offset:48
	buffer_load_dword v124, off, s[0:3], 0 offset:52
	;; [unrolled: 1-line block ×22, first 2 shown]
	ds_read_b128 v[115:118], v114 offset:496
	ds_read_b128 v[119:122], v114 offset:512
	v_cmp_lt_u32_e32 vcc, 4, v0
	s_waitcnt vmcnt(20) lgkmcnt(1)
	v_fma_f64 v[115:116], v[123:124], v[115:116], 0
	s_waitcnt vmcnt(18)
	v_fma_f64 v[115:116], v[125:126], v[117:118], v[115:116]
	buffer_load_dword v124, off, s[0:3], 0 offset:140
	buffer_load_dword v125, off, s[0:3], 0 offset:160
	;; [unrolled: 1-line block ×7, first 2 shown]
	s_waitcnt vmcnt(23) lgkmcnt(0)
	v_fma_f64 v[115:116], v[127:128], v[119:120], v[115:116]
	s_waitcnt vmcnt(21)
	v_fma_f64 v[126:127], v[129:130], v[121:122], v[115:116]
	ds_read_b128 v[115:118], v114 offset:528
	ds_read_b128 v[119:122], v114 offset:544
	s_waitcnt vmcnt(19) lgkmcnt(1)
	v_fma_f64 v[115:116], v[131:132], v[115:116], v[126:127]
	buffer_load_dword v126, off, s[0:3], 0 offset:164
	s_waitcnt vmcnt(18)
	v_fma_f64 v[115:116], v[133:134], v[117:118], v[115:116]
	buffer_load_dword v128, off, s[0:3], 0 offset:172
	buffer_load_dword v129, off, s[0:3], 0 offset:192
	;; [unrolled: 1-line block ×8, first 2 shown]
	s_waitcnt vmcnt(24) lgkmcnt(0)
	v_fma_f64 v[115:116], v[135:136], v[119:120], v[115:116]
	s_waitcnt vmcnt(19)
	v_fma_f64 v[135:136], v[137:138], v[121:122], v[115:116]
	ds_read_b128 v[115:118], v114 offset:560
	ds_read_b128 v[119:122], v114 offset:576
	s_waitcnt vmcnt(18) lgkmcnt(1)
	v_fma_f64 v[115:116], v[143:144], v[115:116], v[135:136]
	s_waitcnt vmcnt(17)
	v_fma_f64 v[115:116], v[141:142], v[117:118], v[115:116]
	buffer_load_dword v136, off, s[0:3], 0 offset:204
	buffer_load_dword v137, off, s[0:3], 0 offset:224
	;; [unrolled: 1-line block ×8, first 2 shown]
	s_waitcnt vmcnt(24) lgkmcnt(0)
	v_fma_f64 v[115:116], v[139:140], v[119:120], v[115:116]
	s_waitcnt vmcnt(19)
	v_fma_f64 v[123:124], v[123:124], v[121:122], v[115:116]
	ds_read_b128 v[115:118], v114 offset:592
	ds_read_b128 v[119:122], v114 offset:608
	s_waitcnt vmcnt(18) lgkmcnt(1)
	v_fma_f64 v[115:116], v[147:148], v[115:116], v[123:124]
	s_waitcnt vmcnt(17)
	v_fma_f64 v[115:116], v[145:146], v[117:118], v[115:116]
	buffer_load_dword v124, off, s[0:3], 0 offset:236
	buffer_load_dword v139, off, s[0:3], 0 offset:256
	;; [unrolled: 1-line block ×7, first 2 shown]
	s_waitcnt vmcnt(23) lgkmcnt(0)
	v_fma_f64 v[115:116], v[125:126], v[119:120], v[115:116]
	s_waitcnt vmcnt(18)
	v_fma_f64 v[125:126], v[127:128], v[121:122], v[115:116]
	ds_read_b128 v[115:118], v114 offset:624
	ds_read_b128 v[119:122], v114 offset:640
	buffer_load_dword v140, off, s[0:3], 0 offset:260
	s_waitcnt vmcnt(18) lgkmcnt(1)
	v_fma_f64 v[115:116], v[133:134], v[115:116], v[125:126]
	s_waitcnt vmcnt(17)
	v_fma_f64 v[115:116], v[131:132], v[117:118], v[115:116]
	buffer_load_dword v126, off, s[0:3], 0 offset:268
	buffer_load_dword v127, off, s[0:3], 0 offset:288
	;; [unrolled: 1-line block ×7, first 2 shown]
	s_waitcnt vmcnt(23) lgkmcnt(0)
	v_fma_f64 v[115:116], v[129:130], v[119:120], v[115:116]
	s_waitcnt vmcnt(18)
	v_fma_f64 v[128:129], v[135:136], v[121:122], v[115:116]
	ds_read_b128 v[115:118], v114 offset:656
	ds_read_b128 v[119:122], v114 offset:672
	s_waitcnt vmcnt(17) lgkmcnt(1)
	v_fma_f64 v[115:116], v[143:144], v[115:116], v[128:129]
	buffer_load_dword v128, off, s[0:3], 0 offset:292
	s_waitcnt vmcnt(17)
	v_fma_f64 v[115:116], v[141:142], v[117:118], v[115:116]
	buffer_load_dword v130, off, s[0:3], 0 offset:300
	buffer_load_dword v135, off, s[0:3], 0 offset:320
	;; [unrolled: 1-line block ×8, first 2 shown]
	s_waitcnt vmcnt(24) lgkmcnt(0)
	v_fma_f64 v[115:116], v[137:138], v[119:120], v[115:116]
	s_waitcnt vmcnt(19)
	v_fma_f64 v[123:124], v[123:124], v[121:122], v[115:116]
	ds_read_b128 v[115:118], v114 offset:688
	ds_read_b128 v[119:122], v114 offset:704
	s_waitcnt vmcnt(18) lgkmcnt(1)
	v_fma_f64 v[115:116], v[147:148], v[115:116], v[123:124]
	s_waitcnt vmcnt(17)
	v_fma_f64 v[115:116], v[145:146], v[117:118], v[115:116]
	buffer_load_dword v124, off, s[0:3], 0 offset:332
	buffer_load_dword v137, off, s[0:3], 0 offset:352
	;; [unrolled: 1-line block ×7, first 2 shown]
	s_waitcnt vmcnt(23) lgkmcnt(0)
	v_fma_f64 v[115:116], v[139:140], v[119:120], v[115:116]
	s_waitcnt vmcnt(18)
	v_fma_f64 v[125:126], v[125:126], v[121:122], v[115:116]
	ds_read_b128 v[115:118], v114 offset:720
	ds_read_b128 v[119:122], v114 offset:736
	buffer_load_dword v138, off, s[0:3], 0 offset:356
	s_waitcnt vmcnt(18) lgkmcnt(1)
	v_fma_f64 v[115:116], v[133:134], v[115:116], v[125:126]
	s_waitcnt vmcnt(17)
	v_fma_f64 v[115:116], v[131:132], v[117:118], v[115:116]
	buffer_load_dword v126, off, s[0:3], 0 offset:364
	buffer_load_dword v131, off, s[0:3], 0 offset:384
	;; [unrolled: 1-line block ×8, first 2 shown]
	s_waitcnt vmcnt(24) lgkmcnt(0)
	v_fma_f64 v[115:116], v[127:128], v[119:120], v[115:116]
	s_waitcnt vmcnt(19)
	v_fma_f64 v[127:128], v[129:130], v[121:122], v[115:116]
	ds_read_b128 v[115:118], v114 offset:752
	ds_read_b128 v[119:122], v114 offset:768
	s_waitcnt vmcnt(18) lgkmcnt(1)
	v_fma_f64 v[115:116], v[143:144], v[115:116], v[127:128]
	s_waitcnt vmcnt(17)
	v_fma_f64 v[115:116], v[141:142], v[117:118], v[115:116]
	buffer_load_dword v128, off, s[0:3], 0 offset:396
	buffer_load_dword v129, off, s[0:3], 0 offset:416
	;; [unrolled: 1-line block ×8, first 2 shown]
	s_waitcnt vmcnt(24) lgkmcnt(0)
	v_fma_f64 v[115:116], v[135:136], v[119:120], v[115:116]
	s_waitcnt vmcnt(19)
	v_fma_f64 v[123:124], v[123:124], v[121:122], v[115:116]
	ds_read_b128 v[115:118], v114 offset:784
	ds_read_b128 v[119:122], v114 offset:800
	s_waitcnt vmcnt(18) lgkmcnt(1)
	v_fma_f64 v[115:116], v[147:148], v[115:116], v[123:124]
	s_waitcnt vmcnt(17)
	v_fma_f64 v[115:116], v[145:146], v[117:118], v[115:116]
	buffer_load_dword v124, off, s[0:3], 0 offset:428
	buffer_load_dword v135, off, s[0:3], 0 offset:440
	;; [unrolled: 1-line block ×6, first 2 shown]
	s_waitcnt vmcnt(22) lgkmcnt(0)
	v_fma_f64 v[115:116], v[137:138], v[119:120], v[115:116]
	s_waitcnt vmcnt(17)
	v_fma_f64 v[125:126], v[125:126], v[121:122], v[115:116]
	ds_read_b128 v[115:118], v114 offset:816
	buffer_load_dword v137, off, s[0:3], 0 offset:40
	buffer_load_dword v138, off, s[0:3], 0 offset:44
	ds_read_b128 v[119:122], v114 offset:832
	s_waitcnt vmcnt(18) lgkmcnt(1)
	v_fma_f64 v[115:116], v[139:140], v[115:116], v[125:126]
	s_waitcnt vmcnt(17)
	v_fma_f64 v[115:116], v[133:134], v[117:118], v[115:116]
	s_waitcnt vmcnt(16) lgkmcnt(0)
	v_fma_f64 v[115:116], v[131:132], v[119:120], v[115:116]
	s_waitcnt vmcnt(11)
	v_fma_f64 v[125:126], v[127:128], v[121:122], v[115:116]
	ds_read_b128 v[115:118], v114 offset:848
	ds_read_b128 v[119:122], v114 offset:864
	s_waitcnt vmcnt(10) lgkmcnt(1)
	v_fma_f64 v[115:116], v[143:144], v[115:116], v[125:126]
	s_waitcnt vmcnt(9)
	v_fma_f64 v[115:116], v[141:142], v[117:118], v[115:116]
	s_waitcnt vmcnt(8) lgkmcnt(0)
	v_fma_f64 v[115:116], v[129:130], v[119:120], v[115:116]
	s_waitcnt vmcnt(4)
	v_fma_f64 v[118:119], v[123:124], v[121:122], v[115:116]
	ds_read_b128 v[114:117], v114 offset:880
	s_waitcnt vmcnt(3) lgkmcnt(0)
	v_fma_f64 v[114:115], v[145:146], v[114:115], v[118:119]
	s_waitcnt vmcnt(2)
	v_fma_f64 v[114:115], v[135:136], v[116:117], v[114:115]
	s_waitcnt vmcnt(0)
	v_add_f64 v[114:115], v[137:138], -v[114:115]
	buffer_store_dword v115, off, s[0:3], 0 offset:44
	buffer_store_dword v114, off, s[0:3], 0 offset:40
	s_and_saveexec_b64 s[4:5], vcc
	s_cbranch_execz .LBB55_335
; %bb.334:
	buffer_load_dword v114, off, s[0:3], 0 offset:32
	buffer_load_dword v115, off, s[0:3], 0 offset:36
	v_mov_b32_e32 v116, 0
	buffer_store_dword v116, off, s[0:3], 0 offset:32
	buffer_store_dword v116, off, s[0:3], 0 offset:36
	s_waitcnt vmcnt(2)
	ds_write_b64 v113, v[114:115]
.LBB55_335:
	s_or_b64 exec, exec, s[4:5]
	s_waitcnt lgkmcnt(0)
	; wave barrier
	buffer_load_dword v123, off, s[0:3], 0 offset:40
	buffer_load_dword v124, off, s[0:3], 0 offset:44
	;; [unrolled: 1-line block ×22, first 2 shown]
	v_mov_b32_e32 v114, 0
	ds_read2_b64 v[115:118], v114 offset0:61 offset1:62
	ds_read2_b64 v[119:122], v114 offset0:63 offset1:64
	v_cmp_lt_u32_e32 vcc, 3, v0
	s_waitcnt vmcnt(20) lgkmcnt(1)
	v_fma_f64 v[115:116], v[123:124], v[115:116], 0
	s_waitcnt vmcnt(18)
	v_fma_f64 v[115:116], v[125:126], v[117:118], v[115:116]
	buffer_load_dword v124, off, s[0:3], 0 offset:132
	buffer_load_dword v125, off, s[0:3], 0 offset:152
	;; [unrolled: 1-line block ×7, first 2 shown]
	s_waitcnt vmcnt(23) lgkmcnt(0)
	v_fma_f64 v[115:116], v[127:128], v[119:120], v[115:116]
	s_waitcnt vmcnt(21)
	v_fma_f64 v[126:127], v[129:130], v[121:122], v[115:116]
	ds_read2_b64 v[115:118], v114 offset0:65 offset1:66
	ds_read2_b64 v[119:122], v114 offset0:67 offset1:68
	s_waitcnt vmcnt(19) lgkmcnt(1)
	v_fma_f64 v[115:116], v[131:132], v[115:116], v[126:127]
	buffer_load_dword v126, off, s[0:3], 0 offset:156
	s_waitcnt vmcnt(18)
	v_fma_f64 v[115:116], v[133:134], v[117:118], v[115:116]
	buffer_load_dword v128, off, s[0:3], 0 offset:164
	buffer_load_dword v129, off, s[0:3], 0 offset:184
	;; [unrolled: 1-line block ×8, first 2 shown]
	s_waitcnt vmcnt(24) lgkmcnt(0)
	v_fma_f64 v[115:116], v[135:136], v[119:120], v[115:116]
	s_waitcnt vmcnt(19)
	v_fma_f64 v[135:136], v[137:138], v[121:122], v[115:116]
	ds_read2_b64 v[115:118], v114 offset0:69 offset1:70
	ds_read2_b64 v[119:122], v114 offset0:71 offset1:72
	s_waitcnt vmcnt(18) lgkmcnt(1)
	v_fma_f64 v[115:116], v[143:144], v[115:116], v[135:136]
	s_waitcnt vmcnt(17)
	v_fma_f64 v[115:116], v[141:142], v[117:118], v[115:116]
	buffer_load_dword v136, off, s[0:3], 0 offset:196
	buffer_load_dword v137, off, s[0:3], 0 offset:216
	;; [unrolled: 1-line block ×8, first 2 shown]
	s_waitcnt vmcnt(24) lgkmcnt(0)
	v_fma_f64 v[115:116], v[139:140], v[119:120], v[115:116]
	s_waitcnt vmcnt(19)
	v_fma_f64 v[123:124], v[123:124], v[121:122], v[115:116]
	ds_read2_b64 v[115:118], v114 offset0:73 offset1:74
	ds_read2_b64 v[119:122], v114 offset0:75 offset1:76
	s_waitcnt vmcnt(18) lgkmcnt(1)
	v_fma_f64 v[115:116], v[147:148], v[115:116], v[123:124]
	s_waitcnt vmcnt(17)
	v_fma_f64 v[115:116], v[145:146], v[117:118], v[115:116]
	buffer_load_dword v124, off, s[0:3], 0 offset:228
	buffer_load_dword v139, off, s[0:3], 0 offset:248
	;; [unrolled: 1-line block ×7, first 2 shown]
	s_waitcnt vmcnt(23) lgkmcnt(0)
	v_fma_f64 v[115:116], v[125:126], v[119:120], v[115:116]
	s_waitcnt vmcnt(18)
	v_fma_f64 v[125:126], v[127:128], v[121:122], v[115:116]
	ds_read2_b64 v[115:118], v114 offset0:77 offset1:78
	ds_read2_b64 v[119:122], v114 offset0:79 offset1:80
	buffer_load_dword v140, off, s[0:3], 0 offset:252
	s_waitcnt vmcnt(18) lgkmcnt(1)
	v_fma_f64 v[115:116], v[133:134], v[115:116], v[125:126]
	s_waitcnt vmcnt(17)
	v_fma_f64 v[115:116], v[131:132], v[117:118], v[115:116]
	buffer_load_dword v126, off, s[0:3], 0 offset:260
	buffer_load_dword v127, off, s[0:3], 0 offset:280
	;; [unrolled: 1-line block ×7, first 2 shown]
	s_waitcnt vmcnt(23) lgkmcnt(0)
	v_fma_f64 v[115:116], v[129:130], v[119:120], v[115:116]
	s_waitcnt vmcnt(18)
	v_fma_f64 v[128:129], v[135:136], v[121:122], v[115:116]
	ds_read2_b64 v[115:118], v114 offset0:81 offset1:82
	ds_read2_b64 v[119:122], v114 offset0:83 offset1:84
	s_waitcnt vmcnt(17) lgkmcnt(1)
	v_fma_f64 v[115:116], v[143:144], v[115:116], v[128:129]
	buffer_load_dword v128, off, s[0:3], 0 offset:284
	s_waitcnt vmcnt(17)
	v_fma_f64 v[115:116], v[141:142], v[117:118], v[115:116]
	buffer_load_dword v130, off, s[0:3], 0 offset:292
	buffer_load_dword v135, off, s[0:3], 0 offset:312
	;; [unrolled: 1-line block ×8, first 2 shown]
	s_waitcnt vmcnt(24) lgkmcnt(0)
	v_fma_f64 v[115:116], v[137:138], v[119:120], v[115:116]
	s_waitcnt vmcnt(19)
	v_fma_f64 v[123:124], v[123:124], v[121:122], v[115:116]
	ds_read2_b64 v[115:118], v114 offset0:85 offset1:86
	ds_read2_b64 v[119:122], v114 offset0:87 offset1:88
	s_waitcnt vmcnt(18) lgkmcnt(1)
	v_fma_f64 v[115:116], v[147:148], v[115:116], v[123:124]
	s_waitcnt vmcnt(17)
	v_fma_f64 v[115:116], v[145:146], v[117:118], v[115:116]
	buffer_load_dword v124, off, s[0:3], 0 offset:324
	buffer_load_dword v137, off, s[0:3], 0 offset:344
	;; [unrolled: 1-line block ×7, first 2 shown]
	s_waitcnt vmcnt(23) lgkmcnt(0)
	v_fma_f64 v[115:116], v[139:140], v[119:120], v[115:116]
	s_waitcnt vmcnt(18)
	v_fma_f64 v[125:126], v[125:126], v[121:122], v[115:116]
	ds_read2_b64 v[115:118], v114 offset0:89 offset1:90
	ds_read2_b64 v[119:122], v114 offset0:91 offset1:92
	buffer_load_dword v138, off, s[0:3], 0 offset:348
	s_waitcnt vmcnt(18) lgkmcnt(1)
	v_fma_f64 v[115:116], v[133:134], v[115:116], v[125:126]
	s_waitcnt vmcnt(17)
	v_fma_f64 v[115:116], v[131:132], v[117:118], v[115:116]
	buffer_load_dword v126, off, s[0:3], 0 offset:356
	buffer_load_dword v131, off, s[0:3], 0 offset:376
	buffer_load_dword v133, off, s[0:3], 0 offset:368
	buffer_load_dword v139, off, s[0:3], 0 offset:360
	buffer_load_dword v125, off, s[0:3], 0 offset:352
	buffer_load_dword v140, off, s[0:3], 0 offset:364
	buffer_load_dword v134, off, s[0:3], 0 offset:372
	buffer_load_dword v132, off, s[0:3], 0 offset:380
	s_waitcnt vmcnt(24) lgkmcnt(0)
	v_fma_f64 v[115:116], v[127:128], v[119:120], v[115:116]
	s_waitcnt vmcnt(19)
	v_fma_f64 v[127:128], v[129:130], v[121:122], v[115:116]
	ds_read2_b64 v[115:118], v114 offset0:93 offset1:94
	ds_read2_b64 v[119:122], v114 offset0:95 offset1:96
	s_waitcnt vmcnt(18) lgkmcnt(1)
	v_fma_f64 v[115:116], v[143:144], v[115:116], v[127:128]
	s_waitcnt vmcnt(17)
	v_fma_f64 v[115:116], v[141:142], v[117:118], v[115:116]
	buffer_load_dword v128, off, s[0:3], 0 offset:388
	buffer_load_dword v129, off, s[0:3], 0 offset:408
	buffer_load_dword v141, off, s[0:3], 0 offset:400
	buffer_load_dword v143, off, s[0:3], 0 offset:392
	buffer_load_dword v127, off, s[0:3], 0 offset:384
	buffer_load_dword v144, off, s[0:3], 0 offset:396
	buffer_load_dword v142, off, s[0:3], 0 offset:404
	buffer_load_dword v130, off, s[0:3], 0 offset:412
	s_waitcnt vmcnt(24) lgkmcnt(0)
	v_fma_f64 v[115:116], v[135:136], v[119:120], v[115:116]
	s_waitcnt vmcnt(19)
	v_fma_f64 v[123:124], v[123:124], v[121:122], v[115:116]
	ds_read2_b64 v[115:118], v114 offset0:97 offset1:98
	ds_read2_b64 v[119:122], v114 offset0:99 offset1:100
	;; [unrolled: 18-line block ×3, first 2 shown]
	s_waitcnt vmcnt(18) lgkmcnt(1)
	v_fma_f64 v[115:116], v[139:140], v[115:116], v[125:126]
	buffer_load_dword v125, off, s[0:3], 0 offset:32
	buffer_load_dword v126, off, s[0:3], 0 offset:36
	s_waitcnt vmcnt(19)
	v_fma_f64 v[115:116], v[133:134], v[117:118], v[115:116]
	s_waitcnt vmcnt(18) lgkmcnt(0)
	v_fma_f64 v[115:116], v[131:132], v[119:120], v[115:116]
	s_waitcnt vmcnt(13)
	v_fma_f64 v[127:128], v[127:128], v[121:122], v[115:116]
	ds_read2_b64 v[115:118], v114 offset0:105 offset1:106
	ds_read2_b64 v[119:122], v114 offset0:107 offset1:108
	s_waitcnt vmcnt(12) lgkmcnt(1)
	v_fma_f64 v[115:116], v[143:144], v[115:116], v[127:128]
	s_waitcnt vmcnt(11)
	v_fma_f64 v[115:116], v[141:142], v[117:118], v[115:116]
	s_waitcnt vmcnt(10) lgkmcnt(0)
	v_fma_f64 v[115:116], v[129:130], v[119:120], v[115:116]
	s_waitcnt vmcnt(5)
	v_fma_f64 v[119:120], v[123:124], v[121:122], v[115:116]
	ds_read2_b64 v[115:118], v114 offset0:109 offset1:110
	ds_read_b64 v[121:122], v114 offset:888
	s_waitcnt vmcnt(4) lgkmcnt(1)
	v_fma_f64 v[115:116], v[147:148], v[115:116], v[119:120]
	s_waitcnt vmcnt(3)
	v_fma_f64 v[115:116], v[145:146], v[117:118], v[115:116]
	s_waitcnt vmcnt(2) lgkmcnt(0)
	v_fma_f64 v[115:116], v[135:136], v[121:122], v[115:116]
	s_waitcnt vmcnt(0)
	v_add_f64 v[115:116], v[125:126], -v[115:116]
	buffer_store_dword v116, off, s[0:3], 0 offset:36
	buffer_store_dword v115, off, s[0:3], 0 offset:32
	s_and_saveexec_b64 s[4:5], vcc
	s_cbranch_execz .LBB55_337
; %bb.336:
	buffer_load_dword v115, off, s[0:3], 0 offset:24
	buffer_load_dword v116, off, s[0:3], 0 offset:28
	s_waitcnt vmcnt(0)
	ds_write_b64 v113, v[115:116]
	buffer_store_dword v114, off, s[0:3], 0 offset:24
	buffer_store_dword v114, off, s[0:3], 0 offset:28
.LBB55_337:
	s_or_b64 exec, exec, s[4:5]
	s_waitcnt lgkmcnt(0)
	; wave barrier
	buffer_load_dword v123, off, s[0:3], 0 offset:32
	buffer_load_dword v124, off, s[0:3], 0 offset:36
	;; [unrolled: 1-line block ×22, first 2 shown]
	ds_read_b128 v[115:118], v114 offset:480
	ds_read_b128 v[119:122], v114 offset:496
	v_cmp_lt_u32_e32 vcc, 2, v0
	s_waitcnt vmcnt(20) lgkmcnt(1)
	v_fma_f64 v[115:116], v[123:124], v[115:116], 0
	s_waitcnt vmcnt(18)
	v_fma_f64 v[115:116], v[125:126], v[117:118], v[115:116]
	buffer_load_dword v124, off, s[0:3], 0 offset:124
	buffer_load_dword v125, off, s[0:3], 0 offset:144
	;; [unrolled: 1-line block ×7, first 2 shown]
	s_waitcnt vmcnt(23) lgkmcnt(0)
	v_fma_f64 v[115:116], v[127:128], v[119:120], v[115:116]
	s_waitcnt vmcnt(21)
	v_fma_f64 v[126:127], v[129:130], v[121:122], v[115:116]
	ds_read_b128 v[115:118], v114 offset:512
	ds_read_b128 v[119:122], v114 offset:528
	s_waitcnt vmcnt(19) lgkmcnt(1)
	v_fma_f64 v[115:116], v[131:132], v[115:116], v[126:127]
	buffer_load_dword v126, off, s[0:3], 0 offset:148
	s_waitcnt vmcnt(18)
	v_fma_f64 v[115:116], v[133:134], v[117:118], v[115:116]
	buffer_load_dword v128, off, s[0:3], 0 offset:156
	buffer_load_dword v129, off, s[0:3], 0 offset:176
	;; [unrolled: 1-line block ×8, first 2 shown]
	s_waitcnt vmcnt(24) lgkmcnt(0)
	v_fma_f64 v[115:116], v[135:136], v[119:120], v[115:116]
	s_waitcnt vmcnt(19)
	v_fma_f64 v[135:136], v[137:138], v[121:122], v[115:116]
	ds_read_b128 v[115:118], v114 offset:544
	ds_read_b128 v[119:122], v114 offset:560
	s_waitcnt vmcnt(18) lgkmcnt(1)
	v_fma_f64 v[115:116], v[143:144], v[115:116], v[135:136]
	s_waitcnt vmcnt(17)
	v_fma_f64 v[115:116], v[141:142], v[117:118], v[115:116]
	buffer_load_dword v136, off, s[0:3], 0 offset:188
	buffer_load_dword v137, off, s[0:3], 0 offset:208
	;; [unrolled: 1-line block ×8, first 2 shown]
	s_waitcnt vmcnt(24) lgkmcnt(0)
	v_fma_f64 v[115:116], v[139:140], v[119:120], v[115:116]
	s_waitcnt vmcnt(19)
	v_fma_f64 v[123:124], v[123:124], v[121:122], v[115:116]
	ds_read_b128 v[115:118], v114 offset:576
	ds_read_b128 v[119:122], v114 offset:592
	s_waitcnt vmcnt(18) lgkmcnt(1)
	v_fma_f64 v[115:116], v[147:148], v[115:116], v[123:124]
	s_waitcnt vmcnt(17)
	v_fma_f64 v[115:116], v[145:146], v[117:118], v[115:116]
	buffer_load_dword v124, off, s[0:3], 0 offset:220
	buffer_load_dword v139, off, s[0:3], 0 offset:240
	;; [unrolled: 1-line block ×7, first 2 shown]
	s_waitcnt vmcnt(23) lgkmcnt(0)
	v_fma_f64 v[115:116], v[125:126], v[119:120], v[115:116]
	s_waitcnt vmcnt(18)
	v_fma_f64 v[125:126], v[127:128], v[121:122], v[115:116]
	ds_read_b128 v[115:118], v114 offset:608
	ds_read_b128 v[119:122], v114 offset:624
	buffer_load_dword v140, off, s[0:3], 0 offset:244
	s_waitcnt vmcnt(18) lgkmcnt(1)
	v_fma_f64 v[115:116], v[133:134], v[115:116], v[125:126]
	s_waitcnt vmcnt(17)
	v_fma_f64 v[115:116], v[131:132], v[117:118], v[115:116]
	buffer_load_dword v126, off, s[0:3], 0 offset:252
	buffer_load_dword v127, off, s[0:3], 0 offset:272
	;; [unrolled: 1-line block ×7, first 2 shown]
	s_waitcnt vmcnt(23) lgkmcnt(0)
	v_fma_f64 v[115:116], v[129:130], v[119:120], v[115:116]
	s_waitcnt vmcnt(18)
	v_fma_f64 v[128:129], v[135:136], v[121:122], v[115:116]
	ds_read_b128 v[115:118], v114 offset:640
	ds_read_b128 v[119:122], v114 offset:656
	s_waitcnt vmcnt(17) lgkmcnt(1)
	v_fma_f64 v[115:116], v[143:144], v[115:116], v[128:129]
	buffer_load_dword v128, off, s[0:3], 0 offset:276
	s_waitcnt vmcnt(17)
	v_fma_f64 v[115:116], v[141:142], v[117:118], v[115:116]
	buffer_load_dword v130, off, s[0:3], 0 offset:284
	buffer_load_dword v135, off, s[0:3], 0 offset:304
	;; [unrolled: 1-line block ×8, first 2 shown]
	s_waitcnt vmcnt(24) lgkmcnt(0)
	v_fma_f64 v[115:116], v[137:138], v[119:120], v[115:116]
	s_waitcnt vmcnt(19)
	v_fma_f64 v[123:124], v[123:124], v[121:122], v[115:116]
	ds_read_b128 v[115:118], v114 offset:672
	ds_read_b128 v[119:122], v114 offset:688
	s_waitcnt vmcnt(18) lgkmcnt(1)
	v_fma_f64 v[115:116], v[147:148], v[115:116], v[123:124]
	s_waitcnt vmcnt(17)
	v_fma_f64 v[115:116], v[145:146], v[117:118], v[115:116]
	buffer_load_dword v124, off, s[0:3], 0 offset:316
	buffer_load_dword v137, off, s[0:3], 0 offset:336
	;; [unrolled: 1-line block ×7, first 2 shown]
	s_waitcnt vmcnt(23) lgkmcnt(0)
	v_fma_f64 v[115:116], v[139:140], v[119:120], v[115:116]
	s_waitcnt vmcnt(18)
	v_fma_f64 v[125:126], v[125:126], v[121:122], v[115:116]
	ds_read_b128 v[115:118], v114 offset:704
	ds_read_b128 v[119:122], v114 offset:720
	buffer_load_dword v138, off, s[0:3], 0 offset:340
	s_waitcnt vmcnt(18) lgkmcnt(1)
	v_fma_f64 v[115:116], v[133:134], v[115:116], v[125:126]
	s_waitcnt vmcnt(17)
	v_fma_f64 v[115:116], v[131:132], v[117:118], v[115:116]
	buffer_load_dword v126, off, s[0:3], 0 offset:348
	buffer_load_dword v131, off, s[0:3], 0 offset:368
	buffer_load_dword v133, off, s[0:3], 0 offset:360
	buffer_load_dword v139, off, s[0:3], 0 offset:352
	buffer_load_dword v125, off, s[0:3], 0 offset:344
	buffer_load_dword v140, off, s[0:3], 0 offset:356
	buffer_load_dword v134, off, s[0:3], 0 offset:364
	buffer_load_dword v132, off, s[0:3], 0 offset:372
	s_waitcnt vmcnt(24) lgkmcnt(0)
	v_fma_f64 v[115:116], v[127:128], v[119:120], v[115:116]
	s_waitcnt vmcnt(19)
	v_fma_f64 v[127:128], v[129:130], v[121:122], v[115:116]
	ds_read_b128 v[115:118], v114 offset:736
	ds_read_b128 v[119:122], v114 offset:752
	s_waitcnt vmcnt(18) lgkmcnt(1)
	v_fma_f64 v[115:116], v[143:144], v[115:116], v[127:128]
	s_waitcnt vmcnt(17)
	v_fma_f64 v[115:116], v[141:142], v[117:118], v[115:116]
	buffer_load_dword v128, off, s[0:3], 0 offset:380
	buffer_load_dword v129, off, s[0:3], 0 offset:400
	buffer_load_dword v141, off, s[0:3], 0 offset:392
	buffer_load_dword v143, off, s[0:3], 0 offset:384
	buffer_load_dword v127, off, s[0:3], 0 offset:376
	buffer_load_dword v144, off, s[0:3], 0 offset:388
	buffer_load_dword v142, off, s[0:3], 0 offset:396
	buffer_load_dword v130, off, s[0:3], 0 offset:404
	s_waitcnt vmcnt(24) lgkmcnt(0)
	v_fma_f64 v[115:116], v[135:136], v[119:120], v[115:116]
	s_waitcnt vmcnt(19)
	v_fma_f64 v[123:124], v[123:124], v[121:122], v[115:116]
	ds_read_b128 v[115:118], v114 offset:768
	ds_read_b128 v[119:122], v114 offset:784
	;; [unrolled: 18-line block ×3, first 2 shown]
	s_waitcnt vmcnt(18) lgkmcnt(1)
	v_fma_f64 v[115:116], v[139:140], v[115:116], v[125:126]
	buffer_load_dword v126, off, s[0:3], 0 offset:444
	buffer_load_dword v125, off, s[0:3], 0 offset:440
	s_waitcnt vmcnt(19)
	v_fma_f64 v[115:116], v[133:134], v[117:118], v[115:116]
	buffer_load_dword v133, off, s[0:3], 0 offset:24
	buffer_load_dword v134, off, s[0:3], 0 offset:28
	s_waitcnt vmcnt(20) lgkmcnt(0)
	v_fma_f64 v[115:116], v[131:132], v[119:120], v[115:116]
	s_waitcnt vmcnt(15)
	v_fma_f64 v[127:128], v[127:128], v[121:122], v[115:116]
	ds_read_b128 v[115:118], v114 offset:832
	ds_read_b128 v[119:122], v114 offset:848
	s_waitcnt vmcnt(14) lgkmcnt(1)
	v_fma_f64 v[115:116], v[143:144], v[115:116], v[127:128]
	s_waitcnt vmcnt(13)
	v_fma_f64 v[115:116], v[141:142], v[117:118], v[115:116]
	s_waitcnt vmcnt(12) lgkmcnt(0)
	v_fma_f64 v[115:116], v[129:130], v[119:120], v[115:116]
	s_waitcnt vmcnt(7)
	v_fma_f64 v[123:124], v[123:124], v[121:122], v[115:116]
	ds_read_b128 v[115:118], v114 offset:864
	ds_read_b128 v[119:122], v114 offset:880
	s_waitcnt vmcnt(6) lgkmcnt(1)
	v_fma_f64 v[114:115], v[147:148], v[115:116], v[123:124]
	s_waitcnt vmcnt(5)
	v_fma_f64 v[114:115], v[145:146], v[117:118], v[114:115]
	s_waitcnt vmcnt(4) lgkmcnt(0)
	v_fma_f64 v[114:115], v[135:136], v[119:120], v[114:115]
	s_waitcnt vmcnt(2)
	v_fma_f64 v[114:115], v[125:126], v[121:122], v[114:115]
	s_waitcnt vmcnt(0)
	v_add_f64 v[114:115], v[133:134], -v[114:115]
	buffer_store_dword v115, off, s[0:3], 0 offset:28
	buffer_store_dword v114, off, s[0:3], 0 offset:24
	s_and_saveexec_b64 s[4:5], vcc
	s_cbranch_execz .LBB55_339
; %bb.338:
	buffer_load_dword v114, off, s[0:3], 0 offset:16
	buffer_load_dword v115, off, s[0:3], 0 offset:20
	v_mov_b32_e32 v116, 0
	buffer_store_dword v116, off, s[0:3], 0 offset:16
	buffer_store_dword v116, off, s[0:3], 0 offset:20
	s_waitcnt vmcnt(2)
	ds_write_b64 v113, v[114:115]
.LBB55_339:
	s_or_b64 exec, exec, s[4:5]
	s_waitcnt lgkmcnt(0)
	; wave barrier
	buffer_load_dword v123, off, s[0:3], 0 offset:24
	buffer_load_dword v124, off, s[0:3], 0 offset:28
	;; [unrolled: 1-line block ×22, first 2 shown]
	v_mov_b32_e32 v114, 0
	ds_read2_b64 v[115:118], v114 offset0:59 offset1:60
	ds_read2_b64 v[119:122], v114 offset0:61 offset1:62
	v_cmp_lt_u32_e32 vcc, 1, v0
	s_waitcnt vmcnt(20) lgkmcnt(1)
	v_fma_f64 v[115:116], v[123:124], v[115:116], 0
	s_waitcnt vmcnt(18)
	v_fma_f64 v[115:116], v[125:126], v[117:118], v[115:116]
	buffer_load_dword v124, off, s[0:3], 0 offset:116
	buffer_load_dword v125, off, s[0:3], 0 offset:136
	;; [unrolled: 1-line block ×7, first 2 shown]
	s_waitcnt vmcnt(23) lgkmcnt(0)
	v_fma_f64 v[115:116], v[127:128], v[119:120], v[115:116]
	s_waitcnt vmcnt(21)
	v_fma_f64 v[126:127], v[129:130], v[121:122], v[115:116]
	ds_read2_b64 v[115:118], v114 offset0:63 offset1:64
	ds_read2_b64 v[119:122], v114 offset0:65 offset1:66
	s_waitcnt vmcnt(19) lgkmcnt(1)
	v_fma_f64 v[115:116], v[131:132], v[115:116], v[126:127]
	buffer_load_dword v126, off, s[0:3], 0 offset:140
	s_waitcnt vmcnt(18)
	v_fma_f64 v[115:116], v[133:134], v[117:118], v[115:116]
	buffer_load_dword v128, off, s[0:3], 0 offset:148
	buffer_load_dword v129, off, s[0:3], 0 offset:168
	;; [unrolled: 1-line block ×7, first 2 shown]
	s_waitcnt vmcnt(23) lgkmcnt(0)
	v_fma_f64 v[115:116], v[135:136], v[119:120], v[115:116]
	s_waitcnt vmcnt(18)
	v_fma_f64 v[135:136], v[137:138], v[121:122], v[115:116]
	ds_read2_b64 v[115:118], v114 offset0:67 offset1:68
	ds_read2_b64 v[119:122], v114 offset0:69 offset1:70
	buffer_load_dword v130, off, s[0:3], 0 offset:172
	s_waitcnt vmcnt(18) lgkmcnt(1)
	v_fma_f64 v[115:116], v[143:144], v[115:116], v[135:136]
	s_waitcnt vmcnt(17)
	v_fma_f64 v[115:116], v[141:142], v[117:118], v[115:116]
	buffer_load_dword v136, off, s[0:3], 0 offset:180
	buffer_load_dword v137, off, s[0:3], 0 offset:200
	;; [unrolled: 1-line block ×8, first 2 shown]
	s_waitcnt vmcnt(24) lgkmcnt(0)
	v_fma_f64 v[115:116], v[139:140], v[119:120], v[115:116]
	s_waitcnt vmcnt(19)
	v_fma_f64 v[123:124], v[123:124], v[121:122], v[115:116]
	ds_read2_b64 v[115:118], v114 offset0:71 offset1:72
	ds_read2_b64 v[119:122], v114 offset0:73 offset1:74
	s_waitcnt vmcnt(18) lgkmcnt(1)
	v_fma_f64 v[115:116], v[147:148], v[115:116], v[123:124]
	s_waitcnt vmcnt(17)
	v_fma_f64 v[115:116], v[145:146], v[117:118], v[115:116]
	buffer_load_dword v124, off, s[0:3], 0 offset:212
	buffer_load_dword v139, off, s[0:3], 0 offset:232
	buffer_load_dword v145, off, s[0:3], 0 offset:224
	buffer_load_dword v147, off, s[0:3], 0 offset:216
	buffer_load_dword v123, off, s[0:3], 0 offset:208
	buffer_load_dword v148, off, s[0:3], 0 offset:220
	buffer_load_dword v146, off, s[0:3], 0 offset:228
	s_waitcnt vmcnt(23) lgkmcnt(0)
	v_fma_f64 v[115:116], v[125:126], v[119:120], v[115:116]
	s_waitcnt vmcnt(18)
	v_fma_f64 v[125:126], v[127:128], v[121:122], v[115:116]
	ds_read2_b64 v[115:118], v114 offset0:75 offset1:76
	ds_read2_b64 v[119:122], v114 offset0:77 offset1:78
	buffer_load_dword v140, off, s[0:3], 0 offset:236
	s_waitcnt vmcnt(18) lgkmcnt(1)
	v_fma_f64 v[115:116], v[133:134], v[115:116], v[125:126]
	s_waitcnt vmcnt(17)
	v_fma_f64 v[115:116], v[131:132], v[117:118], v[115:116]
	buffer_load_dword v126, off, s[0:3], 0 offset:244
	buffer_load_dword v127, off, s[0:3], 0 offset:264
	;; [unrolled: 1-line block ×7, first 2 shown]
	s_waitcnt vmcnt(23) lgkmcnt(0)
	v_fma_f64 v[115:116], v[129:130], v[119:120], v[115:116]
	s_waitcnt vmcnt(18)
	v_fma_f64 v[128:129], v[135:136], v[121:122], v[115:116]
	ds_read2_b64 v[115:118], v114 offset0:79 offset1:80
	ds_read2_b64 v[119:122], v114 offset0:81 offset1:82
	s_waitcnt vmcnt(17) lgkmcnt(1)
	v_fma_f64 v[115:116], v[143:144], v[115:116], v[128:129]
	buffer_load_dword v128, off, s[0:3], 0 offset:268
	s_waitcnt vmcnt(17)
	v_fma_f64 v[115:116], v[141:142], v[117:118], v[115:116]
	buffer_load_dword v130, off, s[0:3], 0 offset:276
	buffer_load_dword v135, off, s[0:3], 0 offset:296
	;; [unrolled: 1-line block ×8, first 2 shown]
	s_waitcnt vmcnt(24) lgkmcnt(0)
	v_fma_f64 v[115:116], v[137:138], v[119:120], v[115:116]
	s_waitcnt vmcnt(19)
	v_fma_f64 v[123:124], v[123:124], v[121:122], v[115:116]
	ds_read2_b64 v[115:118], v114 offset0:83 offset1:84
	ds_read2_b64 v[119:122], v114 offset0:85 offset1:86
	s_waitcnt vmcnt(18) lgkmcnt(1)
	v_fma_f64 v[115:116], v[147:148], v[115:116], v[123:124]
	s_waitcnt vmcnt(17)
	v_fma_f64 v[115:116], v[145:146], v[117:118], v[115:116]
	buffer_load_dword v124, off, s[0:3], 0 offset:308
	buffer_load_dword v137, off, s[0:3], 0 offset:328
	;; [unrolled: 1-line block ×7, first 2 shown]
	s_waitcnt vmcnt(23) lgkmcnt(0)
	v_fma_f64 v[115:116], v[139:140], v[119:120], v[115:116]
	s_waitcnt vmcnt(18)
	v_fma_f64 v[125:126], v[125:126], v[121:122], v[115:116]
	ds_read2_b64 v[115:118], v114 offset0:87 offset1:88
	ds_read2_b64 v[119:122], v114 offset0:89 offset1:90
	buffer_load_dword v138, off, s[0:3], 0 offset:332
	s_waitcnt vmcnt(18) lgkmcnt(1)
	v_fma_f64 v[115:116], v[133:134], v[115:116], v[125:126]
	s_waitcnt vmcnt(17)
	v_fma_f64 v[115:116], v[131:132], v[117:118], v[115:116]
	buffer_load_dword v126, off, s[0:3], 0 offset:340
	buffer_load_dword v131, off, s[0:3], 0 offset:360
	;; [unrolled: 1-line block ×7, first 2 shown]
	s_waitcnt vmcnt(23) lgkmcnt(0)
	v_fma_f64 v[115:116], v[127:128], v[119:120], v[115:116]
	s_waitcnt vmcnt(18)
	v_fma_f64 v[127:128], v[129:130], v[121:122], v[115:116]
	ds_read2_b64 v[115:118], v114 offset0:91 offset1:92
	ds_read2_b64 v[119:122], v114 offset0:93 offset1:94
	buffer_load_dword v132, off, s[0:3], 0 offset:364
	s_waitcnt vmcnt(18) lgkmcnt(1)
	v_fma_f64 v[115:116], v[143:144], v[115:116], v[127:128]
	s_waitcnt vmcnt(17)
	v_fma_f64 v[115:116], v[141:142], v[117:118], v[115:116]
	buffer_load_dword v128, off, s[0:3], 0 offset:372
	buffer_load_dword v129, off, s[0:3], 0 offset:392
	;; [unrolled: 1-line block ×8, first 2 shown]
	s_waitcnt vmcnt(24) lgkmcnt(0)
	v_fma_f64 v[115:116], v[135:136], v[119:120], v[115:116]
	s_waitcnt vmcnt(19)
	v_fma_f64 v[123:124], v[123:124], v[121:122], v[115:116]
	ds_read2_b64 v[115:118], v114 offset0:95 offset1:96
	ds_read2_b64 v[119:122], v114 offset0:97 offset1:98
	s_waitcnt vmcnt(18) lgkmcnt(1)
	v_fma_f64 v[115:116], v[147:148], v[115:116], v[123:124]
	s_waitcnt vmcnt(17)
	v_fma_f64 v[115:116], v[145:146], v[117:118], v[115:116]
	buffer_load_dword v124, off, s[0:3], 0 offset:404
	buffer_load_dword v135, off, s[0:3], 0 offset:424
	;; [unrolled: 1-line block ×7, first 2 shown]
	s_waitcnt vmcnt(23) lgkmcnt(0)
	v_fma_f64 v[115:116], v[137:138], v[119:120], v[115:116]
	s_waitcnt vmcnt(18)
	v_fma_f64 v[125:126], v[125:126], v[121:122], v[115:116]
	ds_read2_b64 v[115:118], v114 offset0:99 offset1:100
	ds_read2_b64 v[119:122], v114 offset0:101 offset1:102
	buffer_load_dword v136, off, s[0:3], 0 offset:428
	s_waitcnt vmcnt(18) lgkmcnt(1)
	v_fma_f64 v[115:116], v[139:140], v[115:116], v[125:126]
	s_waitcnt vmcnt(17)
	v_fma_f64 v[115:116], v[133:134], v[117:118], v[115:116]
	buffer_load_dword v126, off, s[0:3], 0 offset:436
	buffer_load_dword v133, off, s[0:3], 0 offset:440
	;; [unrolled: 1-line block ×4, first 2 shown]
	s_waitcnt vmcnt(20) lgkmcnt(0)
	v_fma_f64 v[115:116], v[131:132], v[119:120], v[115:116]
	buffer_load_dword v131, off, s[0:3], 0 offset:16
	buffer_load_dword v132, off, s[0:3], 0 offset:20
	s_waitcnt vmcnt(17)
	v_fma_f64 v[127:128], v[127:128], v[121:122], v[115:116]
	ds_read2_b64 v[115:118], v114 offset0:103 offset1:104
	ds_read2_b64 v[119:122], v114 offset0:105 offset1:106
	s_waitcnt vmcnt(16) lgkmcnt(1)
	v_fma_f64 v[115:116], v[143:144], v[115:116], v[127:128]
	s_waitcnt vmcnt(15)
	v_fma_f64 v[115:116], v[141:142], v[117:118], v[115:116]
	s_waitcnt vmcnt(14) lgkmcnt(0)
	v_fma_f64 v[115:116], v[129:130], v[119:120], v[115:116]
	s_waitcnt vmcnt(9)
	v_fma_f64 v[123:124], v[123:124], v[121:122], v[115:116]
	ds_read2_b64 v[115:118], v114 offset0:107 offset1:108
	ds_read2_b64 v[119:122], v114 offset0:109 offset1:110
	s_waitcnt vmcnt(8) lgkmcnt(1)
	v_fma_f64 v[115:116], v[147:148], v[115:116], v[123:124]
	s_waitcnt vmcnt(7)
	v_fma_f64 v[115:116], v[145:146], v[117:118], v[115:116]
	ds_read_b64 v[117:118], v114 offset:888
	s_waitcnt vmcnt(6) lgkmcnt(1)
	v_fma_f64 v[115:116], v[135:136], v[119:120], v[115:116]
	s_waitcnt vmcnt(3)
	v_fma_f64 v[115:116], v[125:126], v[121:122], v[115:116]
	s_waitcnt vmcnt(2) lgkmcnt(0)
	v_fma_f64 v[115:116], v[133:134], v[117:118], v[115:116]
	s_waitcnt vmcnt(0)
	v_add_f64 v[115:116], v[131:132], -v[115:116]
	buffer_store_dword v116, off, s[0:3], 0 offset:20
	buffer_store_dword v115, off, s[0:3], 0 offset:16
	s_and_saveexec_b64 s[4:5], vcc
	s_cbranch_execz .LBB55_341
; %bb.340:
	buffer_load_dword v115, off, s[0:3], 0 offset:8
	buffer_load_dword v116, off, s[0:3], 0 offset:12
	s_waitcnt vmcnt(0)
	ds_write_b64 v113, v[115:116]
	buffer_store_dword v114, off, s[0:3], 0 offset:8
	buffer_store_dword v114, off, s[0:3], 0 offset:12
.LBB55_341:
	s_or_b64 exec, exec, s[4:5]
	s_waitcnt lgkmcnt(0)
	; wave barrier
	buffer_load_dword v123, off, s[0:3], 0 offset:16
	buffer_load_dword v124, off, s[0:3], 0 offset:20
	;; [unrolled: 1-line block ×22, first 2 shown]
	ds_read_b128 v[115:118], v114 offset:464
	ds_read_b128 v[119:122], v114 offset:480
	v_cmp_ne_u32_e32 vcc, 0, v0
	s_waitcnt vmcnt(20) lgkmcnt(1)
	v_fma_f64 v[115:116], v[123:124], v[115:116], 0
	s_waitcnt vmcnt(18)
	v_fma_f64 v[115:116], v[125:126], v[117:118], v[115:116]
	buffer_load_dword v124, off, s[0:3], 0 offset:108
	buffer_load_dword v125, off, s[0:3], 0 offset:128
	;; [unrolled: 1-line block ×7, first 2 shown]
	s_waitcnt vmcnt(23) lgkmcnt(0)
	v_fma_f64 v[115:116], v[127:128], v[119:120], v[115:116]
	s_waitcnt vmcnt(21)
	v_fma_f64 v[126:127], v[129:130], v[121:122], v[115:116]
	ds_read_b128 v[115:118], v114 offset:496
	ds_read_b128 v[119:122], v114 offset:512
	s_waitcnt vmcnt(19) lgkmcnt(1)
	v_fma_f64 v[115:116], v[131:132], v[115:116], v[126:127]
	buffer_load_dword v126, off, s[0:3], 0 offset:132
	s_waitcnt vmcnt(18)
	v_fma_f64 v[115:116], v[133:134], v[117:118], v[115:116]
	buffer_load_dword v128, off, s[0:3], 0 offset:140
	buffer_load_dword v129, off, s[0:3], 0 offset:160
	;; [unrolled: 1-line block ×7, first 2 shown]
	s_waitcnt vmcnt(23) lgkmcnt(0)
	v_fma_f64 v[115:116], v[135:136], v[119:120], v[115:116]
	s_waitcnt vmcnt(18)
	v_fma_f64 v[135:136], v[137:138], v[121:122], v[115:116]
	ds_read_b128 v[115:118], v114 offset:528
	ds_read_b128 v[119:122], v114 offset:544
	buffer_load_dword v130, off, s[0:3], 0 offset:164
	s_waitcnt vmcnt(18) lgkmcnt(1)
	v_fma_f64 v[115:116], v[143:144], v[115:116], v[135:136]
	s_waitcnt vmcnt(17)
	v_fma_f64 v[115:116], v[141:142], v[117:118], v[115:116]
	buffer_load_dword v136, off, s[0:3], 0 offset:172
	buffer_load_dword v137, off, s[0:3], 0 offset:192
	buffer_load_dword v141, off, s[0:3], 0 offset:184
	buffer_load_dword v143, off, s[0:3], 0 offset:176
	buffer_load_dword v135, off, s[0:3], 0 offset:168
	buffer_load_dword v144, off, s[0:3], 0 offset:180
	buffer_load_dword v142, off, s[0:3], 0 offset:188
	buffer_load_dword v138, off, s[0:3], 0 offset:196
	s_waitcnt vmcnt(24) lgkmcnt(0)
	v_fma_f64 v[115:116], v[139:140], v[119:120], v[115:116]
	s_waitcnt vmcnt(19)
	v_fma_f64 v[123:124], v[123:124], v[121:122], v[115:116]
	ds_read_b128 v[115:118], v114 offset:560
	ds_read_b128 v[119:122], v114 offset:576
	s_waitcnt vmcnt(18) lgkmcnt(1)
	v_fma_f64 v[115:116], v[147:148], v[115:116], v[123:124]
	s_waitcnt vmcnt(17)
	v_fma_f64 v[115:116], v[145:146], v[117:118], v[115:116]
	buffer_load_dword v124, off, s[0:3], 0 offset:204
	buffer_load_dword v139, off, s[0:3], 0 offset:224
	;; [unrolled: 1-line block ×8, first 2 shown]
	s_waitcnt vmcnt(24) lgkmcnt(0)
	v_fma_f64 v[115:116], v[125:126], v[119:120], v[115:116]
	s_waitcnt vmcnt(19)
	v_fma_f64 v[125:126], v[127:128], v[121:122], v[115:116]
	ds_read_b128 v[115:118], v114 offset:592
	ds_read_b128 v[119:122], v114 offset:608
	s_waitcnt vmcnt(18) lgkmcnt(1)
	v_fma_f64 v[115:116], v[133:134], v[115:116], v[125:126]
	s_waitcnt vmcnt(17)
	v_fma_f64 v[115:116], v[131:132], v[117:118], v[115:116]
	buffer_load_dword v126, off, s[0:3], 0 offset:236
	buffer_load_dword v127, off, s[0:3], 0 offset:256
	;; [unrolled: 1-line block ×7, first 2 shown]
	s_waitcnt vmcnt(23) lgkmcnt(0)
	v_fma_f64 v[115:116], v[129:130], v[119:120], v[115:116]
	s_waitcnt vmcnt(18)
	v_fma_f64 v[128:129], v[135:136], v[121:122], v[115:116]
	ds_read_b128 v[115:118], v114 offset:624
	ds_read_b128 v[119:122], v114 offset:640
	s_waitcnt vmcnt(17) lgkmcnt(1)
	v_fma_f64 v[115:116], v[143:144], v[115:116], v[128:129]
	buffer_load_dword v128, off, s[0:3], 0 offset:260
	s_waitcnt vmcnt(17)
	v_fma_f64 v[115:116], v[141:142], v[117:118], v[115:116]
	buffer_load_dword v130, off, s[0:3], 0 offset:268
	buffer_load_dword v135, off, s[0:3], 0 offset:288
	;; [unrolled: 1-line block ×8, first 2 shown]
	s_waitcnt vmcnt(24) lgkmcnt(0)
	v_fma_f64 v[115:116], v[137:138], v[119:120], v[115:116]
	s_waitcnt vmcnt(19)
	v_fma_f64 v[123:124], v[123:124], v[121:122], v[115:116]
	ds_read_b128 v[115:118], v114 offset:656
	ds_read_b128 v[119:122], v114 offset:672
	s_waitcnt vmcnt(18) lgkmcnt(1)
	v_fma_f64 v[115:116], v[147:148], v[115:116], v[123:124]
	s_waitcnt vmcnt(17)
	v_fma_f64 v[115:116], v[145:146], v[117:118], v[115:116]
	buffer_load_dword v124, off, s[0:3], 0 offset:300
	buffer_load_dword v137, off, s[0:3], 0 offset:320
	buffer_load_dword v145, off, s[0:3], 0 offset:312
	buffer_load_dword v147, off, s[0:3], 0 offset:304
	buffer_load_dword v123, off, s[0:3], 0 offset:296
	buffer_load_dword v148, off, s[0:3], 0 offset:308
	buffer_load_dword v146, off, s[0:3], 0 offset:316
	buffer_load_dword v138, off, s[0:3], 0 offset:324
	s_waitcnt vmcnt(24) lgkmcnt(0)
	v_fma_f64 v[115:116], v[139:140], v[119:120], v[115:116]
	s_waitcnt vmcnt(19)
	v_fma_f64 v[125:126], v[125:126], v[121:122], v[115:116]
	ds_read_b128 v[115:118], v114 offset:688
	ds_read_b128 v[119:122], v114 offset:704
	s_waitcnt vmcnt(18) lgkmcnt(1)
	v_fma_f64 v[115:116], v[133:134], v[115:116], v[125:126]
	s_waitcnt vmcnt(17)
	v_fma_f64 v[115:116], v[131:132], v[117:118], v[115:116]
	buffer_load_dword v126, off, s[0:3], 0 offset:332
	buffer_load_dword v131, off, s[0:3], 0 offset:352
	;; [unrolled: 1-line block ×7, first 2 shown]
	s_waitcnt vmcnt(23) lgkmcnt(0)
	v_fma_f64 v[115:116], v[127:128], v[119:120], v[115:116]
	s_waitcnt vmcnt(18)
	v_fma_f64 v[127:128], v[129:130], v[121:122], v[115:116]
	ds_read_b128 v[115:118], v114 offset:720
	ds_read_b128 v[119:122], v114 offset:736
	buffer_load_dword v132, off, s[0:3], 0 offset:356
	s_waitcnt vmcnt(18) lgkmcnt(1)
	v_fma_f64 v[115:116], v[143:144], v[115:116], v[127:128]
	s_waitcnt vmcnt(17)
	v_fma_f64 v[115:116], v[141:142], v[117:118], v[115:116]
	buffer_load_dword v128, off, s[0:3], 0 offset:364
	buffer_load_dword v129, off, s[0:3], 0 offset:384
	buffer_load_dword v141, off, s[0:3], 0 offset:376
	buffer_load_dword v143, off, s[0:3], 0 offset:368
	buffer_load_dword v127, off, s[0:3], 0 offset:360
	buffer_load_dword v144, off, s[0:3], 0 offset:372
	buffer_load_dword v142, off, s[0:3], 0 offset:380
	buffer_load_dword v130, off, s[0:3], 0 offset:388
	s_waitcnt vmcnt(24) lgkmcnt(0)
	v_fma_f64 v[115:116], v[135:136], v[119:120], v[115:116]
	s_waitcnt vmcnt(19)
	v_fma_f64 v[123:124], v[123:124], v[121:122], v[115:116]
	ds_read_b128 v[115:118], v114 offset:752
	ds_read_b128 v[119:122], v114 offset:768
	s_waitcnt vmcnt(18) lgkmcnt(1)
	v_fma_f64 v[115:116], v[147:148], v[115:116], v[123:124]
	s_waitcnt vmcnt(17)
	v_fma_f64 v[115:116], v[145:146], v[117:118], v[115:116]
	buffer_load_dword v124, off, s[0:3], 0 offset:396
	buffer_load_dword v135, off, s[0:3], 0 offset:416
	;; [unrolled: 1-line block ×8, first 2 shown]
	s_waitcnt vmcnt(24) lgkmcnt(0)
	v_fma_f64 v[115:116], v[137:138], v[119:120], v[115:116]
	s_waitcnt vmcnt(19)
	v_fma_f64 v[125:126], v[125:126], v[121:122], v[115:116]
	ds_read_b128 v[115:118], v114 offset:784
	ds_read_b128 v[119:122], v114 offset:800
	s_waitcnt vmcnt(18) lgkmcnt(1)
	v_fma_f64 v[115:116], v[139:140], v[115:116], v[125:126]
	s_waitcnt vmcnt(17)
	v_fma_f64 v[115:116], v[133:134], v[117:118], v[115:116]
	buffer_load_dword v126, off, s[0:3], 0 offset:428
	buffer_load_dword v133, off, s[0:3], 0 offset:440
	buffer_load_dword v137, off, s[0:3], 0 offset:432
	buffer_load_dword v125, off, s[0:3], 0 offset:424
	buffer_load_dword v138, off, s[0:3], 0 offset:436
	buffer_load_dword v134, off, s[0:3], 0 offset:444
	s_waitcnt vmcnt(22) lgkmcnt(0)
	v_fma_f64 v[115:116], v[131:132], v[119:120], v[115:116]
	s_waitcnt vmcnt(17)
	v_fma_f64 v[127:128], v[127:128], v[121:122], v[115:116]
	ds_read_b128 v[115:118], v114 offset:816
	buffer_load_dword v131, off, s[0:3], 0 offset:8
	buffer_load_dword v132, off, s[0:3], 0 offset:12
	ds_read_b128 v[119:122], v114 offset:832
	s_waitcnt vmcnt(18) lgkmcnt(1)
	v_fma_f64 v[115:116], v[143:144], v[115:116], v[127:128]
	s_waitcnt vmcnt(17)
	v_fma_f64 v[115:116], v[141:142], v[117:118], v[115:116]
	s_waitcnt vmcnt(16) lgkmcnt(0)
	v_fma_f64 v[115:116], v[129:130], v[119:120], v[115:116]
	s_waitcnt vmcnt(11)
	v_fma_f64 v[123:124], v[123:124], v[121:122], v[115:116]
	ds_read_b128 v[115:118], v114 offset:848
	ds_read_b128 v[119:122], v114 offset:864
	s_waitcnt vmcnt(10) lgkmcnt(1)
	v_fma_f64 v[115:116], v[147:148], v[115:116], v[123:124]
	s_waitcnt vmcnt(9)
	v_fma_f64 v[115:116], v[145:146], v[117:118], v[115:116]
	s_waitcnt vmcnt(8) lgkmcnt(0)
	v_fma_f64 v[115:116], v[135:136], v[119:120], v[115:116]
	s_waitcnt vmcnt(4)
	v_fma_f64 v[118:119], v[125:126], v[121:122], v[115:116]
	ds_read_b128 v[114:117], v114 offset:880
	s_waitcnt vmcnt(3) lgkmcnt(0)
	v_fma_f64 v[114:115], v[137:138], v[114:115], v[118:119]
	s_waitcnt vmcnt(2)
	v_fma_f64 v[114:115], v[133:134], v[116:117], v[114:115]
	s_waitcnt vmcnt(0)
	v_add_f64 v[114:115], v[131:132], -v[114:115]
	buffer_store_dword v115, off, s[0:3], 0 offset:12
	buffer_store_dword v114, off, s[0:3], 0 offset:8
	s_and_saveexec_b64 s[4:5], vcc
	s_cbranch_execz .LBB55_343
; %bb.342:
	buffer_load_dword v114, off, s[0:3], 0
	buffer_load_dword v115, off, s[0:3], 0 offset:4
	v_mov_b32_e32 v0, 0
	buffer_store_dword v0, off, s[0:3], 0
	buffer_store_dword v0, off, s[0:3], 0 offset:4
	s_waitcnt vmcnt(2)
	ds_write_b64 v113, v[114:115]
.LBB55_343:
	s_or_b64 exec, exec, s[4:5]
	s_waitcnt lgkmcnt(0)
	; wave barrier
	buffer_load_dword v121, off, s[0:3], 0 offset:8
	buffer_load_dword v122, off, s[0:3], 0 offset:12
	;; [unrolled: 1-line block ×22, first 2 shown]
	v_mov_b32_e32 v0, 0
	ds_read2_b64 v[113:116], v0 offset0:57 offset1:58
	ds_read2_b64 v[117:120], v0 offset0:59 offset1:60
	s_and_b64 vcc, exec, s[22:23]
	s_waitcnt vmcnt(20) lgkmcnt(1)
	v_fma_f64 v[113:114], v[121:122], v[113:114], 0
	s_waitcnt vmcnt(18)
	v_fma_f64 v[113:114], v[123:124], v[115:116], v[113:114]
	buffer_load_dword v122, off, s[0:3], 0 offset:100
	buffer_load_dword v123, off, s[0:3], 0 offset:120
	;; [unrolled: 1-line block ×7, first 2 shown]
	s_waitcnt vmcnt(23) lgkmcnt(0)
	v_fma_f64 v[113:114], v[125:126], v[117:118], v[113:114]
	s_waitcnt vmcnt(21)
	v_fma_f64 v[124:125], v[127:128], v[119:120], v[113:114]
	ds_read2_b64 v[113:116], v0 offset0:61 offset1:62
	ds_read2_b64 v[117:120], v0 offset0:63 offset1:64
	s_waitcnt vmcnt(19) lgkmcnt(1)
	v_fma_f64 v[113:114], v[129:130], v[113:114], v[124:125]
	buffer_load_dword v124, off, s[0:3], 0 offset:124
	s_waitcnt vmcnt(18)
	v_fma_f64 v[113:114], v[131:132], v[115:116], v[113:114]
	buffer_load_dword v126, off, s[0:3], 0 offset:132
	buffer_load_dword v127, off, s[0:3], 0 offset:152
	;; [unrolled: 1-line block ×7, first 2 shown]
	s_waitcnt vmcnt(23) lgkmcnt(0)
	v_fma_f64 v[113:114], v[133:134], v[117:118], v[113:114]
	s_waitcnt vmcnt(18)
	v_fma_f64 v[133:134], v[135:136], v[119:120], v[113:114]
	ds_read2_b64 v[113:116], v0 offset0:65 offset1:66
	ds_read2_b64 v[117:120], v0 offset0:67 offset1:68
	buffer_load_dword v128, off, s[0:3], 0 offset:156
	s_waitcnt vmcnt(18) lgkmcnt(1)
	v_fma_f64 v[113:114], v[141:142], v[113:114], v[133:134]
	s_waitcnt vmcnt(17)
	v_fma_f64 v[113:114], v[139:140], v[115:116], v[113:114]
	buffer_load_dword v134, off, s[0:3], 0 offset:164
	buffer_load_dword v135, off, s[0:3], 0 offset:184
	;; [unrolled: 1-line block ×8, first 2 shown]
	s_waitcnt vmcnt(24) lgkmcnt(0)
	v_fma_f64 v[113:114], v[137:138], v[117:118], v[113:114]
	s_waitcnt vmcnt(19)
	v_fma_f64 v[121:122], v[121:122], v[119:120], v[113:114]
	ds_read2_b64 v[113:116], v0 offset0:69 offset1:70
	ds_read2_b64 v[117:120], v0 offset0:71 offset1:72
	s_waitcnt vmcnt(18) lgkmcnt(1)
	v_fma_f64 v[113:114], v[145:146], v[113:114], v[121:122]
	s_waitcnt vmcnt(17)
	v_fma_f64 v[113:114], v[143:144], v[115:116], v[113:114]
	buffer_load_dword v122, off, s[0:3], 0 offset:196
	buffer_load_dword v137, off, s[0:3], 0 offset:216
	;; [unrolled: 1-line block ×8, first 2 shown]
	s_waitcnt vmcnt(24) lgkmcnt(0)
	v_fma_f64 v[113:114], v[123:124], v[117:118], v[113:114]
	s_waitcnt vmcnt(19)
	v_fma_f64 v[123:124], v[125:126], v[119:120], v[113:114]
	ds_read2_b64 v[113:116], v0 offset0:73 offset1:74
	ds_read2_b64 v[117:120], v0 offset0:75 offset1:76
	s_waitcnt vmcnt(18) lgkmcnt(1)
	v_fma_f64 v[113:114], v[131:132], v[113:114], v[123:124]
	s_waitcnt vmcnt(17)
	v_fma_f64 v[113:114], v[129:130], v[115:116], v[113:114]
	buffer_load_dword v124, off, s[0:3], 0 offset:228
	buffer_load_dword v125, off, s[0:3], 0 offset:248
	buffer_load_dword v129, off, s[0:3], 0 offset:240
	buffer_load_dword v131, off, s[0:3], 0 offset:232
	buffer_load_dword v123, off, s[0:3], 0 offset:224
	buffer_load_dword v132, off, s[0:3], 0 offset:236
	buffer_load_dword v130, off, s[0:3], 0 offset:244
	s_waitcnt vmcnt(23) lgkmcnt(0)
	v_fma_f64 v[113:114], v[127:128], v[117:118], v[113:114]
	s_waitcnt vmcnt(18)
	v_fma_f64 v[126:127], v[133:134], v[119:120], v[113:114]
	ds_read2_b64 v[113:116], v0 offset0:77 offset1:78
	ds_read2_b64 v[117:120], v0 offset0:79 offset1:80
	s_waitcnt vmcnt(17) lgkmcnt(1)
	v_fma_f64 v[113:114], v[141:142], v[113:114], v[126:127]
	buffer_load_dword v126, off, s[0:3], 0 offset:252
	s_waitcnt vmcnt(17)
	v_fma_f64 v[113:114], v[139:140], v[115:116], v[113:114]
	buffer_load_dword v128, off, s[0:3], 0 offset:260
	buffer_load_dword v133, off, s[0:3], 0 offset:280
	;; [unrolled: 1-line block ×8, first 2 shown]
	s_waitcnt vmcnt(24) lgkmcnt(0)
	v_fma_f64 v[113:114], v[135:136], v[117:118], v[113:114]
	s_waitcnt vmcnt(19)
	v_fma_f64 v[121:122], v[121:122], v[119:120], v[113:114]
	ds_read2_b64 v[113:116], v0 offset0:81 offset1:82
	ds_read2_b64 v[117:120], v0 offset0:83 offset1:84
	s_waitcnt vmcnt(18) lgkmcnt(1)
	v_fma_f64 v[113:114], v[145:146], v[113:114], v[121:122]
	s_waitcnt vmcnt(17)
	v_fma_f64 v[113:114], v[143:144], v[115:116], v[113:114]
	buffer_load_dword v122, off, s[0:3], 0 offset:292
	buffer_load_dword v135, off, s[0:3], 0 offset:312
	buffer_load_dword v143, off, s[0:3], 0 offset:304
	buffer_load_dword v145, off, s[0:3], 0 offset:296
	buffer_load_dword v121, off, s[0:3], 0 offset:288
	buffer_load_dword v146, off, s[0:3], 0 offset:300
	buffer_load_dword v144, off, s[0:3], 0 offset:308
	buffer_load_dword v136, off, s[0:3], 0 offset:316
	s_waitcnt vmcnt(24) lgkmcnt(0)
	v_fma_f64 v[113:114], v[137:138], v[117:118], v[113:114]
	s_waitcnt vmcnt(19)
	v_fma_f64 v[123:124], v[123:124], v[119:120], v[113:114]
	ds_read2_b64 v[113:116], v0 offset0:85 offset1:86
	ds_read2_b64 v[117:120], v0 offset0:87 offset1:88
	s_waitcnt vmcnt(18) lgkmcnt(1)
	v_fma_f64 v[113:114], v[131:132], v[113:114], v[123:124]
	s_waitcnt vmcnt(17)
	v_fma_f64 v[113:114], v[129:130], v[115:116], v[113:114]
	buffer_load_dword v124, off, s[0:3], 0 offset:324
	buffer_load_dword v129, off, s[0:3], 0 offset:344
	;; [unrolled: 1-line block ×7, first 2 shown]
	s_waitcnt vmcnt(23) lgkmcnt(0)
	v_fma_f64 v[113:114], v[125:126], v[117:118], v[113:114]
	s_waitcnt vmcnt(18)
	v_fma_f64 v[125:126], v[127:128], v[119:120], v[113:114]
	ds_read2_b64 v[113:116], v0 offset0:89 offset1:90
	ds_read2_b64 v[117:120], v0 offset0:91 offset1:92
	buffer_load_dword v130, off, s[0:3], 0 offset:348
	s_waitcnt vmcnt(18) lgkmcnt(1)
	v_fma_f64 v[113:114], v[141:142], v[113:114], v[125:126]
	s_waitcnt vmcnt(17)
	v_fma_f64 v[113:114], v[139:140], v[115:116], v[113:114]
	buffer_load_dword v126, off, s[0:3], 0 offset:356
	buffer_load_dword v127, off, s[0:3], 0 offset:376
	;; [unrolled: 1-line block ×8, first 2 shown]
	s_waitcnt vmcnt(24) lgkmcnt(0)
	v_fma_f64 v[113:114], v[133:134], v[117:118], v[113:114]
	s_waitcnt vmcnt(19)
	v_fma_f64 v[121:122], v[121:122], v[119:120], v[113:114]
	ds_read2_b64 v[113:116], v0 offset0:93 offset1:94
	ds_read2_b64 v[117:120], v0 offset0:95 offset1:96
	s_waitcnt vmcnt(18) lgkmcnt(1)
	v_fma_f64 v[113:114], v[145:146], v[113:114], v[121:122]
	s_waitcnt vmcnt(17)
	v_fma_f64 v[113:114], v[143:144], v[115:116], v[113:114]
	buffer_load_dword v134, off, s[0:3], 0 offset:388
	buffer_load_dword v143, off, s[0:3], 0 offset:408
	;; [unrolled: 1-line block ×8, first 2 shown]
	s_waitcnt vmcnt(24) lgkmcnt(0)
	v_fma_f64 v[113:114], v[135:136], v[117:118], v[113:114]
	s_waitcnt vmcnt(19)
	v_fma_f64 v[121:122], v[123:124], v[119:120], v[113:114]
	ds_read2_b64 v[113:116], v0 offset0:97 offset1:98
	ds_read2_b64 v[117:120], v0 offset0:99 offset1:100
	s_waitcnt vmcnt(18) lgkmcnt(1)
	v_fma_f64 v[113:114], v[137:138], v[113:114], v[121:122]
	s_waitcnt vmcnt(17)
	v_fma_f64 v[113:114], v[131:132], v[115:116], v[113:114]
	buffer_load_dword v132, off, s[0:3], 0 offset:420
	buffer_load_dword v135, off, s[0:3], 0 offset:440
	;; [unrolled: 1-line block ×8, first 2 shown]
	ds_read2_b64 v[121:124], v0 offset0:103 offset1:104
	s_waitcnt vmcnt(24) lgkmcnt(1)
	v_fma_f64 v[113:114], v[129:130], v[117:118], v[113:114]
	s_waitcnt vmcnt(19)
	v_fma_f64 v[113:114], v[125:126], v[119:120], v[113:114]
	ds_read2_b64 v[117:120], v0 offset0:101 offset1:102
	buffer_load_dword v125, off, s[0:3], 0
	buffer_load_dword v126, off, s[0:3], 0 offset:4
	s_waitcnt vmcnt(20) lgkmcnt(0)
	v_fma_f64 v[113:114], v[141:142], v[117:118], v[113:114]
	s_waitcnt vmcnt(19)
	v_fma_f64 v[113:114], v[139:140], v[119:120], v[113:114]
	s_waitcnt vmcnt(18)
	;; [unrolled: 2-line block ×3, first 2 shown]
	v_fma_f64 v[113:114], v[133:134], v[123:124], v[113:114]
	ds_read2_b64 v[117:120], v0 offset0:105 offset1:106
	ds_read2_b64 v[121:124], v0 offset0:107 offset1:108
	s_waitcnt vmcnt(12) lgkmcnt(1)
	v_fma_f64 v[113:114], v[147:148], v[117:118], v[113:114]
	s_waitcnt vmcnt(11)
	v_fma_f64 v[113:114], v[145:146], v[119:120], v[113:114]
	s_waitcnt vmcnt(10) lgkmcnt(0)
	v_fma_f64 v[113:114], v[143:144], v[121:122], v[113:114]
	ds_read2_b64 v[117:120], v0 offset0:109 offset1:110
	ds_read_b64 v[121:122], v0 offset:888
	s_waitcnt vmcnt(5)
	v_fma_f64 v[113:114], v[131:132], v[123:124], v[113:114]
	s_waitcnt vmcnt(4) lgkmcnt(1)
	v_fma_f64 v[113:114], v[137:138], v[117:118], v[113:114]
	s_waitcnt vmcnt(3)
	v_fma_f64 v[113:114], v[115:116], v[119:120], v[113:114]
	s_waitcnt vmcnt(2) lgkmcnt(0)
	v_fma_f64 v[113:114], v[135:136], v[121:122], v[113:114]
	s_waitcnt vmcnt(0)
	v_add_f64 v[113:114], v[125:126], -v[113:114]
	buffer_store_dword v114, off, s[0:3], 0 offset:4
	buffer_store_dword v113, off, s[0:3], 0
	s_cbranch_vccz .LBB55_454
; %bb.344:
	global_load_dword v0, v0, s[20:21] offset:216
	s_waitcnt vmcnt(0)
	v_add_u32_e32 v0, -1, v0
	v_cmp_ne_u32_e32 vcc, 54, v0
	s_cbranch_vccz .LBB55_346
; %bb.345:
	v_lshlrev_b32_e32 v0, 3, v0
	buffer_load_dword v113, v0, s[0:3], 0 offen offset:4
	buffer_load_dword v114, v0, s[0:3], 0 offen
	s_waitcnt vmcnt(1)
	buffer_store_dword v113, off, s[0:3], 0 offset:436
	s_waitcnt vmcnt(1)
	buffer_store_dword v114, off, s[0:3], 0 offset:432
	buffer_store_dword v116, v0, s[0:3], 0 offen offset:4
	buffer_store_dword v115, v0, s[0:3], 0 offen
.LBB55_346:
	v_mov_b32_e32 v0, 0
	global_load_dword v113, v0, s[20:21] offset:212
	s_waitcnt vmcnt(0)
	v_add_u32_e32 v113, -1, v113
	v_cmp_eq_u32_e32 vcc, 53, v113
	s_cbranch_vccnz .LBB55_348
; %bb.347:
	v_lshlrev_b32_e32 v113, 3, v113
	buffer_load_dword v114, v113, s[0:3], 0 offen
	buffer_load_dword v115, v113, s[0:3], 0 offen offset:4
	buffer_load_dword v116, off, s[0:3], 0 offset:424
	buffer_load_dword v117, off, s[0:3], 0 offset:428
	s_waitcnt vmcnt(3)
	buffer_store_dword v114, off, s[0:3], 0 offset:424
	s_waitcnt vmcnt(3)
	buffer_store_dword v115, off, s[0:3], 0 offset:428
	s_waitcnt vmcnt(3)
	buffer_store_dword v116, v113, s[0:3], 0 offen
	s_waitcnt vmcnt(3)
	buffer_store_dword v117, v113, s[0:3], 0 offen offset:4
.LBB55_348:
	global_load_dword v0, v0, s[20:21] offset:208
	s_waitcnt vmcnt(0)
	v_add_u32_e32 v0, -1, v0
	v_cmp_eq_u32_e32 vcc, 52, v0
	s_cbranch_vccnz .LBB55_350
; %bb.349:
	v_lshlrev_b32_e32 v0, 3, v0
	buffer_load_dword v113, v0, s[0:3], 0 offen
	buffer_load_dword v114, v0, s[0:3], 0 offen offset:4
	buffer_load_dword v115, off, s[0:3], 0 offset:420
	buffer_load_dword v116, off, s[0:3], 0 offset:416
	s_waitcnt vmcnt(3)
	buffer_store_dword v113, off, s[0:3], 0 offset:416
	s_waitcnt vmcnt(3)
	buffer_store_dword v114, off, s[0:3], 0 offset:420
	s_waitcnt vmcnt(3)
	buffer_store_dword v115, v0, s[0:3], 0 offen offset:4
	s_waitcnt vmcnt(3)
	buffer_store_dword v116, v0, s[0:3], 0 offen
.LBB55_350:
	v_mov_b32_e32 v0, 0
	global_load_dword v113, v0, s[20:21] offset:204
	s_waitcnt vmcnt(0)
	v_add_u32_e32 v113, -1, v113
	v_cmp_eq_u32_e32 vcc, 51, v113
	s_cbranch_vccnz .LBB55_352
; %bb.351:
	v_lshlrev_b32_e32 v113, 3, v113
	buffer_load_dword v114, v113, s[0:3], 0 offen
	buffer_load_dword v115, v113, s[0:3], 0 offen offset:4
	buffer_load_dword v116, off, s[0:3], 0 offset:408
	buffer_load_dword v117, off, s[0:3], 0 offset:412
	s_waitcnt vmcnt(3)
	buffer_store_dword v114, off, s[0:3], 0 offset:408
	s_waitcnt vmcnt(3)
	buffer_store_dword v115, off, s[0:3], 0 offset:412
	s_waitcnt vmcnt(3)
	buffer_store_dword v116, v113, s[0:3], 0 offen
	s_waitcnt vmcnt(3)
	buffer_store_dword v117, v113, s[0:3], 0 offen offset:4
.LBB55_352:
	global_load_dword v0, v0, s[20:21] offset:200
	s_waitcnt vmcnt(0)
	v_add_u32_e32 v0, -1, v0
	v_cmp_eq_u32_e32 vcc, 50, v0
	s_cbranch_vccnz .LBB55_354
; %bb.353:
	v_lshlrev_b32_e32 v0, 3, v0
	buffer_load_dword v113, v0, s[0:3], 0 offen
	buffer_load_dword v114, v0, s[0:3], 0 offen offset:4
	buffer_load_dword v115, off, s[0:3], 0 offset:404
	buffer_load_dword v116, off, s[0:3], 0 offset:400
	s_waitcnt vmcnt(3)
	buffer_store_dword v113, off, s[0:3], 0 offset:400
	s_waitcnt vmcnt(3)
	buffer_store_dword v114, off, s[0:3], 0 offset:404
	s_waitcnt vmcnt(3)
	buffer_store_dword v115, v0, s[0:3], 0 offen offset:4
	s_waitcnt vmcnt(3)
	buffer_store_dword v116, v0, s[0:3], 0 offen
.LBB55_354:
	;; [unrolled: 41-line block ×26, first 2 shown]
	v_mov_b32_e32 v0, 0
	global_load_dword v113, v0, s[20:21] offset:4
	s_waitcnt vmcnt(0)
	v_add_u32_e32 v113, -1, v113
	v_cmp_eq_u32_e32 vcc, 1, v113
	s_cbranch_vccnz .LBB55_452
; %bb.451:
	v_lshlrev_b32_e32 v113, 3, v113
	buffer_load_dword v114, v113, s[0:3], 0 offen
	buffer_load_dword v115, v113, s[0:3], 0 offen offset:4
	buffer_load_dword v116, off, s[0:3], 0 offset:8
	buffer_load_dword v117, off, s[0:3], 0 offset:12
	s_waitcnt vmcnt(3)
	buffer_store_dword v114, off, s[0:3], 0 offset:8
	s_waitcnt vmcnt(3)
	buffer_store_dword v115, off, s[0:3], 0 offset:12
	s_waitcnt vmcnt(3)
	buffer_store_dword v116, v113, s[0:3], 0 offen
	s_waitcnt vmcnt(3)
	buffer_store_dword v117, v113, s[0:3], 0 offen offset:4
.LBB55_452:
	global_load_dword v0, v0, s[20:21]
	s_nop 0
	buffer_load_dword v113, off, s[0:3], 0
	buffer_load_dword v114, off, s[0:3], 0 offset:4
	s_waitcnt vmcnt(2)
	v_add_u32_e32 v0, -1, v0
	v_cmp_eq_u32_e32 vcc, 0, v0
	s_cbranch_vccnz .LBB55_454
; %bb.453:
	v_lshlrev_b32_e32 v0, 3, v0
	buffer_load_dword v115, v0, s[0:3], 0 offen offset:4
	buffer_load_dword v116, v0, s[0:3], 0 offen
	s_waitcnt vmcnt(1)
	buffer_store_dword v115, off, s[0:3], 0 offset:4
	s_waitcnt vmcnt(1)
	buffer_store_dword v116, off, s[0:3], 0
	buffer_store_dword v114, v0, s[0:3], 0 offen offset:4
	buffer_store_dword v113, v0, s[0:3], 0 offen
	buffer_load_dword v113, off, s[0:3], 0
	s_nop 0
	buffer_load_dword v114, off, s[0:3], 0 offset:4
.LBB55_454:
	buffer_load_dword v115, off, s[0:3], 0 offset:8
	buffer_load_dword v116, off, s[0:3], 0 offset:12
	;; [unrolled: 1-line block ×110, first 2 shown]
	s_waitcnt vmcnt(62)
	global_store_dwordx2 v[101:102], v[113:114], off
	global_store_dwordx2 v[105:106], v[115:116], off
	;; [unrolled: 1-line block ×25, first 2 shown]
	s_waitcnt vmcnt(62)
	global_store_dwordx2 v[47:48], v[163:164], off
	global_store_dwordx2 v[49:50], v[165:166], off
	;; [unrolled: 1-line block ×12, first 2 shown]
	s_waitcnt vmcnt(62)
	global_store_dwordx2 v[71:72], v[187:188], off
	global_store_dwordx2 v[73:74], v[189:190], off
	;; [unrolled: 1-line block ×6, first 2 shown]
	s_waitcnt vmcnt(62)
	global_store_dwordx2 v[83:84], v[199:200], off
	global_store_dwordx2 v[85:86], v[201:202], off
	global_store_dwordx2 v[87:88], v[203:204], off
	s_waitcnt vmcnt(62)
	global_store_dwordx2 v[89:90], v[205:206], off
	global_store_dwordx2 v[91:92], v[207:208], off
	s_waitcnt vmcnt(62)
	global_store_dwordx2 v[93:94], v[209:210], off
	s_waitcnt vmcnt(61)
	global_store_dwordx2 v[95:96], v[211:212], off
	s_waitcnt vmcnt(60)
	global_store_dwordx2 v[97:98], v[213:214], off
	s_waitcnt vmcnt(59)
	global_store_dwordx2 v[99:100], v[215:216], off
	s_waitcnt vmcnt(58)
	global_store_dwordx2 v[103:104], v[217:218], off
	s_waitcnt vmcnt(57)
	global_store_dwordx2 v[107:108], v[219:220], off
	s_waitcnt vmcnt(56)
	global_store_dwordx2 v[109:110], v[221:222], off
	s_waitcnt vmcnt(55)
	global_store_dwordx2 v[111:112], v[223:224], off
	s_endpgm
	.section	.rodata,"a",@progbits
	.p2align	6, 0x0
	.amdhsa_kernel _ZN9rocsolver6v33100L18getri_kernel_smallILi56EdPdEEvT1_iilPiilS4_bb
		.amdhsa_group_segment_fixed_size 904
		.amdhsa_private_segment_fixed_size 464
		.amdhsa_kernarg_size 60
		.amdhsa_user_sgpr_count 6
		.amdhsa_user_sgpr_private_segment_buffer 1
		.amdhsa_user_sgpr_dispatch_ptr 0
		.amdhsa_user_sgpr_queue_ptr 0
		.amdhsa_user_sgpr_kernarg_segment_ptr 1
		.amdhsa_user_sgpr_dispatch_id 0
		.amdhsa_user_sgpr_flat_scratch_init 0
		.amdhsa_user_sgpr_private_segment_size 0
		.amdhsa_uses_dynamic_stack 0
		.amdhsa_system_sgpr_private_segment_wavefront_offset 1
		.amdhsa_system_sgpr_workgroup_id_x 1
		.amdhsa_system_sgpr_workgroup_id_y 0
		.amdhsa_system_sgpr_workgroup_id_z 0
		.amdhsa_system_sgpr_workgroup_info 0
		.amdhsa_system_vgpr_workitem_id 0
		.amdhsa_next_free_vgpr 225
		.amdhsa_next_free_sgpr 24
		.amdhsa_reserve_vcc 1
		.amdhsa_reserve_flat_scratch 0
		.amdhsa_float_round_mode_32 0
		.amdhsa_float_round_mode_16_64 0
		.amdhsa_float_denorm_mode_32 3
		.amdhsa_float_denorm_mode_16_64 3
		.amdhsa_dx10_clamp 1
		.amdhsa_ieee_mode 1
		.amdhsa_fp16_overflow 0
		.amdhsa_exception_fp_ieee_invalid_op 0
		.amdhsa_exception_fp_denorm_src 0
		.amdhsa_exception_fp_ieee_div_zero 0
		.amdhsa_exception_fp_ieee_overflow 0
		.amdhsa_exception_fp_ieee_underflow 0
		.amdhsa_exception_fp_ieee_inexact 0
		.amdhsa_exception_int_div_zero 0
	.end_amdhsa_kernel
	.section	.text._ZN9rocsolver6v33100L18getri_kernel_smallILi56EdPdEEvT1_iilPiilS4_bb,"axG",@progbits,_ZN9rocsolver6v33100L18getri_kernel_smallILi56EdPdEEvT1_iilPiilS4_bb,comdat
.Lfunc_end55:
	.size	_ZN9rocsolver6v33100L18getri_kernel_smallILi56EdPdEEvT1_iilPiilS4_bb, .Lfunc_end55-_ZN9rocsolver6v33100L18getri_kernel_smallILi56EdPdEEvT1_iilPiilS4_bb
                                        ; -- End function
	.set _ZN9rocsolver6v33100L18getri_kernel_smallILi56EdPdEEvT1_iilPiilS4_bb.num_vgpr, 225
	.set _ZN9rocsolver6v33100L18getri_kernel_smallILi56EdPdEEvT1_iilPiilS4_bb.num_agpr, 0
	.set _ZN9rocsolver6v33100L18getri_kernel_smallILi56EdPdEEvT1_iilPiilS4_bb.numbered_sgpr, 24
	.set _ZN9rocsolver6v33100L18getri_kernel_smallILi56EdPdEEvT1_iilPiilS4_bb.num_named_barrier, 0
	.set _ZN9rocsolver6v33100L18getri_kernel_smallILi56EdPdEEvT1_iilPiilS4_bb.private_seg_size, 464
	.set _ZN9rocsolver6v33100L18getri_kernel_smallILi56EdPdEEvT1_iilPiilS4_bb.uses_vcc, 1
	.set _ZN9rocsolver6v33100L18getri_kernel_smallILi56EdPdEEvT1_iilPiilS4_bb.uses_flat_scratch, 0
	.set _ZN9rocsolver6v33100L18getri_kernel_smallILi56EdPdEEvT1_iilPiilS4_bb.has_dyn_sized_stack, 0
	.set _ZN9rocsolver6v33100L18getri_kernel_smallILi56EdPdEEvT1_iilPiilS4_bb.has_recursion, 0
	.set _ZN9rocsolver6v33100L18getri_kernel_smallILi56EdPdEEvT1_iilPiilS4_bb.has_indirect_call, 0
	.section	.AMDGPU.csdata,"",@progbits
; Kernel info:
; codeLenInByte = 76692
; TotalNumSgprs: 28
; NumVgprs: 225
; ScratchSize: 464
; MemoryBound: 1
; FloatMode: 240
; IeeeMode: 1
; LDSByteSize: 904 bytes/workgroup (compile time only)
; SGPRBlocks: 3
; VGPRBlocks: 56
; NumSGPRsForWavesPerEU: 28
; NumVGPRsForWavesPerEU: 225
; Occupancy: 1
; WaveLimiterHint : 1
; COMPUTE_PGM_RSRC2:SCRATCH_EN: 1
; COMPUTE_PGM_RSRC2:USER_SGPR: 6
; COMPUTE_PGM_RSRC2:TRAP_HANDLER: 0
; COMPUTE_PGM_RSRC2:TGID_X_EN: 1
; COMPUTE_PGM_RSRC2:TGID_Y_EN: 0
; COMPUTE_PGM_RSRC2:TGID_Z_EN: 0
; COMPUTE_PGM_RSRC2:TIDIG_COMP_CNT: 0
	.section	.text._ZN9rocsolver6v33100L18getri_kernel_smallILi57EdPdEEvT1_iilPiilS4_bb,"axG",@progbits,_ZN9rocsolver6v33100L18getri_kernel_smallILi57EdPdEEvT1_iilPiilS4_bb,comdat
	.globl	_ZN9rocsolver6v33100L18getri_kernel_smallILi57EdPdEEvT1_iilPiilS4_bb ; -- Begin function _ZN9rocsolver6v33100L18getri_kernel_smallILi57EdPdEEvT1_iilPiilS4_bb
	.p2align	8
	.type	_ZN9rocsolver6v33100L18getri_kernel_smallILi57EdPdEEvT1_iilPiilS4_bb,@function
_ZN9rocsolver6v33100L18getri_kernel_smallILi57EdPdEEvT1_iilPiilS4_bb: ; @_ZN9rocsolver6v33100L18getri_kernel_smallILi57EdPdEEvT1_iilPiilS4_bb
; %bb.0:
	s_add_u32 s0, s0, s7
	s_addc_u32 s1, s1, 0
	v_cmp_gt_u32_e32 vcc, 57, v0
	s_and_saveexec_b64 s[8:9], vcc
	s_cbranch_execz .LBB56_236
; %bb.1:
	s_load_dword s12, s[4:5], 0x38
	s_load_dwordx4 s[16:19], s[4:5], 0x10
	s_load_dwordx4 s[8:11], s[4:5], 0x28
                                        ; implicit-def: $sgpr20_sgpr21
	s_waitcnt lgkmcnt(0)
	s_bitcmp1_b32 s12, 8
	s_cselect_b64 s[22:23], -1, 0
	s_ashr_i32 s7, s6, 31
	s_bfe_u32 s12, s12, 0x10008
	s_cmp_eq_u32 s12, 0
	s_cbranch_scc1 .LBB56_3
; %bb.2:
	s_load_dword s12, s[4:5], 0x20
	s_mul_i32 s13, s8, s7
	s_mul_hi_u32 s14, s8, s6
	s_mul_i32 s9, s9, s6
	s_add_i32 s14, s14, s13
	s_add_i32 s9, s14, s9
	s_mul_i32 s8, s8, s6
	s_waitcnt lgkmcnt(0)
	s_ashr_i32 s13, s12, 31
	s_lshl_b64 s[8:9], s[8:9], 2
	s_add_u32 s14, s18, s8
	s_addc_u32 s15, s19, s9
	s_lshl_b64 s[8:9], s[12:13], 2
	s_add_u32 s20, s14, s8
	s_addc_u32 s21, s15, s9
.LBB56_3:
	s_load_dwordx4 s[12:15], s[4:5], 0x0
	s_load_dword s8, s[4:5], 0x38
	s_mul_i32 s9, s16, s7
	s_mul_hi_u32 s18, s16, s6
	s_add_i32 s9, s18, s9
	s_waitcnt lgkmcnt(0)
	s_ashr_i32 s5, s14, 31
	s_mov_b32 s4, s14
	s_mul_i32 s14, s17, s6
	s_add_i32 s17, s9, s14
	s_mul_i32 s16, s16, s6
	s_lshl_b64 s[16:17], s[16:17], 3
	s_add_u32 s9, s12, s16
	s_addc_u32 s12, s13, s17
	s_lshl_b64 s[4:5], s[4:5], 3
	s_add_u32 s4, s9, s4
	s_addc_u32 s5, s12, s5
	s_add_i32 s9, s15, s15
	v_add_u32_e32 v3, s9, v0
	v_ashrrev_i32_e32 v4, 31, v3
	v_lshlrev_b64 v[1:2], 3, v[3:4]
	v_add_u32_e32 v5, s15, v3
	v_mov_b32_e32 v4, s5
	v_add_co_u32_e32 v1, vcc, s4, v1
	v_ashrrev_i32_e32 v6, 31, v5
	v_addc_co_u32_e32 v2, vcc, v4, v2, vcc
	v_lshlrev_b64 v[3:4], 3, v[5:6]
	v_add_u32_e32 v7, s15, v5
	v_mov_b32_e32 v6, s5
	v_add_co_u32_e32 v3, vcc, s4, v3
	v_ashrrev_i32_e32 v8, 31, v7
	v_addc_co_u32_e32 v4, vcc, v6, v4, vcc
	;; [unrolled: 6-line block ×8, first 2 shown]
	v_lshlrev_b64 v[17:18], 3, v[19:20]
	v_mov_b32_e32 v21, s5
	v_add_co_u32_e32 v17, vcc, s4, v17
	v_addc_co_u32_e32 v18, vcc, v21, v18, vcc
	v_add_u32_e32 v21, s15, v19
	v_ashrrev_i32_e32 v22, 31, v21
	v_lshlrev_b64 v[19:20], 3, v[21:22]
	v_mov_b32_e32 v23, s5
	v_add_co_u32_e32 v19, vcc, s4, v19
	v_addc_co_u32_e32 v20, vcc, v23, v20, vcc
	v_add_u32_e32 v23, s15, v21
	v_ashrrev_i32_e32 v24, 31, v23
	v_lshlrev_b64 v[21:22], 3, v[23:24]
	v_mov_b32_e32 v25, s5
	v_add_co_u32_e32 v21, vcc, s4, v21
	v_addc_co_u32_e32 v22, vcc, v25, v22, vcc
	v_add_u32_e32 v25, s15, v23
	v_ashrrev_i32_e32 v26, 31, v25
	v_lshlrev_b64 v[23:24], 3, v[25:26]
	v_mov_b32_e32 v27, s5
	v_add_co_u32_e32 v23, vcc, s4, v23
	v_addc_co_u32_e32 v24, vcc, v27, v24, vcc
	v_add_u32_e32 v27, s15, v25
	v_ashrrev_i32_e32 v28, 31, v27
	v_lshlrev_b64 v[25:26], 3, v[27:28]
	v_mov_b32_e32 v29, s5
	v_add_co_u32_e32 v25, vcc, s4, v25
	v_addc_co_u32_e32 v26, vcc, v29, v26, vcc
	v_add_u32_e32 v29, s15, v27
	v_ashrrev_i32_e32 v30, 31, v29
	v_lshlrev_b64 v[27:28], 3, v[29:30]
	v_mov_b32_e32 v31, s5
	v_add_co_u32_e32 v27, vcc, s4, v27
	v_addc_co_u32_e32 v28, vcc, v31, v28, vcc
	v_add_u32_e32 v31, s15, v29
	v_ashrrev_i32_e32 v32, 31, v31
	v_lshlrev_b64 v[29:30], 3, v[31:32]
	v_mov_b32_e32 v33, s5
	v_add_co_u32_e32 v29, vcc, s4, v29
	v_addc_co_u32_e32 v30, vcc, v33, v30, vcc
	v_add_u32_e32 v33, s15, v31
	v_ashrrev_i32_e32 v34, 31, v33
	v_lshlrev_b64 v[31:32], 3, v[33:34]
	v_mov_b32_e32 v35, s5
	v_add_co_u32_e32 v31, vcc, s4, v31
	v_addc_co_u32_e32 v32, vcc, v35, v32, vcc
	v_add_u32_e32 v35, s15, v33
	v_ashrrev_i32_e32 v36, 31, v35
	v_lshlrev_b64 v[33:34], 3, v[35:36]
	v_mov_b32_e32 v37, s5
	v_add_co_u32_e32 v33, vcc, s4, v33
	v_addc_co_u32_e32 v34, vcc, v37, v34, vcc
	v_add_u32_e32 v37, s15, v35
	v_ashrrev_i32_e32 v38, 31, v37
	v_lshlrev_b64 v[35:36], 3, v[37:38]
	v_mov_b32_e32 v39, s5
	v_add_co_u32_e32 v35, vcc, s4, v35
	v_addc_co_u32_e32 v36, vcc, v39, v36, vcc
	v_add_u32_e32 v39, s15, v37
	v_ashrrev_i32_e32 v40, 31, v39
	v_lshlrev_b64 v[37:38], 3, v[39:40]
	v_mov_b32_e32 v41, s5
	v_add_co_u32_e32 v37, vcc, s4, v37
	v_addc_co_u32_e32 v38, vcc, v41, v38, vcc
	v_add_u32_e32 v41, s15, v39
	v_ashrrev_i32_e32 v42, 31, v41
	v_lshlrev_b64 v[39:40], 3, v[41:42]
	v_mov_b32_e32 v43, s5
	v_add_co_u32_e32 v39, vcc, s4, v39
	v_addc_co_u32_e32 v40, vcc, v43, v40, vcc
	v_add_u32_e32 v43, s15, v41
	v_ashrrev_i32_e32 v44, 31, v43
	v_lshlrev_b64 v[41:42], 3, v[43:44]
	v_mov_b32_e32 v45, s5
	v_add_co_u32_e32 v41, vcc, s4, v41
	v_addc_co_u32_e32 v42, vcc, v45, v42, vcc
	v_add_u32_e32 v45, s15, v43
	v_ashrrev_i32_e32 v46, 31, v45
	v_lshlrev_b64 v[43:44], 3, v[45:46]
	v_mov_b32_e32 v47, s5
	v_add_co_u32_e32 v43, vcc, s4, v43
	v_addc_co_u32_e32 v44, vcc, v47, v44, vcc
	v_add_u32_e32 v47, s15, v45
	v_ashrrev_i32_e32 v48, 31, v47
	v_lshlrev_b64 v[45:46], 3, v[47:48]
	v_mov_b32_e32 v49, s5
	v_add_co_u32_e32 v45, vcc, s4, v45
	v_addc_co_u32_e32 v46, vcc, v49, v46, vcc
	v_add_u32_e32 v49, s15, v47
	v_ashrrev_i32_e32 v50, 31, v49
	v_lshlrev_b64 v[47:48], 3, v[49:50]
	v_mov_b32_e32 v51, s5
	v_add_co_u32_e32 v47, vcc, s4, v47
	v_addc_co_u32_e32 v48, vcc, v51, v48, vcc
	v_add_u32_e32 v51, s15, v49
	v_ashrrev_i32_e32 v52, 31, v51
	v_lshlrev_b64 v[49:50], 3, v[51:52]
	v_mov_b32_e32 v53, s5
	v_add_co_u32_e32 v49, vcc, s4, v49
	v_addc_co_u32_e32 v50, vcc, v53, v50, vcc
	v_add_u32_e32 v53, s15, v51
	v_ashrrev_i32_e32 v54, 31, v53
	v_lshlrev_b64 v[51:52], 3, v[53:54]
	v_mov_b32_e32 v55, s5
	v_add_co_u32_e32 v51, vcc, s4, v51
	v_addc_co_u32_e32 v52, vcc, v55, v52, vcc
	v_add_u32_e32 v55, s15, v53
	v_ashrrev_i32_e32 v56, 31, v55
	v_lshlrev_b64 v[53:54], 3, v[55:56]
	v_mov_b32_e32 v57, s5
	v_add_co_u32_e32 v53, vcc, s4, v53
	v_addc_co_u32_e32 v54, vcc, v57, v54, vcc
	v_add_u32_e32 v57, s15, v55
	v_ashrrev_i32_e32 v58, 31, v57
	v_lshlrev_b64 v[55:56], 3, v[57:58]
	v_mov_b32_e32 v59, s5
	v_add_co_u32_e32 v55, vcc, s4, v55
	v_addc_co_u32_e32 v56, vcc, v59, v56, vcc
	v_add_u32_e32 v59, s15, v57
	v_ashrrev_i32_e32 v60, 31, v59
	v_lshlrev_b64 v[57:58], 3, v[59:60]
	v_mov_b32_e32 v61, s5
	v_add_co_u32_e32 v57, vcc, s4, v57
	v_addc_co_u32_e32 v58, vcc, v61, v58, vcc
	v_add_u32_e32 v61, s15, v59
	v_ashrrev_i32_e32 v62, 31, v61
	v_lshlrev_b64 v[59:60], 3, v[61:62]
	v_mov_b32_e32 v63, s5
	v_add_co_u32_e32 v59, vcc, s4, v59
	v_addc_co_u32_e32 v60, vcc, v63, v60, vcc
	v_add_u32_e32 v63, s15, v61
	v_ashrrev_i32_e32 v64, 31, v63
	v_lshlrev_b64 v[61:62], 3, v[63:64]
	v_mov_b32_e32 v65, s5
	v_add_co_u32_e32 v61, vcc, s4, v61
	v_addc_co_u32_e32 v62, vcc, v65, v62, vcc
	v_add_u32_e32 v65, s15, v63
	v_ashrrev_i32_e32 v66, 31, v65
	v_lshlrev_b64 v[63:64], 3, v[65:66]
	v_mov_b32_e32 v67, s5
	v_add_co_u32_e32 v63, vcc, s4, v63
	v_addc_co_u32_e32 v64, vcc, v67, v64, vcc
	v_add_u32_e32 v67, s15, v65
	v_ashrrev_i32_e32 v68, 31, v67
	v_lshlrev_b64 v[65:66], 3, v[67:68]
	v_mov_b32_e32 v69, s5
	v_add_co_u32_e32 v65, vcc, s4, v65
	v_addc_co_u32_e32 v66, vcc, v69, v66, vcc
	v_add_u32_e32 v69, s15, v67
	v_ashrrev_i32_e32 v70, 31, v69
	v_lshlrev_b64 v[67:68], 3, v[69:70]
	v_mov_b32_e32 v71, s5
	v_add_co_u32_e32 v67, vcc, s4, v67
	v_addc_co_u32_e32 v68, vcc, v71, v68, vcc
	v_add_u32_e32 v71, s15, v69
	v_ashrrev_i32_e32 v72, 31, v71
	v_lshlrev_b64 v[69:70], 3, v[71:72]
	v_mov_b32_e32 v73, s5
	v_add_co_u32_e32 v69, vcc, s4, v69
	v_addc_co_u32_e32 v70, vcc, v73, v70, vcc
	v_add_u32_e32 v73, s15, v71
	v_ashrrev_i32_e32 v74, 31, v73
	v_lshlrev_b64 v[71:72], 3, v[73:74]
	v_mov_b32_e32 v75, s5
	v_add_co_u32_e32 v71, vcc, s4, v71
	v_addc_co_u32_e32 v72, vcc, v75, v72, vcc
	v_add_u32_e32 v75, s15, v73
	v_ashrrev_i32_e32 v76, 31, v75
	v_lshlrev_b64 v[73:74], 3, v[75:76]
	v_mov_b32_e32 v77, s5
	v_add_co_u32_e32 v73, vcc, s4, v73
	v_addc_co_u32_e32 v74, vcc, v77, v74, vcc
	v_add_u32_e32 v77, s15, v75
	v_ashrrev_i32_e32 v78, 31, v77
	v_lshlrev_b64 v[75:76], 3, v[77:78]
	v_mov_b32_e32 v79, s5
	v_add_co_u32_e32 v75, vcc, s4, v75
	v_addc_co_u32_e32 v76, vcc, v79, v76, vcc
	v_add_u32_e32 v79, s15, v77
	v_ashrrev_i32_e32 v80, 31, v79
	v_lshlrev_b64 v[77:78], 3, v[79:80]
	v_mov_b32_e32 v81, s5
	v_add_co_u32_e32 v77, vcc, s4, v77
	v_addc_co_u32_e32 v78, vcc, v81, v78, vcc
	v_add_u32_e32 v81, s15, v79
	v_ashrrev_i32_e32 v82, 31, v81
	v_lshlrev_b64 v[79:80], 3, v[81:82]
	v_mov_b32_e32 v83, s5
	v_add_co_u32_e32 v79, vcc, s4, v79
	v_addc_co_u32_e32 v80, vcc, v83, v80, vcc
	v_add_u32_e32 v83, s15, v81
	v_ashrrev_i32_e32 v84, 31, v83
	v_lshlrev_b64 v[81:82], 3, v[83:84]
	v_mov_b32_e32 v85, s5
	v_add_co_u32_e32 v81, vcc, s4, v81
	v_addc_co_u32_e32 v82, vcc, v85, v82, vcc
	v_add_u32_e32 v85, s15, v83
	v_ashrrev_i32_e32 v86, 31, v85
	v_lshlrev_b64 v[83:84], 3, v[85:86]
	v_mov_b32_e32 v87, s5
	v_add_co_u32_e32 v83, vcc, s4, v83
	v_addc_co_u32_e32 v84, vcc, v87, v84, vcc
	v_add_u32_e32 v87, s15, v85
	v_ashrrev_i32_e32 v88, 31, v87
	v_lshlrev_b64 v[85:86], 3, v[87:88]
	v_mov_b32_e32 v89, s5
	v_add_co_u32_e32 v85, vcc, s4, v85
	v_addc_co_u32_e32 v86, vcc, v89, v86, vcc
	v_add_u32_e32 v89, s15, v87
	v_ashrrev_i32_e32 v90, 31, v89
	v_lshlrev_b64 v[87:88], 3, v[89:90]
	v_mov_b32_e32 v91, s5
	v_add_co_u32_e32 v87, vcc, s4, v87
	v_addc_co_u32_e32 v88, vcc, v91, v88, vcc
	v_add_u32_e32 v91, s15, v89
	v_ashrrev_i32_e32 v92, 31, v91
	v_lshlrev_b64 v[89:90], 3, v[91:92]
	v_mov_b32_e32 v93, s5
	v_add_co_u32_e32 v89, vcc, s4, v89
	v_addc_co_u32_e32 v90, vcc, v93, v90, vcc
	v_add_u32_e32 v93, s15, v91
	v_ashrrev_i32_e32 v94, 31, v93
	v_lshlrev_b64 v[91:92], 3, v[93:94]
	v_mov_b32_e32 v95, s5
	v_add_co_u32_e32 v91, vcc, s4, v91
	v_addc_co_u32_e32 v92, vcc, v95, v92, vcc
	v_add_u32_e32 v95, s15, v93
	v_ashrrev_i32_e32 v96, 31, v95
	v_lshlrev_b64 v[93:94], 3, v[95:96]
	v_mov_b32_e32 v97, s5
	v_add_co_u32_e32 v93, vcc, s4, v93
	v_addc_co_u32_e32 v94, vcc, v97, v94, vcc
	v_add_u32_e32 v97, s15, v95
	v_ashrrev_i32_e32 v98, 31, v97
	v_lshlrev_b64 v[95:96], 3, v[97:98]
	v_mov_b32_e32 v99, s5
	v_add_co_u32_e32 v95, vcc, s4, v95
	v_addc_co_u32_e32 v96, vcc, v99, v96, vcc
	v_lshlrev_b32_e32 v117, 3, v0
	v_add_u32_e32 v99, s15, v97
	global_load_dwordx2 v[115:116], v117, s[4:5]
	global_load_dwordx2 v[120:121], v[1:2], off
	global_load_dwordx2 v[122:123], v[3:4], off
	v_mov_b32_e32 v97, s5
	v_add_co_u32_e32 v103, vcc, s4, v117
	s_ashr_i32 s13, s15, 31
	s_mov_b32 s12, s15
	v_addc_co_u32_e32 v104, vcc, 0, v97, vcc
	s_lshl_b64 s[12:13], s[12:13], 3
	v_mov_b32_e32 v97, s13
	v_add_co_u32_e32 v107, vcc, s12, v103
	v_addc_co_u32_e32 v108, vcc, v104, v97, vcc
	global_load_dwordx2 v[118:119], v[107:108], off
	global_load_dwordx2 v[124:125], v[5:6], off
	;; [unrolled: 1-line block ×7, first 2 shown]
	v_ashrrev_i32_e32 v100, 31, v99
	v_lshlrev_b64 v[97:98], 3, v[99:100]
	v_mov_b32_e32 v101, s5
	v_add_co_u32_e32 v97, vcc, s4, v97
	v_addc_co_u32_e32 v98, vcc, v101, v98, vcc
	v_add_u32_e32 v101, s15, v99
	v_ashrrev_i32_e32 v102, 31, v101
	v_lshlrev_b64 v[99:100], 3, v[101:102]
	global_load_dwordx2 v[136:137], v[17:18], off
	global_load_dwordx2 v[138:139], v[19:20], off
	v_mov_b32_e32 v105, s5
	v_add_co_u32_e32 v99, vcc, s4, v99
	v_addc_co_u32_e32 v100, vcc, v105, v100, vcc
	v_add_u32_e32 v105, s15, v101
	v_ashrrev_i32_e32 v106, 31, v105
	v_lshlrev_b64 v[101:102], 3, v[105:106]
	v_mov_b32_e32 v109, s5
	v_add_co_u32_e32 v101, vcc, s4, v101
	v_addc_co_u32_e32 v102, vcc, v109, v102, vcc
	v_add_u32_e32 v109, s15, v105
	v_ashrrev_i32_e32 v110, 31, v109
	global_load_dwordx2 v[140:141], v[21:22], off
	global_load_dwordx2 v[142:143], v[23:24], off
	v_lshlrev_b64 v[105:106], 3, v[109:110]
	v_mov_b32_e32 v111, s5
	v_add_co_u32_e32 v105, vcc, s4, v105
	v_addc_co_u32_e32 v106, vcc, v111, v106, vcc
	v_add_u32_e32 v111, s15, v109
	v_ashrrev_i32_e32 v112, 31, v111
	v_lshlrev_b64 v[109:110], 3, v[111:112]
	global_load_dwordx2 v[144:145], v[25:26], off
	global_load_dwordx2 v[146:147], v[27:28], off
	;; [unrolled: 1-line block ×3, first 2 shown]
	v_mov_b32_e32 v113, s5
	v_add_co_u32_e32 v109, vcc, s4, v109
	v_addc_co_u32_e32 v110, vcc, v113, v110, vcc
	v_add_u32_e32 v113, s15, v111
	v_ashrrev_i32_e32 v114, 31, v113
	v_lshlrev_b64 v[111:112], 3, v[113:114]
	v_mov_b32_e32 v148, s5
	v_add_co_u32_e32 v111, vcc, s4, v111
	v_addc_co_u32_e32 v112, vcc, v148, v112, vcc
	global_load_dwordx2 v[148:149], v[29:30], off
	global_load_dwordx2 v[152:153], v[33:34], off
	;; [unrolled: 1-line block ×6, first 2 shown]
	v_add_u32_e32 v113, s15, v113
	v_ashrrev_i32_e32 v114, 31, v113
	v_lshlrev_b64 v[113:114], 3, v[113:114]
	v_mov_b32_e32 v162, s5
	v_add_co_u32_e32 v113, vcc, s4, v113
	v_addc_co_u32_e32 v114, vcc, v162, v114, vcc
	global_load_dwordx2 v[162:163], v[43:44], off
	global_load_dwordx2 v[164:165], v[45:46], off
	global_load_dwordx2 v[166:167], v[49:50], off
	global_load_dwordx2 v[168:169], v[53:54], off
	global_load_dwordx2 v[170:171], v[57:58], off
	global_load_dwordx2 v[172:173], v[61:62], off
	global_load_dwordx2 v[174:175], v[65:66], off
	global_load_dwordx2 v[176:177], v[69:70], off
	global_load_dwordx2 v[178:179], v[73:74], off
	global_load_dwordx2 v[180:181], v[77:78], off
	global_load_dwordx2 v[182:183], v[81:82], off
	global_load_dwordx2 v[184:185], v[85:86], off
	global_load_dwordx2 v[186:187], v[89:90], off
	global_load_dwordx2 v[188:189], v[93:94], off
	global_load_dwordx2 v[190:191], v[97:98], off
	global_load_dwordx2 v[192:193], v[101:102], off
	global_load_dwordx2 v[194:195], v[109:110], off
	global_load_dwordx2 v[196:197], v[113:114], off
	s_bitcmp0_b32 s8, 0
	s_waitcnt vmcnt(40)
	buffer_store_dword v116, off, s[0:3], 0 offset:4
	buffer_store_dword v115, off, s[0:3], 0
	global_load_dwordx2 v[115:116], v[47:48], off
	s_mov_b64 s[8:9], -1
	s_waitcnt vmcnt(40)
	buffer_store_dword v119, off, s[0:3], 0 offset:12
	buffer_store_dword v118, off, s[0:3], 0 offset:8
	global_load_dwordx2 v[118:119], v[51:52], off
	s_nop 0
	buffer_store_dword v121, off, s[0:3], 0 offset:20
	buffer_store_dword v120, off, s[0:3], 0 offset:16
	global_load_dwordx2 v[120:121], v[55:56], off
	s_nop 0
	buffer_store_dword v123, off, s[0:3], 0 offset:28
	buffer_store_dword v122, off, s[0:3], 0 offset:24
	global_load_dwordx2 v[122:123], v[59:60], off
	s_waitcnt vmcnt(48)
	buffer_store_dword v125, off, s[0:3], 0 offset:36
	buffer_store_dword v124, off, s[0:3], 0 offset:32
	global_load_dwordx2 v[124:125], v[63:64], off
	s_waitcnt vmcnt(50)
	;; [unrolled: 4-line block ×9, first 2 shown]
	buffer_store_dword v140, off, s[0:3], 0 offset:96
	buffer_store_dword v141, off, s[0:3], 0 offset:100
	global_load_dwordx2 v[140:141], v[95:96], off
	s_nop 0
	buffer_store_dword v142, off, s[0:3], 0 offset:104
	buffer_store_dword v143, off, s[0:3], 0 offset:108
	global_load_dwordx2 v[142:143], v[99:100], off
	s_nop 0
	buffer_store_dword v145, off, s[0:3], 0 offset:116
	buffer_store_dword v144, off, s[0:3], 0 offset:112
	global_load_dwordx2 v[144:145], v[105:106], off
	s_waitcnt vmcnt(62)
	buffer_store_dword v146, off, s[0:3], 0 offset:120
	buffer_store_dword v147, off, s[0:3], 0 offset:124
	global_load_dwordx2 v[146:147], v[111:112], off
	s_nop 0
	buffer_store_dword v148, off, s[0:3], 0 offset:128
	buffer_store_dword v149, off, s[0:3], 0 offset:132
	;; [unrolled: 1-line block ×16, first 2 shown]
	s_waitcnt vmcnt(62)
	buffer_store_dword v164, off, s[0:3], 0 offset:192
	buffer_store_dword v165, off, s[0:3], 0 offset:196
	s_waitcnt vmcnt(62)
	buffer_store_dword v116, off, s[0:3], 0 offset:204
	buffer_store_dword v115, off, s[0:3], 0 offset:200
	buffer_store_dword v167, off, s[0:3], 0 offset:212
	buffer_store_dword v166, off, s[0:3], 0 offset:208
	s_waitcnt vmcnt(62)
	buffer_store_dword v118, off, s[0:3], 0 offset:216
	buffer_store_dword v119, off, s[0:3], 0 offset:220
	;; [unrolled: 5-line block ×3, first 2 shown]
	buffer_store_dword v170, off, s[0:3], 0 offset:240
	buffer_store_dword v171, off, s[0:3], 0 offset:244
	;; [unrolled: 1-line block ×6, first 2 shown]
	s_waitcnt vmcnt(62)
	buffer_store_dword v124, off, s[0:3], 0 offset:264
	buffer_store_dword v125, off, s[0:3], 0 offset:268
	buffer_store_dword v174, off, s[0:3], 0 offset:272
	buffer_store_dword v175, off, s[0:3], 0 offset:276
	buffer_store_dword v126, off, s[0:3], 0 offset:280
	buffer_store_dword v127, off, s[0:3], 0 offset:284
	buffer_store_dword v176, off, s[0:3], 0 offset:288
	buffer_store_dword v177, off, s[0:3], 0 offset:292
	s_waitcnt vmcnt(62)
	buffer_store_dword v129, off, s[0:3], 0 offset:300
	buffer_store_dword v128, off, s[0:3], 0 offset:296
	;; [unrolled: 1-line block ×12, first 2 shown]
	s_waitcnt vmcnt(62)
	buffer_store_dword v135, off, s[0:3], 0 offset:348
	buffer_store_dword v134, off, s[0:3], 0 offset:344
	;; [unrolled: 1-line block ×16, first 2 shown]
	s_waitcnt vmcnt(62)
	buffer_store_dword v142, off, s[0:3], 0 offset:408
	buffer_store_dword v143, off, s[0:3], 0 offset:412
	;; [unrolled: 1-line block ×12, first 2 shown]
	s_cbranch_scc1 .LBB56_234
; %bb.4:
	v_cmp_eq_u32_e64 s[4:5], 0, v0
	s_and_saveexec_b64 s[8:9], s[4:5]
; %bb.5:
	v_mov_b32_e32 v115, 0
	ds_write_b32 v115, v115 offset:456
; %bb.6:
	s_or_b64 exec, exec, s[8:9]
	v_mov_b32_e32 v115, 0
	v_lshl_add_u32 v115, v0, 3, v115
	s_waitcnt lgkmcnt(0)
	; wave barrier
	buffer_load_dword v118, v115, s[0:3], 0 offen
	buffer_load_dword v119, v115, s[0:3], 0 offen offset:4
	s_waitcnt vmcnt(0)
	v_cmp_eq_f64_e32 vcc, 0, v[118:119]
	s_and_saveexec_b64 s[12:13], vcc
	s_cbranch_execz .LBB56_10
; %bb.7:
	v_mov_b32_e32 v116, 0
	ds_read_b32 v119, v116 offset:456
	v_add_u32_e32 v118, 1, v0
	s_waitcnt lgkmcnt(0)
	v_readfirstlane_b32 s8, v119
	s_cmp_eq_u32 s8, 0
	s_cselect_b64 s[14:15], -1, 0
	v_cmp_gt_i32_e32 vcc, s8, v118
	s_or_b64 s[14:15], s[14:15], vcc
	s_and_b64 exec, exec, s[14:15]
	s_cbranch_execz .LBB56_10
; %bb.8:
	s_mov_b64 s[14:15], 0
	v_mov_b32_e32 v119, s8
.LBB56_9:                               ; =>This Inner Loop Header: Depth=1
	ds_cmpst_rtn_b32 v119, v116, v119, v118 offset:456
	s_waitcnt lgkmcnt(0)
	v_cmp_ne_u32_e32 vcc, 0, v119
	v_cmp_le_i32_e64 s[8:9], v119, v118
	s_and_b64 s[8:9], vcc, s[8:9]
	s_and_b64 s[8:9], exec, s[8:9]
	s_or_b64 s[14:15], s[8:9], s[14:15]
	s_andn2_b64 exec, exec, s[14:15]
	s_cbranch_execnz .LBB56_9
.LBB56_10:
	s_or_b64 exec, exec, s[12:13]
	v_mov_b32_e32 v118, 0
	; wave barrier
	ds_read_b32 v116, v118 offset:456
	s_and_saveexec_b64 s[8:9], s[4:5]
	s_cbranch_execz .LBB56_12
; %bb.11:
	s_lshl_b64 s[12:13], s[6:7], 2
	s_add_u32 s12, s10, s12
	s_addc_u32 s13, s11, s13
	s_waitcnt lgkmcnt(0)
	global_store_dword v118, v116, s[12:13]
.LBB56_12:
	s_or_b64 exec, exec, s[8:9]
	s_waitcnt lgkmcnt(0)
	v_cmp_ne_u32_e32 vcc, 0, v116
	s_mov_b64 s[8:9], 0
	s_cbranch_vccnz .LBB56_234
; %bb.13:
	buffer_load_dword v118, v115, s[0:3], 0 offen
	buffer_load_dword v119, v115, s[0:3], 0 offen offset:4
	s_waitcnt vmcnt(0)
	v_div_scale_f64 v[120:121], s[8:9], v[118:119], v[118:119], 1.0
	v_rcp_f64_e32 v[122:123], v[120:121]
	v_fma_f64 v[124:125], -v[120:121], v[122:123], 1.0
	v_fma_f64 v[122:123], v[122:123], v[124:125], v[122:123]
	v_div_scale_f64 v[124:125], vcc, 1.0, v[118:119], 1.0
	v_fma_f64 v[126:127], -v[120:121], v[122:123], 1.0
	v_fma_f64 v[122:123], v[122:123], v[126:127], v[122:123]
	v_mul_f64 v[126:127], v[124:125], v[122:123]
	v_fma_f64 v[120:121], -v[120:121], v[126:127], v[124:125]
	v_div_fmas_f64 v[120:121], v[120:121], v[122:123], v[126:127]
	v_div_fixup_f64 v[119:120], v[120:121], v[118:119], 1.0
	v_add_u32_e32 v118, 0x1d0, v117
	buffer_store_dword v120, v115, s[0:3], 0 offen offset:4
	buffer_store_dword v119, v115, s[0:3], 0 offen
	buffer_load_dword v122, off, s[0:3], 0 offset:12
	buffer_load_dword v121, off, s[0:3], 0 offset:8
	v_xor_b32_e32 v120, 0x80000000, v120
	s_waitcnt vmcnt(0)
	ds_write2_b64 v117, v[119:120], v[121:122] offset1:58
	s_waitcnt lgkmcnt(0)
	; wave barrier
	s_and_saveexec_b64 s[8:9], s[4:5]
	s_cbranch_execz .LBB56_15
; %bb.14:
	buffer_load_dword v119, v115, s[0:3], 0 offen
	buffer_load_dword v120, v115, s[0:3], 0 offen offset:4
	ds_read_b64 v[121:122], v118
	v_mov_b32_e32 v116, 0
	ds_read_b64 v[123:124], v116 offset:8
	s_waitcnt vmcnt(0) lgkmcnt(1)
	v_fma_f64 v[119:120], v[119:120], v[121:122], 0
	s_waitcnt lgkmcnt(0)
	v_mul_f64 v[119:120], v[119:120], v[123:124]
	buffer_store_dword v119, off, s[0:3], 0 offset:8
	buffer_store_dword v120, off, s[0:3], 0 offset:12
.LBB56_15:
	s_or_b64 exec, exec, s[8:9]
	; wave barrier
	buffer_load_dword v119, off, s[0:3], 0 offset:16
	buffer_load_dword v120, off, s[0:3], 0 offset:20
	v_cmp_gt_u32_e32 vcc, 2, v0
	s_waitcnt vmcnt(0)
	ds_write_b64 v118, v[119:120]
	s_waitcnt lgkmcnt(0)
	; wave barrier
	s_and_saveexec_b64 s[8:9], vcc
	s_cbranch_execz .LBB56_17
; %bb.16:
	buffer_load_dword v119, v115, s[0:3], 0 offen
	buffer_load_dword v120, v115, s[0:3], 0 offen offset:4
                                        ; kill: killed $vgpr115
	s_nop 0
	buffer_load_dword v115, off, s[0:3], 0 offset:8
	buffer_load_dword v116, off, s[0:3], 0 offset:12
	ds_read_b64 v[121:122], v118
	s_waitcnt vmcnt(2) lgkmcnt(0)
	v_fma_f64 v[123:124], v[119:120], v[121:122], 0
	v_mov_b32_e32 v119, 0
	ds_read2_b64 v[119:122], v119 offset0:2 offset1:59
	s_waitcnt vmcnt(0) lgkmcnt(0)
	v_fma_f64 v[115:116], v[115:116], v[121:122], v[123:124]
	v_cndmask_b32_e64 v116, v124, v116, s[4:5]
	v_cndmask_b32_e64 v115, v123, v115, s[4:5]
	v_mul_f64 v[115:116], v[115:116], v[119:120]
	buffer_store_dword v116, off, s[0:3], 0 offset:20
	buffer_store_dword v115, off, s[0:3], 0 offset:16
.LBB56_17:
	s_or_b64 exec, exec, s[8:9]
	; wave barrier
	buffer_load_dword v115, off, s[0:3], 0 offset:24
	buffer_load_dword v116, off, s[0:3], 0 offset:28
	v_cmp_gt_u32_e32 vcc, 3, v0
	v_add_u32_e32 v119, -1, v0
	s_waitcnt vmcnt(0)
	ds_write_b64 v118, v[115:116]
	s_waitcnt lgkmcnt(0)
	; wave barrier
	s_and_saveexec_b64 s[4:5], vcc
	s_cbranch_execz .LBB56_21
; %bb.18:
	v_mov_b32_e32 v115, 0
	v_add_u32_e32 v120, -1, v0
	v_add_u32_e32 v121, 0x1d0, v117
	v_mov_b32_e32 v122, v117
	v_mov_b32_e32 v116, 0
	s_mov_b64 s[8:9], 0
.LBB56_19:                              ; =>This Inner Loop Header: Depth=1
	buffer_load_dword v123, v122, s[0:3], 0 offen
	buffer_load_dword v124, v122, s[0:3], 0 offen offset:4
	ds_read_b64 v[125:126], v121
	v_add_u32_e32 v120, 1, v120
	v_cmp_lt_u32_e32 vcc, 1, v120
	v_add_u32_e32 v121, 8, v121
	s_or_b64 s[8:9], vcc, s[8:9]
	v_add_u32_e32 v122, 8, v122
	s_waitcnt vmcnt(0) lgkmcnt(0)
	v_fma_f64 v[115:116], v[123:124], v[125:126], v[115:116]
	s_andn2_b64 exec, exec, s[8:9]
	s_cbranch_execnz .LBB56_19
; %bb.20:
	s_or_b64 exec, exec, s[8:9]
	v_mov_b32_e32 v120, 0
	ds_read_b64 v[120:121], v120 offset:24
	s_waitcnt lgkmcnt(0)
	v_mul_f64 v[115:116], v[115:116], v[120:121]
	buffer_store_dword v116, off, s[0:3], 0 offset:28
	buffer_store_dword v115, off, s[0:3], 0 offset:24
.LBB56_21:
	s_or_b64 exec, exec, s[4:5]
	; wave barrier
	buffer_load_dword v115, off, s[0:3], 0 offset:32
	buffer_load_dword v116, off, s[0:3], 0 offset:36
	v_cmp_gt_u32_e32 vcc, 4, v0
	s_waitcnt vmcnt(0)
	ds_write_b64 v118, v[115:116]
	s_waitcnt lgkmcnt(0)
	; wave barrier
	s_and_saveexec_b64 s[4:5], vcc
	s_cbranch_execz .LBB56_25
; %bb.22:
	v_mov_b32_e32 v115, 0
	v_add_u32_e32 v120, -1, v0
	v_add_u32_e32 v121, 0x1d0, v117
	v_mov_b32_e32 v122, v117
	v_mov_b32_e32 v116, 0
	s_mov_b64 s[8:9], 0
.LBB56_23:                              ; =>This Inner Loop Header: Depth=1
	buffer_load_dword v123, v122, s[0:3], 0 offen
	buffer_load_dword v124, v122, s[0:3], 0 offen offset:4
	ds_read_b64 v[125:126], v121
	v_add_u32_e32 v120, 1, v120
	v_cmp_lt_u32_e32 vcc, 2, v120
	v_add_u32_e32 v121, 8, v121
	s_or_b64 s[8:9], vcc, s[8:9]
	v_add_u32_e32 v122, 8, v122
	s_waitcnt vmcnt(0) lgkmcnt(0)
	v_fma_f64 v[115:116], v[123:124], v[125:126], v[115:116]
	s_andn2_b64 exec, exec, s[8:9]
	s_cbranch_execnz .LBB56_23
; %bb.24:
	s_or_b64 exec, exec, s[8:9]
	v_mov_b32_e32 v120, 0
	ds_read_b64 v[120:121], v120 offset:32
	s_waitcnt lgkmcnt(0)
	v_mul_f64 v[115:116], v[115:116], v[120:121]
	buffer_store_dword v116, off, s[0:3], 0 offset:36
	buffer_store_dword v115, off, s[0:3], 0 offset:32
.LBB56_25:
	s_or_b64 exec, exec, s[4:5]
	; wave barrier
	buffer_load_dword v115, off, s[0:3], 0 offset:40
	buffer_load_dword v116, off, s[0:3], 0 offset:44
	v_cmp_gt_u32_e32 vcc, 5, v0
	;; [unrolled: 40-line block ×21, first 2 shown]
	s_waitcnt vmcnt(0)
	ds_write_b64 v118, v[115:116]
	s_waitcnt lgkmcnt(0)
	; wave barrier
	s_and_saveexec_b64 s[4:5], vcc
	s_cbranch_execz .LBB56_105
; %bb.102:
	v_mov_b32_e32 v115, 0
	v_add_u32_e32 v120, -1, v0
	v_add_u32_e32 v121, 0x1d0, v117
	v_mov_b32_e32 v122, v117
	v_mov_b32_e32 v116, 0
	s_mov_b64 s[8:9], 0
.LBB56_103:                             ; =>This Inner Loop Header: Depth=1
	buffer_load_dword v123, v122, s[0:3], 0 offen
	buffer_load_dword v124, v122, s[0:3], 0 offen offset:4
	ds_read_b64 v[125:126], v121
	v_add_u32_e32 v120, 1, v120
	v_cmp_lt_u32_e32 vcc, 22, v120
	v_add_u32_e32 v121, 8, v121
	s_or_b64 s[8:9], vcc, s[8:9]
	v_add_u32_e32 v122, 8, v122
	s_waitcnt vmcnt(0) lgkmcnt(0)
	v_fma_f64 v[115:116], v[123:124], v[125:126], v[115:116]
	s_andn2_b64 exec, exec, s[8:9]
	s_cbranch_execnz .LBB56_103
; %bb.104:
	s_or_b64 exec, exec, s[8:9]
	v_mov_b32_e32 v120, 0
	ds_read_b64 v[120:121], v120 offset:192
	s_waitcnt lgkmcnt(0)
	v_mul_f64 v[115:116], v[115:116], v[120:121]
	buffer_store_dword v116, off, s[0:3], 0 offset:196
	buffer_store_dword v115, off, s[0:3], 0 offset:192
.LBB56_105:
	s_or_b64 exec, exec, s[4:5]
	; wave barrier
	buffer_load_dword v115, off, s[0:3], 0 offset:200
	buffer_load_dword v116, off, s[0:3], 0 offset:204
	v_cmp_gt_u32_e32 vcc, 25, v0
	s_waitcnt vmcnt(0)
	ds_write_b64 v118, v[115:116]
	s_waitcnt lgkmcnt(0)
	; wave barrier
	s_and_saveexec_b64 s[4:5], vcc
	s_cbranch_execz .LBB56_109
; %bb.106:
	v_mov_b32_e32 v115, 0
	v_add_u32_e32 v120, -1, v0
	v_add_u32_e32 v121, 0x1d0, v117
	v_mov_b32_e32 v122, v117
	v_mov_b32_e32 v116, 0
	s_mov_b64 s[8:9], 0
.LBB56_107:                             ; =>This Inner Loop Header: Depth=1
	buffer_load_dword v123, v122, s[0:3], 0 offen
	buffer_load_dword v124, v122, s[0:3], 0 offen offset:4
	ds_read_b64 v[125:126], v121
	v_add_u32_e32 v120, 1, v120
	v_cmp_lt_u32_e32 vcc, 23, v120
	v_add_u32_e32 v121, 8, v121
	s_or_b64 s[8:9], vcc, s[8:9]
	v_add_u32_e32 v122, 8, v122
	s_waitcnt vmcnt(0) lgkmcnt(0)
	v_fma_f64 v[115:116], v[123:124], v[125:126], v[115:116]
	s_andn2_b64 exec, exec, s[8:9]
	s_cbranch_execnz .LBB56_107
; %bb.108:
	s_or_b64 exec, exec, s[8:9]
	v_mov_b32_e32 v120, 0
	ds_read_b64 v[120:121], v120 offset:200
	s_waitcnt lgkmcnt(0)
	v_mul_f64 v[115:116], v[115:116], v[120:121]
	buffer_store_dword v116, off, s[0:3], 0 offset:204
	buffer_store_dword v115, off, s[0:3], 0 offset:200
.LBB56_109:
	s_or_b64 exec, exec, s[4:5]
	; wave barrier
	buffer_load_dword v115, off, s[0:3], 0 offset:208
	buffer_load_dword v116, off, s[0:3], 0 offset:212
	v_cmp_gt_u32_e32 vcc, 26, v0
	;; [unrolled: 40-line block ×31, first 2 shown]
	s_waitcnt vmcnt(0)
	ds_write_b64 v118, v[115:116]
	s_waitcnt lgkmcnt(0)
	; wave barrier
	s_and_saveexec_b64 s[4:5], vcc
	s_cbranch_execz .LBB56_229
; %bb.226:
	v_mov_b32_e32 v115, 0
	v_add_u32_e32 v120, -1, v0
	v_add_u32_e32 v121, 0x1d0, v117
	v_mov_b32_e32 v122, v117
	v_mov_b32_e32 v116, 0
	s_mov_b64 s[8:9], 0
.LBB56_227:                             ; =>This Inner Loop Header: Depth=1
	buffer_load_dword v123, v122, s[0:3], 0 offen
	buffer_load_dword v124, v122, s[0:3], 0 offen offset:4
	ds_read_b64 v[125:126], v121
	v_add_u32_e32 v120, 1, v120
	v_cmp_lt_u32_e32 vcc, 53, v120
	v_add_u32_e32 v121, 8, v121
	s_or_b64 s[8:9], vcc, s[8:9]
	v_add_u32_e32 v122, 8, v122
	s_waitcnt vmcnt(0) lgkmcnt(0)
	v_fma_f64 v[115:116], v[123:124], v[125:126], v[115:116]
	s_andn2_b64 exec, exec, s[8:9]
	s_cbranch_execnz .LBB56_227
; %bb.228:
	s_or_b64 exec, exec, s[8:9]
	v_mov_b32_e32 v120, 0
	ds_read_b64 v[120:121], v120 offset:440
	s_waitcnt lgkmcnt(0)
	v_mul_f64 v[115:116], v[115:116], v[120:121]
	buffer_store_dword v116, off, s[0:3], 0 offset:444
	buffer_store_dword v115, off, s[0:3], 0 offset:440
.LBB56_229:
	s_or_b64 exec, exec, s[4:5]
	; wave barrier
	buffer_load_dword v115, off, s[0:3], 0 offset:448
	buffer_load_dword v116, off, s[0:3], 0 offset:452
	v_cmp_ne_u32_e32 vcc, 56, v0
	s_waitcnt vmcnt(0)
	ds_write_b64 v118, v[115:116]
	s_waitcnt lgkmcnt(0)
	; wave barrier
	s_and_saveexec_b64 s[4:5], vcc
	s_cbranch_execz .LBB56_233
; %bb.230:
	v_mov_b32_e32 v115, 0
	v_add_u32_e32 v118, 0x1d0, v117
	v_mov_b32_e32 v116, 0
	s_mov_b64 s[8:9], 0
.LBB56_231:                             ; =>This Inner Loop Header: Depth=1
	buffer_load_dword v120, v117, s[0:3], 0 offen
	buffer_load_dword v121, v117, s[0:3], 0 offen offset:4
	ds_read_b64 v[122:123], v118
	v_add_u32_e32 v119, 1, v119
	v_cmp_lt_u32_e32 vcc, 54, v119
	v_add_u32_e32 v118, 8, v118
	s_or_b64 s[8:9], vcc, s[8:9]
	v_add_u32_e32 v117, 8, v117
	s_waitcnt vmcnt(0) lgkmcnt(0)
	v_fma_f64 v[115:116], v[120:121], v[122:123], v[115:116]
	s_andn2_b64 exec, exec, s[8:9]
	s_cbranch_execnz .LBB56_231
; %bb.232:
	s_or_b64 exec, exec, s[8:9]
	v_mov_b32_e32 v117, 0
	ds_read_b64 v[117:118], v117 offset:448
	s_waitcnt lgkmcnt(0)
	v_mul_f64 v[115:116], v[115:116], v[117:118]
	buffer_store_dword v116, off, s[0:3], 0 offset:452
	buffer_store_dword v115, off, s[0:3], 0 offset:448
.LBB56_233:
	s_or_b64 exec, exec, s[4:5]
	s_mov_b64 s[8:9], -1
	; wave barrier
.LBB56_234:
	s_and_b64 vcc, exec, s[8:9]
	s_cbranch_vccz .LBB56_236
; %bb.235:
	s_lshl_b64 s[4:5], s[6:7], 2
	s_add_u32 s4, s10, s4
	s_addc_u32 s5, s11, s5
	v_mov_b32_e32 v115, 0
	global_load_dword v115, v115, s[4:5]
	s_waitcnt vmcnt(0)
	v_cmp_ne_u32_e32 vcc, 0, v115
	s_cbranch_vccz .LBB56_237
.LBB56_236:
	s_endpgm
.LBB56_237:
	v_mov_b32_e32 v115, 0x1d0
	v_lshl_add_u32 v115, v0, 3, v115
	v_cmp_eq_u32_e32 vcc, 56, v0
	s_and_saveexec_b64 s[4:5], vcc
	s_cbranch_execz .LBB56_239
; %bb.238:
	buffer_load_dword v116, off, s[0:3], 0 offset:440
	buffer_load_dword v117, off, s[0:3], 0 offset:444
	v_mov_b32_e32 v118, 0
	buffer_store_dword v118, off, s[0:3], 0 offset:440
	buffer_store_dword v118, off, s[0:3], 0 offset:444
	s_waitcnt vmcnt(2)
	ds_write_b64 v115, v[116:117]
.LBB56_239:
	s_or_b64 exec, exec, s[4:5]
	s_waitcnt lgkmcnt(0)
	; wave barrier
	buffer_load_dword v117, off, s[0:3], 0 offset:448
	buffer_load_dword v118, off, s[0:3], 0 offset:452
	;; [unrolled: 1-line block ×4, first 2 shown]
	v_mov_b32_e32 v116, 0
	ds_read_b64 v[121:122], v116 offset:912
	v_cmp_lt_u32_e32 vcc, 54, v0
	s_waitcnt vmcnt(2) lgkmcnt(0)
	v_fma_f64 v[117:118], v[117:118], v[121:122], 0
	s_waitcnt vmcnt(0)
	v_add_f64 v[117:118], v[119:120], -v[117:118]
	buffer_store_dword v117, off, s[0:3], 0 offset:440
	buffer_store_dword v118, off, s[0:3], 0 offset:444
	s_and_saveexec_b64 s[4:5], vcc
	s_cbranch_execz .LBB56_241
; %bb.240:
	buffer_load_dword v117, off, s[0:3], 0 offset:432
	buffer_load_dword v118, off, s[0:3], 0 offset:436
	s_waitcnt vmcnt(0)
	ds_write_b64 v115, v[117:118]
	buffer_store_dword v116, off, s[0:3], 0 offset:432
	buffer_store_dword v116, off, s[0:3], 0 offset:436
.LBB56_241:
	s_or_b64 exec, exec, s[4:5]
	s_waitcnt lgkmcnt(0)
	; wave barrier
	buffer_load_dword v120, off, s[0:3], 0 offset:440
	buffer_load_dword v121, off, s[0:3], 0 offset:444
	;; [unrolled: 1-line block ×6, first 2 shown]
	ds_read2_b64 v[116:119], v116 offset0:113 offset1:114
	v_cmp_lt_u32_e32 vcc, 53, v0
	s_waitcnt vmcnt(4) lgkmcnt(0)
	v_fma_f64 v[116:117], v[120:121], v[116:117], 0
	s_waitcnt vmcnt(2)
	v_fma_f64 v[116:117], v[122:123], v[118:119], v[116:117]
	s_waitcnt vmcnt(0)
	v_add_f64 v[116:117], v[124:125], -v[116:117]
	buffer_store_dword v116, off, s[0:3], 0 offset:432
	buffer_store_dword v117, off, s[0:3], 0 offset:436
	s_and_saveexec_b64 s[4:5], vcc
	s_cbranch_execz .LBB56_243
; %bb.242:
	buffer_load_dword v116, off, s[0:3], 0 offset:424
	buffer_load_dword v117, off, s[0:3], 0 offset:428
	v_mov_b32_e32 v118, 0
	buffer_store_dword v118, off, s[0:3], 0 offset:424
	buffer_store_dword v118, off, s[0:3], 0 offset:428
	s_waitcnt vmcnt(2)
	ds_write_b64 v115, v[116:117]
.LBB56_243:
	s_or_b64 exec, exec, s[4:5]
	s_waitcnt lgkmcnt(0)
	; wave barrier
	buffer_load_dword v121, off, s[0:3], 0 offset:432
	buffer_load_dword v122, off, s[0:3], 0 offset:436
	;; [unrolled: 1-line block ×8, first 2 shown]
	v_mov_b32_e32 v116, 0
	ds_read_b128 v[117:120], v116 offset:896
	ds_read_b64 v[129:130], v116 offset:912
	v_cmp_lt_u32_e32 vcc, 52, v0
	s_waitcnt vmcnt(6) lgkmcnt(1)
	v_fma_f64 v[117:118], v[121:122], v[117:118], 0
	s_waitcnt vmcnt(4)
	v_fma_f64 v[117:118], v[123:124], v[119:120], v[117:118]
	s_waitcnt vmcnt(2) lgkmcnt(0)
	v_fma_f64 v[117:118], v[125:126], v[129:130], v[117:118]
	s_waitcnt vmcnt(0)
	v_add_f64 v[117:118], v[127:128], -v[117:118]
	buffer_store_dword v117, off, s[0:3], 0 offset:424
	buffer_store_dword v118, off, s[0:3], 0 offset:428
	s_and_saveexec_b64 s[4:5], vcc
	s_cbranch_execz .LBB56_245
; %bb.244:
	buffer_load_dword v117, off, s[0:3], 0 offset:416
	buffer_load_dword v118, off, s[0:3], 0 offset:420
	s_waitcnt vmcnt(0)
	ds_write_b64 v115, v[117:118]
	buffer_store_dword v116, off, s[0:3], 0 offset:416
	buffer_store_dword v116, off, s[0:3], 0 offset:420
.LBB56_245:
	s_or_b64 exec, exec, s[4:5]
	s_waitcnt lgkmcnt(0)
	; wave barrier
	buffer_load_dword v125, off, s[0:3], 0 offset:424
	buffer_load_dword v126, off, s[0:3], 0 offset:428
	buffer_load_dword v127, off, s[0:3], 0 offset:432
	buffer_load_dword v128, off, s[0:3], 0 offset:436
	buffer_load_dword v129, off, s[0:3], 0 offset:440
	buffer_load_dword v130, off, s[0:3], 0 offset:444
	buffer_load_dword v131, off, s[0:3], 0 offset:448
	buffer_load_dword v132, off, s[0:3], 0 offset:452
	buffer_load_dword v133, off, s[0:3], 0 offset:416
	buffer_load_dword v134, off, s[0:3], 0 offset:420
	ds_read2_b64 v[117:120], v116 offset0:111 offset1:112
	ds_read2_b64 v[121:124], v116 offset0:113 offset1:114
	v_cmp_lt_u32_e32 vcc, 51, v0
	s_waitcnt vmcnt(8) lgkmcnt(1)
	v_fma_f64 v[116:117], v[125:126], v[117:118], 0
	s_waitcnt vmcnt(6)
	v_fma_f64 v[116:117], v[127:128], v[119:120], v[116:117]
	s_waitcnt vmcnt(4) lgkmcnt(0)
	v_fma_f64 v[116:117], v[129:130], v[121:122], v[116:117]
	s_waitcnt vmcnt(2)
	v_fma_f64 v[116:117], v[131:132], v[123:124], v[116:117]
	s_waitcnt vmcnt(0)
	v_add_f64 v[116:117], v[133:134], -v[116:117]
	buffer_store_dword v116, off, s[0:3], 0 offset:416
	buffer_store_dword v117, off, s[0:3], 0 offset:420
	s_and_saveexec_b64 s[4:5], vcc
	s_cbranch_execz .LBB56_247
; %bb.246:
	buffer_load_dword v116, off, s[0:3], 0 offset:408
	buffer_load_dword v117, off, s[0:3], 0 offset:412
	v_mov_b32_e32 v118, 0
	buffer_store_dword v118, off, s[0:3], 0 offset:408
	buffer_store_dword v118, off, s[0:3], 0 offset:412
	s_waitcnt vmcnt(2)
	ds_write_b64 v115, v[116:117]
.LBB56_247:
	s_or_b64 exec, exec, s[4:5]
	s_waitcnt lgkmcnt(0)
	; wave barrier
	buffer_load_dword v125, off, s[0:3], 0 offset:416
	buffer_load_dword v126, off, s[0:3], 0 offset:420
	;; [unrolled: 1-line block ×12, first 2 shown]
	v_mov_b32_e32 v116, 0
	ds_read_b128 v[117:120], v116 offset:880
	ds_read_b128 v[121:124], v116 offset:896
	v_cmp_lt_u32_e32 vcc, 50, v0
	s_waitcnt vmcnt(10) lgkmcnt(1)
	v_fma_f64 v[117:118], v[125:126], v[117:118], 0
	s_waitcnt vmcnt(8)
	v_fma_f64 v[117:118], v[127:128], v[119:120], v[117:118]
	ds_read_b64 v[119:120], v116 offset:912
	s_waitcnt vmcnt(6) lgkmcnt(1)
	v_fma_f64 v[117:118], v[129:130], v[121:122], v[117:118]
	s_waitcnt vmcnt(4)
	v_fma_f64 v[117:118], v[131:132], v[123:124], v[117:118]
	s_waitcnt vmcnt(2) lgkmcnt(0)
	v_fma_f64 v[117:118], v[133:134], v[119:120], v[117:118]
	s_waitcnt vmcnt(0)
	v_add_f64 v[117:118], v[135:136], -v[117:118]
	buffer_store_dword v117, off, s[0:3], 0 offset:408
	buffer_store_dword v118, off, s[0:3], 0 offset:412
	s_and_saveexec_b64 s[4:5], vcc
	s_cbranch_execz .LBB56_249
; %bb.248:
	buffer_load_dword v117, off, s[0:3], 0 offset:400
	buffer_load_dword v118, off, s[0:3], 0 offset:404
	s_waitcnt vmcnt(0)
	ds_write_b64 v115, v[117:118]
	buffer_store_dword v116, off, s[0:3], 0 offset:400
	buffer_store_dword v116, off, s[0:3], 0 offset:404
.LBB56_249:
	s_or_b64 exec, exec, s[4:5]
	s_waitcnt lgkmcnt(0)
	; wave barrier
	buffer_load_dword v125, off, s[0:3], 0 offset:408
	buffer_load_dword v126, off, s[0:3], 0 offset:412
	buffer_load_dword v127, off, s[0:3], 0 offset:416
	buffer_load_dword v128, off, s[0:3], 0 offset:420
	buffer_load_dword v129, off, s[0:3], 0 offset:424
	buffer_load_dword v130, off, s[0:3], 0 offset:428
	buffer_load_dword v131, off, s[0:3], 0 offset:432
	buffer_load_dword v132, off, s[0:3], 0 offset:436
	buffer_load_dword v133, off, s[0:3], 0 offset:440
	buffer_load_dword v134, off, s[0:3], 0 offset:444
	buffer_load_dword v135, off, s[0:3], 0 offset:448
	buffer_load_dword v136, off, s[0:3], 0 offset:452
	buffer_load_dword v137, off, s[0:3], 0 offset:400
	buffer_load_dword v138, off, s[0:3], 0 offset:404
	ds_read2_b64 v[117:120], v116 offset0:109 offset1:110
	ds_read2_b64 v[121:124], v116 offset0:111 offset1:112
	v_cmp_lt_u32_e32 vcc, 49, v0
	s_waitcnt vmcnt(12) lgkmcnt(1)
	v_fma_f64 v[117:118], v[125:126], v[117:118], 0
	s_waitcnt vmcnt(10)
	v_fma_f64 v[117:118], v[127:128], v[119:120], v[117:118]
	s_waitcnt vmcnt(8) lgkmcnt(0)
	v_fma_f64 v[117:118], v[129:130], v[121:122], v[117:118]
	s_waitcnt vmcnt(6)
	v_fma_f64 v[120:121], v[131:132], v[123:124], v[117:118]
	ds_read2_b64 v[116:119], v116 offset0:113 offset1:114
	s_waitcnt vmcnt(4) lgkmcnt(0)
	v_fma_f64 v[116:117], v[133:134], v[116:117], v[120:121]
	s_waitcnt vmcnt(2)
	v_fma_f64 v[116:117], v[135:136], v[118:119], v[116:117]
	s_waitcnt vmcnt(0)
	v_add_f64 v[116:117], v[137:138], -v[116:117]
	buffer_store_dword v116, off, s[0:3], 0 offset:400
	buffer_store_dword v117, off, s[0:3], 0 offset:404
	s_and_saveexec_b64 s[4:5], vcc
	s_cbranch_execz .LBB56_251
; %bb.250:
	buffer_load_dword v116, off, s[0:3], 0 offset:392
	buffer_load_dword v117, off, s[0:3], 0 offset:396
	v_mov_b32_e32 v118, 0
	buffer_store_dword v118, off, s[0:3], 0 offset:392
	buffer_store_dword v118, off, s[0:3], 0 offset:396
	s_waitcnt vmcnt(2)
	ds_write_b64 v115, v[116:117]
.LBB56_251:
	s_or_b64 exec, exec, s[4:5]
	s_waitcnt lgkmcnt(0)
	; wave barrier
	buffer_load_dword v125, off, s[0:3], 0 offset:400
	buffer_load_dword v126, off, s[0:3], 0 offset:404
	;; [unrolled: 1-line block ×16, first 2 shown]
	v_mov_b32_e32 v116, 0
	ds_read_b128 v[117:120], v116 offset:864
	ds_read_b128 v[121:124], v116 offset:880
	v_cmp_lt_u32_e32 vcc, 48, v0
	s_waitcnt vmcnt(14) lgkmcnt(1)
	v_fma_f64 v[117:118], v[125:126], v[117:118], 0
	s_waitcnt vmcnt(12)
	v_fma_f64 v[117:118], v[127:128], v[119:120], v[117:118]
	s_waitcnt vmcnt(10) lgkmcnt(0)
	v_fma_f64 v[117:118], v[129:130], v[121:122], v[117:118]
	s_waitcnt vmcnt(8)
	v_fma_f64 v[121:122], v[131:132], v[123:124], v[117:118]
	ds_read_b128 v[117:120], v116 offset:896
	ds_read_b64 v[123:124], v116 offset:912
	s_waitcnt vmcnt(6) lgkmcnt(1)
	v_fma_f64 v[117:118], v[133:134], v[117:118], v[121:122]
	s_waitcnt vmcnt(4)
	v_fma_f64 v[117:118], v[135:136], v[119:120], v[117:118]
	s_waitcnt vmcnt(2) lgkmcnt(0)
	v_fma_f64 v[117:118], v[137:138], v[123:124], v[117:118]
	s_waitcnt vmcnt(0)
	v_add_f64 v[117:118], v[139:140], -v[117:118]
	buffer_store_dword v117, off, s[0:3], 0 offset:392
	buffer_store_dword v118, off, s[0:3], 0 offset:396
	s_and_saveexec_b64 s[4:5], vcc
	s_cbranch_execz .LBB56_253
; %bb.252:
	buffer_load_dword v117, off, s[0:3], 0 offset:384
	buffer_load_dword v118, off, s[0:3], 0 offset:388
	s_waitcnt vmcnt(0)
	ds_write_b64 v115, v[117:118]
	buffer_store_dword v116, off, s[0:3], 0 offset:384
	buffer_store_dword v116, off, s[0:3], 0 offset:388
.LBB56_253:
	s_or_b64 exec, exec, s[4:5]
	s_waitcnt lgkmcnt(0)
	; wave barrier
	buffer_load_dword v125, off, s[0:3], 0 offset:392
	buffer_load_dword v126, off, s[0:3], 0 offset:396
	buffer_load_dword v127, off, s[0:3], 0 offset:400
	buffer_load_dword v128, off, s[0:3], 0 offset:404
	buffer_load_dword v129, off, s[0:3], 0 offset:408
	buffer_load_dword v130, off, s[0:3], 0 offset:412
	buffer_load_dword v131, off, s[0:3], 0 offset:416
	buffer_load_dword v132, off, s[0:3], 0 offset:420
	buffer_load_dword v133, off, s[0:3], 0 offset:424
	buffer_load_dword v134, off, s[0:3], 0 offset:428
	buffer_load_dword v135, off, s[0:3], 0 offset:432
	buffer_load_dword v136, off, s[0:3], 0 offset:436
	buffer_load_dword v137, off, s[0:3], 0 offset:440
	buffer_load_dword v138, off, s[0:3], 0 offset:444
	buffer_load_dword v140, off, s[0:3], 0 offset:452
	buffer_load_dword v139, off, s[0:3], 0 offset:448
	buffer_load_dword v141, off, s[0:3], 0 offset:384
	buffer_load_dword v142, off, s[0:3], 0 offset:388
	ds_read2_b64 v[117:120], v116 offset0:107 offset1:108
	ds_read2_b64 v[121:124], v116 offset0:109 offset1:110
	v_cmp_lt_u32_e32 vcc, 47, v0
	s_waitcnt vmcnt(16) lgkmcnt(1)
	v_fma_f64 v[117:118], v[125:126], v[117:118], 0
	s_waitcnt vmcnt(14)
	v_fma_f64 v[117:118], v[127:128], v[119:120], v[117:118]
	s_waitcnt vmcnt(12) lgkmcnt(0)
	v_fma_f64 v[117:118], v[129:130], v[121:122], v[117:118]
	s_waitcnt vmcnt(10)
	v_fma_f64 v[125:126], v[131:132], v[123:124], v[117:118]
	ds_read2_b64 v[117:120], v116 offset0:111 offset1:112
	ds_read2_b64 v[121:124], v116 offset0:113 offset1:114
	s_waitcnt vmcnt(8) lgkmcnt(1)
	v_fma_f64 v[116:117], v[133:134], v[117:118], v[125:126]
	s_waitcnt vmcnt(6)
	v_fma_f64 v[116:117], v[135:136], v[119:120], v[116:117]
	s_waitcnt vmcnt(4) lgkmcnt(0)
	v_fma_f64 v[116:117], v[137:138], v[121:122], v[116:117]
	s_waitcnt vmcnt(2)
	v_fma_f64 v[116:117], v[139:140], v[123:124], v[116:117]
	s_waitcnt vmcnt(0)
	v_add_f64 v[116:117], v[141:142], -v[116:117]
	buffer_store_dword v116, off, s[0:3], 0 offset:384
	buffer_store_dword v117, off, s[0:3], 0 offset:388
	s_and_saveexec_b64 s[4:5], vcc
	s_cbranch_execz .LBB56_255
; %bb.254:
	buffer_load_dword v116, off, s[0:3], 0 offset:376
	buffer_load_dword v117, off, s[0:3], 0 offset:380
	v_mov_b32_e32 v118, 0
	buffer_store_dword v118, off, s[0:3], 0 offset:376
	buffer_store_dword v118, off, s[0:3], 0 offset:380
	s_waitcnt vmcnt(2)
	ds_write_b64 v115, v[116:117]
.LBB56_255:
	s_or_b64 exec, exec, s[4:5]
	s_waitcnt lgkmcnt(0)
	; wave barrier
	buffer_load_dword v125, off, s[0:3], 0 offset:384
	buffer_load_dword v126, off, s[0:3], 0 offset:388
	;; [unrolled: 1-line block ×20, first 2 shown]
	v_mov_b32_e32 v116, 0
	ds_read_b128 v[117:120], v116 offset:848
	ds_read_b128 v[121:124], v116 offset:864
	v_cmp_lt_u32_e32 vcc, 46, v0
	s_waitcnt vmcnt(18) lgkmcnt(1)
	v_fma_f64 v[117:118], v[125:126], v[117:118], 0
	s_waitcnt vmcnt(16)
	v_fma_f64 v[117:118], v[127:128], v[119:120], v[117:118]
	s_waitcnt vmcnt(14) lgkmcnt(0)
	v_fma_f64 v[117:118], v[129:130], v[121:122], v[117:118]
	s_waitcnt vmcnt(12)
	v_fma_f64 v[125:126], v[131:132], v[123:124], v[117:118]
	ds_read_b128 v[117:120], v116 offset:880
	ds_read_b128 v[121:124], v116 offset:896
	s_waitcnt vmcnt(10) lgkmcnt(1)
	v_fma_f64 v[117:118], v[133:134], v[117:118], v[125:126]
	s_waitcnt vmcnt(8)
	v_fma_f64 v[117:118], v[135:136], v[119:120], v[117:118]
	ds_read_b64 v[119:120], v116 offset:912
	s_waitcnt vmcnt(6) lgkmcnt(1)
	v_fma_f64 v[117:118], v[137:138], v[121:122], v[117:118]
	s_waitcnt vmcnt(3)
	v_fma_f64 v[117:118], v[139:140], v[123:124], v[117:118]
	s_waitcnt vmcnt(2) lgkmcnt(0)
	v_fma_f64 v[117:118], v[141:142], v[119:120], v[117:118]
	s_waitcnt vmcnt(0)
	v_add_f64 v[117:118], v[143:144], -v[117:118]
	buffer_store_dword v117, off, s[0:3], 0 offset:376
	buffer_store_dword v118, off, s[0:3], 0 offset:380
	s_and_saveexec_b64 s[4:5], vcc
	s_cbranch_execz .LBB56_257
; %bb.256:
	buffer_load_dword v117, off, s[0:3], 0 offset:368
	buffer_load_dword v118, off, s[0:3], 0 offset:372
	s_waitcnt vmcnt(0)
	ds_write_b64 v115, v[117:118]
	buffer_store_dword v116, off, s[0:3], 0 offset:368
	buffer_store_dword v116, off, s[0:3], 0 offset:372
.LBB56_257:
	s_or_b64 exec, exec, s[4:5]
	s_waitcnt lgkmcnt(0)
	; wave barrier
	buffer_load_dword v125, off, s[0:3], 0 offset:376
	buffer_load_dword v126, off, s[0:3], 0 offset:380
	;; [unrolled: 1-line block ×20, first 2 shown]
	ds_read2_b64 v[117:120], v116 offset0:105 offset1:106
	buffer_load_dword v145, off, s[0:3], 0 offset:368
	buffer_load_dword v146, off, s[0:3], 0 offset:372
	ds_read2_b64 v[121:124], v116 offset0:107 offset1:108
	v_cmp_lt_u32_e32 vcc, 45, v0
	s_waitcnt vmcnt(20) lgkmcnt(1)
	v_fma_f64 v[117:118], v[125:126], v[117:118], 0
	s_waitcnt vmcnt(18)
	v_fma_f64 v[117:118], v[127:128], v[119:120], v[117:118]
	s_waitcnt vmcnt(16) lgkmcnt(0)
	v_fma_f64 v[117:118], v[129:130], v[121:122], v[117:118]
	s_waitcnt vmcnt(14)
	v_fma_f64 v[125:126], v[131:132], v[123:124], v[117:118]
	ds_read2_b64 v[117:120], v116 offset0:109 offset1:110
	ds_read2_b64 v[121:124], v116 offset0:111 offset1:112
	s_waitcnt vmcnt(12) lgkmcnt(1)
	v_fma_f64 v[117:118], v[133:134], v[117:118], v[125:126]
	s_waitcnt vmcnt(10)
	v_fma_f64 v[117:118], v[135:136], v[119:120], v[117:118]
	s_waitcnt vmcnt(8) lgkmcnt(0)
	v_fma_f64 v[117:118], v[137:138], v[121:122], v[117:118]
	s_waitcnt vmcnt(4)
	v_fma_f64 v[120:121], v[139:140], v[123:124], v[117:118]
	ds_read2_b64 v[116:119], v116 offset0:113 offset1:114
	s_waitcnt vmcnt(3) lgkmcnt(0)
	v_fma_f64 v[116:117], v[143:144], v[116:117], v[120:121]
	s_waitcnt vmcnt(2)
	v_fma_f64 v[116:117], v[141:142], v[118:119], v[116:117]
	s_waitcnt vmcnt(0)
	v_add_f64 v[116:117], v[145:146], -v[116:117]
	buffer_store_dword v116, off, s[0:3], 0 offset:368
	buffer_store_dword v117, off, s[0:3], 0 offset:372
	s_and_saveexec_b64 s[4:5], vcc
	s_cbranch_execz .LBB56_259
; %bb.258:
	buffer_load_dword v116, off, s[0:3], 0 offset:360
	buffer_load_dword v117, off, s[0:3], 0 offset:364
	v_mov_b32_e32 v118, 0
	buffer_store_dword v118, off, s[0:3], 0 offset:360
	buffer_store_dword v118, off, s[0:3], 0 offset:364
	s_waitcnt vmcnt(2)
	ds_write_b64 v115, v[116:117]
.LBB56_259:
	s_or_b64 exec, exec, s[4:5]
	s_waitcnt lgkmcnt(0)
	; wave barrier
	buffer_load_dword v125, off, s[0:3], 0 offset:368
	buffer_load_dword v126, off, s[0:3], 0 offset:372
	;; [unrolled: 1-line block ×21, first 2 shown]
	v_mov_b32_e32 v116, 0
	ds_read_b128 v[117:120], v116 offset:832
	ds_read_b128 v[121:124], v116 offset:848
	buffer_load_dword v142, off, s[0:3], 0 offset:452
	v_cmp_lt_u32_e32 vcc, 44, v0
	s_waitcnt vmcnt(20) lgkmcnt(1)
	v_fma_f64 v[117:118], v[125:126], v[117:118], 0
	buffer_load_dword v125, off, s[0:3], 0 offset:360
	buffer_load_dword v126, off, s[0:3], 0 offset:364
	s_waitcnt vmcnt(20)
	v_fma_f64 v[117:118], v[127:128], v[119:120], v[117:118]
	s_waitcnt vmcnt(18) lgkmcnt(0)
	v_fma_f64 v[117:118], v[129:130], v[121:122], v[117:118]
	s_waitcnt vmcnt(16)
	v_fma_f64 v[127:128], v[131:132], v[123:124], v[117:118]
	ds_read_b128 v[117:120], v116 offset:864
	ds_read_b128 v[121:124], v116 offset:880
	s_waitcnt vmcnt(14) lgkmcnt(1)
	v_fma_f64 v[117:118], v[133:134], v[117:118], v[127:128]
	s_waitcnt vmcnt(12)
	v_fma_f64 v[117:118], v[135:136], v[119:120], v[117:118]
	s_waitcnt vmcnt(10) lgkmcnt(0)
	v_fma_f64 v[117:118], v[137:138], v[121:122], v[117:118]
	s_waitcnt vmcnt(5)
	v_fma_f64 v[121:122], v[139:140], v[123:124], v[117:118]
	ds_read_b128 v[117:120], v116 offset:896
	ds_read_b64 v[123:124], v116 offset:912
	s_waitcnt vmcnt(4) lgkmcnt(1)
	v_fma_f64 v[117:118], v[145:146], v[117:118], v[121:122]
	s_waitcnt vmcnt(3)
	v_fma_f64 v[117:118], v[143:144], v[119:120], v[117:118]
	s_waitcnt vmcnt(2) lgkmcnt(0)
	v_fma_f64 v[117:118], v[141:142], v[123:124], v[117:118]
	s_waitcnt vmcnt(0)
	v_add_f64 v[117:118], v[125:126], -v[117:118]
	buffer_store_dword v118, off, s[0:3], 0 offset:364
	buffer_store_dword v117, off, s[0:3], 0 offset:360
	s_and_saveexec_b64 s[4:5], vcc
	s_cbranch_execz .LBB56_261
; %bb.260:
	buffer_load_dword v117, off, s[0:3], 0 offset:352
	buffer_load_dword v118, off, s[0:3], 0 offset:356
	s_waitcnt vmcnt(0)
	ds_write_b64 v115, v[117:118]
	buffer_store_dword v116, off, s[0:3], 0 offset:352
	buffer_store_dword v116, off, s[0:3], 0 offset:356
.LBB56_261:
	s_or_b64 exec, exec, s[4:5]
	s_waitcnt lgkmcnt(0)
	; wave barrier
	buffer_load_dword v125, off, s[0:3], 0 offset:360
	buffer_load_dword v126, off, s[0:3], 0 offset:364
	;; [unrolled: 1-line block ×21, first 2 shown]
	ds_read2_b64 v[117:120], v116 offset0:103 offset1:104
	ds_read2_b64 v[121:124], v116 offset0:105 offset1:106
	buffer_load_dword v142, off, s[0:3], 0 offset:444
	v_cmp_lt_u32_e32 vcc, 43, v0
	s_waitcnt vmcnt(20) lgkmcnt(1)
	v_fma_f64 v[117:118], v[125:126], v[117:118], 0
	buffer_load_dword v126, off, s[0:3], 0 offset:452
	buffer_load_dword v125, off, s[0:3], 0 offset:448
	s_waitcnt vmcnt(20)
	v_fma_f64 v[117:118], v[127:128], v[119:120], v[117:118]
	buffer_load_dword v127, off, s[0:3], 0 offset:352
	buffer_load_dword v128, off, s[0:3], 0 offset:356
	s_waitcnt vmcnt(20) lgkmcnt(0)
	v_fma_f64 v[117:118], v[129:130], v[121:122], v[117:118]
	s_waitcnt vmcnt(18)
	v_fma_f64 v[129:130], v[131:132], v[123:124], v[117:118]
	ds_read2_b64 v[117:120], v116 offset0:107 offset1:108
	ds_read2_b64 v[121:124], v116 offset0:109 offset1:110
	s_waitcnt vmcnt(16) lgkmcnt(1)
	v_fma_f64 v[117:118], v[133:134], v[117:118], v[129:130]
	s_waitcnt vmcnt(14)
	v_fma_f64 v[117:118], v[135:136], v[119:120], v[117:118]
	s_waitcnt vmcnt(12) lgkmcnt(0)
	v_fma_f64 v[117:118], v[137:138], v[121:122], v[117:118]
	s_waitcnt vmcnt(7)
	v_fma_f64 v[129:130], v[139:140], v[123:124], v[117:118]
	ds_read2_b64 v[117:120], v116 offset0:111 offset1:112
	ds_read2_b64 v[121:124], v116 offset0:113 offset1:114
	s_waitcnt vmcnt(6) lgkmcnt(1)
	v_fma_f64 v[116:117], v[145:146], v[117:118], v[129:130]
	s_waitcnt vmcnt(5)
	v_fma_f64 v[116:117], v[143:144], v[119:120], v[116:117]
	s_waitcnt vmcnt(4) lgkmcnt(0)
	v_fma_f64 v[116:117], v[141:142], v[121:122], v[116:117]
	s_waitcnt vmcnt(2)
	v_fma_f64 v[116:117], v[125:126], v[123:124], v[116:117]
	s_waitcnt vmcnt(0)
	v_add_f64 v[116:117], v[127:128], -v[116:117]
	buffer_store_dword v117, off, s[0:3], 0 offset:356
	buffer_store_dword v116, off, s[0:3], 0 offset:352
	s_and_saveexec_b64 s[4:5], vcc
	s_cbranch_execz .LBB56_263
; %bb.262:
	buffer_load_dword v116, off, s[0:3], 0 offset:344
	buffer_load_dword v117, off, s[0:3], 0 offset:348
	v_mov_b32_e32 v118, 0
	buffer_store_dword v118, off, s[0:3], 0 offset:344
	buffer_store_dword v118, off, s[0:3], 0 offset:348
	s_waitcnt vmcnt(2)
	ds_write_b64 v115, v[116:117]
.LBB56_263:
	s_or_b64 exec, exec, s[4:5]
	s_waitcnt lgkmcnt(0)
	; wave barrier
	buffer_load_dword v125, off, s[0:3], 0 offset:352
	buffer_load_dword v126, off, s[0:3], 0 offset:356
	;; [unrolled: 1-line block ×21, first 2 shown]
	v_mov_b32_e32 v116, 0
	ds_read_b128 v[117:120], v116 offset:816
	ds_read_b128 v[121:124], v116 offset:832
	buffer_load_dword v142, off, s[0:3], 0 offset:436
	v_cmp_lt_u32_e32 vcc, 42, v0
	s_waitcnt vmcnt(20) lgkmcnt(1)
	v_fma_f64 v[117:118], v[125:126], v[117:118], 0
	s_waitcnt vmcnt(18)
	v_fma_f64 v[117:118], v[127:128], v[119:120], v[117:118]
	buffer_load_dword v126, off, s[0:3], 0 offset:444
	buffer_load_dword v127, off, s[0:3], 0 offset:448
	buffer_load_dword v125, off, s[0:3], 0 offset:440
	buffer_load_dword v128, off, s[0:3], 0 offset:452
	s_waitcnt vmcnt(20) lgkmcnt(0)
	v_fma_f64 v[117:118], v[129:130], v[121:122], v[117:118]
	buffer_load_dword v129, off, s[0:3], 0 offset:344
	buffer_load_dword v130, off, s[0:3], 0 offset:348
	s_waitcnt vmcnt(20)
	v_fma_f64 v[131:132], v[131:132], v[123:124], v[117:118]
	ds_read_b128 v[117:120], v116 offset:848
	ds_read_b128 v[121:124], v116 offset:864
	s_waitcnt vmcnt(18) lgkmcnt(1)
	v_fma_f64 v[117:118], v[133:134], v[117:118], v[131:132]
	s_waitcnt vmcnt(16)
	v_fma_f64 v[117:118], v[135:136], v[119:120], v[117:118]
	s_waitcnt vmcnt(14) lgkmcnt(0)
	v_fma_f64 v[117:118], v[137:138], v[121:122], v[117:118]
	s_waitcnt vmcnt(9)
	v_fma_f64 v[131:132], v[139:140], v[123:124], v[117:118]
	ds_read_b128 v[117:120], v116 offset:880
	ds_read_b128 v[121:124], v116 offset:896
	s_waitcnt vmcnt(8) lgkmcnt(1)
	v_fma_f64 v[117:118], v[145:146], v[117:118], v[131:132]
	s_waitcnt vmcnt(7)
	v_fma_f64 v[117:118], v[143:144], v[119:120], v[117:118]
	ds_read_b64 v[119:120], v116 offset:912
	s_waitcnt vmcnt(6) lgkmcnt(1)
	v_fma_f64 v[117:118], v[141:142], v[121:122], v[117:118]
	s_waitcnt vmcnt(3)
	v_fma_f64 v[117:118], v[125:126], v[123:124], v[117:118]
	s_waitcnt vmcnt(2) lgkmcnt(0)
	v_fma_f64 v[117:118], v[127:128], v[119:120], v[117:118]
	s_waitcnt vmcnt(0)
	v_add_f64 v[117:118], v[129:130], -v[117:118]
	buffer_store_dword v118, off, s[0:3], 0 offset:348
	buffer_store_dword v117, off, s[0:3], 0 offset:344
	s_and_saveexec_b64 s[4:5], vcc
	s_cbranch_execz .LBB56_265
; %bb.264:
	buffer_load_dword v117, off, s[0:3], 0 offset:336
	buffer_load_dword v118, off, s[0:3], 0 offset:340
	s_waitcnt vmcnt(0)
	ds_write_b64 v115, v[117:118]
	buffer_store_dword v116, off, s[0:3], 0 offset:336
	buffer_store_dword v116, off, s[0:3], 0 offset:340
.LBB56_265:
	s_or_b64 exec, exec, s[4:5]
	s_waitcnt lgkmcnt(0)
	; wave barrier
	buffer_load_dword v125, off, s[0:3], 0 offset:344
	buffer_load_dword v126, off, s[0:3], 0 offset:348
	;; [unrolled: 1-line block ×22, first 2 shown]
	ds_read2_b64 v[117:120], v116 offset0:101 offset1:102
	ds_read2_b64 v[121:124], v116 offset0:103 offset1:104
	v_cmp_lt_u32_e32 vcc, 41, v0
	s_waitcnt vmcnt(20) lgkmcnt(1)
	v_fma_f64 v[117:118], v[125:126], v[117:118], 0
	s_waitcnt vmcnt(18)
	v_fma_f64 v[117:118], v[127:128], v[119:120], v[117:118]
	buffer_load_dword v126, off, s[0:3], 0 offset:436
	buffer_load_dword v127, off, s[0:3], 0 offset:448
	;; [unrolled: 1-line block ×6, first 2 shown]
	s_waitcnt vmcnt(22) lgkmcnt(0)
	v_fma_f64 v[117:118], v[129:130], v[121:122], v[117:118]
	s_waitcnt vmcnt(20)
	v_fma_f64 v[129:130], v[131:132], v[123:124], v[117:118]
	ds_read2_b64 v[117:120], v116 offset0:105 offset1:106
	buffer_load_dword v131, off, s[0:3], 0 offset:336
	buffer_load_dword v132, off, s[0:3], 0 offset:340
	ds_read2_b64 v[121:124], v116 offset0:107 offset1:108
	s_waitcnt vmcnt(20) lgkmcnt(1)
	v_fma_f64 v[117:118], v[133:134], v[117:118], v[129:130]
	s_waitcnt vmcnt(18)
	v_fma_f64 v[117:118], v[135:136], v[119:120], v[117:118]
	s_waitcnt vmcnt(16) lgkmcnt(0)
	v_fma_f64 v[117:118], v[137:138], v[121:122], v[117:118]
	s_waitcnt vmcnt(11)
	v_fma_f64 v[129:130], v[139:140], v[123:124], v[117:118]
	ds_read2_b64 v[117:120], v116 offset0:109 offset1:110
	ds_read2_b64 v[121:124], v116 offset0:111 offset1:112
	s_waitcnt vmcnt(10) lgkmcnt(1)
	v_fma_f64 v[117:118], v[145:146], v[117:118], v[129:130]
	s_waitcnt vmcnt(9)
	v_fma_f64 v[117:118], v[143:144], v[119:120], v[117:118]
	s_waitcnt vmcnt(8) lgkmcnt(0)
	v_fma_f64 v[117:118], v[141:142], v[121:122], v[117:118]
	s_waitcnt vmcnt(4)
	v_fma_f64 v[120:121], v[125:126], v[123:124], v[117:118]
	ds_read2_b64 v[116:119], v116 offset0:113 offset1:114
	s_waitcnt vmcnt(3) lgkmcnt(0)
	v_fma_f64 v[116:117], v[147:148], v[116:117], v[120:121]
	s_waitcnt vmcnt(2)
	v_fma_f64 v[116:117], v[127:128], v[118:119], v[116:117]
	s_waitcnt vmcnt(0)
	v_add_f64 v[116:117], v[131:132], -v[116:117]
	buffer_store_dword v117, off, s[0:3], 0 offset:340
	buffer_store_dword v116, off, s[0:3], 0 offset:336
	s_and_saveexec_b64 s[4:5], vcc
	s_cbranch_execz .LBB56_267
; %bb.266:
	buffer_load_dword v116, off, s[0:3], 0 offset:328
	buffer_load_dword v117, off, s[0:3], 0 offset:332
	v_mov_b32_e32 v118, 0
	buffer_store_dword v118, off, s[0:3], 0 offset:328
	buffer_store_dword v118, off, s[0:3], 0 offset:332
	s_waitcnt vmcnt(2)
	ds_write_b64 v115, v[116:117]
.LBB56_267:
	s_or_b64 exec, exec, s[4:5]
	s_waitcnt lgkmcnt(0)
	; wave barrier
	buffer_load_dword v125, off, s[0:3], 0 offset:336
	buffer_load_dword v126, off, s[0:3], 0 offset:340
	;; [unrolled: 1-line block ×22, first 2 shown]
	v_mov_b32_e32 v116, 0
	ds_read_b128 v[117:120], v116 offset:800
	ds_read_b128 v[121:124], v116 offset:816
	v_cmp_lt_u32_e32 vcc, 40, v0
	s_waitcnt vmcnt(20) lgkmcnt(1)
	v_fma_f64 v[117:118], v[125:126], v[117:118], 0
	s_waitcnt vmcnt(18)
	v_fma_f64 v[117:118], v[127:128], v[119:120], v[117:118]
	buffer_load_dword v126, off, s[0:3], 0 offset:428
	buffer_load_dword v127, off, s[0:3], 0 offset:448
	;; [unrolled: 1-line block ×8, first 2 shown]
	s_waitcnt vmcnt(24) lgkmcnt(0)
	v_fma_f64 v[117:118], v[129:130], v[121:122], v[117:118]
	s_waitcnt vmcnt(22)
	v_fma_f64 v[129:130], v[131:132], v[123:124], v[117:118]
	ds_read_b128 v[117:120], v116 offset:832
	ds_read_b128 v[121:124], v116 offset:848
	s_waitcnt vmcnt(20) lgkmcnt(1)
	v_fma_f64 v[117:118], v[133:134], v[117:118], v[129:130]
	buffer_load_dword v129, off, s[0:3], 0 offset:328
	buffer_load_dword v130, off, s[0:3], 0 offset:332
	s_waitcnt vmcnt(20)
	v_fma_f64 v[117:118], v[135:136], v[119:120], v[117:118]
	s_waitcnt vmcnt(18) lgkmcnt(0)
	v_fma_f64 v[117:118], v[137:138], v[121:122], v[117:118]
	s_waitcnt vmcnt(13)
	v_fma_f64 v[131:132], v[139:140], v[123:124], v[117:118]
	ds_read_b128 v[117:120], v116 offset:864
	ds_read_b128 v[121:124], v116 offset:880
	s_waitcnt vmcnt(12) lgkmcnt(1)
	v_fma_f64 v[117:118], v[145:146], v[117:118], v[131:132]
	s_waitcnt vmcnt(11)
	v_fma_f64 v[117:118], v[143:144], v[119:120], v[117:118]
	s_waitcnt vmcnt(10) lgkmcnt(0)
	v_fma_f64 v[117:118], v[141:142], v[121:122], v[117:118]
	s_waitcnt vmcnt(5)
	v_fma_f64 v[121:122], v[125:126], v[123:124], v[117:118]
	ds_read_b128 v[117:120], v116 offset:896
	ds_read_b64 v[123:124], v116 offset:912
	s_waitcnt vmcnt(4) lgkmcnt(1)
	v_fma_f64 v[117:118], v[149:150], v[117:118], v[121:122]
	s_waitcnt vmcnt(3)
	v_fma_f64 v[117:118], v[147:148], v[119:120], v[117:118]
	s_waitcnt vmcnt(2) lgkmcnt(0)
	v_fma_f64 v[117:118], v[127:128], v[123:124], v[117:118]
	s_waitcnt vmcnt(0)
	v_add_f64 v[117:118], v[129:130], -v[117:118]
	buffer_store_dword v118, off, s[0:3], 0 offset:332
	buffer_store_dword v117, off, s[0:3], 0 offset:328
	s_and_saveexec_b64 s[4:5], vcc
	s_cbranch_execz .LBB56_269
; %bb.268:
	buffer_load_dword v117, off, s[0:3], 0 offset:320
	buffer_load_dword v118, off, s[0:3], 0 offset:324
	s_waitcnt vmcnt(0)
	ds_write_b64 v115, v[117:118]
	buffer_store_dword v116, off, s[0:3], 0 offset:320
	buffer_store_dword v116, off, s[0:3], 0 offset:324
.LBB56_269:
	s_or_b64 exec, exec, s[4:5]
	s_waitcnt lgkmcnt(0)
	; wave barrier
	buffer_load_dword v125, off, s[0:3], 0 offset:328
	buffer_load_dword v126, off, s[0:3], 0 offset:332
	;; [unrolled: 1-line block ×22, first 2 shown]
	ds_read2_b64 v[117:120], v116 offset0:99 offset1:100
	ds_read2_b64 v[121:124], v116 offset0:101 offset1:102
	v_cmp_lt_u32_e32 vcc, 39, v0
	s_waitcnt vmcnt(20) lgkmcnt(1)
	v_fma_f64 v[117:118], v[125:126], v[117:118], 0
	s_waitcnt vmcnt(18)
	v_fma_f64 v[117:118], v[127:128], v[119:120], v[117:118]
	buffer_load_dword v126, off, s[0:3], 0 offset:420
	buffer_load_dword v127, off, s[0:3], 0 offset:440
	;; [unrolled: 1-line block ×8, first 2 shown]
	s_waitcnt vmcnt(24) lgkmcnt(0)
	v_fma_f64 v[117:118], v[129:130], v[121:122], v[117:118]
	s_waitcnt vmcnt(22)
	v_fma_f64 v[129:130], v[131:132], v[123:124], v[117:118]
	ds_read2_b64 v[117:120], v116 offset0:103 offset1:104
	ds_read2_b64 v[121:124], v116 offset0:105 offset1:106
	s_waitcnt vmcnt(20) lgkmcnt(1)
	v_fma_f64 v[117:118], v[133:134], v[117:118], v[129:130]
	buffer_load_dword v130, off, s[0:3], 0 offset:452
	buffer_load_dword v129, off, s[0:3], 0 offset:448
	;; [unrolled: 1-line block ×4, first 2 shown]
	s_waitcnt vmcnt(22)
	v_fma_f64 v[117:118], v[135:136], v[119:120], v[117:118]
	s_waitcnt vmcnt(20) lgkmcnt(0)
	v_fma_f64 v[117:118], v[137:138], v[121:122], v[117:118]
	s_waitcnt vmcnt(15)
	v_fma_f64 v[133:134], v[139:140], v[123:124], v[117:118]
	ds_read2_b64 v[117:120], v116 offset0:107 offset1:108
	ds_read2_b64 v[121:124], v116 offset0:109 offset1:110
	s_waitcnt vmcnt(14) lgkmcnt(1)
	v_fma_f64 v[117:118], v[145:146], v[117:118], v[133:134]
	s_waitcnt vmcnt(13)
	v_fma_f64 v[117:118], v[143:144], v[119:120], v[117:118]
	s_waitcnt vmcnt(12) lgkmcnt(0)
	v_fma_f64 v[117:118], v[141:142], v[121:122], v[117:118]
	s_waitcnt vmcnt(7)
	v_fma_f64 v[125:126], v[125:126], v[123:124], v[117:118]
	ds_read2_b64 v[117:120], v116 offset0:111 offset1:112
	ds_read2_b64 v[121:124], v116 offset0:113 offset1:114
	s_waitcnt vmcnt(6) lgkmcnt(1)
	v_fma_f64 v[116:117], v[149:150], v[117:118], v[125:126]
	s_waitcnt vmcnt(5)
	v_fma_f64 v[116:117], v[147:148], v[119:120], v[116:117]
	s_waitcnt vmcnt(4) lgkmcnt(0)
	v_fma_f64 v[116:117], v[127:128], v[121:122], v[116:117]
	s_waitcnt vmcnt(2)
	v_fma_f64 v[116:117], v[129:130], v[123:124], v[116:117]
	s_waitcnt vmcnt(0)
	v_add_f64 v[116:117], v[131:132], -v[116:117]
	buffer_store_dword v117, off, s[0:3], 0 offset:324
	buffer_store_dword v116, off, s[0:3], 0 offset:320
	s_and_saveexec_b64 s[4:5], vcc
	s_cbranch_execz .LBB56_271
; %bb.270:
	buffer_load_dword v116, off, s[0:3], 0 offset:312
	buffer_load_dword v117, off, s[0:3], 0 offset:316
	v_mov_b32_e32 v118, 0
	buffer_store_dword v118, off, s[0:3], 0 offset:312
	buffer_store_dword v118, off, s[0:3], 0 offset:316
	s_waitcnt vmcnt(2)
	ds_write_b64 v115, v[116:117]
.LBB56_271:
	s_or_b64 exec, exec, s[4:5]
	s_waitcnt lgkmcnt(0)
	; wave barrier
	buffer_load_dword v125, off, s[0:3], 0 offset:320
	buffer_load_dword v126, off, s[0:3], 0 offset:324
	;; [unrolled: 1-line block ×22, first 2 shown]
	v_mov_b32_e32 v116, 0
	ds_read_b128 v[117:120], v116 offset:784
	ds_read_b128 v[121:124], v116 offset:800
	v_cmp_lt_u32_e32 vcc, 38, v0
	s_waitcnt vmcnt(20) lgkmcnt(1)
	v_fma_f64 v[117:118], v[125:126], v[117:118], 0
	s_waitcnt vmcnt(18)
	v_fma_f64 v[117:118], v[127:128], v[119:120], v[117:118]
	buffer_load_dword v126, off, s[0:3], 0 offset:412
	buffer_load_dword v127, off, s[0:3], 0 offset:432
	;; [unrolled: 1-line block ×7, first 2 shown]
	s_waitcnt vmcnt(23) lgkmcnt(0)
	v_fma_f64 v[117:118], v[129:130], v[121:122], v[117:118]
	s_waitcnt vmcnt(21)
	v_fma_f64 v[128:129], v[131:132], v[123:124], v[117:118]
	ds_read_b128 v[117:120], v116 offset:816
	ds_read_b128 v[121:124], v116 offset:832
	s_waitcnt vmcnt(19) lgkmcnt(1)
	v_fma_f64 v[117:118], v[133:134], v[117:118], v[128:129]
	buffer_load_dword v128, off, s[0:3], 0 offset:436
	buffer_load_dword v130, off, s[0:3], 0 offset:444
	;; [unrolled: 1-line block ×7, first 2 shown]
	s_waitcnt vmcnt(24)
	v_fma_f64 v[117:118], v[135:136], v[119:120], v[117:118]
	s_waitcnt vmcnt(22) lgkmcnt(0)
	v_fma_f64 v[117:118], v[137:138], v[121:122], v[117:118]
	s_waitcnt vmcnt(17)
	v_fma_f64 v[135:136], v[139:140], v[123:124], v[117:118]
	ds_read_b128 v[117:120], v116 offset:848
	ds_read_b128 v[121:124], v116 offset:864
	s_waitcnt vmcnt(16) lgkmcnt(1)
	v_fma_f64 v[117:118], v[145:146], v[117:118], v[135:136]
	s_waitcnt vmcnt(15)
	v_fma_f64 v[117:118], v[143:144], v[119:120], v[117:118]
	s_waitcnt vmcnt(14) lgkmcnt(0)
	v_fma_f64 v[117:118], v[141:142], v[121:122], v[117:118]
	s_waitcnt vmcnt(9)
	v_fma_f64 v[125:126], v[125:126], v[123:124], v[117:118]
	ds_read_b128 v[117:120], v116 offset:880
	ds_read_b128 v[121:124], v116 offset:896
	s_waitcnt vmcnt(8) lgkmcnt(1)
	v_fma_f64 v[117:118], v[149:150], v[117:118], v[125:126]
	s_waitcnt vmcnt(7)
	v_fma_f64 v[117:118], v[147:148], v[119:120], v[117:118]
	ds_read_b64 v[119:120], v116 offset:912
	s_waitcnt vmcnt(6) lgkmcnt(1)
	v_fma_f64 v[117:118], v[127:128], v[121:122], v[117:118]
	s_waitcnt vmcnt(3)
	v_fma_f64 v[117:118], v[129:130], v[123:124], v[117:118]
	s_waitcnt vmcnt(2) lgkmcnt(0)
	v_fma_f64 v[117:118], v[131:132], v[119:120], v[117:118]
	s_waitcnt vmcnt(0)
	v_add_f64 v[117:118], v[133:134], -v[117:118]
	buffer_store_dword v118, off, s[0:3], 0 offset:316
	buffer_store_dword v117, off, s[0:3], 0 offset:312
	s_and_saveexec_b64 s[4:5], vcc
	s_cbranch_execz .LBB56_273
; %bb.272:
	buffer_load_dword v117, off, s[0:3], 0 offset:304
	buffer_load_dword v118, off, s[0:3], 0 offset:308
	s_waitcnt vmcnt(0)
	ds_write_b64 v115, v[117:118]
	buffer_store_dword v116, off, s[0:3], 0 offset:304
	buffer_store_dword v116, off, s[0:3], 0 offset:308
.LBB56_273:
	s_or_b64 exec, exec, s[4:5]
	s_waitcnt lgkmcnt(0)
	; wave barrier
	buffer_load_dword v125, off, s[0:3], 0 offset:312
	buffer_load_dword v126, off, s[0:3], 0 offset:316
	;; [unrolled: 1-line block ×22, first 2 shown]
	ds_read2_b64 v[117:120], v116 offset0:97 offset1:98
	ds_read2_b64 v[121:124], v116 offset0:99 offset1:100
	v_cmp_lt_u32_e32 vcc, 37, v0
	s_waitcnt vmcnt(20) lgkmcnt(1)
	v_fma_f64 v[117:118], v[125:126], v[117:118], 0
	s_waitcnt vmcnt(18)
	v_fma_f64 v[117:118], v[127:128], v[119:120], v[117:118]
	buffer_load_dword v126, off, s[0:3], 0 offset:404
	buffer_load_dword v127, off, s[0:3], 0 offset:424
	;; [unrolled: 1-line block ×7, first 2 shown]
	s_waitcnt vmcnt(23) lgkmcnt(0)
	v_fma_f64 v[117:118], v[129:130], v[121:122], v[117:118]
	s_waitcnt vmcnt(21)
	v_fma_f64 v[128:129], v[131:132], v[123:124], v[117:118]
	ds_read2_b64 v[117:120], v116 offset0:101 offset1:102
	ds_read2_b64 v[121:124], v116 offset0:103 offset1:104
	s_waitcnt vmcnt(19) lgkmcnt(1)
	v_fma_f64 v[117:118], v[133:134], v[117:118], v[128:129]
	buffer_load_dword v128, off, s[0:3], 0 offset:428
	buffer_load_dword v130, off, s[0:3], 0 offset:436
	;; [unrolled: 1-line block ×7, first 2 shown]
	s_waitcnt vmcnt(24)
	v_fma_f64 v[117:118], v[135:136], v[119:120], v[117:118]
	s_waitcnt vmcnt(22) lgkmcnt(0)
	v_fma_f64 v[117:118], v[137:138], v[121:122], v[117:118]
	s_waitcnt vmcnt(17)
	v_fma_f64 v[135:136], v[139:140], v[123:124], v[117:118]
	ds_read2_b64 v[117:120], v116 offset0:105 offset1:106
	buffer_load_dword v137, off, s[0:3], 0 offset:304
	buffer_load_dword v138, off, s[0:3], 0 offset:308
	ds_read2_b64 v[121:124], v116 offset0:107 offset1:108
	s_waitcnt vmcnt(18) lgkmcnt(1)
	v_fma_f64 v[117:118], v[145:146], v[117:118], v[135:136]
	s_waitcnt vmcnt(17)
	v_fma_f64 v[117:118], v[143:144], v[119:120], v[117:118]
	s_waitcnt vmcnt(16) lgkmcnt(0)
	v_fma_f64 v[117:118], v[141:142], v[121:122], v[117:118]
	s_waitcnt vmcnt(11)
	v_fma_f64 v[125:126], v[125:126], v[123:124], v[117:118]
	ds_read2_b64 v[117:120], v116 offset0:109 offset1:110
	ds_read2_b64 v[121:124], v116 offset0:111 offset1:112
	s_waitcnt vmcnt(10) lgkmcnt(1)
	v_fma_f64 v[117:118], v[149:150], v[117:118], v[125:126]
	s_waitcnt vmcnt(9)
	v_fma_f64 v[117:118], v[147:148], v[119:120], v[117:118]
	s_waitcnt vmcnt(8) lgkmcnt(0)
	v_fma_f64 v[117:118], v[127:128], v[121:122], v[117:118]
	s_waitcnt vmcnt(4)
	v_fma_f64 v[120:121], v[129:130], v[123:124], v[117:118]
	ds_read2_b64 v[116:119], v116 offset0:113 offset1:114
	s_waitcnt vmcnt(3) lgkmcnt(0)
	v_fma_f64 v[116:117], v[133:134], v[116:117], v[120:121]
	s_waitcnt vmcnt(2)
	v_fma_f64 v[116:117], v[131:132], v[118:119], v[116:117]
	s_waitcnt vmcnt(0)
	v_add_f64 v[116:117], v[137:138], -v[116:117]
	buffer_store_dword v117, off, s[0:3], 0 offset:308
	buffer_store_dword v116, off, s[0:3], 0 offset:304
	s_and_saveexec_b64 s[4:5], vcc
	s_cbranch_execz .LBB56_275
; %bb.274:
	buffer_load_dword v116, off, s[0:3], 0 offset:296
	buffer_load_dword v117, off, s[0:3], 0 offset:300
	v_mov_b32_e32 v118, 0
	buffer_store_dword v118, off, s[0:3], 0 offset:296
	buffer_store_dword v118, off, s[0:3], 0 offset:300
	s_waitcnt vmcnt(2)
	ds_write_b64 v115, v[116:117]
.LBB56_275:
	s_or_b64 exec, exec, s[4:5]
	s_waitcnt lgkmcnt(0)
	; wave barrier
	buffer_load_dword v125, off, s[0:3], 0 offset:304
	buffer_load_dword v126, off, s[0:3], 0 offset:308
	;; [unrolled: 1-line block ×22, first 2 shown]
	v_mov_b32_e32 v116, 0
	ds_read_b128 v[117:120], v116 offset:768
	ds_read_b128 v[121:124], v116 offset:784
	v_cmp_lt_u32_e32 vcc, 36, v0
	s_waitcnt vmcnt(20) lgkmcnt(1)
	v_fma_f64 v[117:118], v[125:126], v[117:118], 0
	s_waitcnt vmcnt(18)
	v_fma_f64 v[117:118], v[127:128], v[119:120], v[117:118]
	buffer_load_dword v126, off, s[0:3], 0 offset:396
	buffer_load_dword v127, off, s[0:3], 0 offset:416
	;; [unrolled: 1-line block ×7, first 2 shown]
	s_waitcnt vmcnt(23) lgkmcnt(0)
	v_fma_f64 v[117:118], v[129:130], v[121:122], v[117:118]
	s_waitcnt vmcnt(21)
	v_fma_f64 v[128:129], v[131:132], v[123:124], v[117:118]
	ds_read_b128 v[117:120], v116 offset:800
	ds_read_b128 v[121:124], v116 offset:816
	s_waitcnt vmcnt(19) lgkmcnt(1)
	v_fma_f64 v[117:118], v[133:134], v[117:118], v[128:129]
	buffer_load_dword v128, off, s[0:3], 0 offset:420
	s_waitcnt vmcnt(18)
	v_fma_f64 v[117:118], v[135:136], v[119:120], v[117:118]
	buffer_load_dword v130, off, s[0:3], 0 offset:428
	buffer_load_dword v131, off, s[0:3], 0 offset:448
	;; [unrolled: 1-line block ×8, first 2 shown]
	s_waitcnt vmcnt(24) lgkmcnt(0)
	v_fma_f64 v[117:118], v[137:138], v[121:122], v[117:118]
	s_waitcnt vmcnt(19)
	v_fma_f64 v[137:138], v[139:140], v[123:124], v[117:118]
	ds_read_b128 v[117:120], v116 offset:832
	ds_read_b128 v[121:124], v116 offset:848
	s_waitcnt vmcnt(18) lgkmcnt(1)
	v_fma_f64 v[117:118], v[145:146], v[117:118], v[137:138]
	buffer_load_dword v137, off, s[0:3], 0 offset:296
	buffer_load_dword v138, off, s[0:3], 0 offset:300
	s_waitcnt vmcnt(19)
	v_fma_f64 v[117:118], v[143:144], v[119:120], v[117:118]
	s_waitcnt vmcnt(18) lgkmcnt(0)
	v_fma_f64 v[117:118], v[141:142], v[121:122], v[117:118]
	s_waitcnt vmcnt(13)
	v_fma_f64 v[125:126], v[125:126], v[123:124], v[117:118]
	ds_read_b128 v[117:120], v116 offset:864
	ds_read_b128 v[121:124], v116 offset:880
	s_waitcnt vmcnt(12) lgkmcnt(1)
	v_fma_f64 v[117:118], v[149:150], v[117:118], v[125:126]
	s_waitcnt vmcnt(11)
	v_fma_f64 v[117:118], v[147:148], v[119:120], v[117:118]
	s_waitcnt vmcnt(10) lgkmcnt(0)
	v_fma_f64 v[117:118], v[127:128], v[121:122], v[117:118]
	s_waitcnt vmcnt(5)
	v_fma_f64 v[121:122], v[129:130], v[123:124], v[117:118]
	ds_read_b128 v[117:120], v116 offset:896
	ds_read_b64 v[123:124], v116 offset:912
	s_waitcnt vmcnt(4) lgkmcnt(1)
	v_fma_f64 v[117:118], v[135:136], v[117:118], v[121:122]
	s_waitcnt vmcnt(3)
	v_fma_f64 v[117:118], v[133:134], v[119:120], v[117:118]
	s_waitcnt vmcnt(2) lgkmcnt(0)
	v_fma_f64 v[117:118], v[131:132], v[123:124], v[117:118]
	s_waitcnt vmcnt(0)
	v_add_f64 v[117:118], v[137:138], -v[117:118]
	buffer_store_dword v118, off, s[0:3], 0 offset:300
	buffer_store_dword v117, off, s[0:3], 0 offset:296
	s_and_saveexec_b64 s[4:5], vcc
	s_cbranch_execz .LBB56_277
; %bb.276:
	buffer_load_dword v117, off, s[0:3], 0 offset:288
	buffer_load_dword v118, off, s[0:3], 0 offset:292
	s_waitcnt vmcnt(0)
	ds_write_b64 v115, v[117:118]
	buffer_store_dword v116, off, s[0:3], 0 offset:288
	buffer_store_dword v116, off, s[0:3], 0 offset:292
.LBB56_277:
	s_or_b64 exec, exec, s[4:5]
	s_waitcnt lgkmcnt(0)
	; wave barrier
	buffer_load_dword v125, off, s[0:3], 0 offset:296
	buffer_load_dword v126, off, s[0:3], 0 offset:300
	;; [unrolled: 1-line block ×22, first 2 shown]
	ds_read2_b64 v[117:120], v116 offset0:95 offset1:96
	ds_read2_b64 v[121:124], v116 offset0:97 offset1:98
	v_cmp_lt_u32_e32 vcc, 35, v0
	s_waitcnt vmcnt(20) lgkmcnt(1)
	v_fma_f64 v[117:118], v[125:126], v[117:118], 0
	s_waitcnt vmcnt(18)
	v_fma_f64 v[117:118], v[127:128], v[119:120], v[117:118]
	buffer_load_dword v126, off, s[0:3], 0 offset:388
	buffer_load_dword v127, off, s[0:3], 0 offset:408
	;; [unrolled: 1-line block ×7, first 2 shown]
	s_waitcnt vmcnt(23) lgkmcnt(0)
	v_fma_f64 v[117:118], v[129:130], v[121:122], v[117:118]
	s_waitcnt vmcnt(21)
	v_fma_f64 v[128:129], v[131:132], v[123:124], v[117:118]
	ds_read2_b64 v[117:120], v116 offset0:99 offset1:100
	ds_read2_b64 v[121:124], v116 offset0:101 offset1:102
	s_waitcnt vmcnt(19) lgkmcnt(1)
	v_fma_f64 v[117:118], v[133:134], v[117:118], v[128:129]
	buffer_load_dword v128, off, s[0:3], 0 offset:412
	s_waitcnt vmcnt(18)
	v_fma_f64 v[117:118], v[135:136], v[119:120], v[117:118]
	buffer_load_dword v130, off, s[0:3], 0 offset:420
	buffer_load_dword v131, off, s[0:3], 0 offset:440
	;; [unrolled: 1-line block ×8, first 2 shown]
	s_waitcnt vmcnt(24) lgkmcnt(0)
	v_fma_f64 v[117:118], v[137:138], v[121:122], v[117:118]
	s_waitcnt vmcnt(19)
	v_fma_f64 v[137:138], v[139:140], v[123:124], v[117:118]
	ds_read2_b64 v[117:120], v116 offset0:103 offset1:104
	ds_read2_b64 v[121:124], v116 offset0:105 offset1:106
	s_waitcnt vmcnt(18) lgkmcnt(1)
	v_fma_f64 v[117:118], v[145:146], v[117:118], v[137:138]
	buffer_load_dword v138, off, s[0:3], 0 offset:452
	buffer_load_dword v137, off, s[0:3], 0 offset:448
	;; [unrolled: 1-line block ×4, first 2 shown]
	s_waitcnt vmcnt(21)
	v_fma_f64 v[117:118], v[143:144], v[119:120], v[117:118]
	s_waitcnt vmcnt(20) lgkmcnt(0)
	v_fma_f64 v[117:118], v[141:142], v[121:122], v[117:118]
	s_waitcnt vmcnt(15)
	v_fma_f64 v[125:126], v[125:126], v[123:124], v[117:118]
	ds_read2_b64 v[117:120], v116 offset0:107 offset1:108
	ds_read2_b64 v[121:124], v116 offset0:109 offset1:110
	s_waitcnt vmcnt(14) lgkmcnt(1)
	v_fma_f64 v[117:118], v[149:150], v[117:118], v[125:126]
	s_waitcnt vmcnt(13)
	v_fma_f64 v[117:118], v[147:148], v[119:120], v[117:118]
	s_waitcnt vmcnt(12) lgkmcnt(0)
	v_fma_f64 v[117:118], v[127:128], v[121:122], v[117:118]
	s_waitcnt vmcnt(7)
	v_fma_f64 v[125:126], v[129:130], v[123:124], v[117:118]
	ds_read2_b64 v[117:120], v116 offset0:111 offset1:112
	ds_read2_b64 v[121:124], v116 offset0:113 offset1:114
	s_waitcnt vmcnt(6) lgkmcnt(1)
	v_fma_f64 v[116:117], v[135:136], v[117:118], v[125:126]
	s_waitcnt vmcnt(5)
	v_fma_f64 v[116:117], v[133:134], v[119:120], v[116:117]
	s_waitcnt vmcnt(4) lgkmcnt(0)
	v_fma_f64 v[116:117], v[131:132], v[121:122], v[116:117]
	s_waitcnt vmcnt(2)
	v_fma_f64 v[116:117], v[137:138], v[123:124], v[116:117]
	s_waitcnt vmcnt(0)
	v_add_f64 v[116:117], v[139:140], -v[116:117]
	buffer_store_dword v117, off, s[0:3], 0 offset:292
	buffer_store_dword v116, off, s[0:3], 0 offset:288
	s_and_saveexec_b64 s[4:5], vcc
	s_cbranch_execz .LBB56_279
; %bb.278:
	buffer_load_dword v116, off, s[0:3], 0 offset:280
	buffer_load_dword v117, off, s[0:3], 0 offset:284
	v_mov_b32_e32 v118, 0
	buffer_store_dword v118, off, s[0:3], 0 offset:280
	buffer_store_dword v118, off, s[0:3], 0 offset:284
	s_waitcnt vmcnt(2)
	ds_write_b64 v115, v[116:117]
.LBB56_279:
	s_or_b64 exec, exec, s[4:5]
	s_waitcnt lgkmcnt(0)
	; wave barrier
	buffer_load_dword v125, off, s[0:3], 0 offset:288
	buffer_load_dword v126, off, s[0:3], 0 offset:292
	;; [unrolled: 1-line block ×21, first 2 shown]
	v_mov_b32_e32 v116, 0
	ds_read_b128 v[117:120], v116 offset:752
	ds_read_b128 v[121:124], v116 offset:768
	buffer_load_dword v142, off, s[0:3], 0 offset:372
	v_cmp_lt_u32_e32 vcc, 34, v0
	s_waitcnt vmcnt(20) lgkmcnt(1)
	v_fma_f64 v[117:118], v[125:126], v[117:118], 0
	s_waitcnt vmcnt(18)
	v_fma_f64 v[117:118], v[127:128], v[119:120], v[117:118]
	buffer_load_dword v126, off, s[0:3], 0 offset:380
	buffer_load_dword v127, off, s[0:3], 0 offset:400
	;; [unrolled: 1-line block ×7, first 2 shown]
	s_waitcnt vmcnt(23) lgkmcnt(0)
	v_fma_f64 v[117:118], v[129:130], v[121:122], v[117:118]
	s_waitcnt vmcnt(21)
	v_fma_f64 v[128:129], v[131:132], v[123:124], v[117:118]
	ds_read_b128 v[117:120], v116 offset:784
	ds_read_b128 v[121:124], v116 offset:800
	s_waitcnt vmcnt(19) lgkmcnt(1)
	v_fma_f64 v[117:118], v[133:134], v[117:118], v[128:129]
	buffer_load_dword v128, off, s[0:3], 0 offset:404
	s_waitcnt vmcnt(18)
	v_fma_f64 v[117:118], v[135:136], v[119:120], v[117:118]
	buffer_load_dword v130, off, s[0:3], 0 offset:412
	buffer_load_dword v131, off, s[0:3], 0 offset:432
	;; [unrolled: 1-line block ×7, first 2 shown]
	s_waitcnt vmcnt(23) lgkmcnt(0)
	v_fma_f64 v[117:118], v[137:138], v[121:122], v[117:118]
	s_waitcnt vmcnt(18)
	v_fma_f64 v[137:138], v[139:140], v[123:124], v[117:118]
	ds_read_b128 v[117:120], v116 offset:816
	ds_read_b128 v[121:124], v116 offset:832
	buffer_load_dword v132, off, s[0:3], 0 offset:436
	s_waitcnt vmcnt(18) lgkmcnt(1)
	v_fma_f64 v[117:118], v[145:146], v[117:118], v[137:138]
	buffer_load_dword v138, off, s[0:3], 0 offset:444
	buffer_load_dword v139, off, s[0:3], 0 offset:448
	;; [unrolled: 1-line block ×4, first 2 shown]
	s_waitcnt vmcnt(21)
	v_fma_f64 v[117:118], v[143:144], v[119:120], v[117:118]
	s_waitcnt vmcnt(20) lgkmcnt(0)
	v_fma_f64 v[117:118], v[141:142], v[121:122], v[117:118]
	buffer_load_dword v141, off, s[0:3], 0 offset:280
	buffer_load_dword v142, off, s[0:3], 0 offset:284
	s_waitcnt vmcnt(17)
	v_fma_f64 v[125:126], v[125:126], v[123:124], v[117:118]
	ds_read_b128 v[117:120], v116 offset:848
	ds_read_b128 v[121:124], v116 offset:864
	s_waitcnt vmcnt(16) lgkmcnt(1)
	v_fma_f64 v[117:118], v[149:150], v[117:118], v[125:126]
	s_waitcnt vmcnt(15)
	v_fma_f64 v[117:118], v[147:148], v[119:120], v[117:118]
	s_waitcnt vmcnt(14) lgkmcnt(0)
	v_fma_f64 v[117:118], v[127:128], v[121:122], v[117:118]
	s_waitcnt vmcnt(9)
	v_fma_f64 v[125:126], v[129:130], v[123:124], v[117:118]
	ds_read_b128 v[117:120], v116 offset:880
	ds_read_b128 v[121:124], v116 offset:896
	s_waitcnt vmcnt(8) lgkmcnt(1)
	v_fma_f64 v[117:118], v[135:136], v[117:118], v[125:126]
	s_waitcnt vmcnt(7)
	v_fma_f64 v[117:118], v[133:134], v[119:120], v[117:118]
	ds_read_b64 v[119:120], v116 offset:912
	s_waitcnt vmcnt(6) lgkmcnt(1)
	v_fma_f64 v[117:118], v[131:132], v[121:122], v[117:118]
	s_waitcnt vmcnt(3)
	v_fma_f64 v[117:118], v[137:138], v[123:124], v[117:118]
	s_waitcnt vmcnt(2) lgkmcnt(0)
	v_fma_f64 v[117:118], v[139:140], v[119:120], v[117:118]
	s_waitcnt vmcnt(0)
	v_add_f64 v[117:118], v[141:142], -v[117:118]
	buffer_store_dword v118, off, s[0:3], 0 offset:284
	buffer_store_dword v117, off, s[0:3], 0 offset:280
	s_and_saveexec_b64 s[4:5], vcc
	s_cbranch_execz .LBB56_281
; %bb.280:
	buffer_load_dword v117, off, s[0:3], 0 offset:272
	buffer_load_dword v118, off, s[0:3], 0 offset:276
	s_waitcnt vmcnt(0)
	ds_write_b64 v115, v[117:118]
	buffer_store_dword v116, off, s[0:3], 0 offset:272
	buffer_store_dword v116, off, s[0:3], 0 offset:276
.LBB56_281:
	s_or_b64 exec, exec, s[4:5]
	s_waitcnt lgkmcnt(0)
	; wave barrier
	buffer_load_dword v125, off, s[0:3], 0 offset:280
	buffer_load_dword v126, off, s[0:3], 0 offset:284
	buffer_load_dword v127, off, s[0:3], 0 offset:288
	buffer_load_dword v128, off, s[0:3], 0 offset:292
	buffer_load_dword v129, off, s[0:3], 0 offset:296
	buffer_load_dword v130, off, s[0:3], 0 offset:300
	buffer_load_dword v131, off, s[0:3], 0 offset:304
	buffer_load_dword v132, off, s[0:3], 0 offset:308
	buffer_load_dword v133, off, s[0:3], 0 offset:312
	buffer_load_dword v134, off, s[0:3], 0 offset:316
	buffer_load_dword v135, off, s[0:3], 0 offset:320
	buffer_load_dword v136, off, s[0:3], 0 offset:324
	buffer_load_dword v137, off, s[0:3], 0 offset:328
	buffer_load_dword v138, off, s[0:3], 0 offset:332
	buffer_load_dword v140, off, s[0:3], 0 offset:340
	buffer_load_dword v141, off, s[0:3], 0 offset:360
	buffer_load_dword v143, off, s[0:3], 0 offset:352
	buffer_load_dword v145, off, s[0:3], 0 offset:344
	buffer_load_dword v139, off, s[0:3], 0 offset:336
	buffer_load_dword v146, off, s[0:3], 0 offset:348
	buffer_load_dword v144, off, s[0:3], 0 offset:356
	ds_read2_b64 v[117:120], v116 offset0:93 offset1:94
	ds_read2_b64 v[121:124], v116 offset0:95 offset1:96
	buffer_load_dword v142, off, s[0:3], 0 offset:364
	v_cmp_lt_u32_e32 vcc, 33, v0
	s_waitcnt vmcnt(20) lgkmcnt(1)
	v_fma_f64 v[117:118], v[125:126], v[117:118], 0
	s_waitcnt vmcnt(18)
	v_fma_f64 v[117:118], v[127:128], v[119:120], v[117:118]
	buffer_load_dword v126, off, s[0:3], 0 offset:372
	buffer_load_dword v127, off, s[0:3], 0 offset:392
	;; [unrolled: 1-line block ×7, first 2 shown]
	s_waitcnt vmcnt(23) lgkmcnt(0)
	v_fma_f64 v[117:118], v[129:130], v[121:122], v[117:118]
	s_waitcnt vmcnt(21)
	v_fma_f64 v[128:129], v[131:132], v[123:124], v[117:118]
	ds_read2_b64 v[117:120], v116 offset0:97 offset1:98
	ds_read2_b64 v[121:124], v116 offset0:99 offset1:100
	s_waitcnt vmcnt(19) lgkmcnt(1)
	v_fma_f64 v[117:118], v[133:134], v[117:118], v[128:129]
	buffer_load_dword v128, off, s[0:3], 0 offset:396
	s_waitcnt vmcnt(18)
	v_fma_f64 v[117:118], v[135:136], v[119:120], v[117:118]
	buffer_load_dword v130, off, s[0:3], 0 offset:404
	buffer_load_dword v131, off, s[0:3], 0 offset:424
	;; [unrolled: 1-line block ×8, first 2 shown]
	s_waitcnt vmcnt(24) lgkmcnt(0)
	v_fma_f64 v[117:118], v[137:138], v[121:122], v[117:118]
	s_waitcnt vmcnt(19)
	v_fma_f64 v[137:138], v[139:140], v[123:124], v[117:118]
	ds_read2_b64 v[117:120], v116 offset0:101 offset1:102
	ds_read2_b64 v[121:124], v116 offset0:103 offset1:104
	s_waitcnt vmcnt(18) lgkmcnt(1)
	v_fma_f64 v[117:118], v[145:146], v[117:118], v[137:138]
	s_waitcnt vmcnt(17)
	v_fma_f64 v[117:118], v[143:144], v[119:120], v[117:118]
	buffer_load_dword v138, off, s[0:3], 0 offset:436
	buffer_load_dword v139, off, s[0:3], 0 offset:448
	;; [unrolled: 1-line block ×6, first 2 shown]
	s_waitcnt vmcnt(22) lgkmcnt(0)
	v_fma_f64 v[117:118], v[141:142], v[121:122], v[117:118]
	s_waitcnt vmcnt(17)
	v_fma_f64 v[125:126], v[125:126], v[123:124], v[117:118]
	ds_read2_b64 v[117:120], v116 offset0:105 offset1:106
	buffer_load_dword v141, off, s[0:3], 0 offset:272
	buffer_load_dword v142, off, s[0:3], 0 offset:276
	ds_read2_b64 v[121:124], v116 offset0:107 offset1:108
	s_waitcnt vmcnt(18) lgkmcnt(1)
	v_fma_f64 v[117:118], v[149:150], v[117:118], v[125:126]
	s_waitcnt vmcnt(17)
	v_fma_f64 v[117:118], v[147:148], v[119:120], v[117:118]
	s_waitcnt vmcnt(16) lgkmcnt(0)
	v_fma_f64 v[117:118], v[127:128], v[121:122], v[117:118]
	s_waitcnt vmcnt(11)
	v_fma_f64 v[125:126], v[129:130], v[123:124], v[117:118]
	ds_read2_b64 v[117:120], v116 offset0:109 offset1:110
	ds_read2_b64 v[121:124], v116 offset0:111 offset1:112
	s_waitcnt vmcnt(10) lgkmcnt(1)
	v_fma_f64 v[117:118], v[135:136], v[117:118], v[125:126]
	s_waitcnt vmcnt(9)
	v_fma_f64 v[117:118], v[133:134], v[119:120], v[117:118]
	s_waitcnt vmcnt(8) lgkmcnt(0)
	v_fma_f64 v[117:118], v[131:132], v[121:122], v[117:118]
	s_waitcnt vmcnt(4)
	v_fma_f64 v[120:121], v[137:138], v[123:124], v[117:118]
	ds_read2_b64 v[116:119], v116 offset0:113 offset1:114
	s_waitcnt vmcnt(3) lgkmcnt(0)
	v_fma_f64 v[116:117], v[143:144], v[116:117], v[120:121]
	s_waitcnt vmcnt(2)
	v_fma_f64 v[116:117], v[139:140], v[118:119], v[116:117]
	s_waitcnt vmcnt(0)
	v_add_f64 v[116:117], v[141:142], -v[116:117]
	buffer_store_dword v117, off, s[0:3], 0 offset:276
	buffer_store_dword v116, off, s[0:3], 0 offset:272
	s_and_saveexec_b64 s[4:5], vcc
	s_cbranch_execz .LBB56_283
; %bb.282:
	buffer_load_dword v116, off, s[0:3], 0 offset:264
	buffer_load_dword v117, off, s[0:3], 0 offset:268
	v_mov_b32_e32 v118, 0
	buffer_store_dword v118, off, s[0:3], 0 offset:264
	buffer_store_dword v118, off, s[0:3], 0 offset:268
	s_waitcnt vmcnt(2)
	ds_write_b64 v115, v[116:117]
.LBB56_283:
	s_or_b64 exec, exec, s[4:5]
	s_waitcnt lgkmcnt(0)
	; wave barrier
	buffer_load_dword v125, off, s[0:3], 0 offset:272
	buffer_load_dword v126, off, s[0:3], 0 offset:276
	;; [unrolled: 1-line block ×21, first 2 shown]
	v_mov_b32_e32 v116, 0
	ds_read_b128 v[117:120], v116 offset:736
	ds_read_b128 v[121:124], v116 offset:752
	buffer_load_dword v142, off, s[0:3], 0 offset:356
	v_cmp_lt_u32_e32 vcc, 32, v0
	s_waitcnt vmcnt(20) lgkmcnt(1)
	v_fma_f64 v[117:118], v[125:126], v[117:118], 0
	s_waitcnt vmcnt(18)
	v_fma_f64 v[117:118], v[127:128], v[119:120], v[117:118]
	buffer_load_dword v126, off, s[0:3], 0 offset:364
	buffer_load_dword v127, off, s[0:3], 0 offset:384
	;; [unrolled: 1-line block ×7, first 2 shown]
	s_waitcnt vmcnt(23) lgkmcnt(0)
	v_fma_f64 v[117:118], v[129:130], v[121:122], v[117:118]
	s_waitcnt vmcnt(21)
	v_fma_f64 v[128:129], v[131:132], v[123:124], v[117:118]
	ds_read_b128 v[117:120], v116 offset:768
	ds_read_b128 v[121:124], v116 offset:784
	s_waitcnt vmcnt(19) lgkmcnt(1)
	v_fma_f64 v[117:118], v[133:134], v[117:118], v[128:129]
	buffer_load_dword v128, off, s[0:3], 0 offset:388
	s_waitcnt vmcnt(18)
	v_fma_f64 v[117:118], v[135:136], v[119:120], v[117:118]
	buffer_load_dword v130, off, s[0:3], 0 offset:396
	buffer_load_dword v131, off, s[0:3], 0 offset:416
	;; [unrolled: 1-line block ×8, first 2 shown]
	s_waitcnt vmcnt(24) lgkmcnt(0)
	v_fma_f64 v[117:118], v[137:138], v[121:122], v[117:118]
	s_waitcnt vmcnt(19)
	v_fma_f64 v[137:138], v[139:140], v[123:124], v[117:118]
	ds_read_b128 v[117:120], v116 offset:800
	ds_read_b128 v[121:124], v116 offset:816
	s_waitcnt vmcnt(18) lgkmcnt(1)
	v_fma_f64 v[117:118], v[145:146], v[117:118], v[137:138]
	s_waitcnt vmcnt(17)
	v_fma_f64 v[117:118], v[143:144], v[119:120], v[117:118]
	buffer_load_dword v138, off, s[0:3], 0 offset:428
	buffer_load_dword v139, off, s[0:3], 0 offset:448
	;; [unrolled: 1-line block ×8, first 2 shown]
	s_waitcnt vmcnt(24) lgkmcnt(0)
	v_fma_f64 v[117:118], v[141:142], v[121:122], v[117:118]
	s_waitcnt vmcnt(19)
	v_fma_f64 v[125:126], v[125:126], v[123:124], v[117:118]
	ds_read_b128 v[117:120], v116 offset:832
	ds_read_b128 v[121:124], v116 offset:848
	s_waitcnt vmcnt(18) lgkmcnt(1)
	v_fma_f64 v[117:118], v[149:150], v[117:118], v[125:126]
	buffer_load_dword v125, off, s[0:3], 0 offset:264
	buffer_load_dword v126, off, s[0:3], 0 offset:268
	s_waitcnt vmcnt(19)
	v_fma_f64 v[117:118], v[147:148], v[119:120], v[117:118]
	s_waitcnt vmcnt(18) lgkmcnt(0)
	v_fma_f64 v[117:118], v[127:128], v[121:122], v[117:118]
	s_waitcnt vmcnt(13)
	v_fma_f64 v[127:128], v[129:130], v[123:124], v[117:118]
	ds_read_b128 v[117:120], v116 offset:864
	ds_read_b128 v[121:124], v116 offset:880
	s_waitcnt vmcnt(12) lgkmcnt(1)
	v_fma_f64 v[117:118], v[135:136], v[117:118], v[127:128]
	s_waitcnt vmcnt(11)
	v_fma_f64 v[117:118], v[133:134], v[119:120], v[117:118]
	s_waitcnt vmcnt(10) lgkmcnt(0)
	v_fma_f64 v[117:118], v[131:132], v[121:122], v[117:118]
	s_waitcnt vmcnt(5)
	v_fma_f64 v[121:122], v[137:138], v[123:124], v[117:118]
	ds_read_b128 v[117:120], v116 offset:896
	ds_read_b64 v[123:124], v116 offset:912
	s_waitcnt vmcnt(4) lgkmcnt(1)
	v_fma_f64 v[117:118], v[145:146], v[117:118], v[121:122]
	s_waitcnt vmcnt(3)
	v_fma_f64 v[117:118], v[143:144], v[119:120], v[117:118]
	s_waitcnt vmcnt(2) lgkmcnt(0)
	v_fma_f64 v[117:118], v[139:140], v[123:124], v[117:118]
	s_waitcnt vmcnt(0)
	v_add_f64 v[117:118], v[125:126], -v[117:118]
	buffer_store_dword v118, off, s[0:3], 0 offset:268
	buffer_store_dword v117, off, s[0:3], 0 offset:264
	s_and_saveexec_b64 s[4:5], vcc
	s_cbranch_execz .LBB56_285
; %bb.284:
	buffer_load_dword v117, off, s[0:3], 0 offset:256
	buffer_load_dword v118, off, s[0:3], 0 offset:260
	s_waitcnt vmcnt(0)
	ds_write_b64 v115, v[117:118]
	buffer_store_dword v116, off, s[0:3], 0 offset:256
	buffer_store_dword v116, off, s[0:3], 0 offset:260
.LBB56_285:
	s_or_b64 exec, exec, s[4:5]
	s_waitcnt lgkmcnt(0)
	; wave barrier
	buffer_load_dword v125, off, s[0:3], 0 offset:264
	buffer_load_dword v126, off, s[0:3], 0 offset:268
	;; [unrolled: 1-line block ×21, first 2 shown]
	ds_read2_b64 v[117:120], v116 offset0:91 offset1:92
	ds_read2_b64 v[121:124], v116 offset0:93 offset1:94
	buffer_load_dword v142, off, s[0:3], 0 offset:348
	v_cmp_lt_u32_e32 vcc, 31, v0
	s_waitcnt vmcnt(20) lgkmcnt(1)
	v_fma_f64 v[117:118], v[125:126], v[117:118], 0
	s_waitcnt vmcnt(18)
	v_fma_f64 v[117:118], v[127:128], v[119:120], v[117:118]
	buffer_load_dword v126, off, s[0:3], 0 offset:356
	buffer_load_dword v127, off, s[0:3], 0 offset:376
	;; [unrolled: 1-line block ×7, first 2 shown]
	s_waitcnt vmcnt(23) lgkmcnt(0)
	v_fma_f64 v[117:118], v[129:130], v[121:122], v[117:118]
	s_waitcnt vmcnt(21)
	v_fma_f64 v[128:129], v[131:132], v[123:124], v[117:118]
	ds_read2_b64 v[117:120], v116 offset0:95 offset1:96
	ds_read2_b64 v[121:124], v116 offset0:97 offset1:98
	s_waitcnt vmcnt(19) lgkmcnt(1)
	v_fma_f64 v[117:118], v[133:134], v[117:118], v[128:129]
	buffer_load_dword v128, off, s[0:3], 0 offset:380
	s_waitcnt vmcnt(18)
	v_fma_f64 v[117:118], v[135:136], v[119:120], v[117:118]
	buffer_load_dword v130, off, s[0:3], 0 offset:388
	buffer_load_dword v131, off, s[0:3], 0 offset:408
	;; [unrolled: 1-line block ×8, first 2 shown]
	s_waitcnt vmcnt(24) lgkmcnt(0)
	v_fma_f64 v[117:118], v[137:138], v[121:122], v[117:118]
	s_waitcnt vmcnt(19)
	v_fma_f64 v[137:138], v[139:140], v[123:124], v[117:118]
	ds_read2_b64 v[117:120], v116 offset0:99 offset1:100
	ds_read2_b64 v[121:124], v116 offset0:101 offset1:102
	s_waitcnt vmcnt(18) lgkmcnt(1)
	v_fma_f64 v[117:118], v[145:146], v[117:118], v[137:138]
	s_waitcnt vmcnt(17)
	v_fma_f64 v[117:118], v[143:144], v[119:120], v[117:118]
	buffer_load_dword v138, off, s[0:3], 0 offset:420
	buffer_load_dword v139, off, s[0:3], 0 offset:440
	buffer_load_dword v143, off, s[0:3], 0 offset:432
	buffer_load_dword v145, off, s[0:3], 0 offset:424
	buffer_load_dword v137, off, s[0:3], 0 offset:416
	buffer_load_dword v146, off, s[0:3], 0 offset:428
	buffer_load_dword v144, off, s[0:3], 0 offset:436
	buffer_load_dword v140, off, s[0:3], 0 offset:444
	s_waitcnt vmcnt(24) lgkmcnt(0)
	v_fma_f64 v[117:118], v[141:142], v[121:122], v[117:118]
	s_waitcnt vmcnt(19)
	v_fma_f64 v[125:126], v[125:126], v[123:124], v[117:118]
	ds_read2_b64 v[117:120], v116 offset0:103 offset1:104
	ds_read2_b64 v[121:124], v116 offset0:105 offset1:106
	s_waitcnt vmcnt(18) lgkmcnt(1)
	v_fma_f64 v[117:118], v[149:150], v[117:118], v[125:126]
	buffer_load_dword v126, off, s[0:3], 0 offset:452
	buffer_load_dword v125, off, s[0:3], 0 offset:448
	;; [unrolled: 1-line block ×4, first 2 shown]
	s_waitcnt vmcnt(21)
	v_fma_f64 v[117:118], v[147:148], v[119:120], v[117:118]
	s_waitcnt vmcnt(20) lgkmcnt(0)
	v_fma_f64 v[117:118], v[127:128], v[121:122], v[117:118]
	s_waitcnt vmcnt(15)
	v_fma_f64 v[127:128], v[129:130], v[123:124], v[117:118]
	ds_read2_b64 v[117:120], v116 offset0:107 offset1:108
	ds_read2_b64 v[121:124], v116 offset0:109 offset1:110
	s_waitcnt vmcnt(14) lgkmcnt(1)
	v_fma_f64 v[117:118], v[135:136], v[117:118], v[127:128]
	s_waitcnt vmcnt(13)
	v_fma_f64 v[117:118], v[133:134], v[119:120], v[117:118]
	s_waitcnt vmcnt(12) lgkmcnt(0)
	v_fma_f64 v[117:118], v[131:132], v[121:122], v[117:118]
	s_waitcnt vmcnt(7)
	v_fma_f64 v[127:128], v[137:138], v[123:124], v[117:118]
	ds_read2_b64 v[117:120], v116 offset0:111 offset1:112
	ds_read2_b64 v[121:124], v116 offset0:113 offset1:114
	s_waitcnt vmcnt(6) lgkmcnt(1)
	v_fma_f64 v[116:117], v[145:146], v[117:118], v[127:128]
	s_waitcnt vmcnt(5)
	v_fma_f64 v[116:117], v[143:144], v[119:120], v[116:117]
	s_waitcnt vmcnt(4) lgkmcnt(0)
	v_fma_f64 v[116:117], v[139:140], v[121:122], v[116:117]
	s_waitcnt vmcnt(2)
	v_fma_f64 v[116:117], v[125:126], v[123:124], v[116:117]
	s_waitcnt vmcnt(0)
	v_add_f64 v[116:117], v[141:142], -v[116:117]
	buffer_store_dword v117, off, s[0:3], 0 offset:260
	buffer_store_dword v116, off, s[0:3], 0 offset:256
	s_and_saveexec_b64 s[4:5], vcc
	s_cbranch_execz .LBB56_287
; %bb.286:
	buffer_load_dword v116, off, s[0:3], 0 offset:248
	buffer_load_dword v117, off, s[0:3], 0 offset:252
	v_mov_b32_e32 v118, 0
	buffer_store_dword v118, off, s[0:3], 0 offset:248
	buffer_store_dword v118, off, s[0:3], 0 offset:252
	s_waitcnt vmcnt(2)
	ds_write_b64 v115, v[116:117]
.LBB56_287:
	s_or_b64 exec, exec, s[4:5]
	s_waitcnt lgkmcnt(0)
	; wave barrier
	buffer_load_dword v125, off, s[0:3], 0 offset:256
	buffer_load_dword v126, off, s[0:3], 0 offset:260
	;; [unrolled: 1-line block ×21, first 2 shown]
	v_mov_b32_e32 v116, 0
	ds_read_b128 v[117:120], v116 offset:720
	ds_read_b128 v[121:124], v116 offset:736
	buffer_load_dword v142, off, s[0:3], 0 offset:340
	v_cmp_lt_u32_e32 vcc, 30, v0
	s_waitcnt vmcnt(20) lgkmcnt(1)
	v_fma_f64 v[117:118], v[125:126], v[117:118], 0
	s_waitcnt vmcnt(18)
	v_fma_f64 v[117:118], v[127:128], v[119:120], v[117:118]
	buffer_load_dword v126, off, s[0:3], 0 offset:348
	buffer_load_dword v127, off, s[0:3], 0 offset:368
	;; [unrolled: 1-line block ×7, first 2 shown]
	s_waitcnt vmcnt(23) lgkmcnt(0)
	v_fma_f64 v[117:118], v[129:130], v[121:122], v[117:118]
	s_waitcnt vmcnt(21)
	v_fma_f64 v[128:129], v[131:132], v[123:124], v[117:118]
	ds_read_b128 v[117:120], v116 offset:752
	ds_read_b128 v[121:124], v116 offset:768
	s_waitcnt vmcnt(19) lgkmcnt(1)
	v_fma_f64 v[117:118], v[133:134], v[117:118], v[128:129]
	buffer_load_dword v128, off, s[0:3], 0 offset:372
	s_waitcnt vmcnt(18)
	v_fma_f64 v[117:118], v[135:136], v[119:120], v[117:118]
	buffer_load_dword v130, off, s[0:3], 0 offset:380
	buffer_load_dword v131, off, s[0:3], 0 offset:400
	;; [unrolled: 1-line block ×8, first 2 shown]
	s_waitcnt vmcnt(24) lgkmcnt(0)
	v_fma_f64 v[117:118], v[137:138], v[121:122], v[117:118]
	s_waitcnt vmcnt(19)
	v_fma_f64 v[137:138], v[139:140], v[123:124], v[117:118]
	ds_read_b128 v[117:120], v116 offset:784
	ds_read_b128 v[121:124], v116 offset:800
	s_waitcnt vmcnt(18) lgkmcnt(1)
	v_fma_f64 v[117:118], v[145:146], v[117:118], v[137:138]
	s_waitcnt vmcnt(17)
	v_fma_f64 v[117:118], v[143:144], v[119:120], v[117:118]
	buffer_load_dword v138, off, s[0:3], 0 offset:412
	buffer_load_dword v139, off, s[0:3], 0 offset:432
	;; [unrolled: 1-line block ×7, first 2 shown]
	s_waitcnt vmcnt(23) lgkmcnt(0)
	v_fma_f64 v[117:118], v[141:142], v[121:122], v[117:118]
	s_waitcnt vmcnt(18)
	v_fma_f64 v[125:126], v[125:126], v[123:124], v[117:118]
	ds_read_b128 v[117:120], v116 offset:816
	ds_read_b128 v[121:124], v116 offset:832
	buffer_load_dword v140, off, s[0:3], 0 offset:436
	s_waitcnt vmcnt(18) lgkmcnt(1)
	v_fma_f64 v[117:118], v[149:150], v[117:118], v[125:126]
	buffer_load_dword v126, off, s[0:3], 0 offset:444
	buffer_load_dword v141, off, s[0:3], 0 offset:448
	;; [unrolled: 1-line block ×4, first 2 shown]
	s_waitcnt vmcnt(21)
	v_fma_f64 v[117:118], v[147:148], v[119:120], v[117:118]
	s_waitcnt vmcnt(20) lgkmcnt(0)
	v_fma_f64 v[117:118], v[127:128], v[121:122], v[117:118]
	buffer_load_dword v127, off, s[0:3], 0 offset:248
	buffer_load_dword v128, off, s[0:3], 0 offset:252
	s_waitcnt vmcnt(17)
	v_fma_f64 v[129:130], v[129:130], v[123:124], v[117:118]
	ds_read_b128 v[117:120], v116 offset:848
	ds_read_b128 v[121:124], v116 offset:864
	s_waitcnt vmcnt(16) lgkmcnt(1)
	v_fma_f64 v[117:118], v[135:136], v[117:118], v[129:130]
	s_waitcnt vmcnt(15)
	v_fma_f64 v[117:118], v[133:134], v[119:120], v[117:118]
	s_waitcnt vmcnt(14) lgkmcnt(0)
	v_fma_f64 v[117:118], v[131:132], v[121:122], v[117:118]
	s_waitcnt vmcnt(9)
	v_fma_f64 v[129:130], v[137:138], v[123:124], v[117:118]
	ds_read_b128 v[117:120], v116 offset:880
	ds_read_b128 v[121:124], v116 offset:896
	s_waitcnt vmcnt(8) lgkmcnt(1)
	v_fma_f64 v[117:118], v[145:146], v[117:118], v[129:130]
	s_waitcnt vmcnt(7)
	v_fma_f64 v[117:118], v[143:144], v[119:120], v[117:118]
	ds_read_b64 v[119:120], v116 offset:912
	s_waitcnt vmcnt(6) lgkmcnt(1)
	v_fma_f64 v[117:118], v[139:140], v[121:122], v[117:118]
	s_waitcnt vmcnt(3)
	v_fma_f64 v[117:118], v[125:126], v[123:124], v[117:118]
	s_waitcnt vmcnt(2) lgkmcnt(0)
	v_fma_f64 v[117:118], v[141:142], v[119:120], v[117:118]
	s_waitcnt vmcnt(0)
	v_add_f64 v[117:118], v[127:128], -v[117:118]
	buffer_store_dword v118, off, s[0:3], 0 offset:252
	buffer_store_dword v117, off, s[0:3], 0 offset:248
	s_and_saveexec_b64 s[4:5], vcc
	s_cbranch_execz .LBB56_289
; %bb.288:
	buffer_load_dword v117, off, s[0:3], 0 offset:240
	buffer_load_dword v118, off, s[0:3], 0 offset:244
	s_waitcnt vmcnt(0)
	ds_write_b64 v115, v[117:118]
	buffer_store_dword v116, off, s[0:3], 0 offset:240
	buffer_store_dword v116, off, s[0:3], 0 offset:244
.LBB56_289:
	s_or_b64 exec, exec, s[4:5]
	s_waitcnt lgkmcnt(0)
	; wave barrier
	buffer_load_dword v125, off, s[0:3], 0 offset:248
	buffer_load_dword v126, off, s[0:3], 0 offset:252
	;; [unrolled: 1-line block ×22, first 2 shown]
	ds_read2_b64 v[117:120], v116 offset0:89 offset1:90
	ds_read2_b64 v[121:124], v116 offset0:91 offset1:92
	v_cmp_lt_u32_e32 vcc, 29, v0
	s_waitcnt vmcnt(20) lgkmcnt(1)
	v_fma_f64 v[117:118], v[125:126], v[117:118], 0
	s_waitcnt vmcnt(18)
	v_fma_f64 v[117:118], v[127:128], v[119:120], v[117:118]
	buffer_load_dword v126, off, s[0:3], 0 offset:340
	buffer_load_dword v127, off, s[0:3], 0 offset:360
	;; [unrolled: 1-line block ×7, first 2 shown]
	s_waitcnt vmcnt(23) lgkmcnt(0)
	v_fma_f64 v[117:118], v[129:130], v[121:122], v[117:118]
	s_waitcnt vmcnt(21)
	v_fma_f64 v[128:129], v[131:132], v[123:124], v[117:118]
	ds_read2_b64 v[117:120], v116 offset0:93 offset1:94
	ds_read2_b64 v[121:124], v116 offset0:95 offset1:96
	s_waitcnt vmcnt(19) lgkmcnt(1)
	v_fma_f64 v[117:118], v[133:134], v[117:118], v[128:129]
	buffer_load_dword v128, off, s[0:3], 0 offset:364
	s_waitcnt vmcnt(18)
	v_fma_f64 v[117:118], v[135:136], v[119:120], v[117:118]
	buffer_load_dword v130, off, s[0:3], 0 offset:372
	buffer_load_dword v131, off, s[0:3], 0 offset:392
	;; [unrolled: 1-line block ×8, first 2 shown]
	s_waitcnt vmcnt(24) lgkmcnt(0)
	v_fma_f64 v[117:118], v[137:138], v[121:122], v[117:118]
	s_waitcnt vmcnt(19)
	v_fma_f64 v[137:138], v[139:140], v[123:124], v[117:118]
	ds_read2_b64 v[117:120], v116 offset0:97 offset1:98
	ds_read2_b64 v[121:124], v116 offset0:99 offset1:100
	s_waitcnt vmcnt(18) lgkmcnt(1)
	v_fma_f64 v[117:118], v[145:146], v[117:118], v[137:138]
	s_waitcnt vmcnt(17)
	v_fma_f64 v[117:118], v[143:144], v[119:120], v[117:118]
	buffer_load_dword v138, off, s[0:3], 0 offset:404
	buffer_load_dword v139, off, s[0:3], 0 offset:424
	;; [unrolled: 1-line block ×8, first 2 shown]
	s_waitcnt vmcnt(24) lgkmcnt(0)
	v_fma_f64 v[117:118], v[141:142], v[121:122], v[117:118]
	s_waitcnt vmcnt(19)
	v_fma_f64 v[125:126], v[125:126], v[123:124], v[117:118]
	ds_read2_b64 v[117:120], v116 offset0:101 offset1:102
	ds_read2_b64 v[121:124], v116 offset0:103 offset1:104
	s_waitcnt vmcnt(18) lgkmcnt(1)
	v_fma_f64 v[117:118], v[149:150], v[117:118], v[125:126]
	s_waitcnt vmcnt(17)
	v_fma_f64 v[117:118], v[147:148], v[119:120], v[117:118]
	buffer_load_dword v126, off, s[0:3], 0 offset:436
	buffer_load_dword v141, off, s[0:3], 0 offset:448
	;; [unrolled: 1-line block ×6, first 2 shown]
	s_waitcnt vmcnt(22) lgkmcnt(0)
	v_fma_f64 v[117:118], v[127:128], v[121:122], v[117:118]
	s_waitcnt vmcnt(17)
	v_fma_f64 v[127:128], v[129:130], v[123:124], v[117:118]
	ds_read2_b64 v[117:120], v116 offset0:105 offset1:106
	buffer_load_dword v129, off, s[0:3], 0 offset:240
	buffer_load_dword v130, off, s[0:3], 0 offset:244
	ds_read2_b64 v[121:124], v116 offset0:107 offset1:108
	s_waitcnt vmcnt(18) lgkmcnt(1)
	v_fma_f64 v[117:118], v[135:136], v[117:118], v[127:128]
	s_waitcnt vmcnt(17)
	v_fma_f64 v[117:118], v[133:134], v[119:120], v[117:118]
	s_waitcnt vmcnt(16) lgkmcnt(0)
	v_fma_f64 v[117:118], v[131:132], v[121:122], v[117:118]
	s_waitcnt vmcnt(11)
	v_fma_f64 v[127:128], v[137:138], v[123:124], v[117:118]
	ds_read2_b64 v[117:120], v116 offset0:109 offset1:110
	ds_read2_b64 v[121:124], v116 offset0:111 offset1:112
	s_waitcnt vmcnt(10) lgkmcnt(1)
	v_fma_f64 v[117:118], v[145:146], v[117:118], v[127:128]
	s_waitcnt vmcnt(9)
	v_fma_f64 v[117:118], v[143:144], v[119:120], v[117:118]
	s_waitcnt vmcnt(8) lgkmcnt(0)
	v_fma_f64 v[117:118], v[139:140], v[121:122], v[117:118]
	s_waitcnt vmcnt(4)
	v_fma_f64 v[120:121], v[125:126], v[123:124], v[117:118]
	ds_read2_b64 v[116:119], v116 offset0:113 offset1:114
	s_waitcnt vmcnt(3) lgkmcnt(0)
	v_fma_f64 v[116:117], v[147:148], v[116:117], v[120:121]
	s_waitcnt vmcnt(2)
	v_fma_f64 v[116:117], v[141:142], v[118:119], v[116:117]
	s_waitcnt vmcnt(0)
	v_add_f64 v[116:117], v[129:130], -v[116:117]
	buffer_store_dword v117, off, s[0:3], 0 offset:244
	buffer_store_dword v116, off, s[0:3], 0 offset:240
	s_and_saveexec_b64 s[4:5], vcc
	s_cbranch_execz .LBB56_291
; %bb.290:
	buffer_load_dword v116, off, s[0:3], 0 offset:232
	buffer_load_dword v117, off, s[0:3], 0 offset:236
	v_mov_b32_e32 v118, 0
	buffer_store_dword v118, off, s[0:3], 0 offset:232
	buffer_store_dword v118, off, s[0:3], 0 offset:236
	s_waitcnt vmcnt(2)
	ds_write_b64 v115, v[116:117]
.LBB56_291:
	s_or_b64 exec, exec, s[4:5]
	s_waitcnt lgkmcnt(0)
	; wave barrier
	buffer_load_dword v125, off, s[0:3], 0 offset:240
	buffer_load_dword v126, off, s[0:3], 0 offset:244
	;; [unrolled: 1-line block ×22, first 2 shown]
	v_mov_b32_e32 v116, 0
	ds_read_b128 v[117:120], v116 offset:704
	ds_read_b128 v[121:124], v116 offset:720
	v_cmp_lt_u32_e32 vcc, 28, v0
	s_waitcnt vmcnt(20) lgkmcnt(1)
	v_fma_f64 v[117:118], v[125:126], v[117:118], 0
	s_waitcnt vmcnt(18)
	v_fma_f64 v[117:118], v[127:128], v[119:120], v[117:118]
	buffer_load_dword v126, off, s[0:3], 0 offset:332
	buffer_load_dword v127, off, s[0:3], 0 offset:352
	;; [unrolled: 1-line block ×7, first 2 shown]
	s_waitcnt vmcnt(23) lgkmcnt(0)
	v_fma_f64 v[117:118], v[129:130], v[121:122], v[117:118]
	s_waitcnt vmcnt(21)
	v_fma_f64 v[128:129], v[131:132], v[123:124], v[117:118]
	ds_read_b128 v[117:120], v116 offset:736
	ds_read_b128 v[121:124], v116 offset:752
	s_waitcnt vmcnt(19) lgkmcnt(1)
	v_fma_f64 v[117:118], v[133:134], v[117:118], v[128:129]
	buffer_load_dword v128, off, s[0:3], 0 offset:356
	s_waitcnt vmcnt(18)
	v_fma_f64 v[117:118], v[135:136], v[119:120], v[117:118]
	buffer_load_dword v130, off, s[0:3], 0 offset:364
	buffer_load_dword v131, off, s[0:3], 0 offset:384
	buffer_load_dword v133, off, s[0:3], 0 offset:376
	buffer_load_dword v135, off, s[0:3], 0 offset:368
	buffer_load_dword v129, off, s[0:3], 0 offset:360
	buffer_load_dword v136, off, s[0:3], 0 offset:372
	buffer_load_dword v134, off, s[0:3], 0 offset:380
	buffer_load_dword v132, off, s[0:3], 0 offset:388
	s_waitcnt vmcnt(24) lgkmcnt(0)
	v_fma_f64 v[117:118], v[137:138], v[121:122], v[117:118]
	s_waitcnt vmcnt(19)
	v_fma_f64 v[137:138], v[139:140], v[123:124], v[117:118]
	ds_read_b128 v[117:120], v116 offset:768
	ds_read_b128 v[121:124], v116 offset:784
	s_waitcnt vmcnt(18) lgkmcnt(1)
	v_fma_f64 v[117:118], v[145:146], v[117:118], v[137:138]
	s_waitcnt vmcnt(17)
	v_fma_f64 v[117:118], v[143:144], v[119:120], v[117:118]
	buffer_load_dword v138, off, s[0:3], 0 offset:396
	buffer_load_dword v139, off, s[0:3], 0 offset:416
	buffer_load_dword v143, off, s[0:3], 0 offset:408
	buffer_load_dword v145, off, s[0:3], 0 offset:400
	buffer_load_dword v137, off, s[0:3], 0 offset:392
	buffer_load_dword v146, off, s[0:3], 0 offset:404
	buffer_load_dword v144, off, s[0:3], 0 offset:412
	buffer_load_dword v140, off, s[0:3], 0 offset:420
	s_waitcnt vmcnt(24) lgkmcnt(0)
	v_fma_f64 v[117:118], v[141:142], v[121:122], v[117:118]
	s_waitcnt vmcnt(19)
	v_fma_f64 v[125:126], v[125:126], v[123:124], v[117:118]
	ds_read_b128 v[117:120], v116 offset:800
	ds_read_b128 v[121:124], v116 offset:816
	s_waitcnt vmcnt(18) lgkmcnt(1)
	v_fma_f64 v[117:118], v[149:150], v[117:118], v[125:126]
	;; [unrolled: 18-line block ×3, first 2 shown]
	buffer_load_dword v127, off, s[0:3], 0 offset:232
	buffer_load_dword v128, off, s[0:3], 0 offset:236
	s_waitcnt vmcnt(19)
	v_fma_f64 v[117:118], v[133:134], v[119:120], v[117:118]
	s_waitcnt vmcnt(18) lgkmcnt(0)
	v_fma_f64 v[117:118], v[131:132], v[121:122], v[117:118]
	s_waitcnt vmcnt(13)
	v_fma_f64 v[129:130], v[137:138], v[123:124], v[117:118]
	ds_read_b128 v[117:120], v116 offset:864
	ds_read_b128 v[121:124], v116 offset:880
	s_waitcnt vmcnt(12) lgkmcnt(1)
	v_fma_f64 v[117:118], v[145:146], v[117:118], v[129:130]
	s_waitcnt vmcnt(11)
	v_fma_f64 v[117:118], v[143:144], v[119:120], v[117:118]
	s_waitcnt vmcnt(10) lgkmcnt(0)
	v_fma_f64 v[117:118], v[139:140], v[121:122], v[117:118]
	s_waitcnt vmcnt(5)
	v_fma_f64 v[121:122], v[125:126], v[123:124], v[117:118]
	ds_read_b128 v[117:120], v116 offset:896
	ds_read_b64 v[123:124], v116 offset:912
	s_waitcnt vmcnt(4) lgkmcnt(1)
	v_fma_f64 v[117:118], v[149:150], v[117:118], v[121:122]
	s_waitcnt vmcnt(3)
	v_fma_f64 v[117:118], v[147:148], v[119:120], v[117:118]
	s_waitcnt vmcnt(2) lgkmcnt(0)
	v_fma_f64 v[117:118], v[141:142], v[123:124], v[117:118]
	s_waitcnt vmcnt(0)
	v_add_f64 v[117:118], v[127:128], -v[117:118]
	buffer_store_dword v118, off, s[0:3], 0 offset:236
	buffer_store_dword v117, off, s[0:3], 0 offset:232
	s_and_saveexec_b64 s[4:5], vcc
	s_cbranch_execz .LBB56_293
; %bb.292:
	buffer_load_dword v117, off, s[0:3], 0 offset:224
	buffer_load_dword v118, off, s[0:3], 0 offset:228
	s_waitcnt vmcnt(0)
	ds_write_b64 v115, v[117:118]
	buffer_store_dword v116, off, s[0:3], 0 offset:224
	buffer_store_dword v116, off, s[0:3], 0 offset:228
.LBB56_293:
	s_or_b64 exec, exec, s[4:5]
	s_waitcnt lgkmcnt(0)
	; wave barrier
	buffer_load_dword v125, off, s[0:3], 0 offset:232
	buffer_load_dword v126, off, s[0:3], 0 offset:236
	;; [unrolled: 1-line block ×22, first 2 shown]
	ds_read2_b64 v[117:120], v116 offset0:87 offset1:88
	ds_read2_b64 v[121:124], v116 offset0:89 offset1:90
	v_cmp_lt_u32_e32 vcc, 27, v0
	s_waitcnt vmcnt(20) lgkmcnt(1)
	v_fma_f64 v[117:118], v[125:126], v[117:118], 0
	s_waitcnt vmcnt(18)
	v_fma_f64 v[117:118], v[127:128], v[119:120], v[117:118]
	buffer_load_dword v126, off, s[0:3], 0 offset:324
	buffer_load_dword v127, off, s[0:3], 0 offset:344
	;; [unrolled: 1-line block ×7, first 2 shown]
	s_waitcnt vmcnt(23) lgkmcnt(0)
	v_fma_f64 v[117:118], v[129:130], v[121:122], v[117:118]
	s_waitcnt vmcnt(21)
	v_fma_f64 v[128:129], v[131:132], v[123:124], v[117:118]
	ds_read2_b64 v[117:120], v116 offset0:91 offset1:92
	ds_read2_b64 v[121:124], v116 offset0:93 offset1:94
	s_waitcnt vmcnt(19) lgkmcnt(1)
	v_fma_f64 v[117:118], v[133:134], v[117:118], v[128:129]
	buffer_load_dword v128, off, s[0:3], 0 offset:348
	s_waitcnt vmcnt(18)
	v_fma_f64 v[117:118], v[135:136], v[119:120], v[117:118]
	buffer_load_dword v130, off, s[0:3], 0 offset:356
	buffer_load_dword v131, off, s[0:3], 0 offset:376
	buffer_load_dword v133, off, s[0:3], 0 offset:368
	buffer_load_dword v135, off, s[0:3], 0 offset:360
	buffer_load_dword v129, off, s[0:3], 0 offset:352
	buffer_load_dword v136, off, s[0:3], 0 offset:364
	buffer_load_dword v134, off, s[0:3], 0 offset:372
	buffer_load_dword v132, off, s[0:3], 0 offset:380
	s_waitcnt vmcnt(24) lgkmcnt(0)
	v_fma_f64 v[117:118], v[137:138], v[121:122], v[117:118]
	s_waitcnt vmcnt(19)
	v_fma_f64 v[137:138], v[139:140], v[123:124], v[117:118]
	ds_read2_b64 v[117:120], v116 offset0:95 offset1:96
	ds_read2_b64 v[121:124], v116 offset0:97 offset1:98
	s_waitcnt vmcnt(18) lgkmcnt(1)
	v_fma_f64 v[117:118], v[145:146], v[117:118], v[137:138]
	s_waitcnt vmcnt(17)
	v_fma_f64 v[117:118], v[143:144], v[119:120], v[117:118]
	buffer_load_dword v138, off, s[0:3], 0 offset:388
	buffer_load_dword v139, off, s[0:3], 0 offset:408
	buffer_load_dword v143, off, s[0:3], 0 offset:400
	buffer_load_dword v145, off, s[0:3], 0 offset:392
	buffer_load_dword v137, off, s[0:3], 0 offset:384
	buffer_load_dword v146, off, s[0:3], 0 offset:396
	buffer_load_dword v144, off, s[0:3], 0 offset:404
	buffer_load_dword v140, off, s[0:3], 0 offset:412
	s_waitcnt vmcnt(24) lgkmcnt(0)
	v_fma_f64 v[117:118], v[141:142], v[121:122], v[117:118]
	s_waitcnt vmcnt(19)
	v_fma_f64 v[125:126], v[125:126], v[123:124], v[117:118]
	ds_read2_b64 v[117:120], v116 offset0:99 offset1:100
	ds_read2_b64 v[121:124], v116 offset0:101 offset1:102
	s_waitcnt vmcnt(18) lgkmcnt(1)
	v_fma_f64 v[117:118], v[149:150], v[117:118], v[125:126]
	;; [unrolled: 18-line block ×3, first 2 shown]
	buffer_load_dword v128, off, s[0:3], 0 offset:452
	buffer_load_dword v127, off, s[0:3], 0 offset:448
	buffer_load_dword v129, off, s[0:3], 0 offset:224
	buffer_load_dword v130, off, s[0:3], 0 offset:228
	s_waitcnt vmcnt(21)
	v_fma_f64 v[117:118], v[133:134], v[119:120], v[117:118]
	s_waitcnt vmcnt(20) lgkmcnt(0)
	v_fma_f64 v[117:118], v[131:132], v[121:122], v[117:118]
	s_waitcnt vmcnt(15)
	v_fma_f64 v[131:132], v[137:138], v[123:124], v[117:118]
	ds_read2_b64 v[117:120], v116 offset0:107 offset1:108
	ds_read2_b64 v[121:124], v116 offset0:109 offset1:110
	s_waitcnt vmcnt(14) lgkmcnt(1)
	v_fma_f64 v[117:118], v[145:146], v[117:118], v[131:132]
	s_waitcnt vmcnt(13)
	v_fma_f64 v[117:118], v[143:144], v[119:120], v[117:118]
	s_waitcnt vmcnt(12) lgkmcnt(0)
	v_fma_f64 v[117:118], v[139:140], v[121:122], v[117:118]
	s_waitcnt vmcnt(7)
	v_fma_f64 v[125:126], v[125:126], v[123:124], v[117:118]
	ds_read2_b64 v[117:120], v116 offset0:111 offset1:112
	ds_read2_b64 v[121:124], v116 offset0:113 offset1:114
	s_waitcnt vmcnt(6) lgkmcnt(1)
	v_fma_f64 v[116:117], v[149:150], v[117:118], v[125:126]
	s_waitcnt vmcnt(5)
	v_fma_f64 v[116:117], v[147:148], v[119:120], v[116:117]
	s_waitcnt vmcnt(4) lgkmcnt(0)
	v_fma_f64 v[116:117], v[141:142], v[121:122], v[116:117]
	s_waitcnt vmcnt(2)
	v_fma_f64 v[116:117], v[127:128], v[123:124], v[116:117]
	s_waitcnt vmcnt(0)
	v_add_f64 v[116:117], v[129:130], -v[116:117]
	buffer_store_dword v117, off, s[0:3], 0 offset:228
	buffer_store_dword v116, off, s[0:3], 0 offset:224
	s_and_saveexec_b64 s[4:5], vcc
	s_cbranch_execz .LBB56_295
; %bb.294:
	buffer_load_dword v116, off, s[0:3], 0 offset:216
	buffer_load_dword v117, off, s[0:3], 0 offset:220
	v_mov_b32_e32 v118, 0
	buffer_store_dword v118, off, s[0:3], 0 offset:216
	buffer_store_dword v118, off, s[0:3], 0 offset:220
	s_waitcnt vmcnt(2)
	ds_write_b64 v115, v[116:117]
.LBB56_295:
	s_or_b64 exec, exec, s[4:5]
	s_waitcnt lgkmcnt(0)
	; wave barrier
	buffer_load_dword v125, off, s[0:3], 0 offset:224
	buffer_load_dword v126, off, s[0:3], 0 offset:228
	buffer_load_dword v127, off, s[0:3], 0 offset:232
	buffer_load_dword v128, off, s[0:3], 0 offset:236
	buffer_load_dword v129, off, s[0:3], 0 offset:240
	buffer_load_dword v130, off, s[0:3], 0 offset:244
	buffer_load_dword v131, off, s[0:3], 0 offset:248
	buffer_load_dword v132, off, s[0:3], 0 offset:252
	buffer_load_dword v133, off, s[0:3], 0 offset:256
	buffer_load_dword v134, off, s[0:3], 0 offset:260
	buffer_load_dword v135, off, s[0:3], 0 offset:264
	buffer_load_dword v136, off, s[0:3], 0 offset:268
	buffer_load_dword v137, off, s[0:3], 0 offset:272
	buffer_load_dword v138, off, s[0:3], 0 offset:276
	buffer_load_dword v140, off, s[0:3], 0 offset:284
	buffer_load_dword v141, off, s[0:3], 0 offset:304
	buffer_load_dword v143, off, s[0:3], 0 offset:296
	buffer_load_dword v145, off, s[0:3], 0 offset:288
	buffer_load_dword v139, off, s[0:3], 0 offset:280
	buffer_load_dword v146, off, s[0:3], 0 offset:292
	buffer_load_dword v144, off, s[0:3], 0 offset:300
	buffer_load_dword v142, off, s[0:3], 0 offset:308
	v_mov_b32_e32 v116, 0
	ds_read_b128 v[117:120], v116 offset:688
	ds_read_b128 v[121:124], v116 offset:704
	v_cmp_lt_u32_e32 vcc, 26, v0
	s_waitcnt vmcnt(20) lgkmcnt(1)
	v_fma_f64 v[117:118], v[125:126], v[117:118], 0
	s_waitcnt vmcnt(18)
	v_fma_f64 v[117:118], v[127:128], v[119:120], v[117:118]
	buffer_load_dword v126, off, s[0:3], 0 offset:316
	buffer_load_dword v127, off, s[0:3], 0 offset:336
	;; [unrolled: 1-line block ×7, first 2 shown]
	s_waitcnt vmcnt(23) lgkmcnt(0)
	v_fma_f64 v[117:118], v[129:130], v[121:122], v[117:118]
	s_waitcnt vmcnt(21)
	v_fma_f64 v[128:129], v[131:132], v[123:124], v[117:118]
	ds_read_b128 v[117:120], v116 offset:720
	ds_read_b128 v[121:124], v116 offset:736
	s_waitcnt vmcnt(19) lgkmcnt(1)
	v_fma_f64 v[117:118], v[133:134], v[117:118], v[128:129]
	buffer_load_dword v128, off, s[0:3], 0 offset:340
	s_waitcnt vmcnt(18)
	v_fma_f64 v[117:118], v[135:136], v[119:120], v[117:118]
	buffer_load_dword v130, off, s[0:3], 0 offset:348
	buffer_load_dword v131, off, s[0:3], 0 offset:368
	;; [unrolled: 1-line block ×7, first 2 shown]
	s_waitcnt vmcnt(23) lgkmcnt(0)
	v_fma_f64 v[117:118], v[137:138], v[121:122], v[117:118]
	s_waitcnt vmcnt(18)
	v_fma_f64 v[137:138], v[139:140], v[123:124], v[117:118]
	ds_read_b128 v[117:120], v116 offset:752
	ds_read_b128 v[121:124], v116 offset:768
	buffer_load_dword v132, off, s[0:3], 0 offset:372
	s_waitcnt vmcnt(18) lgkmcnt(1)
	v_fma_f64 v[117:118], v[145:146], v[117:118], v[137:138]
	s_waitcnt vmcnt(17)
	v_fma_f64 v[117:118], v[143:144], v[119:120], v[117:118]
	buffer_load_dword v138, off, s[0:3], 0 offset:380
	buffer_load_dword v139, off, s[0:3], 0 offset:400
	;; [unrolled: 1-line block ×8, first 2 shown]
	s_waitcnt vmcnt(24) lgkmcnt(0)
	v_fma_f64 v[117:118], v[141:142], v[121:122], v[117:118]
	s_waitcnt vmcnt(19)
	v_fma_f64 v[125:126], v[125:126], v[123:124], v[117:118]
	ds_read_b128 v[117:120], v116 offset:784
	ds_read_b128 v[121:124], v116 offset:800
	s_waitcnt vmcnt(18) lgkmcnt(1)
	v_fma_f64 v[117:118], v[149:150], v[117:118], v[125:126]
	s_waitcnt vmcnt(17)
	v_fma_f64 v[117:118], v[147:148], v[119:120], v[117:118]
	buffer_load_dword v126, off, s[0:3], 0 offset:412
	buffer_load_dword v141, off, s[0:3], 0 offset:432
	buffer_load_dword v147, off, s[0:3], 0 offset:424
	buffer_load_dword v149, off, s[0:3], 0 offset:416
	buffer_load_dword v125, off, s[0:3], 0 offset:408
	buffer_load_dword v150, off, s[0:3], 0 offset:420
	buffer_load_dword v148, off, s[0:3], 0 offset:428
	s_waitcnt vmcnt(23) lgkmcnt(0)
	v_fma_f64 v[117:118], v[127:128], v[121:122], v[117:118]
	s_waitcnt vmcnt(18)
	v_fma_f64 v[127:128], v[129:130], v[123:124], v[117:118]
	ds_read_b128 v[117:120], v116 offset:816
	ds_read_b128 v[121:124], v116 offset:832
	buffer_load_dword v142, off, s[0:3], 0 offset:436
	s_waitcnt vmcnt(18) lgkmcnt(1)
	v_fma_f64 v[117:118], v[135:136], v[117:118], v[127:128]
	buffer_load_dword v128, off, s[0:3], 0 offset:444
	buffer_load_dword v129, off, s[0:3], 0 offset:448
	;; [unrolled: 1-line block ×4, first 2 shown]
	s_waitcnt vmcnt(21)
	v_fma_f64 v[117:118], v[133:134], v[119:120], v[117:118]
	s_waitcnt vmcnt(20) lgkmcnt(0)
	v_fma_f64 v[117:118], v[131:132], v[121:122], v[117:118]
	buffer_load_dword v131, off, s[0:3], 0 offset:216
	buffer_load_dword v132, off, s[0:3], 0 offset:220
	s_waitcnt vmcnt(17)
	v_fma_f64 v[133:134], v[137:138], v[123:124], v[117:118]
	ds_read_b128 v[117:120], v116 offset:848
	ds_read_b128 v[121:124], v116 offset:864
	s_waitcnt vmcnt(16) lgkmcnt(1)
	v_fma_f64 v[117:118], v[145:146], v[117:118], v[133:134]
	s_waitcnt vmcnt(15)
	v_fma_f64 v[117:118], v[143:144], v[119:120], v[117:118]
	s_waitcnt vmcnt(14) lgkmcnt(0)
	v_fma_f64 v[117:118], v[139:140], v[121:122], v[117:118]
	s_waitcnt vmcnt(9)
	v_fma_f64 v[125:126], v[125:126], v[123:124], v[117:118]
	ds_read_b128 v[117:120], v116 offset:880
	ds_read_b128 v[121:124], v116 offset:896
	s_waitcnt vmcnt(8) lgkmcnt(1)
	v_fma_f64 v[117:118], v[149:150], v[117:118], v[125:126]
	s_waitcnt vmcnt(7)
	v_fma_f64 v[117:118], v[147:148], v[119:120], v[117:118]
	ds_read_b64 v[119:120], v116 offset:912
	s_waitcnt vmcnt(6) lgkmcnt(1)
	v_fma_f64 v[117:118], v[141:142], v[121:122], v[117:118]
	s_waitcnt vmcnt(3)
	v_fma_f64 v[117:118], v[127:128], v[123:124], v[117:118]
	s_waitcnt vmcnt(2) lgkmcnt(0)
	v_fma_f64 v[117:118], v[129:130], v[119:120], v[117:118]
	s_waitcnt vmcnt(0)
	v_add_f64 v[117:118], v[131:132], -v[117:118]
	buffer_store_dword v118, off, s[0:3], 0 offset:220
	buffer_store_dword v117, off, s[0:3], 0 offset:216
	s_and_saveexec_b64 s[4:5], vcc
	s_cbranch_execz .LBB56_297
; %bb.296:
	buffer_load_dword v117, off, s[0:3], 0 offset:208
	buffer_load_dword v118, off, s[0:3], 0 offset:212
	s_waitcnt vmcnt(0)
	ds_write_b64 v115, v[117:118]
	buffer_store_dword v116, off, s[0:3], 0 offset:208
	buffer_store_dword v116, off, s[0:3], 0 offset:212
.LBB56_297:
	s_or_b64 exec, exec, s[4:5]
	s_waitcnt lgkmcnt(0)
	; wave barrier
	buffer_load_dword v125, off, s[0:3], 0 offset:216
	buffer_load_dword v126, off, s[0:3], 0 offset:220
	;; [unrolled: 1-line block ×22, first 2 shown]
	ds_read2_b64 v[117:120], v116 offset0:85 offset1:86
	ds_read2_b64 v[121:124], v116 offset0:87 offset1:88
	v_cmp_lt_u32_e32 vcc, 25, v0
	s_waitcnt vmcnt(20) lgkmcnt(1)
	v_fma_f64 v[117:118], v[125:126], v[117:118], 0
	s_waitcnt vmcnt(18)
	v_fma_f64 v[117:118], v[127:128], v[119:120], v[117:118]
	buffer_load_dword v126, off, s[0:3], 0 offset:308
	buffer_load_dword v127, off, s[0:3], 0 offset:328
	;; [unrolled: 1-line block ×7, first 2 shown]
	s_waitcnt vmcnt(23) lgkmcnt(0)
	v_fma_f64 v[117:118], v[129:130], v[121:122], v[117:118]
	s_waitcnt vmcnt(21)
	v_fma_f64 v[128:129], v[131:132], v[123:124], v[117:118]
	ds_read2_b64 v[117:120], v116 offset0:89 offset1:90
	ds_read2_b64 v[121:124], v116 offset0:91 offset1:92
	s_waitcnt vmcnt(19) lgkmcnt(1)
	v_fma_f64 v[117:118], v[133:134], v[117:118], v[128:129]
	buffer_load_dword v128, off, s[0:3], 0 offset:332
	s_waitcnt vmcnt(18)
	v_fma_f64 v[117:118], v[135:136], v[119:120], v[117:118]
	buffer_load_dword v130, off, s[0:3], 0 offset:340
	buffer_load_dword v131, off, s[0:3], 0 offset:360
	buffer_load_dword v133, off, s[0:3], 0 offset:352
	buffer_load_dword v135, off, s[0:3], 0 offset:344
	buffer_load_dword v129, off, s[0:3], 0 offset:336
	buffer_load_dword v136, off, s[0:3], 0 offset:348
	buffer_load_dword v134, off, s[0:3], 0 offset:356
	s_waitcnt vmcnt(23) lgkmcnt(0)
	v_fma_f64 v[117:118], v[137:138], v[121:122], v[117:118]
	s_waitcnt vmcnt(18)
	v_fma_f64 v[137:138], v[139:140], v[123:124], v[117:118]
	ds_read2_b64 v[117:120], v116 offset0:93 offset1:94
	ds_read2_b64 v[121:124], v116 offset0:95 offset1:96
	buffer_load_dword v132, off, s[0:3], 0 offset:364
	s_waitcnt vmcnt(18) lgkmcnt(1)
	v_fma_f64 v[117:118], v[145:146], v[117:118], v[137:138]
	s_waitcnt vmcnt(17)
	v_fma_f64 v[117:118], v[143:144], v[119:120], v[117:118]
	buffer_load_dword v138, off, s[0:3], 0 offset:372
	buffer_load_dword v139, off, s[0:3], 0 offset:392
	;; [unrolled: 1-line block ×8, first 2 shown]
	s_waitcnt vmcnt(24) lgkmcnt(0)
	v_fma_f64 v[117:118], v[141:142], v[121:122], v[117:118]
	s_waitcnt vmcnt(19)
	v_fma_f64 v[125:126], v[125:126], v[123:124], v[117:118]
	ds_read2_b64 v[117:120], v116 offset0:97 offset1:98
	ds_read2_b64 v[121:124], v116 offset0:99 offset1:100
	s_waitcnt vmcnt(18) lgkmcnt(1)
	v_fma_f64 v[117:118], v[149:150], v[117:118], v[125:126]
	s_waitcnt vmcnt(17)
	v_fma_f64 v[117:118], v[147:148], v[119:120], v[117:118]
	buffer_load_dword v126, off, s[0:3], 0 offset:404
	buffer_load_dword v141, off, s[0:3], 0 offset:424
	;; [unrolled: 1-line block ×8, first 2 shown]
	s_waitcnt vmcnt(24) lgkmcnt(0)
	v_fma_f64 v[117:118], v[127:128], v[121:122], v[117:118]
	s_waitcnt vmcnt(19)
	v_fma_f64 v[127:128], v[129:130], v[123:124], v[117:118]
	ds_read2_b64 v[117:120], v116 offset0:101 offset1:102
	ds_read2_b64 v[121:124], v116 offset0:103 offset1:104
	s_waitcnt vmcnt(18) lgkmcnt(1)
	v_fma_f64 v[117:118], v[135:136], v[117:118], v[127:128]
	s_waitcnt vmcnt(17)
	v_fma_f64 v[117:118], v[133:134], v[119:120], v[117:118]
	buffer_load_dword v128, off, s[0:3], 0 offset:436
	buffer_load_dword v129, off, s[0:3], 0 offset:448
	;; [unrolled: 1-line block ×6, first 2 shown]
	s_waitcnt vmcnt(22) lgkmcnt(0)
	v_fma_f64 v[117:118], v[131:132], v[121:122], v[117:118]
	s_waitcnt vmcnt(17)
	v_fma_f64 v[131:132], v[137:138], v[123:124], v[117:118]
	ds_read2_b64 v[117:120], v116 offset0:105 offset1:106
	buffer_load_dword v135, off, s[0:3], 0 offset:208
	buffer_load_dword v136, off, s[0:3], 0 offset:212
	ds_read2_b64 v[121:124], v116 offset0:107 offset1:108
	s_waitcnt vmcnt(18) lgkmcnt(1)
	v_fma_f64 v[117:118], v[145:146], v[117:118], v[131:132]
	s_waitcnt vmcnt(17)
	v_fma_f64 v[117:118], v[143:144], v[119:120], v[117:118]
	s_waitcnt vmcnt(16) lgkmcnt(0)
	v_fma_f64 v[117:118], v[139:140], v[121:122], v[117:118]
	s_waitcnt vmcnt(11)
	v_fma_f64 v[125:126], v[125:126], v[123:124], v[117:118]
	ds_read2_b64 v[117:120], v116 offset0:109 offset1:110
	ds_read2_b64 v[121:124], v116 offset0:111 offset1:112
	s_waitcnt vmcnt(10) lgkmcnt(1)
	v_fma_f64 v[117:118], v[149:150], v[117:118], v[125:126]
	s_waitcnt vmcnt(9)
	v_fma_f64 v[117:118], v[147:148], v[119:120], v[117:118]
	s_waitcnt vmcnt(8) lgkmcnt(0)
	v_fma_f64 v[117:118], v[141:142], v[121:122], v[117:118]
	s_waitcnt vmcnt(4)
	v_fma_f64 v[120:121], v[127:128], v[123:124], v[117:118]
	ds_read2_b64 v[116:119], v116 offset0:113 offset1:114
	s_waitcnt vmcnt(3) lgkmcnt(0)
	v_fma_f64 v[116:117], v[133:134], v[116:117], v[120:121]
	s_waitcnt vmcnt(2)
	v_fma_f64 v[116:117], v[129:130], v[118:119], v[116:117]
	s_waitcnt vmcnt(0)
	v_add_f64 v[116:117], v[135:136], -v[116:117]
	buffer_store_dword v117, off, s[0:3], 0 offset:212
	buffer_store_dword v116, off, s[0:3], 0 offset:208
	s_and_saveexec_b64 s[4:5], vcc
	s_cbranch_execz .LBB56_299
; %bb.298:
	buffer_load_dword v116, off, s[0:3], 0 offset:200
	buffer_load_dword v117, off, s[0:3], 0 offset:204
	v_mov_b32_e32 v118, 0
	buffer_store_dword v118, off, s[0:3], 0 offset:200
	buffer_store_dword v118, off, s[0:3], 0 offset:204
	s_waitcnt vmcnt(2)
	ds_write_b64 v115, v[116:117]
.LBB56_299:
	s_or_b64 exec, exec, s[4:5]
	s_waitcnt lgkmcnt(0)
	; wave barrier
	buffer_load_dword v125, off, s[0:3], 0 offset:208
	buffer_load_dword v126, off, s[0:3], 0 offset:212
	;; [unrolled: 1-line block ×22, first 2 shown]
	v_mov_b32_e32 v116, 0
	ds_read_b128 v[117:120], v116 offset:672
	ds_read_b128 v[121:124], v116 offset:688
	v_cmp_lt_u32_e32 vcc, 24, v0
	s_waitcnt vmcnt(20) lgkmcnt(1)
	v_fma_f64 v[117:118], v[125:126], v[117:118], 0
	s_waitcnt vmcnt(18)
	v_fma_f64 v[117:118], v[127:128], v[119:120], v[117:118]
	buffer_load_dword v126, off, s[0:3], 0 offset:300
	buffer_load_dword v127, off, s[0:3], 0 offset:320
	;; [unrolled: 1-line block ×7, first 2 shown]
	s_waitcnt vmcnt(23) lgkmcnt(0)
	v_fma_f64 v[117:118], v[129:130], v[121:122], v[117:118]
	s_waitcnt vmcnt(21)
	v_fma_f64 v[128:129], v[131:132], v[123:124], v[117:118]
	ds_read_b128 v[117:120], v116 offset:704
	ds_read_b128 v[121:124], v116 offset:720
	s_waitcnt vmcnt(19) lgkmcnt(1)
	v_fma_f64 v[117:118], v[133:134], v[117:118], v[128:129]
	buffer_load_dword v128, off, s[0:3], 0 offset:324
	s_waitcnt vmcnt(18)
	v_fma_f64 v[117:118], v[135:136], v[119:120], v[117:118]
	buffer_load_dword v130, off, s[0:3], 0 offset:332
	buffer_load_dword v131, off, s[0:3], 0 offset:352
	;; [unrolled: 1-line block ×7, first 2 shown]
	s_waitcnt vmcnt(23) lgkmcnt(0)
	v_fma_f64 v[117:118], v[137:138], v[121:122], v[117:118]
	s_waitcnt vmcnt(18)
	v_fma_f64 v[137:138], v[139:140], v[123:124], v[117:118]
	ds_read_b128 v[117:120], v116 offset:736
	ds_read_b128 v[121:124], v116 offset:752
	buffer_load_dword v132, off, s[0:3], 0 offset:356
	s_waitcnt vmcnt(18) lgkmcnt(1)
	v_fma_f64 v[117:118], v[145:146], v[117:118], v[137:138]
	s_waitcnt vmcnt(17)
	v_fma_f64 v[117:118], v[143:144], v[119:120], v[117:118]
	buffer_load_dword v138, off, s[0:3], 0 offset:364
	buffer_load_dword v139, off, s[0:3], 0 offset:384
	buffer_load_dword v143, off, s[0:3], 0 offset:376
	buffer_load_dword v145, off, s[0:3], 0 offset:368
	buffer_load_dword v137, off, s[0:3], 0 offset:360
	buffer_load_dword v146, off, s[0:3], 0 offset:372
	buffer_load_dword v144, off, s[0:3], 0 offset:380
	buffer_load_dword v140, off, s[0:3], 0 offset:388
	s_waitcnt vmcnt(24) lgkmcnt(0)
	v_fma_f64 v[117:118], v[141:142], v[121:122], v[117:118]
	s_waitcnt vmcnt(19)
	v_fma_f64 v[125:126], v[125:126], v[123:124], v[117:118]
	ds_read_b128 v[117:120], v116 offset:768
	ds_read_b128 v[121:124], v116 offset:784
	s_waitcnt vmcnt(18) lgkmcnt(1)
	v_fma_f64 v[117:118], v[149:150], v[117:118], v[125:126]
	s_waitcnt vmcnt(17)
	v_fma_f64 v[117:118], v[147:148], v[119:120], v[117:118]
	buffer_load_dword v126, off, s[0:3], 0 offset:396
	buffer_load_dword v141, off, s[0:3], 0 offset:416
	buffer_load_dword v147, off, s[0:3], 0 offset:408
	buffer_load_dword v149, off, s[0:3], 0 offset:400
	buffer_load_dword v125, off, s[0:3], 0 offset:392
	buffer_load_dword v150, off, s[0:3], 0 offset:404
	buffer_load_dword v148, off, s[0:3], 0 offset:412
	buffer_load_dword v142, off, s[0:3], 0 offset:420
	s_waitcnt vmcnt(24) lgkmcnt(0)
	v_fma_f64 v[117:118], v[127:128], v[121:122], v[117:118]
	s_waitcnt vmcnt(19)
	v_fma_f64 v[127:128], v[129:130], v[123:124], v[117:118]
	ds_read_b128 v[117:120], v116 offset:800
	ds_read_b128 v[121:124], v116 offset:816
	;; [unrolled: 18-line block ×3, first 2 shown]
	s_waitcnt vmcnt(18) lgkmcnt(1)
	v_fma_f64 v[117:118], v[145:146], v[117:118], v[131:132]
	buffer_load_dword v131, off, s[0:3], 0 offset:200
	buffer_load_dword v132, off, s[0:3], 0 offset:204
	s_waitcnt vmcnt(19)
	v_fma_f64 v[117:118], v[143:144], v[119:120], v[117:118]
	s_waitcnt vmcnt(18) lgkmcnt(0)
	v_fma_f64 v[117:118], v[139:140], v[121:122], v[117:118]
	s_waitcnt vmcnt(13)
	v_fma_f64 v[125:126], v[125:126], v[123:124], v[117:118]
	ds_read_b128 v[117:120], v116 offset:864
	ds_read_b128 v[121:124], v116 offset:880
	s_waitcnt vmcnt(12) lgkmcnt(1)
	v_fma_f64 v[117:118], v[149:150], v[117:118], v[125:126]
	s_waitcnt vmcnt(11)
	v_fma_f64 v[117:118], v[147:148], v[119:120], v[117:118]
	s_waitcnt vmcnt(10) lgkmcnt(0)
	v_fma_f64 v[117:118], v[141:142], v[121:122], v[117:118]
	s_waitcnt vmcnt(5)
	v_fma_f64 v[121:122], v[127:128], v[123:124], v[117:118]
	ds_read_b128 v[117:120], v116 offset:896
	ds_read_b64 v[123:124], v116 offset:912
	s_waitcnt vmcnt(4) lgkmcnt(1)
	v_fma_f64 v[117:118], v[135:136], v[117:118], v[121:122]
	s_waitcnt vmcnt(3)
	v_fma_f64 v[117:118], v[133:134], v[119:120], v[117:118]
	s_waitcnt vmcnt(2) lgkmcnt(0)
	v_fma_f64 v[117:118], v[129:130], v[123:124], v[117:118]
	s_waitcnt vmcnt(0)
	v_add_f64 v[117:118], v[131:132], -v[117:118]
	buffer_store_dword v118, off, s[0:3], 0 offset:204
	buffer_store_dword v117, off, s[0:3], 0 offset:200
	s_and_saveexec_b64 s[4:5], vcc
	s_cbranch_execz .LBB56_301
; %bb.300:
	buffer_load_dword v117, off, s[0:3], 0 offset:192
	buffer_load_dword v118, off, s[0:3], 0 offset:196
	s_waitcnt vmcnt(0)
	ds_write_b64 v115, v[117:118]
	buffer_store_dword v116, off, s[0:3], 0 offset:192
	buffer_store_dword v116, off, s[0:3], 0 offset:196
.LBB56_301:
	s_or_b64 exec, exec, s[4:5]
	s_waitcnt lgkmcnt(0)
	; wave barrier
	buffer_load_dword v125, off, s[0:3], 0 offset:200
	buffer_load_dword v126, off, s[0:3], 0 offset:204
	buffer_load_dword v127, off, s[0:3], 0 offset:208
	buffer_load_dword v128, off, s[0:3], 0 offset:212
	buffer_load_dword v129, off, s[0:3], 0 offset:216
	buffer_load_dword v130, off, s[0:3], 0 offset:220
	buffer_load_dword v131, off, s[0:3], 0 offset:224
	buffer_load_dword v132, off, s[0:3], 0 offset:228
	buffer_load_dword v133, off, s[0:3], 0 offset:232
	buffer_load_dword v134, off, s[0:3], 0 offset:236
	buffer_load_dword v135, off, s[0:3], 0 offset:240
	buffer_load_dword v136, off, s[0:3], 0 offset:244
	buffer_load_dword v137, off, s[0:3], 0 offset:248
	buffer_load_dword v138, off, s[0:3], 0 offset:252
	buffer_load_dword v140, off, s[0:3], 0 offset:260
	buffer_load_dword v141, off, s[0:3], 0 offset:280
	buffer_load_dword v143, off, s[0:3], 0 offset:272
	buffer_load_dword v145, off, s[0:3], 0 offset:264
	buffer_load_dword v139, off, s[0:3], 0 offset:256
	buffer_load_dword v146, off, s[0:3], 0 offset:268
	buffer_load_dword v144, off, s[0:3], 0 offset:276
	buffer_load_dword v142, off, s[0:3], 0 offset:284
	ds_read2_b64 v[117:120], v116 offset0:83 offset1:84
	ds_read2_b64 v[121:124], v116 offset0:85 offset1:86
	v_cmp_lt_u32_e32 vcc, 23, v0
	s_waitcnt vmcnt(20) lgkmcnt(1)
	v_fma_f64 v[117:118], v[125:126], v[117:118], 0
	s_waitcnt vmcnt(18)
	v_fma_f64 v[117:118], v[127:128], v[119:120], v[117:118]
	buffer_load_dword v126, off, s[0:3], 0 offset:292
	buffer_load_dword v127, off, s[0:3], 0 offset:312
	;; [unrolled: 1-line block ×7, first 2 shown]
	s_waitcnt vmcnt(23) lgkmcnt(0)
	v_fma_f64 v[117:118], v[129:130], v[121:122], v[117:118]
	s_waitcnt vmcnt(21)
	v_fma_f64 v[128:129], v[131:132], v[123:124], v[117:118]
	ds_read2_b64 v[117:120], v116 offset0:87 offset1:88
	ds_read2_b64 v[121:124], v116 offset0:89 offset1:90
	s_waitcnt vmcnt(19) lgkmcnt(1)
	v_fma_f64 v[117:118], v[133:134], v[117:118], v[128:129]
	buffer_load_dword v128, off, s[0:3], 0 offset:316
	s_waitcnt vmcnt(18)
	v_fma_f64 v[117:118], v[135:136], v[119:120], v[117:118]
	buffer_load_dword v130, off, s[0:3], 0 offset:324
	buffer_load_dword v131, off, s[0:3], 0 offset:344
	;; [unrolled: 1-line block ×7, first 2 shown]
	s_waitcnt vmcnt(23) lgkmcnt(0)
	v_fma_f64 v[117:118], v[137:138], v[121:122], v[117:118]
	s_waitcnt vmcnt(18)
	v_fma_f64 v[137:138], v[139:140], v[123:124], v[117:118]
	ds_read2_b64 v[117:120], v116 offset0:91 offset1:92
	ds_read2_b64 v[121:124], v116 offset0:93 offset1:94
	buffer_load_dword v132, off, s[0:3], 0 offset:348
	s_waitcnt vmcnt(18) lgkmcnt(1)
	v_fma_f64 v[117:118], v[145:146], v[117:118], v[137:138]
	s_waitcnt vmcnt(17)
	v_fma_f64 v[117:118], v[143:144], v[119:120], v[117:118]
	buffer_load_dword v138, off, s[0:3], 0 offset:356
	buffer_load_dword v139, off, s[0:3], 0 offset:376
	buffer_load_dword v143, off, s[0:3], 0 offset:368
	buffer_load_dword v145, off, s[0:3], 0 offset:360
	buffer_load_dword v137, off, s[0:3], 0 offset:352
	buffer_load_dword v146, off, s[0:3], 0 offset:364
	buffer_load_dword v144, off, s[0:3], 0 offset:372
	buffer_load_dword v140, off, s[0:3], 0 offset:380
	s_waitcnt vmcnt(24) lgkmcnt(0)
	v_fma_f64 v[117:118], v[141:142], v[121:122], v[117:118]
	s_waitcnt vmcnt(19)
	v_fma_f64 v[125:126], v[125:126], v[123:124], v[117:118]
	ds_read2_b64 v[117:120], v116 offset0:95 offset1:96
	ds_read2_b64 v[121:124], v116 offset0:97 offset1:98
	s_waitcnt vmcnt(18) lgkmcnt(1)
	v_fma_f64 v[117:118], v[149:150], v[117:118], v[125:126]
	s_waitcnt vmcnt(17)
	v_fma_f64 v[117:118], v[147:148], v[119:120], v[117:118]
	buffer_load_dword v126, off, s[0:3], 0 offset:388
	buffer_load_dword v141, off, s[0:3], 0 offset:408
	buffer_load_dword v147, off, s[0:3], 0 offset:400
	buffer_load_dword v149, off, s[0:3], 0 offset:392
	buffer_load_dword v125, off, s[0:3], 0 offset:384
	buffer_load_dword v150, off, s[0:3], 0 offset:396
	buffer_load_dword v148, off, s[0:3], 0 offset:404
	buffer_load_dword v142, off, s[0:3], 0 offset:412
	s_waitcnt vmcnt(24) lgkmcnt(0)
	v_fma_f64 v[117:118], v[127:128], v[121:122], v[117:118]
	s_waitcnt vmcnt(19)
	v_fma_f64 v[127:128], v[129:130], v[123:124], v[117:118]
	ds_read2_b64 v[117:120], v116 offset0:99 offset1:100
	ds_read2_b64 v[121:124], v116 offset0:101 offset1:102
	;; [unrolled: 18-line block ×3, first 2 shown]
	s_waitcnt vmcnt(18) lgkmcnt(1)
	v_fma_f64 v[117:118], v[145:146], v[117:118], v[131:132]
	buffer_load_dword v132, off, s[0:3], 0 offset:452
	buffer_load_dword v131, off, s[0:3], 0 offset:448
	;; [unrolled: 1-line block ×4, first 2 shown]
	s_waitcnt vmcnt(21)
	v_fma_f64 v[117:118], v[143:144], v[119:120], v[117:118]
	s_waitcnt vmcnt(20) lgkmcnt(0)
	v_fma_f64 v[117:118], v[139:140], v[121:122], v[117:118]
	s_waitcnt vmcnt(15)
	v_fma_f64 v[125:126], v[125:126], v[123:124], v[117:118]
	ds_read2_b64 v[117:120], v116 offset0:107 offset1:108
	ds_read2_b64 v[121:124], v116 offset0:109 offset1:110
	s_waitcnt vmcnt(14) lgkmcnt(1)
	v_fma_f64 v[117:118], v[149:150], v[117:118], v[125:126]
	s_waitcnt vmcnt(13)
	v_fma_f64 v[117:118], v[147:148], v[119:120], v[117:118]
	s_waitcnt vmcnt(12) lgkmcnt(0)
	v_fma_f64 v[117:118], v[141:142], v[121:122], v[117:118]
	s_waitcnt vmcnt(7)
	v_fma_f64 v[125:126], v[127:128], v[123:124], v[117:118]
	ds_read2_b64 v[117:120], v116 offset0:111 offset1:112
	ds_read2_b64 v[121:124], v116 offset0:113 offset1:114
	s_waitcnt vmcnt(6) lgkmcnt(1)
	v_fma_f64 v[116:117], v[135:136], v[117:118], v[125:126]
	s_waitcnt vmcnt(5)
	v_fma_f64 v[116:117], v[133:134], v[119:120], v[116:117]
	s_waitcnt vmcnt(4) lgkmcnt(0)
	v_fma_f64 v[116:117], v[129:130], v[121:122], v[116:117]
	s_waitcnt vmcnt(2)
	v_fma_f64 v[116:117], v[131:132], v[123:124], v[116:117]
	s_waitcnt vmcnt(0)
	v_add_f64 v[116:117], v[137:138], -v[116:117]
	buffer_store_dword v117, off, s[0:3], 0 offset:196
	buffer_store_dword v116, off, s[0:3], 0 offset:192
	s_and_saveexec_b64 s[4:5], vcc
	s_cbranch_execz .LBB56_303
; %bb.302:
	buffer_load_dword v116, off, s[0:3], 0 offset:184
	buffer_load_dword v117, off, s[0:3], 0 offset:188
	v_mov_b32_e32 v118, 0
	buffer_store_dword v118, off, s[0:3], 0 offset:184
	buffer_store_dword v118, off, s[0:3], 0 offset:188
	s_waitcnt vmcnt(2)
	ds_write_b64 v115, v[116:117]
.LBB56_303:
	s_or_b64 exec, exec, s[4:5]
	s_waitcnt lgkmcnt(0)
	; wave barrier
	buffer_load_dword v125, off, s[0:3], 0 offset:192
	buffer_load_dword v126, off, s[0:3], 0 offset:196
	;; [unrolled: 1-line block ×21, first 2 shown]
	v_mov_b32_e32 v116, 0
	ds_read_b128 v[117:120], v116 offset:656
	ds_read_b128 v[121:124], v116 offset:672
	buffer_load_dword v142, off, s[0:3], 0 offset:276
	v_cmp_lt_u32_e32 vcc, 22, v0
	s_waitcnt vmcnt(20) lgkmcnt(1)
	v_fma_f64 v[117:118], v[125:126], v[117:118], 0
	s_waitcnt vmcnt(18)
	v_fma_f64 v[117:118], v[127:128], v[119:120], v[117:118]
	buffer_load_dword v126, off, s[0:3], 0 offset:284
	buffer_load_dword v127, off, s[0:3], 0 offset:304
	;; [unrolled: 1-line block ×7, first 2 shown]
	s_waitcnt vmcnt(23) lgkmcnt(0)
	v_fma_f64 v[117:118], v[129:130], v[121:122], v[117:118]
	s_waitcnt vmcnt(21)
	v_fma_f64 v[128:129], v[131:132], v[123:124], v[117:118]
	ds_read_b128 v[117:120], v116 offset:688
	ds_read_b128 v[121:124], v116 offset:704
	s_waitcnt vmcnt(19) lgkmcnt(1)
	v_fma_f64 v[117:118], v[133:134], v[117:118], v[128:129]
	buffer_load_dword v128, off, s[0:3], 0 offset:308
	s_waitcnt vmcnt(18)
	v_fma_f64 v[117:118], v[135:136], v[119:120], v[117:118]
	buffer_load_dword v130, off, s[0:3], 0 offset:316
	buffer_load_dword v131, off, s[0:3], 0 offset:336
	buffer_load_dword v133, off, s[0:3], 0 offset:328
	buffer_load_dword v135, off, s[0:3], 0 offset:320
	buffer_load_dword v129, off, s[0:3], 0 offset:312
	buffer_load_dword v136, off, s[0:3], 0 offset:324
	buffer_load_dword v134, off, s[0:3], 0 offset:332
	s_waitcnt vmcnt(23) lgkmcnt(0)
	v_fma_f64 v[117:118], v[137:138], v[121:122], v[117:118]
	s_waitcnt vmcnt(18)
	v_fma_f64 v[137:138], v[139:140], v[123:124], v[117:118]
	ds_read_b128 v[117:120], v116 offset:720
	ds_read_b128 v[121:124], v116 offset:736
	buffer_load_dword v132, off, s[0:3], 0 offset:340
	s_waitcnt vmcnt(18) lgkmcnt(1)
	v_fma_f64 v[117:118], v[145:146], v[117:118], v[137:138]
	s_waitcnt vmcnt(17)
	v_fma_f64 v[117:118], v[143:144], v[119:120], v[117:118]
	buffer_load_dword v138, off, s[0:3], 0 offset:348
	buffer_load_dword v139, off, s[0:3], 0 offset:368
	;; [unrolled: 1-line block ×7, first 2 shown]
	s_waitcnt vmcnt(23) lgkmcnt(0)
	v_fma_f64 v[117:118], v[141:142], v[121:122], v[117:118]
	s_waitcnt vmcnt(18)
	v_fma_f64 v[125:126], v[125:126], v[123:124], v[117:118]
	ds_read_b128 v[117:120], v116 offset:752
	ds_read_b128 v[121:124], v116 offset:768
	buffer_load_dword v140, off, s[0:3], 0 offset:372
	s_waitcnt vmcnt(18) lgkmcnt(1)
	v_fma_f64 v[117:118], v[149:150], v[117:118], v[125:126]
	s_waitcnt vmcnt(17)
	v_fma_f64 v[117:118], v[147:148], v[119:120], v[117:118]
	buffer_load_dword v126, off, s[0:3], 0 offset:380
	buffer_load_dword v141, off, s[0:3], 0 offset:400
	;; [unrolled: 1-line block ×8, first 2 shown]
	s_waitcnt vmcnt(24) lgkmcnt(0)
	v_fma_f64 v[117:118], v[127:128], v[121:122], v[117:118]
	s_waitcnt vmcnt(19)
	v_fma_f64 v[127:128], v[129:130], v[123:124], v[117:118]
	ds_read_b128 v[117:120], v116 offset:784
	ds_read_b128 v[121:124], v116 offset:800
	s_waitcnt vmcnt(18) lgkmcnt(1)
	v_fma_f64 v[117:118], v[135:136], v[117:118], v[127:128]
	s_waitcnt vmcnt(17)
	v_fma_f64 v[117:118], v[133:134], v[119:120], v[117:118]
	buffer_load_dword v128, off, s[0:3], 0 offset:412
	buffer_load_dword v129, off, s[0:3], 0 offset:432
	;; [unrolled: 1-line block ×7, first 2 shown]
	s_waitcnt vmcnt(23) lgkmcnt(0)
	v_fma_f64 v[117:118], v[131:132], v[121:122], v[117:118]
	s_waitcnt vmcnt(18)
	v_fma_f64 v[130:131], v[137:138], v[123:124], v[117:118]
	ds_read_b128 v[117:120], v116 offset:816
	ds_read_b128 v[121:124], v116 offset:832
	s_waitcnt vmcnt(17) lgkmcnt(1)
	v_fma_f64 v[117:118], v[145:146], v[117:118], v[130:131]
	buffer_load_dword v130, off, s[0:3], 0 offset:436
	buffer_load_dword v132, off, s[0:3], 0 offset:444
	;; [unrolled: 1-line block ×5, first 2 shown]
	s_waitcnt vmcnt(21)
	v_fma_f64 v[117:118], v[143:144], v[119:120], v[117:118]
	s_waitcnt vmcnt(20) lgkmcnt(0)
	v_fma_f64 v[117:118], v[139:140], v[121:122], v[117:118]
	buffer_load_dword v139, off, s[0:3], 0 offset:184
	buffer_load_dword v140, off, s[0:3], 0 offset:188
	s_waitcnt vmcnt(17)
	v_fma_f64 v[125:126], v[125:126], v[123:124], v[117:118]
	ds_read_b128 v[117:120], v116 offset:848
	ds_read_b128 v[121:124], v116 offset:864
	s_waitcnt vmcnt(16) lgkmcnt(1)
	v_fma_f64 v[117:118], v[149:150], v[117:118], v[125:126]
	s_waitcnt vmcnt(15)
	v_fma_f64 v[117:118], v[147:148], v[119:120], v[117:118]
	s_waitcnt vmcnt(14) lgkmcnt(0)
	v_fma_f64 v[117:118], v[141:142], v[121:122], v[117:118]
	s_waitcnt vmcnt(9)
	v_fma_f64 v[125:126], v[127:128], v[123:124], v[117:118]
	ds_read_b128 v[117:120], v116 offset:880
	ds_read_b128 v[121:124], v116 offset:896
	s_waitcnt vmcnt(8) lgkmcnt(1)
	v_fma_f64 v[117:118], v[135:136], v[117:118], v[125:126]
	s_waitcnt vmcnt(7)
	v_fma_f64 v[117:118], v[133:134], v[119:120], v[117:118]
	ds_read_b64 v[119:120], v116 offset:912
	s_waitcnt vmcnt(6) lgkmcnt(1)
	v_fma_f64 v[117:118], v[129:130], v[121:122], v[117:118]
	s_waitcnt vmcnt(3)
	v_fma_f64 v[117:118], v[131:132], v[123:124], v[117:118]
	s_waitcnt vmcnt(2) lgkmcnt(0)
	v_fma_f64 v[117:118], v[137:138], v[119:120], v[117:118]
	s_waitcnt vmcnt(0)
	v_add_f64 v[117:118], v[139:140], -v[117:118]
	buffer_store_dword v118, off, s[0:3], 0 offset:188
	buffer_store_dword v117, off, s[0:3], 0 offset:184
	s_and_saveexec_b64 s[4:5], vcc
	s_cbranch_execz .LBB56_305
; %bb.304:
	buffer_load_dword v117, off, s[0:3], 0 offset:176
	buffer_load_dword v118, off, s[0:3], 0 offset:180
	s_waitcnt vmcnt(0)
	ds_write_b64 v115, v[117:118]
	buffer_store_dword v116, off, s[0:3], 0 offset:176
	buffer_store_dword v116, off, s[0:3], 0 offset:180
.LBB56_305:
	s_or_b64 exec, exec, s[4:5]
	s_waitcnt lgkmcnt(0)
	; wave barrier
	buffer_load_dword v125, off, s[0:3], 0 offset:184
	buffer_load_dword v126, off, s[0:3], 0 offset:188
	;; [unrolled: 1-line block ×21, first 2 shown]
	ds_read2_b64 v[117:120], v116 offset0:81 offset1:82
	ds_read2_b64 v[121:124], v116 offset0:83 offset1:84
	buffer_load_dword v142, off, s[0:3], 0 offset:268
	v_cmp_lt_u32_e32 vcc, 21, v0
	s_waitcnt vmcnt(20) lgkmcnt(1)
	v_fma_f64 v[117:118], v[125:126], v[117:118], 0
	s_waitcnt vmcnt(18)
	v_fma_f64 v[117:118], v[127:128], v[119:120], v[117:118]
	buffer_load_dword v126, off, s[0:3], 0 offset:276
	buffer_load_dword v127, off, s[0:3], 0 offset:296
	buffer_load_dword v147, off, s[0:3], 0 offset:288
	buffer_load_dword v149, off, s[0:3], 0 offset:280
	buffer_load_dword v125, off, s[0:3], 0 offset:272
	buffer_load_dword v150, off, s[0:3], 0 offset:284
	buffer_load_dword v148, off, s[0:3], 0 offset:292
	s_waitcnt vmcnt(23) lgkmcnt(0)
	v_fma_f64 v[117:118], v[129:130], v[121:122], v[117:118]
	s_waitcnt vmcnt(21)
	v_fma_f64 v[128:129], v[131:132], v[123:124], v[117:118]
	ds_read2_b64 v[117:120], v116 offset0:85 offset1:86
	ds_read2_b64 v[121:124], v116 offset0:87 offset1:88
	s_waitcnt vmcnt(19) lgkmcnt(1)
	v_fma_f64 v[117:118], v[133:134], v[117:118], v[128:129]
	buffer_load_dword v128, off, s[0:3], 0 offset:300
	s_waitcnt vmcnt(18)
	v_fma_f64 v[117:118], v[135:136], v[119:120], v[117:118]
	buffer_load_dword v130, off, s[0:3], 0 offset:308
	buffer_load_dword v131, off, s[0:3], 0 offset:328
	;; [unrolled: 1-line block ×8, first 2 shown]
	s_waitcnt vmcnt(24) lgkmcnt(0)
	v_fma_f64 v[117:118], v[137:138], v[121:122], v[117:118]
	s_waitcnt vmcnt(19)
	v_fma_f64 v[137:138], v[139:140], v[123:124], v[117:118]
	ds_read2_b64 v[117:120], v116 offset0:89 offset1:90
	ds_read2_b64 v[121:124], v116 offset0:91 offset1:92
	s_waitcnt vmcnt(18) lgkmcnt(1)
	v_fma_f64 v[117:118], v[145:146], v[117:118], v[137:138]
	s_waitcnt vmcnt(17)
	v_fma_f64 v[117:118], v[143:144], v[119:120], v[117:118]
	buffer_load_dword v138, off, s[0:3], 0 offset:340
	buffer_load_dword v139, off, s[0:3], 0 offset:360
	buffer_load_dword v143, off, s[0:3], 0 offset:352
	buffer_load_dword v145, off, s[0:3], 0 offset:344
	buffer_load_dword v137, off, s[0:3], 0 offset:336
	buffer_load_dword v146, off, s[0:3], 0 offset:348
	buffer_load_dword v144, off, s[0:3], 0 offset:356
	s_waitcnt vmcnt(23) lgkmcnt(0)
	v_fma_f64 v[117:118], v[141:142], v[121:122], v[117:118]
	s_waitcnt vmcnt(18)
	v_fma_f64 v[125:126], v[125:126], v[123:124], v[117:118]
	ds_read2_b64 v[117:120], v116 offset0:93 offset1:94
	ds_read2_b64 v[121:124], v116 offset0:95 offset1:96
	buffer_load_dword v140, off, s[0:3], 0 offset:364
	s_waitcnt vmcnt(18) lgkmcnt(1)
	v_fma_f64 v[117:118], v[149:150], v[117:118], v[125:126]
	s_waitcnt vmcnt(17)
	v_fma_f64 v[117:118], v[147:148], v[119:120], v[117:118]
	buffer_load_dword v126, off, s[0:3], 0 offset:372
	buffer_load_dword v141, off, s[0:3], 0 offset:392
	;; [unrolled: 1-line block ×8, first 2 shown]
	s_waitcnt vmcnt(24) lgkmcnt(0)
	v_fma_f64 v[117:118], v[127:128], v[121:122], v[117:118]
	s_waitcnt vmcnt(19)
	v_fma_f64 v[127:128], v[129:130], v[123:124], v[117:118]
	ds_read2_b64 v[117:120], v116 offset0:97 offset1:98
	ds_read2_b64 v[121:124], v116 offset0:99 offset1:100
	s_waitcnt vmcnt(18) lgkmcnt(1)
	v_fma_f64 v[117:118], v[135:136], v[117:118], v[127:128]
	s_waitcnt vmcnt(17)
	v_fma_f64 v[117:118], v[133:134], v[119:120], v[117:118]
	buffer_load_dword v128, off, s[0:3], 0 offset:404
	buffer_load_dword v129, off, s[0:3], 0 offset:424
	;; [unrolled: 1-line block ×7, first 2 shown]
	s_waitcnt vmcnt(23) lgkmcnt(0)
	v_fma_f64 v[117:118], v[131:132], v[121:122], v[117:118]
	s_waitcnt vmcnt(18)
	v_fma_f64 v[130:131], v[137:138], v[123:124], v[117:118]
	ds_read2_b64 v[117:120], v116 offset0:101 offset1:102
	ds_read2_b64 v[121:124], v116 offset0:103 offset1:104
	s_waitcnt vmcnt(17) lgkmcnt(1)
	v_fma_f64 v[117:118], v[145:146], v[117:118], v[130:131]
	buffer_load_dword v130, off, s[0:3], 0 offset:428
	s_waitcnt vmcnt(17)
	v_fma_f64 v[117:118], v[143:144], v[119:120], v[117:118]
	buffer_load_dword v132, off, s[0:3], 0 offset:436
	buffer_load_dword v137, off, s[0:3], 0 offset:448
	;; [unrolled: 1-line block ×6, first 2 shown]
	s_waitcnt vmcnt(22) lgkmcnt(0)
	v_fma_f64 v[117:118], v[139:140], v[121:122], v[117:118]
	s_waitcnt vmcnt(17)
	v_fma_f64 v[125:126], v[125:126], v[123:124], v[117:118]
	ds_read2_b64 v[117:120], v116 offset0:105 offset1:106
	buffer_load_dword v139, off, s[0:3], 0 offset:176
	buffer_load_dword v140, off, s[0:3], 0 offset:180
	ds_read2_b64 v[121:124], v116 offset0:107 offset1:108
	s_waitcnt vmcnt(18) lgkmcnt(1)
	v_fma_f64 v[117:118], v[149:150], v[117:118], v[125:126]
	s_waitcnt vmcnt(17)
	v_fma_f64 v[117:118], v[147:148], v[119:120], v[117:118]
	s_waitcnt vmcnt(16) lgkmcnt(0)
	v_fma_f64 v[117:118], v[141:142], v[121:122], v[117:118]
	s_waitcnt vmcnt(11)
	v_fma_f64 v[125:126], v[127:128], v[123:124], v[117:118]
	ds_read2_b64 v[117:120], v116 offset0:109 offset1:110
	ds_read2_b64 v[121:124], v116 offset0:111 offset1:112
	s_waitcnt vmcnt(10) lgkmcnt(1)
	v_fma_f64 v[117:118], v[135:136], v[117:118], v[125:126]
	s_waitcnt vmcnt(9)
	v_fma_f64 v[117:118], v[133:134], v[119:120], v[117:118]
	s_waitcnt vmcnt(8) lgkmcnt(0)
	v_fma_f64 v[117:118], v[129:130], v[121:122], v[117:118]
	s_waitcnt vmcnt(4)
	v_fma_f64 v[120:121], v[131:132], v[123:124], v[117:118]
	ds_read2_b64 v[116:119], v116 offset0:113 offset1:114
	s_waitcnt vmcnt(3) lgkmcnt(0)
	v_fma_f64 v[116:117], v[143:144], v[116:117], v[120:121]
	s_waitcnt vmcnt(2)
	v_fma_f64 v[116:117], v[137:138], v[118:119], v[116:117]
	s_waitcnt vmcnt(0)
	v_add_f64 v[116:117], v[139:140], -v[116:117]
	buffer_store_dword v117, off, s[0:3], 0 offset:180
	buffer_store_dword v116, off, s[0:3], 0 offset:176
	s_and_saveexec_b64 s[4:5], vcc
	s_cbranch_execz .LBB56_307
; %bb.306:
	buffer_load_dword v116, off, s[0:3], 0 offset:168
	buffer_load_dword v117, off, s[0:3], 0 offset:172
	v_mov_b32_e32 v118, 0
	buffer_store_dword v118, off, s[0:3], 0 offset:168
	buffer_store_dword v118, off, s[0:3], 0 offset:172
	s_waitcnt vmcnt(2)
	ds_write_b64 v115, v[116:117]
.LBB56_307:
	s_or_b64 exec, exec, s[4:5]
	s_waitcnt lgkmcnt(0)
	; wave barrier
	buffer_load_dword v125, off, s[0:3], 0 offset:176
	buffer_load_dword v126, off, s[0:3], 0 offset:180
	;; [unrolled: 1-line block ×21, first 2 shown]
	v_mov_b32_e32 v116, 0
	ds_read_b128 v[117:120], v116 offset:640
	ds_read_b128 v[121:124], v116 offset:656
	buffer_load_dword v142, off, s[0:3], 0 offset:260
	v_cmp_lt_u32_e32 vcc, 20, v0
	s_waitcnt vmcnt(20) lgkmcnt(1)
	v_fma_f64 v[117:118], v[125:126], v[117:118], 0
	s_waitcnt vmcnt(18)
	v_fma_f64 v[117:118], v[127:128], v[119:120], v[117:118]
	buffer_load_dword v126, off, s[0:3], 0 offset:268
	buffer_load_dword v127, off, s[0:3], 0 offset:288
	;; [unrolled: 1-line block ×7, first 2 shown]
	s_waitcnt vmcnt(23) lgkmcnt(0)
	v_fma_f64 v[117:118], v[129:130], v[121:122], v[117:118]
	s_waitcnt vmcnt(21)
	v_fma_f64 v[128:129], v[131:132], v[123:124], v[117:118]
	ds_read_b128 v[117:120], v116 offset:672
	ds_read_b128 v[121:124], v116 offset:688
	s_waitcnt vmcnt(19) lgkmcnt(1)
	v_fma_f64 v[117:118], v[133:134], v[117:118], v[128:129]
	buffer_load_dword v128, off, s[0:3], 0 offset:292
	s_waitcnt vmcnt(18)
	v_fma_f64 v[117:118], v[135:136], v[119:120], v[117:118]
	buffer_load_dword v130, off, s[0:3], 0 offset:300
	buffer_load_dword v131, off, s[0:3], 0 offset:320
	;; [unrolled: 1-line block ×8, first 2 shown]
	s_waitcnt vmcnt(24) lgkmcnt(0)
	v_fma_f64 v[117:118], v[137:138], v[121:122], v[117:118]
	s_waitcnt vmcnt(19)
	v_fma_f64 v[137:138], v[139:140], v[123:124], v[117:118]
	ds_read_b128 v[117:120], v116 offset:704
	ds_read_b128 v[121:124], v116 offset:720
	s_waitcnt vmcnt(18) lgkmcnt(1)
	v_fma_f64 v[117:118], v[145:146], v[117:118], v[137:138]
	s_waitcnt vmcnt(17)
	v_fma_f64 v[117:118], v[143:144], v[119:120], v[117:118]
	buffer_load_dword v138, off, s[0:3], 0 offset:332
	buffer_load_dword v139, off, s[0:3], 0 offset:352
	;; [unrolled: 1-line block ×7, first 2 shown]
	s_waitcnt vmcnt(23) lgkmcnt(0)
	v_fma_f64 v[117:118], v[141:142], v[121:122], v[117:118]
	s_waitcnt vmcnt(18)
	v_fma_f64 v[125:126], v[125:126], v[123:124], v[117:118]
	ds_read_b128 v[117:120], v116 offset:736
	ds_read_b128 v[121:124], v116 offset:752
	buffer_load_dword v140, off, s[0:3], 0 offset:356
	s_waitcnt vmcnt(18) lgkmcnt(1)
	v_fma_f64 v[117:118], v[149:150], v[117:118], v[125:126]
	s_waitcnt vmcnt(17)
	v_fma_f64 v[117:118], v[147:148], v[119:120], v[117:118]
	buffer_load_dword v126, off, s[0:3], 0 offset:364
	buffer_load_dword v141, off, s[0:3], 0 offset:384
	;; [unrolled: 1-line block ×8, first 2 shown]
	s_waitcnt vmcnt(24) lgkmcnt(0)
	v_fma_f64 v[117:118], v[127:128], v[121:122], v[117:118]
	s_waitcnt vmcnt(19)
	v_fma_f64 v[127:128], v[129:130], v[123:124], v[117:118]
	ds_read_b128 v[117:120], v116 offset:768
	ds_read_b128 v[121:124], v116 offset:784
	s_waitcnt vmcnt(18) lgkmcnt(1)
	v_fma_f64 v[117:118], v[135:136], v[117:118], v[127:128]
	s_waitcnt vmcnt(17)
	v_fma_f64 v[117:118], v[133:134], v[119:120], v[117:118]
	buffer_load_dword v128, off, s[0:3], 0 offset:396
	buffer_load_dword v129, off, s[0:3], 0 offset:416
	;; [unrolled: 1-line block ×7, first 2 shown]
	s_waitcnt vmcnt(23) lgkmcnt(0)
	v_fma_f64 v[117:118], v[131:132], v[121:122], v[117:118]
	s_waitcnt vmcnt(18)
	v_fma_f64 v[130:131], v[137:138], v[123:124], v[117:118]
	ds_read_b128 v[117:120], v116 offset:800
	ds_read_b128 v[121:124], v116 offset:816
	s_waitcnt vmcnt(17) lgkmcnt(1)
	v_fma_f64 v[117:118], v[145:146], v[117:118], v[130:131]
	buffer_load_dword v130, off, s[0:3], 0 offset:420
	s_waitcnt vmcnt(17)
	v_fma_f64 v[117:118], v[143:144], v[119:120], v[117:118]
	buffer_load_dword v132, off, s[0:3], 0 offset:428
	buffer_load_dword v137, off, s[0:3], 0 offset:448
	buffer_load_dword v143, off, s[0:3], 0 offset:440
	buffer_load_dword v145, off, s[0:3], 0 offset:432
	buffer_load_dword v131, off, s[0:3], 0 offset:424
	buffer_load_dword v146, off, s[0:3], 0 offset:436
	buffer_load_dword v144, off, s[0:3], 0 offset:444
	buffer_load_dword v138, off, s[0:3], 0 offset:452
	s_waitcnt vmcnt(24) lgkmcnt(0)
	v_fma_f64 v[117:118], v[139:140], v[121:122], v[117:118]
	s_waitcnt vmcnt(19)
	v_fma_f64 v[125:126], v[125:126], v[123:124], v[117:118]
	ds_read_b128 v[117:120], v116 offset:832
	ds_read_b128 v[121:124], v116 offset:848
	s_waitcnt vmcnt(18) lgkmcnt(1)
	v_fma_f64 v[117:118], v[149:150], v[117:118], v[125:126]
	buffer_load_dword v125, off, s[0:3], 0 offset:168
	buffer_load_dword v126, off, s[0:3], 0 offset:172
	s_waitcnt vmcnt(19)
	v_fma_f64 v[117:118], v[147:148], v[119:120], v[117:118]
	s_waitcnt vmcnt(18) lgkmcnt(0)
	v_fma_f64 v[117:118], v[141:142], v[121:122], v[117:118]
	s_waitcnt vmcnt(13)
	v_fma_f64 v[127:128], v[127:128], v[123:124], v[117:118]
	ds_read_b128 v[117:120], v116 offset:864
	ds_read_b128 v[121:124], v116 offset:880
	s_waitcnt vmcnt(12) lgkmcnt(1)
	v_fma_f64 v[117:118], v[135:136], v[117:118], v[127:128]
	s_waitcnt vmcnt(11)
	v_fma_f64 v[117:118], v[133:134], v[119:120], v[117:118]
	s_waitcnt vmcnt(10) lgkmcnt(0)
	v_fma_f64 v[117:118], v[129:130], v[121:122], v[117:118]
	s_waitcnt vmcnt(5)
	v_fma_f64 v[121:122], v[131:132], v[123:124], v[117:118]
	ds_read_b128 v[117:120], v116 offset:896
	ds_read_b64 v[123:124], v116 offset:912
	s_waitcnt vmcnt(4) lgkmcnt(1)
	v_fma_f64 v[117:118], v[145:146], v[117:118], v[121:122]
	s_waitcnt vmcnt(3)
	v_fma_f64 v[117:118], v[143:144], v[119:120], v[117:118]
	s_waitcnt vmcnt(2) lgkmcnt(0)
	v_fma_f64 v[117:118], v[137:138], v[123:124], v[117:118]
	s_waitcnt vmcnt(0)
	v_add_f64 v[117:118], v[125:126], -v[117:118]
	buffer_store_dword v118, off, s[0:3], 0 offset:172
	buffer_store_dword v117, off, s[0:3], 0 offset:168
	s_and_saveexec_b64 s[4:5], vcc
	s_cbranch_execz .LBB56_309
; %bb.308:
	buffer_load_dword v117, off, s[0:3], 0 offset:160
	buffer_load_dword v118, off, s[0:3], 0 offset:164
	s_waitcnt vmcnt(0)
	ds_write_b64 v115, v[117:118]
	buffer_store_dword v116, off, s[0:3], 0 offset:160
	buffer_store_dword v116, off, s[0:3], 0 offset:164
.LBB56_309:
	s_or_b64 exec, exec, s[4:5]
	s_waitcnt lgkmcnt(0)
	; wave barrier
	buffer_load_dword v125, off, s[0:3], 0 offset:168
	buffer_load_dword v126, off, s[0:3], 0 offset:172
	;; [unrolled: 1-line block ×21, first 2 shown]
	ds_read2_b64 v[117:120], v116 offset0:79 offset1:80
	ds_read2_b64 v[121:124], v116 offset0:81 offset1:82
	buffer_load_dword v142, off, s[0:3], 0 offset:252
	v_cmp_lt_u32_e32 vcc, 19, v0
	s_waitcnt vmcnt(20) lgkmcnt(1)
	v_fma_f64 v[117:118], v[125:126], v[117:118], 0
	s_waitcnt vmcnt(18)
	v_fma_f64 v[117:118], v[127:128], v[119:120], v[117:118]
	buffer_load_dword v126, off, s[0:3], 0 offset:260
	buffer_load_dword v127, off, s[0:3], 0 offset:280
	;; [unrolled: 1-line block ×7, first 2 shown]
	s_waitcnt vmcnt(23) lgkmcnt(0)
	v_fma_f64 v[117:118], v[129:130], v[121:122], v[117:118]
	s_waitcnt vmcnt(21)
	v_fma_f64 v[128:129], v[131:132], v[123:124], v[117:118]
	ds_read2_b64 v[117:120], v116 offset0:83 offset1:84
	ds_read2_b64 v[121:124], v116 offset0:85 offset1:86
	s_waitcnt vmcnt(19) lgkmcnt(1)
	v_fma_f64 v[117:118], v[133:134], v[117:118], v[128:129]
	buffer_load_dword v128, off, s[0:3], 0 offset:284
	s_waitcnt vmcnt(18)
	v_fma_f64 v[117:118], v[135:136], v[119:120], v[117:118]
	buffer_load_dword v130, off, s[0:3], 0 offset:292
	buffer_load_dword v131, off, s[0:3], 0 offset:312
	;; [unrolled: 1-line block ×8, first 2 shown]
	s_waitcnt vmcnt(24) lgkmcnt(0)
	v_fma_f64 v[117:118], v[137:138], v[121:122], v[117:118]
	s_waitcnt vmcnt(19)
	v_fma_f64 v[137:138], v[139:140], v[123:124], v[117:118]
	ds_read2_b64 v[117:120], v116 offset0:87 offset1:88
	ds_read2_b64 v[121:124], v116 offset0:89 offset1:90
	s_waitcnt vmcnt(18) lgkmcnt(1)
	v_fma_f64 v[117:118], v[145:146], v[117:118], v[137:138]
	s_waitcnt vmcnt(17)
	v_fma_f64 v[117:118], v[143:144], v[119:120], v[117:118]
	buffer_load_dword v138, off, s[0:3], 0 offset:324
	buffer_load_dword v139, off, s[0:3], 0 offset:344
	;; [unrolled: 1-line block ×7, first 2 shown]
	s_waitcnt vmcnt(23) lgkmcnt(0)
	v_fma_f64 v[117:118], v[141:142], v[121:122], v[117:118]
	s_waitcnt vmcnt(18)
	v_fma_f64 v[125:126], v[125:126], v[123:124], v[117:118]
	ds_read2_b64 v[117:120], v116 offset0:91 offset1:92
	ds_read2_b64 v[121:124], v116 offset0:93 offset1:94
	buffer_load_dword v140, off, s[0:3], 0 offset:348
	s_waitcnt vmcnt(18) lgkmcnt(1)
	v_fma_f64 v[117:118], v[149:150], v[117:118], v[125:126]
	s_waitcnt vmcnt(17)
	v_fma_f64 v[117:118], v[147:148], v[119:120], v[117:118]
	buffer_load_dword v126, off, s[0:3], 0 offset:356
	buffer_load_dword v141, off, s[0:3], 0 offset:376
	;; [unrolled: 1-line block ×8, first 2 shown]
	s_waitcnt vmcnt(24) lgkmcnt(0)
	v_fma_f64 v[117:118], v[127:128], v[121:122], v[117:118]
	s_waitcnt vmcnt(19)
	v_fma_f64 v[127:128], v[129:130], v[123:124], v[117:118]
	ds_read2_b64 v[117:120], v116 offset0:95 offset1:96
	ds_read2_b64 v[121:124], v116 offset0:97 offset1:98
	s_waitcnt vmcnt(18) lgkmcnt(1)
	v_fma_f64 v[117:118], v[135:136], v[117:118], v[127:128]
	s_waitcnt vmcnt(17)
	v_fma_f64 v[117:118], v[133:134], v[119:120], v[117:118]
	buffer_load_dword v128, off, s[0:3], 0 offset:388
	buffer_load_dword v129, off, s[0:3], 0 offset:408
	buffer_load_dword v133, off, s[0:3], 0 offset:400
	buffer_load_dword v135, off, s[0:3], 0 offset:392
	buffer_load_dword v127, off, s[0:3], 0 offset:384
	buffer_load_dword v136, off, s[0:3], 0 offset:396
	buffer_load_dword v134, off, s[0:3], 0 offset:404
	s_waitcnt vmcnt(23) lgkmcnt(0)
	v_fma_f64 v[117:118], v[131:132], v[121:122], v[117:118]
	s_waitcnt vmcnt(18)
	v_fma_f64 v[130:131], v[137:138], v[123:124], v[117:118]
	ds_read2_b64 v[117:120], v116 offset0:99 offset1:100
	ds_read2_b64 v[121:124], v116 offset0:101 offset1:102
	s_waitcnt vmcnt(17) lgkmcnt(1)
	v_fma_f64 v[117:118], v[145:146], v[117:118], v[130:131]
	buffer_load_dword v130, off, s[0:3], 0 offset:412
	s_waitcnt vmcnt(17)
	v_fma_f64 v[117:118], v[143:144], v[119:120], v[117:118]
	buffer_load_dword v132, off, s[0:3], 0 offset:420
	buffer_load_dword v137, off, s[0:3], 0 offset:440
	;; [unrolled: 1-line block ×8, first 2 shown]
	s_waitcnt vmcnt(24) lgkmcnt(0)
	v_fma_f64 v[117:118], v[139:140], v[121:122], v[117:118]
	s_waitcnt vmcnt(19)
	v_fma_f64 v[125:126], v[125:126], v[123:124], v[117:118]
	ds_read2_b64 v[117:120], v116 offset0:103 offset1:104
	ds_read2_b64 v[121:124], v116 offset0:105 offset1:106
	s_waitcnt vmcnt(18) lgkmcnt(1)
	v_fma_f64 v[117:118], v[149:150], v[117:118], v[125:126]
	buffer_load_dword v126, off, s[0:3], 0 offset:452
	buffer_load_dword v125, off, s[0:3], 0 offset:448
	;; [unrolled: 1-line block ×4, first 2 shown]
	s_waitcnt vmcnt(21)
	v_fma_f64 v[117:118], v[147:148], v[119:120], v[117:118]
	s_waitcnt vmcnt(20) lgkmcnt(0)
	v_fma_f64 v[117:118], v[141:142], v[121:122], v[117:118]
	s_waitcnt vmcnt(15)
	v_fma_f64 v[127:128], v[127:128], v[123:124], v[117:118]
	ds_read2_b64 v[117:120], v116 offset0:107 offset1:108
	ds_read2_b64 v[121:124], v116 offset0:109 offset1:110
	s_waitcnt vmcnt(14) lgkmcnt(1)
	v_fma_f64 v[117:118], v[135:136], v[117:118], v[127:128]
	s_waitcnt vmcnt(13)
	v_fma_f64 v[117:118], v[133:134], v[119:120], v[117:118]
	s_waitcnt vmcnt(12) lgkmcnt(0)
	v_fma_f64 v[117:118], v[129:130], v[121:122], v[117:118]
	s_waitcnt vmcnt(7)
	v_fma_f64 v[127:128], v[131:132], v[123:124], v[117:118]
	ds_read2_b64 v[117:120], v116 offset0:111 offset1:112
	ds_read2_b64 v[121:124], v116 offset0:113 offset1:114
	s_waitcnt vmcnt(6) lgkmcnt(1)
	v_fma_f64 v[116:117], v[145:146], v[117:118], v[127:128]
	s_waitcnt vmcnt(5)
	v_fma_f64 v[116:117], v[143:144], v[119:120], v[116:117]
	s_waitcnt vmcnt(4) lgkmcnt(0)
	v_fma_f64 v[116:117], v[137:138], v[121:122], v[116:117]
	s_waitcnt vmcnt(2)
	v_fma_f64 v[116:117], v[125:126], v[123:124], v[116:117]
	s_waitcnt vmcnt(0)
	v_add_f64 v[116:117], v[139:140], -v[116:117]
	buffer_store_dword v117, off, s[0:3], 0 offset:164
	buffer_store_dword v116, off, s[0:3], 0 offset:160
	s_and_saveexec_b64 s[4:5], vcc
	s_cbranch_execz .LBB56_311
; %bb.310:
	buffer_load_dword v116, off, s[0:3], 0 offset:152
	buffer_load_dword v117, off, s[0:3], 0 offset:156
	v_mov_b32_e32 v118, 0
	buffer_store_dword v118, off, s[0:3], 0 offset:152
	buffer_store_dword v118, off, s[0:3], 0 offset:156
	s_waitcnt vmcnt(2)
	ds_write_b64 v115, v[116:117]
.LBB56_311:
	s_or_b64 exec, exec, s[4:5]
	s_waitcnt lgkmcnt(0)
	; wave barrier
	buffer_load_dword v125, off, s[0:3], 0 offset:160
	buffer_load_dword v126, off, s[0:3], 0 offset:164
	;; [unrolled: 1-line block ×21, first 2 shown]
	v_mov_b32_e32 v116, 0
	ds_read_b128 v[117:120], v116 offset:624
	ds_read_b128 v[121:124], v116 offset:640
	buffer_load_dword v142, off, s[0:3], 0 offset:244
	v_cmp_lt_u32_e32 vcc, 18, v0
	s_waitcnt vmcnt(20) lgkmcnt(1)
	v_fma_f64 v[117:118], v[125:126], v[117:118], 0
	s_waitcnt vmcnt(18)
	v_fma_f64 v[117:118], v[127:128], v[119:120], v[117:118]
	buffer_load_dword v126, off, s[0:3], 0 offset:252
	buffer_load_dword v127, off, s[0:3], 0 offset:272
	;; [unrolled: 1-line block ×7, first 2 shown]
	s_waitcnt vmcnt(23) lgkmcnt(0)
	v_fma_f64 v[117:118], v[129:130], v[121:122], v[117:118]
	s_waitcnt vmcnt(21)
	v_fma_f64 v[128:129], v[131:132], v[123:124], v[117:118]
	ds_read_b128 v[117:120], v116 offset:656
	ds_read_b128 v[121:124], v116 offset:672
	s_waitcnt vmcnt(19) lgkmcnt(1)
	v_fma_f64 v[117:118], v[133:134], v[117:118], v[128:129]
	buffer_load_dword v128, off, s[0:3], 0 offset:276
	s_waitcnt vmcnt(18)
	v_fma_f64 v[117:118], v[135:136], v[119:120], v[117:118]
	buffer_load_dword v130, off, s[0:3], 0 offset:284
	buffer_load_dword v131, off, s[0:3], 0 offset:304
	;; [unrolled: 1-line block ×8, first 2 shown]
	s_waitcnt vmcnt(24) lgkmcnt(0)
	v_fma_f64 v[117:118], v[137:138], v[121:122], v[117:118]
	s_waitcnt vmcnt(19)
	v_fma_f64 v[137:138], v[139:140], v[123:124], v[117:118]
	ds_read_b128 v[117:120], v116 offset:688
	ds_read_b128 v[121:124], v116 offset:704
	s_waitcnt vmcnt(18) lgkmcnt(1)
	v_fma_f64 v[117:118], v[145:146], v[117:118], v[137:138]
	s_waitcnt vmcnt(17)
	v_fma_f64 v[117:118], v[143:144], v[119:120], v[117:118]
	buffer_load_dword v138, off, s[0:3], 0 offset:316
	buffer_load_dword v139, off, s[0:3], 0 offset:336
	;; [unrolled: 1-line block ×7, first 2 shown]
	s_waitcnt vmcnt(23) lgkmcnt(0)
	v_fma_f64 v[117:118], v[141:142], v[121:122], v[117:118]
	s_waitcnt vmcnt(18)
	v_fma_f64 v[125:126], v[125:126], v[123:124], v[117:118]
	ds_read_b128 v[117:120], v116 offset:720
	ds_read_b128 v[121:124], v116 offset:736
	buffer_load_dword v140, off, s[0:3], 0 offset:340
	s_waitcnt vmcnt(18) lgkmcnt(1)
	v_fma_f64 v[117:118], v[149:150], v[117:118], v[125:126]
	s_waitcnt vmcnt(17)
	v_fma_f64 v[117:118], v[147:148], v[119:120], v[117:118]
	buffer_load_dword v126, off, s[0:3], 0 offset:348
	buffer_load_dword v141, off, s[0:3], 0 offset:368
	;; [unrolled: 1-line block ×7, first 2 shown]
	s_waitcnt vmcnt(23) lgkmcnt(0)
	v_fma_f64 v[117:118], v[127:128], v[121:122], v[117:118]
	s_waitcnt vmcnt(18)
	v_fma_f64 v[127:128], v[129:130], v[123:124], v[117:118]
	ds_read_b128 v[117:120], v116 offset:752
	ds_read_b128 v[121:124], v116 offset:768
	buffer_load_dword v142, off, s[0:3], 0 offset:372
	s_waitcnt vmcnt(18) lgkmcnt(1)
	v_fma_f64 v[117:118], v[135:136], v[117:118], v[127:128]
	s_waitcnt vmcnt(17)
	v_fma_f64 v[117:118], v[133:134], v[119:120], v[117:118]
	buffer_load_dword v128, off, s[0:3], 0 offset:380
	buffer_load_dword v129, off, s[0:3], 0 offset:400
	;; [unrolled: 1-line block ×7, first 2 shown]
	s_waitcnt vmcnt(23) lgkmcnt(0)
	v_fma_f64 v[117:118], v[131:132], v[121:122], v[117:118]
	s_waitcnt vmcnt(18)
	v_fma_f64 v[130:131], v[137:138], v[123:124], v[117:118]
	ds_read_b128 v[117:120], v116 offset:784
	ds_read_b128 v[121:124], v116 offset:800
	s_waitcnt vmcnt(17) lgkmcnt(1)
	v_fma_f64 v[117:118], v[145:146], v[117:118], v[130:131]
	buffer_load_dword v130, off, s[0:3], 0 offset:404
	s_waitcnt vmcnt(17)
	v_fma_f64 v[117:118], v[143:144], v[119:120], v[117:118]
	buffer_load_dword v132, off, s[0:3], 0 offset:412
	buffer_load_dword v137, off, s[0:3], 0 offset:432
	;; [unrolled: 1-line block ×7, first 2 shown]
	s_waitcnt vmcnt(23) lgkmcnt(0)
	v_fma_f64 v[117:118], v[139:140], v[121:122], v[117:118]
	s_waitcnt vmcnt(18)
	v_fma_f64 v[125:126], v[125:126], v[123:124], v[117:118]
	ds_read_b128 v[117:120], v116 offset:816
	ds_read_b128 v[121:124], v116 offset:832
	buffer_load_dword v138, off, s[0:3], 0 offset:436
	s_waitcnt vmcnt(18) lgkmcnt(1)
	v_fma_f64 v[117:118], v[149:150], v[117:118], v[125:126]
	buffer_load_dword v126, off, s[0:3], 0 offset:444
	buffer_load_dword v139, off, s[0:3], 0 offset:448
	;; [unrolled: 1-line block ×4, first 2 shown]
	s_waitcnt vmcnt(21)
	v_fma_f64 v[117:118], v[147:148], v[119:120], v[117:118]
	s_waitcnt vmcnt(20) lgkmcnt(0)
	v_fma_f64 v[117:118], v[141:142], v[121:122], v[117:118]
	buffer_load_dword v141, off, s[0:3], 0 offset:152
	buffer_load_dword v142, off, s[0:3], 0 offset:156
	s_waitcnt vmcnt(17)
	v_fma_f64 v[127:128], v[127:128], v[123:124], v[117:118]
	ds_read_b128 v[117:120], v116 offset:848
	ds_read_b128 v[121:124], v116 offset:864
	s_waitcnt vmcnt(16) lgkmcnt(1)
	v_fma_f64 v[117:118], v[135:136], v[117:118], v[127:128]
	s_waitcnt vmcnt(15)
	v_fma_f64 v[117:118], v[133:134], v[119:120], v[117:118]
	s_waitcnt vmcnt(14) lgkmcnt(0)
	v_fma_f64 v[117:118], v[129:130], v[121:122], v[117:118]
	s_waitcnt vmcnt(9)
	v_fma_f64 v[127:128], v[131:132], v[123:124], v[117:118]
	ds_read_b128 v[117:120], v116 offset:880
	ds_read_b128 v[121:124], v116 offset:896
	s_waitcnt vmcnt(8) lgkmcnt(1)
	v_fma_f64 v[117:118], v[145:146], v[117:118], v[127:128]
	s_waitcnt vmcnt(7)
	v_fma_f64 v[117:118], v[143:144], v[119:120], v[117:118]
	ds_read_b64 v[119:120], v116 offset:912
	s_waitcnt vmcnt(6) lgkmcnt(1)
	v_fma_f64 v[117:118], v[137:138], v[121:122], v[117:118]
	s_waitcnt vmcnt(3)
	v_fma_f64 v[117:118], v[125:126], v[123:124], v[117:118]
	s_waitcnt vmcnt(2) lgkmcnt(0)
	v_fma_f64 v[117:118], v[139:140], v[119:120], v[117:118]
	s_waitcnt vmcnt(0)
	v_add_f64 v[117:118], v[141:142], -v[117:118]
	buffer_store_dword v118, off, s[0:3], 0 offset:156
	buffer_store_dword v117, off, s[0:3], 0 offset:152
	s_and_saveexec_b64 s[4:5], vcc
	s_cbranch_execz .LBB56_313
; %bb.312:
	buffer_load_dword v117, off, s[0:3], 0 offset:144
	buffer_load_dword v118, off, s[0:3], 0 offset:148
	s_waitcnt vmcnt(0)
	ds_write_b64 v115, v[117:118]
	buffer_store_dword v116, off, s[0:3], 0 offset:144
	buffer_store_dword v116, off, s[0:3], 0 offset:148
.LBB56_313:
	s_or_b64 exec, exec, s[4:5]
	s_waitcnt lgkmcnt(0)
	; wave barrier
	buffer_load_dword v125, off, s[0:3], 0 offset:152
	buffer_load_dword v126, off, s[0:3], 0 offset:156
	;; [unrolled: 1-line block ×22, first 2 shown]
	ds_read2_b64 v[117:120], v116 offset0:77 offset1:78
	ds_read2_b64 v[121:124], v116 offset0:79 offset1:80
	v_cmp_lt_u32_e32 vcc, 17, v0
	s_waitcnt vmcnt(20) lgkmcnt(1)
	v_fma_f64 v[117:118], v[125:126], v[117:118], 0
	s_waitcnt vmcnt(18)
	v_fma_f64 v[117:118], v[127:128], v[119:120], v[117:118]
	buffer_load_dword v126, off, s[0:3], 0 offset:244
	buffer_load_dword v127, off, s[0:3], 0 offset:264
	buffer_load_dword v147, off, s[0:3], 0 offset:256
	buffer_load_dword v149, off, s[0:3], 0 offset:248
	buffer_load_dword v125, off, s[0:3], 0 offset:240
	buffer_load_dword v150, off, s[0:3], 0 offset:252
	buffer_load_dword v148, off, s[0:3], 0 offset:260
	s_waitcnt vmcnt(23) lgkmcnt(0)
	v_fma_f64 v[117:118], v[129:130], v[121:122], v[117:118]
	s_waitcnt vmcnt(21)
	v_fma_f64 v[128:129], v[131:132], v[123:124], v[117:118]
	ds_read2_b64 v[117:120], v116 offset0:81 offset1:82
	ds_read2_b64 v[121:124], v116 offset0:83 offset1:84
	s_waitcnt vmcnt(19) lgkmcnt(1)
	v_fma_f64 v[117:118], v[133:134], v[117:118], v[128:129]
	buffer_load_dword v128, off, s[0:3], 0 offset:268
	s_waitcnt vmcnt(18)
	v_fma_f64 v[117:118], v[135:136], v[119:120], v[117:118]
	buffer_load_dword v130, off, s[0:3], 0 offset:276
	buffer_load_dword v131, off, s[0:3], 0 offset:296
	;; [unrolled: 1-line block ×8, first 2 shown]
	s_waitcnt vmcnt(24) lgkmcnt(0)
	v_fma_f64 v[117:118], v[137:138], v[121:122], v[117:118]
	s_waitcnt vmcnt(19)
	v_fma_f64 v[137:138], v[139:140], v[123:124], v[117:118]
	ds_read2_b64 v[117:120], v116 offset0:85 offset1:86
	ds_read2_b64 v[121:124], v116 offset0:87 offset1:88
	s_waitcnt vmcnt(18) lgkmcnt(1)
	v_fma_f64 v[117:118], v[145:146], v[117:118], v[137:138]
	s_waitcnt vmcnt(17)
	v_fma_f64 v[117:118], v[143:144], v[119:120], v[117:118]
	buffer_load_dword v138, off, s[0:3], 0 offset:308
	buffer_load_dword v139, off, s[0:3], 0 offset:328
	;; [unrolled: 1-line block ×8, first 2 shown]
	s_waitcnt vmcnt(24) lgkmcnt(0)
	v_fma_f64 v[117:118], v[141:142], v[121:122], v[117:118]
	s_waitcnt vmcnt(19)
	v_fma_f64 v[125:126], v[125:126], v[123:124], v[117:118]
	ds_read2_b64 v[117:120], v116 offset0:89 offset1:90
	ds_read2_b64 v[121:124], v116 offset0:91 offset1:92
	s_waitcnt vmcnt(18) lgkmcnt(1)
	v_fma_f64 v[117:118], v[149:150], v[117:118], v[125:126]
	s_waitcnt vmcnt(17)
	v_fma_f64 v[117:118], v[147:148], v[119:120], v[117:118]
	buffer_load_dword v126, off, s[0:3], 0 offset:340
	buffer_load_dword v141, off, s[0:3], 0 offset:360
	;; [unrolled: 1-line block ×7, first 2 shown]
	s_waitcnt vmcnt(23) lgkmcnt(0)
	v_fma_f64 v[117:118], v[127:128], v[121:122], v[117:118]
	s_waitcnt vmcnt(18)
	v_fma_f64 v[127:128], v[129:130], v[123:124], v[117:118]
	ds_read2_b64 v[117:120], v116 offset0:93 offset1:94
	ds_read2_b64 v[121:124], v116 offset0:95 offset1:96
	buffer_load_dword v142, off, s[0:3], 0 offset:364
	s_waitcnt vmcnt(18) lgkmcnt(1)
	v_fma_f64 v[117:118], v[135:136], v[117:118], v[127:128]
	s_waitcnt vmcnt(17)
	v_fma_f64 v[117:118], v[133:134], v[119:120], v[117:118]
	buffer_load_dword v128, off, s[0:3], 0 offset:372
	buffer_load_dword v129, off, s[0:3], 0 offset:392
	;; [unrolled: 1-line block ×7, first 2 shown]
	s_waitcnt vmcnt(23) lgkmcnt(0)
	v_fma_f64 v[117:118], v[131:132], v[121:122], v[117:118]
	s_waitcnt vmcnt(18)
	v_fma_f64 v[130:131], v[137:138], v[123:124], v[117:118]
	ds_read2_b64 v[117:120], v116 offset0:97 offset1:98
	ds_read2_b64 v[121:124], v116 offset0:99 offset1:100
	s_waitcnt vmcnt(17) lgkmcnt(1)
	v_fma_f64 v[117:118], v[145:146], v[117:118], v[130:131]
	buffer_load_dword v130, off, s[0:3], 0 offset:396
	s_waitcnt vmcnt(17)
	v_fma_f64 v[117:118], v[143:144], v[119:120], v[117:118]
	buffer_load_dword v132, off, s[0:3], 0 offset:404
	buffer_load_dword v137, off, s[0:3], 0 offset:424
	;; [unrolled: 1-line block ×8, first 2 shown]
	s_waitcnt vmcnt(24) lgkmcnt(0)
	v_fma_f64 v[117:118], v[139:140], v[121:122], v[117:118]
	s_waitcnt vmcnt(19)
	v_fma_f64 v[125:126], v[125:126], v[123:124], v[117:118]
	ds_read2_b64 v[117:120], v116 offset0:101 offset1:102
	ds_read2_b64 v[121:124], v116 offset0:103 offset1:104
	s_waitcnt vmcnt(18) lgkmcnt(1)
	v_fma_f64 v[117:118], v[149:150], v[117:118], v[125:126]
	s_waitcnt vmcnt(17)
	v_fma_f64 v[117:118], v[147:148], v[119:120], v[117:118]
	buffer_load_dword v126, off, s[0:3], 0 offset:436
	buffer_load_dword v139, off, s[0:3], 0 offset:448
	;; [unrolled: 1-line block ×6, first 2 shown]
	s_waitcnt vmcnt(22) lgkmcnt(0)
	v_fma_f64 v[117:118], v[141:142], v[121:122], v[117:118]
	s_waitcnt vmcnt(17)
	v_fma_f64 v[127:128], v[127:128], v[123:124], v[117:118]
	ds_read2_b64 v[117:120], v116 offset0:105 offset1:106
	buffer_load_dword v141, off, s[0:3], 0 offset:144
	buffer_load_dword v142, off, s[0:3], 0 offset:148
	ds_read2_b64 v[121:124], v116 offset0:107 offset1:108
	s_waitcnt vmcnt(18) lgkmcnt(1)
	v_fma_f64 v[117:118], v[135:136], v[117:118], v[127:128]
	s_waitcnt vmcnt(17)
	v_fma_f64 v[117:118], v[133:134], v[119:120], v[117:118]
	s_waitcnt vmcnt(16) lgkmcnt(0)
	v_fma_f64 v[117:118], v[129:130], v[121:122], v[117:118]
	s_waitcnt vmcnt(11)
	v_fma_f64 v[127:128], v[131:132], v[123:124], v[117:118]
	ds_read2_b64 v[117:120], v116 offset0:109 offset1:110
	ds_read2_b64 v[121:124], v116 offset0:111 offset1:112
	s_waitcnt vmcnt(10) lgkmcnt(1)
	v_fma_f64 v[117:118], v[145:146], v[117:118], v[127:128]
	s_waitcnt vmcnt(9)
	v_fma_f64 v[117:118], v[143:144], v[119:120], v[117:118]
	s_waitcnt vmcnt(8) lgkmcnt(0)
	v_fma_f64 v[117:118], v[137:138], v[121:122], v[117:118]
	s_waitcnt vmcnt(4)
	v_fma_f64 v[120:121], v[125:126], v[123:124], v[117:118]
	ds_read2_b64 v[116:119], v116 offset0:113 offset1:114
	s_waitcnt vmcnt(3) lgkmcnt(0)
	v_fma_f64 v[116:117], v[147:148], v[116:117], v[120:121]
	s_waitcnt vmcnt(2)
	v_fma_f64 v[116:117], v[139:140], v[118:119], v[116:117]
	s_waitcnt vmcnt(0)
	v_add_f64 v[116:117], v[141:142], -v[116:117]
	buffer_store_dword v117, off, s[0:3], 0 offset:148
	buffer_store_dword v116, off, s[0:3], 0 offset:144
	s_and_saveexec_b64 s[4:5], vcc
	s_cbranch_execz .LBB56_315
; %bb.314:
	buffer_load_dword v116, off, s[0:3], 0 offset:136
	buffer_load_dword v117, off, s[0:3], 0 offset:140
	v_mov_b32_e32 v118, 0
	buffer_store_dword v118, off, s[0:3], 0 offset:136
	buffer_store_dword v118, off, s[0:3], 0 offset:140
	s_waitcnt vmcnt(2)
	ds_write_b64 v115, v[116:117]
.LBB56_315:
	s_or_b64 exec, exec, s[4:5]
	s_waitcnt lgkmcnt(0)
	; wave barrier
	buffer_load_dword v125, off, s[0:3], 0 offset:144
	buffer_load_dword v126, off, s[0:3], 0 offset:148
	;; [unrolled: 1-line block ×22, first 2 shown]
	v_mov_b32_e32 v116, 0
	ds_read_b128 v[117:120], v116 offset:608
	ds_read_b128 v[121:124], v116 offset:624
	v_cmp_lt_u32_e32 vcc, 16, v0
	s_waitcnt vmcnt(20) lgkmcnt(1)
	v_fma_f64 v[117:118], v[125:126], v[117:118], 0
	s_waitcnt vmcnt(18)
	v_fma_f64 v[117:118], v[127:128], v[119:120], v[117:118]
	buffer_load_dword v126, off, s[0:3], 0 offset:236
	buffer_load_dword v127, off, s[0:3], 0 offset:256
	;; [unrolled: 1-line block ×7, first 2 shown]
	s_waitcnt vmcnt(23) lgkmcnt(0)
	v_fma_f64 v[117:118], v[129:130], v[121:122], v[117:118]
	s_waitcnt vmcnt(21)
	v_fma_f64 v[128:129], v[131:132], v[123:124], v[117:118]
	ds_read_b128 v[117:120], v116 offset:640
	ds_read_b128 v[121:124], v116 offset:656
	s_waitcnt vmcnt(19) lgkmcnt(1)
	v_fma_f64 v[117:118], v[133:134], v[117:118], v[128:129]
	buffer_load_dword v128, off, s[0:3], 0 offset:260
	s_waitcnt vmcnt(18)
	v_fma_f64 v[117:118], v[135:136], v[119:120], v[117:118]
	buffer_load_dword v130, off, s[0:3], 0 offset:268
	buffer_load_dword v131, off, s[0:3], 0 offset:288
	;; [unrolled: 1-line block ×8, first 2 shown]
	s_waitcnt vmcnt(24) lgkmcnt(0)
	v_fma_f64 v[117:118], v[137:138], v[121:122], v[117:118]
	s_waitcnt vmcnt(19)
	v_fma_f64 v[137:138], v[139:140], v[123:124], v[117:118]
	ds_read_b128 v[117:120], v116 offset:672
	ds_read_b128 v[121:124], v116 offset:688
	s_waitcnt vmcnt(18) lgkmcnt(1)
	v_fma_f64 v[117:118], v[145:146], v[117:118], v[137:138]
	s_waitcnt vmcnt(17)
	v_fma_f64 v[117:118], v[143:144], v[119:120], v[117:118]
	buffer_load_dword v138, off, s[0:3], 0 offset:300
	buffer_load_dword v139, off, s[0:3], 0 offset:320
	;; [unrolled: 1-line block ×8, first 2 shown]
	s_waitcnt vmcnt(24) lgkmcnt(0)
	v_fma_f64 v[117:118], v[141:142], v[121:122], v[117:118]
	s_waitcnt vmcnt(19)
	v_fma_f64 v[125:126], v[125:126], v[123:124], v[117:118]
	ds_read_b128 v[117:120], v116 offset:704
	ds_read_b128 v[121:124], v116 offset:720
	s_waitcnt vmcnt(18) lgkmcnt(1)
	v_fma_f64 v[117:118], v[149:150], v[117:118], v[125:126]
	s_waitcnt vmcnt(17)
	v_fma_f64 v[117:118], v[147:148], v[119:120], v[117:118]
	buffer_load_dword v126, off, s[0:3], 0 offset:332
	buffer_load_dword v141, off, s[0:3], 0 offset:352
	;; [unrolled: 1-line block ×7, first 2 shown]
	s_waitcnt vmcnt(23) lgkmcnt(0)
	v_fma_f64 v[117:118], v[127:128], v[121:122], v[117:118]
	s_waitcnt vmcnt(18)
	v_fma_f64 v[127:128], v[129:130], v[123:124], v[117:118]
	ds_read_b128 v[117:120], v116 offset:736
	ds_read_b128 v[121:124], v116 offset:752
	buffer_load_dword v142, off, s[0:3], 0 offset:356
	s_waitcnt vmcnt(18) lgkmcnt(1)
	v_fma_f64 v[117:118], v[135:136], v[117:118], v[127:128]
	s_waitcnt vmcnt(17)
	v_fma_f64 v[117:118], v[133:134], v[119:120], v[117:118]
	buffer_load_dword v128, off, s[0:3], 0 offset:364
	buffer_load_dword v129, off, s[0:3], 0 offset:384
	;; [unrolled: 1-line block ×7, first 2 shown]
	s_waitcnt vmcnt(23) lgkmcnt(0)
	v_fma_f64 v[117:118], v[131:132], v[121:122], v[117:118]
	s_waitcnt vmcnt(18)
	v_fma_f64 v[130:131], v[137:138], v[123:124], v[117:118]
	ds_read_b128 v[117:120], v116 offset:768
	ds_read_b128 v[121:124], v116 offset:784
	s_waitcnt vmcnt(17) lgkmcnt(1)
	v_fma_f64 v[117:118], v[145:146], v[117:118], v[130:131]
	buffer_load_dword v130, off, s[0:3], 0 offset:388
	s_waitcnt vmcnt(17)
	v_fma_f64 v[117:118], v[143:144], v[119:120], v[117:118]
	buffer_load_dword v132, off, s[0:3], 0 offset:396
	buffer_load_dword v137, off, s[0:3], 0 offset:416
	;; [unrolled: 1-line block ×8, first 2 shown]
	s_waitcnt vmcnt(24) lgkmcnt(0)
	v_fma_f64 v[117:118], v[139:140], v[121:122], v[117:118]
	s_waitcnt vmcnt(19)
	v_fma_f64 v[125:126], v[125:126], v[123:124], v[117:118]
	ds_read_b128 v[117:120], v116 offset:800
	ds_read_b128 v[121:124], v116 offset:816
	s_waitcnt vmcnt(18) lgkmcnt(1)
	v_fma_f64 v[117:118], v[149:150], v[117:118], v[125:126]
	s_waitcnt vmcnt(17)
	v_fma_f64 v[117:118], v[147:148], v[119:120], v[117:118]
	buffer_load_dword v126, off, s[0:3], 0 offset:428
	buffer_load_dword v139, off, s[0:3], 0 offset:448
	buffer_load_dword v147, off, s[0:3], 0 offset:440
	buffer_load_dword v149, off, s[0:3], 0 offset:432
	buffer_load_dword v125, off, s[0:3], 0 offset:424
	buffer_load_dword v150, off, s[0:3], 0 offset:436
	buffer_load_dword v148, off, s[0:3], 0 offset:444
	buffer_load_dword v140, off, s[0:3], 0 offset:452
	s_waitcnt vmcnt(24) lgkmcnt(0)
	v_fma_f64 v[117:118], v[141:142], v[121:122], v[117:118]
	s_waitcnt vmcnt(19)
	v_fma_f64 v[127:128], v[127:128], v[123:124], v[117:118]
	ds_read_b128 v[117:120], v116 offset:832
	ds_read_b128 v[121:124], v116 offset:848
	s_waitcnt vmcnt(18) lgkmcnt(1)
	v_fma_f64 v[117:118], v[135:136], v[117:118], v[127:128]
	buffer_load_dword v127, off, s[0:3], 0 offset:136
	buffer_load_dword v128, off, s[0:3], 0 offset:140
	s_waitcnt vmcnt(19)
	v_fma_f64 v[117:118], v[133:134], v[119:120], v[117:118]
	s_waitcnt vmcnt(18) lgkmcnt(0)
	v_fma_f64 v[117:118], v[129:130], v[121:122], v[117:118]
	s_waitcnt vmcnt(13)
	v_fma_f64 v[129:130], v[131:132], v[123:124], v[117:118]
	ds_read_b128 v[117:120], v116 offset:864
	ds_read_b128 v[121:124], v116 offset:880
	s_waitcnt vmcnt(12) lgkmcnt(1)
	v_fma_f64 v[117:118], v[145:146], v[117:118], v[129:130]
	s_waitcnt vmcnt(11)
	v_fma_f64 v[117:118], v[143:144], v[119:120], v[117:118]
	s_waitcnt vmcnt(10) lgkmcnt(0)
	v_fma_f64 v[117:118], v[137:138], v[121:122], v[117:118]
	s_waitcnt vmcnt(5)
	v_fma_f64 v[121:122], v[125:126], v[123:124], v[117:118]
	ds_read_b128 v[117:120], v116 offset:896
	ds_read_b64 v[123:124], v116 offset:912
	s_waitcnt vmcnt(4) lgkmcnt(1)
	v_fma_f64 v[117:118], v[149:150], v[117:118], v[121:122]
	s_waitcnt vmcnt(3)
	v_fma_f64 v[117:118], v[147:148], v[119:120], v[117:118]
	s_waitcnt vmcnt(2) lgkmcnt(0)
	v_fma_f64 v[117:118], v[139:140], v[123:124], v[117:118]
	s_waitcnt vmcnt(0)
	v_add_f64 v[117:118], v[127:128], -v[117:118]
	buffer_store_dword v118, off, s[0:3], 0 offset:140
	buffer_store_dword v117, off, s[0:3], 0 offset:136
	s_and_saveexec_b64 s[4:5], vcc
	s_cbranch_execz .LBB56_317
; %bb.316:
	buffer_load_dword v117, off, s[0:3], 0 offset:128
	buffer_load_dword v118, off, s[0:3], 0 offset:132
	s_waitcnt vmcnt(0)
	ds_write_b64 v115, v[117:118]
	buffer_store_dword v116, off, s[0:3], 0 offset:128
	buffer_store_dword v116, off, s[0:3], 0 offset:132
.LBB56_317:
	s_or_b64 exec, exec, s[4:5]
	s_waitcnt lgkmcnt(0)
	; wave barrier
	buffer_load_dword v125, off, s[0:3], 0 offset:136
	buffer_load_dword v126, off, s[0:3], 0 offset:140
	;; [unrolled: 1-line block ×22, first 2 shown]
	ds_read2_b64 v[117:120], v116 offset0:75 offset1:76
	ds_read2_b64 v[121:124], v116 offset0:77 offset1:78
	v_cmp_lt_u32_e32 vcc, 15, v0
	s_waitcnt vmcnt(20) lgkmcnt(1)
	v_fma_f64 v[117:118], v[125:126], v[117:118], 0
	s_waitcnt vmcnt(18)
	v_fma_f64 v[117:118], v[127:128], v[119:120], v[117:118]
	buffer_load_dword v126, off, s[0:3], 0 offset:228
	buffer_load_dword v127, off, s[0:3], 0 offset:248
	;; [unrolled: 1-line block ×7, first 2 shown]
	s_waitcnt vmcnt(23) lgkmcnt(0)
	v_fma_f64 v[117:118], v[129:130], v[121:122], v[117:118]
	s_waitcnt vmcnt(21)
	v_fma_f64 v[128:129], v[131:132], v[123:124], v[117:118]
	ds_read2_b64 v[117:120], v116 offset0:79 offset1:80
	ds_read2_b64 v[121:124], v116 offset0:81 offset1:82
	s_waitcnt vmcnt(19) lgkmcnt(1)
	v_fma_f64 v[117:118], v[133:134], v[117:118], v[128:129]
	buffer_load_dword v128, off, s[0:3], 0 offset:252
	s_waitcnt vmcnt(18)
	v_fma_f64 v[117:118], v[135:136], v[119:120], v[117:118]
	buffer_load_dword v130, off, s[0:3], 0 offset:260
	buffer_load_dword v131, off, s[0:3], 0 offset:280
	;; [unrolled: 1-line block ×8, first 2 shown]
	s_waitcnt vmcnt(24) lgkmcnt(0)
	v_fma_f64 v[117:118], v[137:138], v[121:122], v[117:118]
	s_waitcnt vmcnt(19)
	v_fma_f64 v[137:138], v[139:140], v[123:124], v[117:118]
	ds_read2_b64 v[117:120], v116 offset0:83 offset1:84
	ds_read2_b64 v[121:124], v116 offset0:85 offset1:86
	s_waitcnt vmcnt(18) lgkmcnt(1)
	v_fma_f64 v[117:118], v[145:146], v[117:118], v[137:138]
	s_waitcnt vmcnt(17)
	v_fma_f64 v[117:118], v[143:144], v[119:120], v[117:118]
	buffer_load_dword v138, off, s[0:3], 0 offset:292
	buffer_load_dword v139, off, s[0:3], 0 offset:312
	;; [unrolled: 1-line block ×8, first 2 shown]
	s_waitcnt vmcnt(24) lgkmcnt(0)
	v_fma_f64 v[117:118], v[141:142], v[121:122], v[117:118]
	s_waitcnt vmcnt(19)
	v_fma_f64 v[125:126], v[125:126], v[123:124], v[117:118]
	ds_read2_b64 v[117:120], v116 offset0:87 offset1:88
	ds_read2_b64 v[121:124], v116 offset0:89 offset1:90
	s_waitcnt vmcnt(18) lgkmcnt(1)
	v_fma_f64 v[117:118], v[149:150], v[117:118], v[125:126]
	s_waitcnt vmcnt(17)
	v_fma_f64 v[117:118], v[147:148], v[119:120], v[117:118]
	buffer_load_dword v126, off, s[0:3], 0 offset:324
	buffer_load_dword v141, off, s[0:3], 0 offset:344
	;; [unrolled: 1-line block ×7, first 2 shown]
	s_waitcnt vmcnt(23) lgkmcnt(0)
	v_fma_f64 v[117:118], v[127:128], v[121:122], v[117:118]
	s_waitcnt vmcnt(18)
	v_fma_f64 v[127:128], v[129:130], v[123:124], v[117:118]
	ds_read2_b64 v[117:120], v116 offset0:91 offset1:92
	ds_read2_b64 v[121:124], v116 offset0:93 offset1:94
	buffer_load_dword v142, off, s[0:3], 0 offset:348
	s_waitcnt vmcnt(18) lgkmcnt(1)
	v_fma_f64 v[117:118], v[135:136], v[117:118], v[127:128]
	s_waitcnt vmcnt(17)
	v_fma_f64 v[117:118], v[133:134], v[119:120], v[117:118]
	buffer_load_dword v128, off, s[0:3], 0 offset:356
	buffer_load_dword v129, off, s[0:3], 0 offset:376
	buffer_load_dword v133, off, s[0:3], 0 offset:368
	buffer_load_dword v135, off, s[0:3], 0 offset:360
	buffer_load_dword v127, off, s[0:3], 0 offset:352
	buffer_load_dword v136, off, s[0:3], 0 offset:364
	buffer_load_dword v134, off, s[0:3], 0 offset:372
	s_waitcnt vmcnt(23) lgkmcnt(0)
	v_fma_f64 v[117:118], v[131:132], v[121:122], v[117:118]
	s_waitcnt vmcnt(18)
	v_fma_f64 v[130:131], v[137:138], v[123:124], v[117:118]
	ds_read2_b64 v[117:120], v116 offset0:95 offset1:96
	ds_read2_b64 v[121:124], v116 offset0:97 offset1:98
	s_waitcnt vmcnt(17) lgkmcnt(1)
	v_fma_f64 v[117:118], v[145:146], v[117:118], v[130:131]
	buffer_load_dword v130, off, s[0:3], 0 offset:380
	s_waitcnt vmcnt(17)
	v_fma_f64 v[117:118], v[143:144], v[119:120], v[117:118]
	buffer_load_dword v132, off, s[0:3], 0 offset:388
	buffer_load_dword v137, off, s[0:3], 0 offset:408
	;; [unrolled: 1-line block ×8, first 2 shown]
	s_waitcnt vmcnt(24) lgkmcnt(0)
	v_fma_f64 v[117:118], v[139:140], v[121:122], v[117:118]
	s_waitcnt vmcnt(19)
	v_fma_f64 v[125:126], v[125:126], v[123:124], v[117:118]
	ds_read2_b64 v[117:120], v116 offset0:99 offset1:100
	ds_read2_b64 v[121:124], v116 offset0:101 offset1:102
	s_waitcnt vmcnt(18) lgkmcnt(1)
	v_fma_f64 v[117:118], v[149:150], v[117:118], v[125:126]
	s_waitcnt vmcnt(17)
	v_fma_f64 v[117:118], v[147:148], v[119:120], v[117:118]
	buffer_load_dword v126, off, s[0:3], 0 offset:420
	buffer_load_dword v139, off, s[0:3], 0 offset:440
	buffer_load_dword v147, off, s[0:3], 0 offset:432
	buffer_load_dword v149, off, s[0:3], 0 offset:424
	buffer_load_dword v125, off, s[0:3], 0 offset:416
	buffer_load_dword v150, off, s[0:3], 0 offset:428
	buffer_load_dword v148, off, s[0:3], 0 offset:436
	buffer_load_dword v140, off, s[0:3], 0 offset:444
	s_waitcnt vmcnt(24) lgkmcnt(0)
	v_fma_f64 v[117:118], v[141:142], v[121:122], v[117:118]
	s_waitcnt vmcnt(19)
	v_fma_f64 v[127:128], v[127:128], v[123:124], v[117:118]
	ds_read2_b64 v[117:120], v116 offset0:103 offset1:104
	ds_read2_b64 v[121:124], v116 offset0:105 offset1:106
	s_waitcnt vmcnt(18) lgkmcnt(1)
	v_fma_f64 v[117:118], v[135:136], v[117:118], v[127:128]
	buffer_load_dword v128, off, s[0:3], 0 offset:452
	buffer_load_dword v127, off, s[0:3], 0 offset:448
	s_waitcnt vmcnt(19)
	v_fma_f64 v[117:118], v[133:134], v[119:120], v[117:118]
	buffer_load_dword v133, off, s[0:3], 0 offset:128
	buffer_load_dword v134, off, s[0:3], 0 offset:132
	s_waitcnt vmcnt(20) lgkmcnt(0)
	v_fma_f64 v[117:118], v[129:130], v[121:122], v[117:118]
	s_waitcnt vmcnt(15)
	v_fma_f64 v[129:130], v[131:132], v[123:124], v[117:118]
	ds_read2_b64 v[117:120], v116 offset0:107 offset1:108
	ds_read2_b64 v[121:124], v116 offset0:109 offset1:110
	s_waitcnt vmcnt(14) lgkmcnt(1)
	v_fma_f64 v[117:118], v[145:146], v[117:118], v[129:130]
	s_waitcnt vmcnt(13)
	v_fma_f64 v[117:118], v[143:144], v[119:120], v[117:118]
	s_waitcnt vmcnt(12) lgkmcnt(0)
	v_fma_f64 v[117:118], v[137:138], v[121:122], v[117:118]
	s_waitcnt vmcnt(7)
	v_fma_f64 v[125:126], v[125:126], v[123:124], v[117:118]
	ds_read2_b64 v[117:120], v116 offset0:111 offset1:112
	ds_read2_b64 v[121:124], v116 offset0:113 offset1:114
	s_waitcnt vmcnt(6) lgkmcnt(1)
	v_fma_f64 v[116:117], v[149:150], v[117:118], v[125:126]
	s_waitcnt vmcnt(5)
	v_fma_f64 v[116:117], v[147:148], v[119:120], v[116:117]
	s_waitcnt vmcnt(4) lgkmcnt(0)
	v_fma_f64 v[116:117], v[139:140], v[121:122], v[116:117]
	s_waitcnt vmcnt(2)
	v_fma_f64 v[116:117], v[127:128], v[123:124], v[116:117]
	s_waitcnt vmcnt(0)
	v_add_f64 v[116:117], v[133:134], -v[116:117]
	buffer_store_dword v117, off, s[0:3], 0 offset:132
	buffer_store_dword v116, off, s[0:3], 0 offset:128
	s_and_saveexec_b64 s[4:5], vcc
	s_cbranch_execz .LBB56_319
; %bb.318:
	buffer_load_dword v116, off, s[0:3], 0 offset:120
	buffer_load_dword v117, off, s[0:3], 0 offset:124
	v_mov_b32_e32 v118, 0
	buffer_store_dword v118, off, s[0:3], 0 offset:120
	buffer_store_dword v118, off, s[0:3], 0 offset:124
	s_waitcnt vmcnt(2)
	ds_write_b64 v115, v[116:117]
.LBB56_319:
	s_or_b64 exec, exec, s[4:5]
	s_waitcnt lgkmcnt(0)
	; wave barrier
	buffer_load_dword v125, off, s[0:3], 0 offset:128
	buffer_load_dword v126, off, s[0:3], 0 offset:132
	;; [unrolled: 1-line block ×22, first 2 shown]
	v_mov_b32_e32 v116, 0
	ds_read_b128 v[117:120], v116 offset:592
	ds_read_b128 v[121:124], v116 offset:608
	v_cmp_lt_u32_e32 vcc, 14, v0
	s_waitcnt vmcnt(20) lgkmcnt(1)
	v_fma_f64 v[117:118], v[125:126], v[117:118], 0
	s_waitcnt vmcnt(18)
	v_fma_f64 v[117:118], v[127:128], v[119:120], v[117:118]
	buffer_load_dword v126, off, s[0:3], 0 offset:220
	buffer_load_dword v127, off, s[0:3], 0 offset:240
	;; [unrolled: 1-line block ×7, first 2 shown]
	s_waitcnt vmcnt(23) lgkmcnt(0)
	v_fma_f64 v[117:118], v[129:130], v[121:122], v[117:118]
	s_waitcnt vmcnt(21)
	v_fma_f64 v[128:129], v[131:132], v[123:124], v[117:118]
	ds_read_b128 v[117:120], v116 offset:624
	ds_read_b128 v[121:124], v116 offset:640
	s_waitcnt vmcnt(19) lgkmcnt(1)
	v_fma_f64 v[117:118], v[133:134], v[117:118], v[128:129]
	buffer_load_dword v128, off, s[0:3], 0 offset:244
	s_waitcnt vmcnt(18)
	v_fma_f64 v[117:118], v[135:136], v[119:120], v[117:118]
	buffer_load_dword v130, off, s[0:3], 0 offset:252
	buffer_load_dword v131, off, s[0:3], 0 offset:272
	;; [unrolled: 1-line block ×7, first 2 shown]
	s_waitcnt vmcnt(23) lgkmcnt(0)
	v_fma_f64 v[117:118], v[137:138], v[121:122], v[117:118]
	s_waitcnt vmcnt(18)
	v_fma_f64 v[137:138], v[139:140], v[123:124], v[117:118]
	ds_read_b128 v[117:120], v116 offset:656
	ds_read_b128 v[121:124], v116 offset:672
	buffer_load_dword v132, off, s[0:3], 0 offset:276
	s_waitcnt vmcnt(18) lgkmcnt(1)
	v_fma_f64 v[117:118], v[145:146], v[117:118], v[137:138]
	s_waitcnt vmcnt(17)
	v_fma_f64 v[117:118], v[143:144], v[119:120], v[117:118]
	buffer_load_dword v138, off, s[0:3], 0 offset:284
	buffer_load_dword v139, off, s[0:3], 0 offset:304
	;; [unrolled: 1-line block ×8, first 2 shown]
	s_waitcnt vmcnt(24) lgkmcnt(0)
	v_fma_f64 v[117:118], v[141:142], v[121:122], v[117:118]
	s_waitcnt vmcnt(19)
	v_fma_f64 v[125:126], v[125:126], v[123:124], v[117:118]
	ds_read_b128 v[117:120], v116 offset:688
	ds_read_b128 v[121:124], v116 offset:704
	s_waitcnt vmcnt(18) lgkmcnt(1)
	v_fma_f64 v[117:118], v[149:150], v[117:118], v[125:126]
	s_waitcnt vmcnt(17)
	v_fma_f64 v[117:118], v[147:148], v[119:120], v[117:118]
	buffer_load_dword v126, off, s[0:3], 0 offset:316
	buffer_load_dword v141, off, s[0:3], 0 offset:336
	buffer_load_dword v147, off, s[0:3], 0 offset:328
	buffer_load_dword v149, off, s[0:3], 0 offset:320
	buffer_load_dword v125, off, s[0:3], 0 offset:312
	buffer_load_dword v150, off, s[0:3], 0 offset:324
	buffer_load_dword v148, off, s[0:3], 0 offset:332
	s_waitcnt vmcnt(23) lgkmcnt(0)
	v_fma_f64 v[117:118], v[127:128], v[121:122], v[117:118]
	s_waitcnt vmcnt(18)
	v_fma_f64 v[127:128], v[129:130], v[123:124], v[117:118]
	ds_read_b128 v[117:120], v116 offset:720
	ds_read_b128 v[121:124], v116 offset:736
	buffer_load_dword v142, off, s[0:3], 0 offset:340
	s_waitcnt vmcnt(18) lgkmcnt(1)
	v_fma_f64 v[117:118], v[135:136], v[117:118], v[127:128]
	s_waitcnt vmcnt(17)
	v_fma_f64 v[117:118], v[133:134], v[119:120], v[117:118]
	buffer_load_dword v128, off, s[0:3], 0 offset:348
	buffer_load_dword v129, off, s[0:3], 0 offset:368
	;; [unrolled: 1-line block ×7, first 2 shown]
	s_waitcnt vmcnt(23) lgkmcnt(0)
	v_fma_f64 v[117:118], v[131:132], v[121:122], v[117:118]
	s_waitcnt vmcnt(18)
	v_fma_f64 v[130:131], v[137:138], v[123:124], v[117:118]
	ds_read_b128 v[117:120], v116 offset:752
	ds_read_b128 v[121:124], v116 offset:768
	s_waitcnt vmcnt(17) lgkmcnt(1)
	v_fma_f64 v[117:118], v[145:146], v[117:118], v[130:131]
	buffer_load_dword v130, off, s[0:3], 0 offset:372
	s_waitcnt vmcnt(17)
	v_fma_f64 v[117:118], v[143:144], v[119:120], v[117:118]
	buffer_load_dword v132, off, s[0:3], 0 offset:380
	buffer_load_dword v137, off, s[0:3], 0 offset:400
	;; [unrolled: 1-line block ×8, first 2 shown]
	s_waitcnt vmcnt(24) lgkmcnt(0)
	v_fma_f64 v[117:118], v[139:140], v[121:122], v[117:118]
	s_waitcnt vmcnt(19)
	v_fma_f64 v[125:126], v[125:126], v[123:124], v[117:118]
	ds_read_b128 v[117:120], v116 offset:784
	ds_read_b128 v[121:124], v116 offset:800
	s_waitcnt vmcnt(18) lgkmcnt(1)
	v_fma_f64 v[117:118], v[149:150], v[117:118], v[125:126]
	s_waitcnt vmcnt(17)
	v_fma_f64 v[117:118], v[147:148], v[119:120], v[117:118]
	buffer_load_dword v126, off, s[0:3], 0 offset:412
	buffer_load_dword v139, off, s[0:3], 0 offset:432
	buffer_load_dword v147, off, s[0:3], 0 offset:424
	buffer_load_dword v149, off, s[0:3], 0 offset:416
	buffer_load_dword v125, off, s[0:3], 0 offset:408
	buffer_load_dword v150, off, s[0:3], 0 offset:420
	buffer_load_dword v148, off, s[0:3], 0 offset:428
	s_waitcnt vmcnt(23) lgkmcnt(0)
	v_fma_f64 v[117:118], v[141:142], v[121:122], v[117:118]
	s_waitcnt vmcnt(18)
	v_fma_f64 v[127:128], v[127:128], v[123:124], v[117:118]
	ds_read_b128 v[117:120], v116 offset:816
	ds_read_b128 v[121:124], v116 offset:832
	buffer_load_dword v140, off, s[0:3], 0 offset:436
	s_waitcnt vmcnt(18) lgkmcnt(1)
	v_fma_f64 v[117:118], v[135:136], v[117:118], v[127:128]
	s_waitcnt vmcnt(17)
	v_fma_f64 v[117:118], v[133:134], v[119:120], v[117:118]
	buffer_load_dword v128, off, s[0:3], 0 offset:444
	buffer_load_dword v133, off, s[0:3], 0 offset:448
	;; [unrolled: 1-line block ×4, first 2 shown]
	s_waitcnt vmcnt(20) lgkmcnt(0)
	v_fma_f64 v[117:118], v[129:130], v[121:122], v[117:118]
	buffer_load_dword v129, off, s[0:3], 0 offset:120
	buffer_load_dword v130, off, s[0:3], 0 offset:124
	s_waitcnt vmcnt(17)
	v_fma_f64 v[131:132], v[131:132], v[123:124], v[117:118]
	ds_read_b128 v[117:120], v116 offset:848
	ds_read_b128 v[121:124], v116 offset:864
	s_waitcnt vmcnt(16) lgkmcnt(1)
	v_fma_f64 v[117:118], v[145:146], v[117:118], v[131:132]
	s_waitcnt vmcnt(15)
	v_fma_f64 v[117:118], v[143:144], v[119:120], v[117:118]
	s_waitcnt vmcnt(14) lgkmcnt(0)
	v_fma_f64 v[117:118], v[137:138], v[121:122], v[117:118]
	s_waitcnt vmcnt(9)
	v_fma_f64 v[125:126], v[125:126], v[123:124], v[117:118]
	ds_read_b128 v[117:120], v116 offset:880
	ds_read_b128 v[121:124], v116 offset:896
	s_waitcnt vmcnt(8) lgkmcnt(1)
	v_fma_f64 v[117:118], v[149:150], v[117:118], v[125:126]
	s_waitcnt vmcnt(7)
	v_fma_f64 v[117:118], v[147:148], v[119:120], v[117:118]
	ds_read_b64 v[119:120], v116 offset:912
	s_waitcnt vmcnt(6) lgkmcnt(1)
	v_fma_f64 v[117:118], v[139:140], v[121:122], v[117:118]
	s_waitcnt vmcnt(3)
	v_fma_f64 v[117:118], v[127:128], v[123:124], v[117:118]
	s_waitcnt vmcnt(2) lgkmcnt(0)
	v_fma_f64 v[117:118], v[133:134], v[119:120], v[117:118]
	s_waitcnt vmcnt(0)
	v_add_f64 v[117:118], v[129:130], -v[117:118]
	buffer_store_dword v118, off, s[0:3], 0 offset:124
	buffer_store_dword v117, off, s[0:3], 0 offset:120
	s_and_saveexec_b64 s[4:5], vcc
	s_cbranch_execz .LBB56_321
; %bb.320:
	buffer_load_dword v117, off, s[0:3], 0 offset:112
	buffer_load_dword v118, off, s[0:3], 0 offset:116
	s_waitcnt vmcnt(0)
	ds_write_b64 v115, v[117:118]
	buffer_store_dword v116, off, s[0:3], 0 offset:112
	buffer_store_dword v116, off, s[0:3], 0 offset:116
.LBB56_321:
	s_or_b64 exec, exec, s[4:5]
	s_waitcnt lgkmcnt(0)
	; wave barrier
	buffer_load_dword v125, off, s[0:3], 0 offset:120
	buffer_load_dword v126, off, s[0:3], 0 offset:124
	;; [unrolled: 1-line block ×22, first 2 shown]
	ds_read2_b64 v[117:120], v116 offset0:73 offset1:74
	ds_read2_b64 v[121:124], v116 offset0:75 offset1:76
	v_cmp_lt_u32_e32 vcc, 13, v0
	s_waitcnt vmcnt(20) lgkmcnt(1)
	v_fma_f64 v[117:118], v[125:126], v[117:118], 0
	s_waitcnt vmcnt(18)
	v_fma_f64 v[117:118], v[127:128], v[119:120], v[117:118]
	buffer_load_dword v126, off, s[0:3], 0 offset:212
	buffer_load_dword v127, off, s[0:3], 0 offset:232
	;; [unrolled: 1-line block ×7, first 2 shown]
	s_waitcnt vmcnt(23) lgkmcnt(0)
	v_fma_f64 v[117:118], v[129:130], v[121:122], v[117:118]
	s_waitcnt vmcnt(21)
	v_fma_f64 v[128:129], v[131:132], v[123:124], v[117:118]
	ds_read2_b64 v[117:120], v116 offset0:77 offset1:78
	ds_read2_b64 v[121:124], v116 offset0:79 offset1:80
	s_waitcnt vmcnt(19) lgkmcnt(1)
	v_fma_f64 v[117:118], v[133:134], v[117:118], v[128:129]
	buffer_load_dword v128, off, s[0:3], 0 offset:236
	s_waitcnt vmcnt(18)
	v_fma_f64 v[117:118], v[135:136], v[119:120], v[117:118]
	buffer_load_dword v130, off, s[0:3], 0 offset:244
	buffer_load_dword v131, off, s[0:3], 0 offset:264
	;; [unrolled: 1-line block ×7, first 2 shown]
	s_waitcnt vmcnt(23) lgkmcnt(0)
	v_fma_f64 v[117:118], v[137:138], v[121:122], v[117:118]
	s_waitcnt vmcnt(18)
	v_fma_f64 v[137:138], v[139:140], v[123:124], v[117:118]
	ds_read2_b64 v[117:120], v116 offset0:81 offset1:82
	ds_read2_b64 v[121:124], v116 offset0:83 offset1:84
	buffer_load_dword v132, off, s[0:3], 0 offset:268
	s_waitcnt vmcnt(18) lgkmcnt(1)
	v_fma_f64 v[117:118], v[145:146], v[117:118], v[137:138]
	s_waitcnt vmcnt(17)
	v_fma_f64 v[117:118], v[143:144], v[119:120], v[117:118]
	buffer_load_dword v138, off, s[0:3], 0 offset:276
	buffer_load_dword v139, off, s[0:3], 0 offset:296
	;; [unrolled: 1-line block ×8, first 2 shown]
	s_waitcnt vmcnt(24) lgkmcnt(0)
	v_fma_f64 v[117:118], v[141:142], v[121:122], v[117:118]
	s_waitcnt vmcnt(19)
	v_fma_f64 v[125:126], v[125:126], v[123:124], v[117:118]
	ds_read2_b64 v[117:120], v116 offset0:85 offset1:86
	ds_read2_b64 v[121:124], v116 offset0:87 offset1:88
	s_waitcnt vmcnt(18) lgkmcnt(1)
	v_fma_f64 v[117:118], v[149:150], v[117:118], v[125:126]
	s_waitcnt vmcnt(17)
	v_fma_f64 v[117:118], v[147:148], v[119:120], v[117:118]
	buffer_load_dword v126, off, s[0:3], 0 offset:308
	buffer_load_dword v141, off, s[0:3], 0 offset:328
	;; [unrolled: 1-line block ×8, first 2 shown]
	s_waitcnt vmcnt(24) lgkmcnt(0)
	v_fma_f64 v[117:118], v[127:128], v[121:122], v[117:118]
	s_waitcnt vmcnt(19)
	v_fma_f64 v[127:128], v[129:130], v[123:124], v[117:118]
	ds_read2_b64 v[117:120], v116 offset0:89 offset1:90
	ds_read2_b64 v[121:124], v116 offset0:91 offset1:92
	s_waitcnt vmcnt(18) lgkmcnt(1)
	v_fma_f64 v[117:118], v[135:136], v[117:118], v[127:128]
	s_waitcnt vmcnt(17)
	v_fma_f64 v[117:118], v[133:134], v[119:120], v[117:118]
	buffer_load_dword v128, off, s[0:3], 0 offset:340
	buffer_load_dword v129, off, s[0:3], 0 offset:360
	buffer_load_dword v133, off, s[0:3], 0 offset:352
	buffer_load_dword v135, off, s[0:3], 0 offset:344
	buffer_load_dword v127, off, s[0:3], 0 offset:336
	buffer_load_dword v136, off, s[0:3], 0 offset:348
	buffer_load_dword v134, off, s[0:3], 0 offset:356
	s_waitcnt vmcnt(23) lgkmcnt(0)
	v_fma_f64 v[117:118], v[131:132], v[121:122], v[117:118]
	s_waitcnt vmcnt(18)
	v_fma_f64 v[130:131], v[137:138], v[123:124], v[117:118]
	ds_read2_b64 v[117:120], v116 offset0:93 offset1:94
	ds_read2_b64 v[121:124], v116 offset0:95 offset1:96
	s_waitcnt vmcnt(17) lgkmcnt(1)
	v_fma_f64 v[117:118], v[145:146], v[117:118], v[130:131]
	buffer_load_dword v130, off, s[0:3], 0 offset:364
	s_waitcnt vmcnt(17)
	v_fma_f64 v[117:118], v[143:144], v[119:120], v[117:118]
	buffer_load_dword v132, off, s[0:3], 0 offset:372
	buffer_load_dword v137, off, s[0:3], 0 offset:392
	;; [unrolled: 1-line block ×8, first 2 shown]
	s_waitcnt vmcnt(24) lgkmcnt(0)
	v_fma_f64 v[117:118], v[139:140], v[121:122], v[117:118]
	s_waitcnt vmcnt(19)
	v_fma_f64 v[125:126], v[125:126], v[123:124], v[117:118]
	ds_read2_b64 v[117:120], v116 offset0:97 offset1:98
	ds_read2_b64 v[121:124], v116 offset0:99 offset1:100
	s_waitcnt vmcnt(18) lgkmcnt(1)
	v_fma_f64 v[117:118], v[149:150], v[117:118], v[125:126]
	s_waitcnt vmcnt(17)
	v_fma_f64 v[117:118], v[147:148], v[119:120], v[117:118]
	buffer_load_dword v126, off, s[0:3], 0 offset:404
	buffer_load_dword v139, off, s[0:3], 0 offset:424
	buffer_load_dword v147, off, s[0:3], 0 offset:416
	buffer_load_dword v149, off, s[0:3], 0 offset:408
	buffer_load_dword v125, off, s[0:3], 0 offset:400
	buffer_load_dword v150, off, s[0:3], 0 offset:412
	buffer_load_dword v148, off, s[0:3], 0 offset:420
	buffer_load_dword v140, off, s[0:3], 0 offset:428
	s_waitcnt vmcnt(24) lgkmcnt(0)
	v_fma_f64 v[117:118], v[141:142], v[121:122], v[117:118]
	s_waitcnt vmcnt(19)
	v_fma_f64 v[127:128], v[127:128], v[123:124], v[117:118]
	ds_read2_b64 v[117:120], v116 offset0:101 offset1:102
	ds_read2_b64 v[121:124], v116 offset0:103 offset1:104
	s_waitcnt vmcnt(18) lgkmcnt(1)
	v_fma_f64 v[117:118], v[135:136], v[117:118], v[127:128]
	s_waitcnt vmcnt(17)
	v_fma_f64 v[117:118], v[133:134], v[119:120], v[117:118]
	buffer_load_dword v128, off, s[0:3], 0 offset:436
	buffer_load_dword v133, off, s[0:3], 0 offset:448
	;; [unrolled: 1-line block ×6, first 2 shown]
	s_waitcnt vmcnt(22) lgkmcnt(0)
	v_fma_f64 v[117:118], v[129:130], v[121:122], v[117:118]
	s_waitcnt vmcnt(17)
	v_fma_f64 v[129:130], v[131:132], v[123:124], v[117:118]
	ds_read2_b64 v[117:120], v116 offset0:105 offset1:106
	buffer_load_dword v131, off, s[0:3], 0 offset:112
	buffer_load_dword v132, off, s[0:3], 0 offset:116
	ds_read2_b64 v[121:124], v116 offset0:107 offset1:108
	s_waitcnt vmcnt(18) lgkmcnt(1)
	v_fma_f64 v[117:118], v[145:146], v[117:118], v[129:130]
	s_waitcnt vmcnt(17)
	v_fma_f64 v[117:118], v[143:144], v[119:120], v[117:118]
	s_waitcnt vmcnt(16) lgkmcnt(0)
	v_fma_f64 v[117:118], v[137:138], v[121:122], v[117:118]
	s_waitcnt vmcnt(11)
	v_fma_f64 v[125:126], v[125:126], v[123:124], v[117:118]
	ds_read2_b64 v[117:120], v116 offset0:109 offset1:110
	ds_read2_b64 v[121:124], v116 offset0:111 offset1:112
	s_waitcnt vmcnt(10) lgkmcnt(1)
	v_fma_f64 v[117:118], v[149:150], v[117:118], v[125:126]
	s_waitcnt vmcnt(9)
	v_fma_f64 v[117:118], v[147:148], v[119:120], v[117:118]
	s_waitcnt vmcnt(8) lgkmcnt(0)
	v_fma_f64 v[117:118], v[139:140], v[121:122], v[117:118]
	s_waitcnt vmcnt(4)
	v_fma_f64 v[120:121], v[127:128], v[123:124], v[117:118]
	ds_read2_b64 v[116:119], v116 offset0:113 offset1:114
	s_waitcnt vmcnt(3) lgkmcnt(0)
	v_fma_f64 v[116:117], v[135:136], v[116:117], v[120:121]
	s_waitcnt vmcnt(2)
	v_fma_f64 v[116:117], v[133:134], v[118:119], v[116:117]
	s_waitcnt vmcnt(0)
	v_add_f64 v[116:117], v[131:132], -v[116:117]
	buffer_store_dword v117, off, s[0:3], 0 offset:116
	buffer_store_dword v116, off, s[0:3], 0 offset:112
	s_and_saveexec_b64 s[4:5], vcc
	s_cbranch_execz .LBB56_323
; %bb.322:
	buffer_load_dword v116, off, s[0:3], 0 offset:104
	buffer_load_dword v117, off, s[0:3], 0 offset:108
	v_mov_b32_e32 v118, 0
	buffer_store_dword v118, off, s[0:3], 0 offset:104
	buffer_store_dword v118, off, s[0:3], 0 offset:108
	s_waitcnt vmcnt(2)
	ds_write_b64 v115, v[116:117]
.LBB56_323:
	s_or_b64 exec, exec, s[4:5]
	s_waitcnt lgkmcnt(0)
	; wave barrier
	buffer_load_dword v125, off, s[0:3], 0 offset:112
	buffer_load_dword v126, off, s[0:3], 0 offset:116
	;; [unrolled: 1-line block ×22, first 2 shown]
	v_mov_b32_e32 v116, 0
	ds_read_b128 v[117:120], v116 offset:576
	ds_read_b128 v[121:124], v116 offset:592
	v_cmp_lt_u32_e32 vcc, 12, v0
	s_waitcnt vmcnt(20) lgkmcnt(1)
	v_fma_f64 v[117:118], v[125:126], v[117:118], 0
	s_waitcnt vmcnt(18)
	v_fma_f64 v[117:118], v[127:128], v[119:120], v[117:118]
	buffer_load_dword v126, off, s[0:3], 0 offset:204
	buffer_load_dword v127, off, s[0:3], 0 offset:224
	;; [unrolled: 1-line block ×7, first 2 shown]
	s_waitcnt vmcnt(23) lgkmcnt(0)
	v_fma_f64 v[117:118], v[129:130], v[121:122], v[117:118]
	s_waitcnt vmcnt(21)
	v_fma_f64 v[128:129], v[131:132], v[123:124], v[117:118]
	ds_read_b128 v[117:120], v116 offset:608
	ds_read_b128 v[121:124], v116 offset:624
	s_waitcnt vmcnt(19) lgkmcnt(1)
	v_fma_f64 v[117:118], v[133:134], v[117:118], v[128:129]
	buffer_load_dword v128, off, s[0:3], 0 offset:228
	s_waitcnt vmcnt(18)
	v_fma_f64 v[117:118], v[135:136], v[119:120], v[117:118]
	buffer_load_dword v130, off, s[0:3], 0 offset:236
	buffer_load_dword v131, off, s[0:3], 0 offset:256
	;; [unrolled: 1-line block ×7, first 2 shown]
	s_waitcnt vmcnt(23) lgkmcnt(0)
	v_fma_f64 v[117:118], v[137:138], v[121:122], v[117:118]
	s_waitcnt vmcnt(18)
	v_fma_f64 v[137:138], v[139:140], v[123:124], v[117:118]
	ds_read_b128 v[117:120], v116 offset:640
	ds_read_b128 v[121:124], v116 offset:656
	buffer_load_dword v132, off, s[0:3], 0 offset:260
	s_waitcnt vmcnt(18) lgkmcnt(1)
	v_fma_f64 v[117:118], v[145:146], v[117:118], v[137:138]
	s_waitcnt vmcnt(17)
	v_fma_f64 v[117:118], v[143:144], v[119:120], v[117:118]
	buffer_load_dword v138, off, s[0:3], 0 offset:268
	buffer_load_dword v139, off, s[0:3], 0 offset:288
	buffer_load_dword v143, off, s[0:3], 0 offset:280
	buffer_load_dword v145, off, s[0:3], 0 offset:272
	buffer_load_dword v137, off, s[0:3], 0 offset:264
	buffer_load_dword v146, off, s[0:3], 0 offset:276
	buffer_load_dword v144, off, s[0:3], 0 offset:284
	buffer_load_dword v140, off, s[0:3], 0 offset:292
	s_waitcnt vmcnt(24) lgkmcnt(0)
	v_fma_f64 v[117:118], v[141:142], v[121:122], v[117:118]
	s_waitcnt vmcnt(19)
	v_fma_f64 v[125:126], v[125:126], v[123:124], v[117:118]
	ds_read_b128 v[117:120], v116 offset:672
	ds_read_b128 v[121:124], v116 offset:688
	s_waitcnt vmcnt(18) lgkmcnt(1)
	v_fma_f64 v[117:118], v[149:150], v[117:118], v[125:126]
	s_waitcnt vmcnt(17)
	v_fma_f64 v[117:118], v[147:148], v[119:120], v[117:118]
	buffer_load_dword v126, off, s[0:3], 0 offset:300
	buffer_load_dword v141, off, s[0:3], 0 offset:320
	;; [unrolled: 1-line block ×8, first 2 shown]
	s_waitcnt vmcnt(24) lgkmcnt(0)
	v_fma_f64 v[117:118], v[127:128], v[121:122], v[117:118]
	s_waitcnt vmcnt(19)
	v_fma_f64 v[127:128], v[129:130], v[123:124], v[117:118]
	ds_read_b128 v[117:120], v116 offset:704
	ds_read_b128 v[121:124], v116 offset:720
	s_waitcnt vmcnt(18) lgkmcnt(1)
	v_fma_f64 v[117:118], v[135:136], v[117:118], v[127:128]
	s_waitcnt vmcnt(17)
	v_fma_f64 v[117:118], v[133:134], v[119:120], v[117:118]
	buffer_load_dword v128, off, s[0:3], 0 offset:332
	buffer_load_dword v129, off, s[0:3], 0 offset:352
	;; [unrolled: 1-line block ×7, first 2 shown]
	s_waitcnt vmcnt(23) lgkmcnt(0)
	v_fma_f64 v[117:118], v[131:132], v[121:122], v[117:118]
	s_waitcnt vmcnt(18)
	v_fma_f64 v[130:131], v[137:138], v[123:124], v[117:118]
	ds_read_b128 v[117:120], v116 offset:736
	ds_read_b128 v[121:124], v116 offset:752
	s_waitcnt vmcnt(17) lgkmcnt(1)
	v_fma_f64 v[117:118], v[145:146], v[117:118], v[130:131]
	buffer_load_dword v130, off, s[0:3], 0 offset:356
	s_waitcnt vmcnt(17)
	v_fma_f64 v[117:118], v[143:144], v[119:120], v[117:118]
	buffer_load_dword v132, off, s[0:3], 0 offset:364
	buffer_load_dword v137, off, s[0:3], 0 offset:384
	buffer_load_dword v143, off, s[0:3], 0 offset:376
	buffer_load_dword v145, off, s[0:3], 0 offset:368
	buffer_load_dword v131, off, s[0:3], 0 offset:360
	buffer_load_dword v146, off, s[0:3], 0 offset:372
	buffer_load_dword v144, off, s[0:3], 0 offset:380
	buffer_load_dword v138, off, s[0:3], 0 offset:388
	s_waitcnt vmcnt(24) lgkmcnt(0)
	v_fma_f64 v[117:118], v[139:140], v[121:122], v[117:118]
	s_waitcnt vmcnt(19)
	v_fma_f64 v[125:126], v[125:126], v[123:124], v[117:118]
	ds_read_b128 v[117:120], v116 offset:768
	ds_read_b128 v[121:124], v116 offset:784
	s_waitcnt vmcnt(18) lgkmcnt(1)
	v_fma_f64 v[117:118], v[149:150], v[117:118], v[125:126]
	s_waitcnt vmcnt(17)
	v_fma_f64 v[117:118], v[147:148], v[119:120], v[117:118]
	buffer_load_dword v126, off, s[0:3], 0 offset:396
	buffer_load_dword v139, off, s[0:3], 0 offset:416
	buffer_load_dword v147, off, s[0:3], 0 offset:408
	buffer_load_dword v149, off, s[0:3], 0 offset:400
	buffer_load_dword v125, off, s[0:3], 0 offset:392
	buffer_load_dword v150, off, s[0:3], 0 offset:404
	buffer_load_dword v148, off, s[0:3], 0 offset:412
	buffer_load_dword v140, off, s[0:3], 0 offset:420
	s_waitcnt vmcnt(24) lgkmcnt(0)
	v_fma_f64 v[117:118], v[141:142], v[121:122], v[117:118]
	s_waitcnt vmcnt(19)
	v_fma_f64 v[127:128], v[127:128], v[123:124], v[117:118]
	ds_read_b128 v[117:120], v116 offset:800
	ds_read_b128 v[121:124], v116 offset:816
	s_waitcnt vmcnt(18) lgkmcnt(1)
	v_fma_f64 v[117:118], v[135:136], v[117:118], v[127:128]
	;; [unrolled: 18-line block ×3, first 2 shown]
	buffer_load_dword v129, off, s[0:3], 0 offset:104
	buffer_load_dword v130, off, s[0:3], 0 offset:108
	s_waitcnt vmcnt(19)
	v_fma_f64 v[117:118], v[143:144], v[119:120], v[117:118]
	s_waitcnt vmcnt(18) lgkmcnt(0)
	v_fma_f64 v[117:118], v[137:138], v[121:122], v[117:118]
	s_waitcnt vmcnt(13)
	v_fma_f64 v[125:126], v[125:126], v[123:124], v[117:118]
	ds_read_b128 v[117:120], v116 offset:864
	ds_read_b128 v[121:124], v116 offset:880
	s_waitcnt vmcnt(12) lgkmcnt(1)
	v_fma_f64 v[117:118], v[149:150], v[117:118], v[125:126]
	s_waitcnt vmcnt(11)
	v_fma_f64 v[117:118], v[147:148], v[119:120], v[117:118]
	s_waitcnt vmcnt(10) lgkmcnt(0)
	v_fma_f64 v[117:118], v[139:140], v[121:122], v[117:118]
	s_waitcnt vmcnt(5)
	v_fma_f64 v[121:122], v[127:128], v[123:124], v[117:118]
	ds_read_b128 v[117:120], v116 offset:896
	ds_read_b64 v[123:124], v116 offset:912
	s_waitcnt vmcnt(4) lgkmcnt(1)
	v_fma_f64 v[117:118], v[141:142], v[117:118], v[121:122]
	s_waitcnt vmcnt(3)
	v_fma_f64 v[117:118], v[135:136], v[119:120], v[117:118]
	s_waitcnt vmcnt(2) lgkmcnt(0)
	v_fma_f64 v[117:118], v[133:134], v[123:124], v[117:118]
	s_waitcnt vmcnt(0)
	v_add_f64 v[117:118], v[129:130], -v[117:118]
	buffer_store_dword v118, off, s[0:3], 0 offset:108
	buffer_store_dword v117, off, s[0:3], 0 offset:104
	s_and_saveexec_b64 s[4:5], vcc
	s_cbranch_execz .LBB56_325
; %bb.324:
	buffer_load_dword v117, off, s[0:3], 0 offset:96
	buffer_load_dword v118, off, s[0:3], 0 offset:100
	s_waitcnt vmcnt(0)
	ds_write_b64 v115, v[117:118]
	buffer_store_dword v116, off, s[0:3], 0 offset:96
	buffer_store_dword v116, off, s[0:3], 0 offset:100
.LBB56_325:
	s_or_b64 exec, exec, s[4:5]
	s_waitcnt lgkmcnt(0)
	; wave barrier
	buffer_load_dword v125, off, s[0:3], 0 offset:104
	buffer_load_dword v126, off, s[0:3], 0 offset:108
	;; [unrolled: 1-line block ×22, first 2 shown]
	ds_read2_b64 v[117:120], v116 offset0:71 offset1:72
	ds_read2_b64 v[121:124], v116 offset0:73 offset1:74
	v_cmp_lt_u32_e32 vcc, 11, v0
	s_waitcnt vmcnt(20) lgkmcnt(1)
	v_fma_f64 v[117:118], v[125:126], v[117:118], 0
	s_waitcnt vmcnt(18)
	v_fma_f64 v[117:118], v[127:128], v[119:120], v[117:118]
	buffer_load_dword v126, off, s[0:3], 0 offset:196
	buffer_load_dword v127, off, s[0:3], 0 offset:216
	;; [unrolled: 1-line block ×7, first 2 shown]
	s_waitcnt vmcnt(23) lgkmcnt(0)
	v_fma_f64 v[117:118], v[129:130], v[121:122], v[117:118]
	s_waitcnt vmcnt(21)
	v_fma_f64 v[128:129], v[131:132], v[123:124], v[117:118]
	ds_read2_b64 v[117:120], v116 offset0:75 offset1:76
	ds_read2_b64 v[121:124], v116 offset0:77 offset1:78
	s_waitcnt vmcnt(19) lgkmcnt(1)
	v_fma_f64 v[117:118], v[133:134], v[117:118], v[128:129]
	buffer_load_dword v128, off, s[0:3], 0 offset:220
	s_waitcnt vmcnt(18)
	v_fma_f64 v[117:118], v[135:136], v[119:120], v[117:118]
	buffer_load_dword v130, off, s[0:3], 0 offset:228
	buffer_load_dword v131, off, s[0:3], 0 offset:248
	;; [unrolled: 1-line block ×7, first 2 shown]
	s_waitcnt vmcnt(23) lgkmcnt(0)
	v_fma_f64 v[117:118], v[137:138], v[121:122], v[117:118]
	s_waitcnt vmcnt(18)
	v_fma_f64 v[137:138], v[139:140], v[123:124], v[117:118]
	ds_read2_b64 v[117:120], v116 offset0:79 offset1:80
	ds_read2_b64 v[121:124], v116 offset0:81 offset1:82
	buffer_load_dword v132, off, s[0:3], 0 offset:252
	s_waitcnt vmcnt(18) lgkmcnt(1)
	v_fma_f64 v[117:118], v[145:146], v[117:118], v[137:138]
	s_waitcnt vmcnt(17)
	v_fma_f64 v[117:118], v[143:144], v[119:120], v[117:118]
	buffer_load_dword v138, off, s[0:3], 0 offset:260
	buffer_load_dword v139, off, s[0:3], 0 offset:280
	;; [unrolled: 1-line block ×8, first 2 shown]
	s_waitcnt vmcnt(24) lgkmcnt(0)
	v_fma_f64 v[117:118], v[141:142], v[121:122], v[117:118]
	s_waitcnt vmcnt(19)
	v_fma_f64 v[125:126], v[125:126], v[123:124], v[117:118]
	ds_read2_b64 v[117:120], v116 offset0:83 offset1:84
	ds_read2_b64 v[121:124], v116 offset0:85 offset1:86
	s_waitcnt vmcnt(18) lgkmcnt(1)
	v_fma_f64 v[117:118], v[149:150], v[117:118], v[125:126]
	s_waitcnt vmcnt(17)
	v_fma_f64 v[117:118], v[147:148], v[119:120], v[117:118]
	buffer_load_dword v126, off, s[0:3], 0 offset:292
	buffer_load_dword v141, off, s[0:3], 0 offset:312
	;; [unrolled: 1-line block ×8, first 2 shown]
	s_waitcnt vmcnt(24) lgkmcnt(0)
	v_fma_f64 v[117:118], v[127:128], v[121:122], v[117:118]
	s_waitcnt vmcnt(19)
	v_fma_f64 v[127:128], v[129:130], v[123:124], v[117:118]
	ds_read2_b64 v[117:120], v116 offset0:87 offset1:88
	ds_read2_b64 v[121:124], v116 offset0:89 offset1:90
	s_waitcnt vmcnt(18) lgkmcnt(1)
	v_fma_f64 v[117:118], v[135:136], v[117:118], v[127:128]
	s_waitcnt vmcnt(17)
	v_fma_f64 v[117:118], v[133:134], v[119:120], v[117:118]
	buffer_load_dword v128, off, s[0:3], 0 offset:324
	buffer_load_dword v129, off, s[0:3], 0 offset:344
	;; [unrolled: 1-line block ×7, first 2 shown]
	s_waitcnt vmcnt(23) lgkmcnt(0)
	v_fma_f64 v[117:118], v[131:132], v[121:122], v[117:118]
	s_waitcnt vmcnt(18)
	v_fma_f64 v[130:131], v[137:138], v[123:124], v[117:118]
	ds_read2_b64 v[117:120], v116 offset0:91 offset1:92
	ds_read2_b64 v[121:124], v116 offset0:93 offset1:94
	s_waitcnt vmcnt(17) lgkmcnt(1)
	v_fma_f64 v[117:118], v[145:146], v[117:118], v[130:131]
	buffer_load_dword v130, off, s[0:3], 0 offset:348
	s_waitcnt vmcnt(17)
	v_fma_f64 v[117:118], v[143:144], v[119:120], v[117:118]
	buffer_load_dword v132, off, s[0:3], 0 offset:356
	buffer_load_dword v137, off, s[0:3], 0 offset:376
	buffer_load_dword v143, off, s[0:3], 0 offset:368
	buffer_load_dword v145, off, s[0:3], 0 offset:360
	buffer_load_dword v131, off, s[0:3], 0 offset:352
	buffer_load_dword v146, off, s[0:3], 0 offset:364
	buffer_load_dword v144, off, s[0:3], 0 offset:372
	buffer_load_dword v138, off, s[0:3], 0 offset:380
	s_waitcnt vmcnt(24) lgkmcnt(0)
	v_fma_f64 v[117:118], v[139:140], v[121:122], v[117:118]
	s_waitcnt vmcnt(19)
	v_fma_f64 v[125:126], v[125:126], v[123:124], v[117:118]
	ds_read2_b64 v[117:120], v116 offset0:95 offset1:96
	ds_read2_b64 v[121:124], v116 offset0:97 offset1:98
	s_waitcnt vmcnt(18) lgkmcnt(1)
	v_fma_f64 v[117:118], v[149:150], v[117:118], v[125:126]
	s_waitcnt vmcnt(17)
	v_fma_f64 v[117:118], v[147:148], v[119:120], v[117:118]
	buffer_load_dword v126, off, s[0:3], 0 offset:388
	buffer_load_dword v139, off, s[0:3], 0 offset:408
	buffer_load_dword v147, off, s[0:3], 0 offset:400
	buffer_load_dword v149, off, s[0:3], 0 offset:392
	buffer_load_dword v125, off, s[0:3], 0 offset:384
	buffer_load_dword v150, off, s[0:3], 0 offset:396
	buffer_load_dword v148, off, s[0:3], 0 offset:404
	buffer_load_dword v140, off, s[0:3], 0 offset:412
	s_waitcnt vmcnt(24) lgkmcnt(0)
	v_fma_f64 v[117:118], v[141:142], v[121:122], v[117:118]
	s_waitcnt vmcnt(19)
	v_fma_f64 v[127:128], v[127:128], v[123:124], v[117:118]
	ds_read2_b64 v[117:120], v116 offset0:99 offset1:100
	ds_read2_b64 v[121:124], v116 offset0:101 offset1:102
	s_waitcnt vmcnt(18) lgkmcnt(1)
	v_fma_f64 v[117:118], v[135:136], v[117:118], v[127:128]
	;; [unrolled: 18-line block ×3, first 2 shown]
	buffer_load_dword v130, off, s[0:3], 0 offset:452
	buffer_load_dword v129, off, s[0:3], 0 offset:448
	buffer_load_dword v131, off, s[0:3], 0 offset:96
	buffer_load_dword v132, off, s[0:3], 0 offset:100
	s_waitcnt vmcnt(21)
	v_fma_f64 v[117:118], v[143:144], v[119:120], v[117:118]
	s_waitcnt vmcnt(20) lgkmcnt(0)
	v_fma_f64 v[117:118], v[137:138], v[121:122], v[117:118]
	s_waitcnt vmcnt(15)
	v_fma_f64 v[125:126], v[125:126], v[123:124], v[117:118]
	ds_read2_b64 v[117:120], v116 offset0:107 offset1:108
	ds_read2_b64 v[121:124], v116 offset0:109 offset1:110
	s_waitcnt vmcnt(14) lgkmcnt(1)
	v_fma_f64 v[117:118], v[149:150], v[117:118], v[125:126]
	s_waitcnt vmcnt(13)
	v_fma_f64 v[117:118], v[147:148], v[119:120], v[117:118]
	s_waitcnt vmcnt(12) lgkmcnt(0)
	v_fma_f64 v[117:118], v[139:140], v[121:122], v[117:118]
	s_waitcnt vmcnt(7)
	v_fma_f64 v[125:126], v[127:128], v[123:124], v[117:118]
	ds_read2_b64 v[117:120], v116 offset0:111 offset1:112
	ds_read2_b64 v[121:124], v116 offset0:113 offset1:114
	s_waitcnt vmcnt(6) lgkmcnt(1)
	v_fma_f64 v[116:117], v[141:142], v[117:118], v[125:126]
	s_waitcnt vmcnt(5)
	v_fma_f64 v[116:117], v[135:136], v[119:120], v[116:117]
	s_waitcnt vmcnt(4) lgkmcnt(0)
	v_fma_f64 v[116:117], v[133:134], v[121:122], v[116:117]
	s_waitcnt vmcnt(2)
	v_fma_f64 v[116:117], v[129:130], v[123:124], v[116:117]
	s_waitcnt vmcnt(0)
	v_add_f64 v[116:117], v[131:132], -v[116:117]
	buffer_store_dword v117, off, s[0:3], 0 offset:100
	buffer_store_dword v116, off, s[0:3], 0 offset:96
	s_and_saveexec_b64 s[4:5], vcc
	s_cbranch_execz .LBB56_327
; %bb.326:
	buffer_load_dword v116, off, s[0:3], 0 offset:88
	buffer_load_dword v117, off, s[0:3], 0 offset:92
	v_mov_b32_e32 v118, 0
	buffer_store_dword v118, off, s[0:3], 0 offset:88
	buffer_store_dword v118, off, s[0:3], 0 offset:92
	s_waitcnt vmcnt(2)
	ds_write_b64 v115, v[116:117]
.LBB56_327:
	s_or_b64 exec, exec, s[4:5]
	s_waitcnt lgkmcnt(0)
	; wave barrier
	buffer_load_dword v125, off, s[0:3], 0 offset:96
	buffer_load_dword v126, off, s[0:3], 0 offset:100
	buffer_load_dword v127, off, s[0:3], 0 offset:104
	buffer_load_dword v128, off, s[0:3], 0 offset:108
	buffer_load_dword v129, off, s[0:3], 0 offset:112
	buffer_load_dword v130, off, s[0:3], 0 offset:116
	buffer_load_dword v131, off, s[0:3], 0 offset:120
	buffer_load_dword v132, off, s[0:3], 0 offset:124
	buffer_load_dword v133, off, s[0:3], 0 offset:128
	buffer_load_dword v134, off, s[0:3], 0 offset:132
	buffer_load_dword v135, off, s[0:3], 0 offset:136
	buffer_load_dword v136, off, s[0:3], 0 offset:140
	buffer_load_dword v137, off, s[0:3], 0 offset:144
	buffer_load_dword v138, off, s[0:3], 0 offset:148
	buffer_load_dword v140, off, s[0:3], 0 offset:156
	buffer_load_dword v141, off, s[0:3], 0 offset:176
	buffer_load_dword v143, off, s[0:3], 0 offset:168
	buffer_load_dword v145, off, s[0:3], 0 offset:160
	buffer_load_dword v139, off, s[0:3], 0 offset:152
	buffer_load_dword v146, off, s[0:3], 0 offset:164
	buffer_load_dword v144, off, s[0:3], 0 offset:172
	v_mov_b32_e32 v116, 0
	ds_read_b128 v[117:120], v116 offset:560
	ds_read_b128 v[121:124], v116 offset:576
	buffer_load_dword v142, off, s[0:3], 0 offset:180
	v_cmp_lt_u32_e32 vcc, 10, v0
	s_waitcnt vmcnt(20) lgkmcnt(1)
	v_fma_f64 v[117:118], v[125:126], v[117:118], 0
	s_waitcnt vmcnt(18)
	v_fma_f64 v[117:118], v[127:128], v[119:120], v[117:118]
	buffer_load_dword v126, off, s[0:3], 0 offset:188
	buffer_load_dword v127, off, s[0:3], 0 offset:208
	;; [unrolled: 1-line block ×7, first 2 shown]
	s_waitcnt vmcnt(23) lgkmcnt(0)
	v_fma_f64 v[117:118], v[129:130], v[121:122], v[117:118]
	s_waitcnt vmcnt(21)
	v_fma_f64 v[128:129], v[131:132], v[123:124], v[117:118]
	ds_read_b128 v[117:120], v116 offset:592
	ds_read_b128 v[121:124], v116 offset:608
	s_waitcnt vmcnt(19) lgkmcnt(1)
	v_fma_f64 v[117:118], v[133:134], v[117:118], v[128:129]
	buffer_load_dword v128, off, s[0:3], 0 offset:212
	s_waitcnt vmcnt(18)
	v_fma_f64 v[117:118], v[135:136], v[119:120], v[117:118]
	buffer_load_dword v130, off, s[0:3], 0 offset:220
	buffer_load_dword v131, off, s[0:3], 0 offset:240
	;; [unrolled: 1-line block ×7, first 2 shown]
	s_waitcnt vmcnt(23) lgkmcnt(0)
	v_fma_f64 v[117:118], v[137:138], v[121:122], v[117:118]
	s_waitcnt vmcnt(18)
	v_fma_f64 v[137:138], v[139:140], v[123:124], v[117:118]
	ds_read_b128 v[117:120], v116 offset:624
	ds_read_b128 v[121:124], v116 offset:640
	buffer_load_dword v132, off, s[0:3], 0 offset:244
	s_waitcnt vmcnt(18) lgkmcnt(1)
	v_fma_f64 v[117:118], v[145:146], v[117:118], v[137:138]
	s_waitcnt vmcnt(17)
	v_fma_f64 v[117:118], v[143:144], v[119:120], v[117:118]
	buffer_load_dword v138, off, s[0:3], 0 offset:252
	buffer_load_dword v139, off, s[0:3], 0 offset:272
	;; [unrolled: 1-line block ×7, first 2 shown]
	s_waitcnt vmcnt(23) lgkmcnt(0)
	v_fma_f64 v[117:118], v[141:142], v[121:122], v[117:118]
	s_waitcnt vmcnt(18)
	v_fma_f64 v[125:126], v[125:126], v[123:124], v[117:118]
	ds_read_b128 v[117:120], v116 offset:656
	ds_read_b128 v[121:124], v116 offset:672
	buffer_load_dword v140, off, s[0:3], 0 offset:276
	s_waitcnt vmcnt(18) lgkmcnt(1)
	v_fma_f64 v[117:118], v[149:150], v[117:118], v[125:126]
	s_waitcnt vmcnt(17)
	v_fma_f64 v[117:118], v[147:148], v[119:120], v[117:118]
	buffer_load_dword v126, off, s[0:3], 0 offset:284
	buffer_load_dword v141, off, s[0:3], 0 offset:304
	;; [unrolled: 1-line block ×8, first 2 shown]
	s_waitcnt vmcnt(24) lgkmcnt(0)
	v_fma_f64 v[117:118], v[127:128], v[121:122], v[117:118]
	s_waitcnt vmcnt(19)
	v_fma_f64 v[127:128], v[129:130], v[123:124], v[117:118]
	ds_read_b128 v[117:120], v116 offset:688
	ds_read_b128 v[121:124], v116 offset:704
	s_waitcnt vmcnt(18) lgkmcnt(1)
	v_fma_f64 v[117:118], v[135:136], v[117:118], v[127:128]
	s_waitcnt vmcnt(17)
	v_fma_f64 v[117:118], v[133:134], v[119:120], v[117:118]
	buffer_load_dword v128, off, s[0:3], 0 offset:316
	buffer_load_dword v129, off, s[0:3], 0 offset:336
	;; [unrolled: 1-line block ×7, first 2 shown]
	s_waitcnt vmcnt(23) lgkmcnt(0)
	v_fma_f64 v[117:118], v[131:132], v[121:122], v[117:118]
	s_waitcnt vmcnt(18)
	v_fma_f64 v[130:131], v[137:138], v[123:124], v[117:118]
	ds_read_b128 v[117:120], v116 offset:720
	ds_read_b128 v[121:124], v116 offset:736
	s_waitcnt vmcnt(17) lgkmcnt(1)
	v_fma_f64 v[117:118], v[145:146], v[117:118], v[130:131]
	buffer_load_dword v130, off, s[0:3], 0 offset:340
	s_waitcnt vmcnt(17)
	v_fma_f64 v[117:118], v[143:144], v[119:120], v[117:118]
	buffer_load_dword v132, off, s[0:3], 0 offset:348
	buffer_load_dword v137, off, s[0:3], 0 offset:368
	;; [unrolled: 1-line block ×7, first 2 shown]
	s_waitcnt vmcnt(23) lgkmcnt(0)
	v_fma_f64 v[117:118], v[139:140], v[121:122], v[117:118]
	s_waitcnt vmcnt(18)
	v_fma_f64 v[125:126], v[125:126], v[123:124], v[117:118]
	ds_read_b128 v[117:120], v116 offset:752
	ds_read_b128 v[121:124], v116 offset:768
	buffer_load_dword v138, off, s[0:3], 0 offset:372
	s_waitcnt vmcnt(18) lgkmcnt(1)
	v_fma_f64 v[117:118], v[149:150], v[117:118], v[125:126]
	s_waitcnt vmcnt(17)
	v_fma_f64 v[117:118], v[147:148], v[119:120], v[117:118]
	buffer_load_dword v126, off, s[0:3], 0 offset:380
	buffer_load_dword v139, off, s[0:3], 0 offset:400
	;; [unrolled: 1-line block ×8, first 2 shown]
	s_waitcnt vmcnt(24) lgkmcnt(0)
	v_fma_f64 v[117:118], v[141:142], v[121:122], v[117:118]
	s_waitcnt vmcnt(19)
	v_fma_f64 v[127:128], v[127:128], v[123:124], v[117:118]
	ds_read_b128 v[117:120], v116 offset:784
	ds_read_b128 v[121:124], v116 offset:800
	s_waitcnt vmcnt(18) lgkmcnt(1)
	v_fma_f64 v[117:118], v[135:136], v[117:118], v[127:128]
	s_waitcnt vmcnt(17)
	v_fma_f64 v[117:118], v[133:134], v[119:120], v[117:118]
	buffer_load_dword v128, off, s[0:3], 0 offset:412
	buffer_load_dword v133, off, s[0:3], 0 offset:432
	;; [unrolled: 1-line block ×7, first 2 shown]
	s_waitcnt vmcnt(23) lgkmcnt(0)
	v_fma_f64 v[117:118], v[129:130], v[121:122], v[117:118]
	s_waitcnt vmcnt(18)
	v_fma_f64 v[129:130], v[131:132], v[123:124], v[117:118]
	ds_read_b128 v[117:120], v116 offset:816
	ds_read_b128 v[121:124], v116 offset:832
	buffer_load_dword v134, off, s[0:3], 0 offset:436
	s_waitcnt vmcnt(18) lgkmcnt(1)
	v_fma_f64 v[117:118], v[145:146], v[117:118], v[129:130]
	buffer_load_dword v130, off, s[0:3], 0 offset:444
	buffer_load_dword v131, off, s[0:3], 0 offset:448
	;; [unrolled: 1-line block ×4, first 2 shown]
	s_waitcnt vmcnt(21)
	v_fma_f64 v[117:118], v[143:144], v[119:120], v[117:118]
	s_waitcnt vmcnt(20) lgkmcnt(0)
	v_fma_f64 v[117:118], v[137:138], v[121:122], v[117:118]
	buffer_load_dword v137, off, s[0:3], 0 offset:88
	buffer_load_dword v138, off, s[0:3], 0 offset:92
	s_waitcnt vmcnt(17)
	v_fma_f64 v[125:126], v[125:126], v[123:124], v[117:118]
	ds_read_b128 v[117:120], v116 offset:848
	ds_read_b128 v[121:124], v116 offset:864
	s_waitcnt vmcnt(16) lgkmcnt(1)
	v_fma_f64 v[117:118], v[149:150], v[117:118], v[125:126]
	s_waitcnt vmcnt(15)
	v_fma_f64 v[117:118], v[147:148], v[119:120], v[117:118]
	s_waitcnt vmcnt(14) lgkmcnt(0)
	v_fma_f64 v[117:118], v[139:140], v[121:122], v[117:118]
	s_waitcnt vmcnt(9)
	v_fma_f64 v[125:126], v[127:128], v[123:124], v[117:118]
	ds_read_b128 v[117:120], v116 offset:880
	ds_read_b128 v[121:124], v116 offset:896
	s_waitcnt vmcnt(8) lgkmcnt(1)
	v_fma_f64 v[117:118], v[141:142], v[117:118], v[125:126]
	s_waitcnt vmcnt(7)
	v_fma_f64 v[117:118], v[135:136], v[119:120], v[117:118]
	ds_read_b64 v[119:120], v116 offset:912
	s_waitcnt vmcnt(6) lgkmcnt(1)
	v_fma_f64 v[117:118], v[133:134], v[121:122], v[117:118]
	s_waitcnt vmcnt(3)
	v_fma_f64 v[117:118], v[129:130], v[123:124], v[117:118]
	s_waitcnt vmcnt(2) lgkmcnt(0)
	v_fma_f64 v[117:118], v[131:132], v[119:120], v[117:118]
	s_waitcnt vmcnt(0)
	v_add_f64 v[117:118], v[137:138], -v[117:118]
	buffer_store_dword v118, off, s[0:3], 0 offset:92
	buffer_store_dword v117, off, s[0:3], 0 offset:88
	s_and_saveexec_b64 s[4:5], vcc
	s_cbranch_execz .LBB56_329
; %bb.328:
	buffer_load_dword v117, off, s[0:3], 0 offset:80
	buffer_load_dword v118, off, s[0:3], 0 offset:84
	s_waitcnt vmcnt(0)
	ds_write_b64 v115, v[117:118]
	buffer_store_dword v116, off, s[0:3], 0 offset:80
	buffer_store_dword v116, off, s[0:3], 0 offset:84
.LBB56_329:
	s_or_b64 exec, exec, s[4:5]
	s_waitcnt lgkmcnt(0)
	; wave barrier
	buffer_load_dword v125, off, s[0:3], 0 offset:88
	buffer_load_dword v126, off, s[0:3], 0 offset:92
	;; [unrolled: 1-line block ×21, first 2 shown]
	ds_read2_b64 v[117:120], v116 offset0:69 offset1:70
	ds_read2_b64 v[121:124], v116 offset0:71 offset1:72
	buffer_load_dword v142, off, s[0:3], 0 offset:172
	v_cmp_lt_u32_e32 vcc, 9, v0
	s_waitcnt vmcnt(20) lgkmcnt(1)
	v_fma_f64 v[117:118], v[125:126], v[117:118], 0
	s_waitcnt vmcnt(18)
	v_fma_f64 v[117:118], v[127:128], v[119:120], v[117:118]
	buffer_load_dword v126, off, s[0:3], 0 offset:180
	buffer_load_dword v127, off, s[0:3], 0 offset:200
	buffer_load_dword v147, off, s[0:3], 0 offset:192
	buffer_load_dword v149, off, s[0:3], 0 offset:184
	buffer_load_dword v125, off, s[0:3], 0 offset:176
	buffer_load_dword v150, off, s[0:3], 0 offset:188
	buffer_load_dword v148, off, s[0:3], 0 offset:196
	s_waitcnt vmcnt(23) lgkmcnt(0)
	v_fma_f64 v[117:118], v[129:130], v[121:122], v[117:118]
	s_waitcnt vmcnt(21)
	v_fma_f64 v[128:129], v[131:132], v[123:124], v[117:118]
	ds_read2_b64 v[117:120], v116 offset0:73 offset1:74
	ds_read2_b64 v[121:124], v116 offset0:75 offset1:76
	s_waitcnt vmcnt(19) lgkmcnt(1)
	v_fma_f64 v[117:118], v[133:134], v[117:118], v[128:129]
	buffer_load_dword v128, off, s[0:3], 0 offset:204
	s_waitcnt vmcnt(18)
	v_fma_f64 v[117:118], v[135:136], v[119:120], v[117:118]
	buffer_load_dword v130, off, s[0:3], 0 offset:212
	buffer_load_dword v131, off, s[0:3], 0 offset:232
	;; [unrolled: 1-line block ×8, first 2 shown]
	s_waitcnt vmcnt(24) lgkmcnt(0)
	v_fma_f64 v[117:118], v[137:138], v[121:122], v[117:118]
	s_waitcnt vmcnt(19)
	v_fma_f64 v[137:138], v[139:140], v[123:124], v[117:118]
	ds_read2_b64 v[117:120], v116 offset0:77 offset1:78
	ds_read2_b64 v[121:124], v116 offset0:79 offset1:80
	s_waitcnt vmcnt(18) lgkmcnt(1)
	v_fma_f64 v[117:118], v[145:146], v[117:118], v[137:138]
	s_waitcnt vmcnt(17)
	v_fma_f64 v[117:118], v[143:144], v[119:120], v[117:118]
	buffer_load_dword v138, off, s[0:3], 0 offset:244
	buffer_load_dword v139, off, s[0:3], 0 offset:264
	;; [unrolled: 1-line block ×7, first 2 shown]
	s_waitcnt vmcnt(23) lgkmcnt(0)
	v_fma_f64 v[117:118], v[141:142], v[121:122], v[117:118]
	s_waitcnt vmcnt(18)
	v_fma_f64 v[125:126], v[125:126], v[123:124], v[117:118]
	ds_read2_b64 v[117:120], v116 offset0:81 offset1:82
	ds_read2_b64 v[121:124], v116 offset0:83 offset1:84
	buffer_load_dword v140, off, s[0:3], 0 offset:268
	s_waitcnt vmcnt(18) lgkmcnt(1)
	v_fma_f64 v[117:118], v[149:150], v[117:118], v[125:126]
	s_waitcnt vmcnt(17)
	v_fma_f64 v[117:118], v[147:148], v[119:120], v[117:118]
	buffer_load_dword v126, off, s[0:3], 0 offset:276
	buffer_load_dword v141, off, s[0:3], 0 offset:296
	;; [unrolled: 1-line block ×8, first 2 shown]
	s_waitcnt vmcnt(24) lgkmcnt(0)
	v_fma_f64 v[117:118], v[127:128], v[121:122], v[117:118]
	s_waitcnt vmcnt(19)
	v_fma_f64 v[127:128], v[129:130], v[123:124], v[117:118]
	ds_read2_b64 v[117:120], v116 offset0:85 offset1:86
	ds_read2_b64 v[121:124], v116 offset0:87 offset1:88
	s_waitcnt vmcnt(18) lgkmcnt(1)
	v_fma_f64 v[117:118], v[135:136], v[117:118], v[127:128]
	s_waitcnt vmcnt(17)
	v_fma_f64 v[117:118], v[133:134], v[119:120], v[117:118]
	buffer_load_dword v128, off, s[0:3], 0 offset:308
	buffer_load_dword v129, off, s[0:3], 0 offset:328
	;; [unrolled: 1-line block ×7, first 2 shown]
	s_waitcnt vmcnt(23) lgkmcnt(0)
	v_fma_f64 v[117:118], v[131:132], v[121:122], v[117:118]
	s_waitcnt vmcnt(18)
	v_fma_f64 v[130:131], v[137:138], v[123:124], v[117:118]
	ds_read2_b64 v[117:120], v116 offset0:89 offset1:90
	ds_read2_b64 v[121:124], v116 offset0:91 offset1:92
	s_waitcnt vmcnt(17) lgkmcnt(1)
	v_fma_f64 v[117:118], v[145:146], v[117:118], v[130:131]
	buffer_load_dword v130, off, s[0:3], 0 offset:332
	s_waitcnt vmcnt(17)
	v_fma_f64 v[117:118], v[143:144], v[119:120], v[117:118]
	buffer_load_dword v132, off, s[0:3], 0 offset:340
	buffer_load_dword v137, off, s[0:3], 0 offset:360
	;; [unrolled: 1-line block ×7, first 2 shown]
	s_waitcnt vmcnt(23) lgkmcnt(0)
	v_fma_f64 v[117:118], v[139:140], v[121:122], v[117:118]
	s_waitcnt vmcnt(18)
	v_fma_f64 v[125:126], v[125:126], v[123:124], v[117:118]
	ds_read2_b64 v[117:120], v116 offset0:93 offset1:94
	ds_read2_b64 v[121:124], v116 offset0:95 offset1:96
	buffer_load_dword v138, off, s[0:3], 0 offset:364
	s_waitcnt vmcnt(18) lgkmcnt(1)
	v_fma_f64 v[117:118], v[149:150], v[117:118], v[125:126]
	s_waitcnt vmcnt(17)
	v_fma_f64 v[117:118], v[147:148], v[119:120], v[117:118]
	buffer_load_dword v126, off, s[0:3], 0 offset:372
	buffer_load_dword v139, off, s[0:3], 0 offset:392
	;; [unrolled: 1-line block ×8, first 2 shown]
	s_waitcnt vmcnt(24) lgkmcnt(0)
	v_fma_f64 v[117:118], v[141:142], v[121:122], v[117:118]
	s_waitcnt vmcnt(19)
	v_fma_f64 v[127:128], v[127:128], v[123:124], v[117:118]
	ds_read2_b64 v[117:120], v116 offset0:97 offset1:98
	ds_read2_b64 v[121:124], v116 offset0:99 offset1:100
	s_waitcnt vmcnt(18) lgkmcnt(1)
	v_fma_f64 v[117:118], v[135:136], v[117:118], v[127:128]
	s_waitcnt vmcnt(17)
	v_fma_f64 v[117:118], v[133:134], v[119:120], v[117:118]
	buffer_load_dword v128, off, s[0:3], 0 offset:404
	buffer_load_dword v133, off, s[0:3], 0 offset:424
	;; [unrolled: 1-line block ×8, first 2 shown]
	s_waitcnt vmcnt(24) lgkmcnt(0)
	v_fma_f64 v[117:118], v[129:130], v[121:122], v[117:118]
	s_waitcnt vmcnt(19)
	v_fma_f64 v[129:130], v[131:132], v[123:124], v[117:118]
	ds_read2_b64 v[117:120], v116 offset0:101 offset1:102
	ds_read2_b64 v[121:124], v116 offset0:103 offset1:104
	s_waitcnt vmcnt(18) lgkmcnt(1)
	v_fma_f64 v[117:118], v[145:146], v[117:118], v[129:130]
	s_waitcnt vmcnt(17)
	v_fma_f64 v[117:118], v[143:144], v[119:120], v[117:118]
	buffer_load_dword v130, off, s[0:3], 0 offset:436
	buffer_load_dword v131, off, s[0:3], 0 offset:448
	buffer_load_dword v143, off, s[0:3], 0 offset:440
	buffer_load_dword v129, off, s[0:3], 0 offset:432
	buffer_load_dword v144, off, s[0:3], 0 offset:444
	buffer_load_dword v132, off, s[0:3], 0 offset:452
	s_waitcnt vmcnt(22) lgkmcnt(0)
	v_fma_f64 v[117:118], v[137:138], v[121:122], v[117:118]
	s_waitcnt vmcnt(17)
	v_fma_f64 v[125:126], v[125:126], v[123:124], v[117:118]
	ds_read2_b64 v[117:120], v116 offset0:105 offset1:106
	buffer_load_dword v137, off, s[0:3], 0 offset:80
	buffer_load_dword v138, off, s[0:3], 0 offset:84
	ds_read2_b64 v[121:124], v116 offset0:107 offset1:108
	s_waitcnt vmcnt(18) lgkmcnt(1)
	v_fma_f64 v[117:118], v[149:150], v[117:118], v[125:126]
	s_waitcnt vmcnt(17)
	v_fma_f64 v[117:118], v[147:148], v[119:120], v[117:118]
	s_waitcnt vmcnt(16) lgkmcnt(0)
	v_fma_f64 v[117:118], v[139:140], v[121:122], v[117:118]
	s_waitcnt vmcnt(11)
	v_fma_f64 v[125:126], v[127:128], v[123:124], v[117:118]
	ds_read2_b64 v[117:120], v116 offset0:109 offset1:110
	ds_read2_b64 v[121:124], v116 offset0:111 offset1:112
	s_waitcnt vmcnt(10) lgkmcnt(1)
	v_fma_f64 v[117:118], v[141:142], v[117:118], v[125:126]
	s_waitcnt vmcnt(9)
	v_fma_f64 v[117:118], v[135:136], v[119:120], v[117:118]
	s_waitcnt vmcnt(8) lgkmcnt(0)
	v_fma_f64 v[117:118], v[133:134], v[121:122], v[117:118]
	s_waitcnt vmcnt(4)
	v_fma_f64 v[120:121], v[129:130], v[123:124], v[117:118]
	ds_read2_b64 v[116:119], v116 offset0:113 offset1:114
	s_waitcnt vmcnt(3) lgkmcnt(0)
	v_fma_f64 v[116:117], v[143:144], v[116:117], v[120:121]
	s_waitcnt vmcnt(2)
	v_fma_f64 v[116:117], v[131:132], v[118:119], v[116:117]
	s_waitcnt vmcnt(0)
	v_add_f64 v[116:117], v[137:138], -v[116:117]
	buffer_store_dword v117, off, s[0:3], 0 offset:84
	buffer_store_dword v116, off, s[0:3], 0 offset:80
	s_and_saveexec_b64 s[4:5], vcc
	s_cbranch_execz .LBB56_331
; %bb.330:
	buffer_load_dword v116, off, s[0:3], 0 offset:72
	buffer_load_dword v117, off, s[0:3], 0 offset:76
	v_mov_b32_e32 v118, 0
	buffer_store_dword v118, off, s[0:3], 0 offset:72
	buffer_store_dword v118, off, s[0:3], 0 offset:76
	s_waitcnt vmcnt(2)
	ds_write_b64 v115, v[116:117]
.LBB56_331:
	s_or_b64 exec, exec, s[4:5]
	s_waitcnt lgkmcnt(0)
	; wave barrier
	buffer_load_dword v125, off, s[0:3], 0 offset:80
	buffer_load_dword v126, off, s[0:3], 0 offset:84
	;; [unrolled: 1-line block ×21, first 2 shown]
	v_mov_b32_e32 v116, 0
	ds_read_b128 v[117:120], v116 offset:544
	ds_read_b128 v[121:124], v116 offset:560
	buffer_load_dword v142, off, s[0:3], 0 offset:164
	v_cmp_lt_u32_e32 vcc, 8, v0
	s_waitcnt vmcnt(20) lgkmcnt(1)
	v_fma_f64 v[117:118], v[125:126], v[117:118], 0
	s_waitcnt vmcnt(18)
	v_fma_f64 v[117:118], v[127:128], v[119:120], v[117:118]
	buffer_load_dword v126, off, s[0:3], 0 offset:172
	buffer_load_dword v127, off, s[0:3], 0 offset:192
	;; [unrolled: 1-line block ×7, first 2 shown]
	s_waitcnt vmcnt(23) lgkmcnt(0)
	v_fma_f64 v[117:118], v[129:130], v[121:122], v[117:118]
	s_waitcnt vmcnt(21)
	v_fma_f64 v[128:129], v[131:132], v[123:124], v[117:118]
	ds_read_b128 v[117:120], v116 offset:576
	ds_read_b128 v[121:124], v116 offset:592
	s_waitcnt vmcnt(19) lgkmcnt(1)
	v_fma_f64 v[117:118], v[133:134], v[117:118], v[128:129]
	buffer_load_dword v128, off, s[0:3], 0 offset:196
	s_waitcnt vmcnt(18)
	v_fma_f64 v[117:118], v[135:136], v[119:120], v[117:118]
	buffer_load_dword v130, off, s[0:3], 0 offset:204
	buffer_load_dword v131, off, s[0:3], 0 offset:224
	;; [unrolled: 1-line block ×8, first 2 shown]
	s_waitcnt vmcnt(24) lgkmcnt(0)
	v_fma_f64 v[117:118], v[137:138], v[121:122], v[117:118]
	s_waitcnt vmcnt(19)
	v_fma_f64 v[137:138], v[139:140], v[123:124], v[117:118]
	ds_read_b128 v[117:120], v116 offset:608
	ds_read_b128 v[121:124], v116 offset:624
	s_waitcnt vmcnt(18) lgkmcnt(1)
	v_fma_f64 v[117:118], v[145:146], v[117:118], v[137:138]
	s_waitcnt vmcnt(17)
	v_fma_f64 v[117:118], v[143:144], v[119:120], v[117:118]
	buffer_load_dword v138, off, s[0:3], 0 offset:236
	buffer_load_dword v139, off, s[0:3], 0 offset:256
	;; [unrolled: 1-line block ×7, first 2 shown]
	s_waitcnt vmcnt(23) lgkmcnt(0)
	v_fma_f64 v[117:118], v[141:142], v[121:122], v[117:118]
	s_waitcnt vmcnt(18)
	v_fma_f64 v[125:126], v[125:126], v[123:124], v[117:118]
	ds_read_b128 v[117:120], v116 offset:640
	ds_read_b128 v[121:124], v116 offset:656
	buffer_load_dword v140, off, s[0:3], 0 offset:260
	s_waitcnt vmcnt(18) lgkmcnt(1)
	v_fma_f64 v[117:118], v[149:150], v[117:118], v[125:126]
	s_waitcnt vmcnt(17)
	v_fma_f64 v[117:118], v[147:148], v[119:120], v[117:118]
	buffer_load_dword v126, off, s[0:3], 0 offset:268
	buffer_load_dword v141, off, s[0:3], 0 offset:288
	;; [unrolled: 1-line block ×8, first 2 shown]
	s_waitcnt vmcnt(24) lgkmcnt(0)
	v_fma_f64 v[117:118], v[127:128], v[121:122], v[117:118]
	s_waitcnt vmcnt(19)
	v_fma_f64 v[127:128], v[129:130], v[123:124], v[117:118]
	ds_read_b128 v[117:120], v116 offset:672
	ds_read_b128 v[121:124], v116 offset:688
	s_waitcnt vmcnt(18) lgkmcnt(1)
	v_fma_f64 v[117:118], v[135:136], v[117:118], v[127:128]
	s_waitcnt vmcnt(17)
	v_fma_f64 v[117:118], v[133:134], v[119:120], v[117:118]
	buffer_load_dword v128, off, s[0:3], 0 offset:300
	buffer_load_dword v129, off, s[0:3], 0 offset:320
	;; [unrolled: 1-line block ×7, first 2 shown]
	s_waitcnt vmcnt(23) lgkmcnt(0)
	v_fma_f64 v[117:118], v[131:132], v[121:122], v[117:118]
	s_waitcnt vmcnt(18)
	v_fma_f64 v[130:131], v[137:138], v[123:124], v[117:118]
	ds_read_b128 v[117:120], v116 offset:704
	ds_read_b128 v[121:124], v116 offset:720
	s_waitcnt vmcnt(17) lgkmcnt(1)
	v_fma_f64 v[117:118], v[145:146], v[117:118], v[130:131]
	buffer_load_dword v130, off, s[0:3], 0 offset:324
	s_waitcnt vmcnt(17)
	v_fma_f64 v[117:118], v[143:144], v[119:120], v[117:118]
	buffer_load_dword v132, off, s[0:3], 0 offset:332
	buffer_load_dword v137, off, s[0:3], 0 offset:352
	;; [unrolled: 1-line block ×7, first 2 shown]
	s_waitcnt vmcnt(23) lgkmcnt(0)
	v_fma_f64 v[117:118], v[139:140], v[121:122], v[117:118]
	s_waitcnt vmcnt(18)
	v_fma_f64 v[125:126], v[125:126], v[123:124], v[117:118]
	ds_read_b128 v[117:120], v116 offset:736
	ds_read_b128 v[121:124], v116 offset:752
	buffer_load_dword v138, off, s[0:3], 0 offset:356
	s_waitcnt vmcnt(18) lgkmcnt(1)
	v_fma_f64 v[117:118], v[149:150], v[117:118], v[125:126]
	s_waitcnt vmcnt(17)
	v_fma_f64 v[117:118], v[147:148], v[119:120], v[117:118]
	buffer_load_dword v126, off, s[0:3], 0 offset:364
	buffer_load_dword v139, off, s[0:3], 0 offset:384
	buffer_load_dword v147, off, s[0:3], 0 offset:376
	buffer_load_dword v149, off, s[0:3], 0 offset:368
	buffer_load_dword v125, off, s[0:3], 0 offset:360
	buffer_load_dword v150, off, s[0:3], 0 offset:372
	buffer_load_dword v148, off, s[0:3], 0 offset:380
	buffer_load_dword v140, off, s[0:3], 0 offset:388
	s_waitcnt vmcnt(24) lgkmcnt(0)
	v_fma_f64 v[117:118], v[141:142], v[121:122], v[117:118]
	s_waitcnt vmcnt(19)
	v_fma_f64 v[127:128], v[127:128], v[123:124], v[117:118]
	ds_read_b128 v[117:120], v116 offset:768
	ds_read_b128 v[121:124], v116 offset:784
	s_waitcnt vmcnt(18) lgkmcnt(1)
	v_fma_f64 v[117:118], v[135:136], v[117:118], v[127:128]
	s_waitcnt vmcnt(17)
	v_fma_f64 v[117:118], v[133:134], v[119:120], v[117:118]
	buffer_load_dword v128, off, s[0:3], 0 offset:396
	buffer_load_dword v133, off, s[0:3], 0 offset:416
	buffer_load_dword v135, off, s[0:3], 0 offset:408
	buffer_load_dword v141, off, s[0:3], 0 offset:400
	buffer_load_dword v127, off, s[0:3], 0 offset:392
	buffer_load_dword v142, off, s[0:3], 0 offset:404
	buffer_load_dword v136, off, s[0:3], 0 offset:412
	buffer_load_dword v134, off, s[0:3], 0 offset:420
	s_waitcnt vmcnt(24) lgkmcnt(0)
	v_fma_f64 v[117:118], v[129:130], v[121:122], v[117:118]
	s_waitcnt vmcnt(19)
	v_fma_f64 v[129:130], v[131:132], v[123:124], v[117:118]
	ds_read_b128 v[117:120], v116 offset:800
	ds_read_b128 v[121:124], v116 offset:816
	;; [unrolled: 18-line block ×3, first 2 shown]
	s_waitcnt vmcnt(18) lgkmcnt(1)
	v_fma_f64 v[117:118], v[149:150], v[117:118], v[125:126]
	buffer_load_dword v125, off, s[0:3], 0 offset:72
	buffer_load_dword v126, off, s[0:3], 0 offset:76
	s_waitcnt vmcnt(19)
	v_fma_f64 v[117:118], v[147:148], v[119:120], v[117:118]
	s_waitcnt vmcnt(18) lgkmcnt(0)
	v_fma_f64 v[117:118], v[139:140], v[121:122], v[117:118]
	s_waitcnt vmcnt(13)
	v_fma_f64 v[127:128], v[127:128], v[123:124], v[117:118]
	ds_read_b128 v[117:120], v116 offset:864
	ds_read_b128 v[121:124], v116 offset:880
	s_waitcnt vmcnt(12) lgkmcnt(1)
	v_fma_f64 v[117:118], v[141:142], v[117:118], v[127:128]
	s_waitcnt vmcnt(11)
	v_fma_f64 v[117:118], v[135:136], v[119:120], v[117:118]
	s_waitcnt vmcnt(10) lgkmcnt(0)
	v_fma_f64 v[117:118], v[133:134], v[121:122], v[117:118]
	s_waitcnt vmcnt(5)
	v_fma_f64 v[121:122], v[129:130], v[123:124], v[117:118]
	ds_read_b128 v[117:120], v116 offset:896
	ds_read_b64 v[123:124], v116 offset:912
	s_waitcnt vmcnt(4) lgkmcnt(1)
	v_fma_f64 v[117:118], v[145:146], v[117:118], v[121:122]
	s_waitcnt vmcnt(3)
	v_fma_f64 v[117:118], v[143:144], v[119:120], v[117:118]
	s_waitcnt vmcnt(2) lgkmcnt(0)
	v_fma_f64 v[117:118], v[131:132], v[123:124], v[117:118]
	s_waitcnt vmcnt(0)
	v_add_f64 v[117:118], v[125:126], -v[117:118]
	buffer_store_dword v118, off, s[0:3], 0 offset:76
	buffer_store_dword v117, off, s[0:3], 0 offset:72
	s_and_saveexec_b64 s[4:5], vcc
	s_cbranch_execz .LBB56_333
; %bb.332:
	buffer_load_dword v117, off, s[0:3], 0 offset:64
	buffer_load_dword v118, off, s[0:3], 0 offset:68
	s_waitcnt vmcnt(0)
	ds_write_b64 v115, v[117:118]
	buffer_store_dword v116, off, s[0:3], 0 offset:64
	buffer_store_dword v116, off, s[0:3], 0 offset:68
.LBB56_333:
	s_or_b64 exec, exec, s[4:5]
	s_waitcnt lgkmcnt(0)
	; wave barrier
	buffer_load_dword v125, off, s[0:3], 0 offset:72
	buffer_load_dword v126, off, s[0:3], 0 offset:76
	;; [unrolled: 1-line block ×21, first 2 shown]
	ds_read2_b64 v[117:120], v116 offset0:67 offset1:68
	ds_read2_b64 v[121:124], v116 offset0:69 offset1:70
	buffer_load_dword v142, off, s[0:3], 0 offset:156
	v_cmp_lt_u32_e32 vcc, 7, v0
	s_waitcnt vmcnt(20) lgkmcnt(1)
	v_fma_f64 v[117:118], v[125:126], v[117:118], 0
	s_waitcnt vmcnt(18)
	v_fma_f64 v[117:118], v[127:128], v[119:120], v[117:118]
	buffer_load_dword v126, off, s[0:3], 0 offset:164
	buffer_load_dword v127, off, s[0:3], 0 offset:184
	;; [unrolled: 1-line block ×7, first 2 shown]
	s_waitcnt vmcnt(23) lgkmcnt(0)
	v_fma_f64 v[117:118], v[129:130], v[121:122], v[117:118]
	s_waitcnt vmcnt(21)
	v_fma_f64 v[128:129], v[131:132], v[123:124], v[117:118]
	ds_read2_b64 v[117:120], v116 offset0:71 offset1:72
	ds_read2_b64 v[121:124], v116 offset0:73 offset1:74
	s_waitcnt vmcnt(19) lgkmcnt(1)
	v_fma_f64 v[117:118], v[133:134], v[117:118], v[128:129]
	buffer_load_dword v128, off, s[0:3], 0 offset:188
	s_waitcnt vmcnt(18)
	v_fma_f64 v[117:118], v[135:136], v[119:120], v[117:118]
	buffer_load_dword v130, off, s[0:3], 0 offset:196
	buffer_load_dword v131, off, s[0:3], 0 offset:216
	;; [unrolled: 1-line block ×8, first 2 shown]
	s_waitcnt vmcnt(24) lgkmcnt(0)
	v_fma_f64 v[117:118], v[137:138], v[121:122], v[117:118]
	s_waitcnt vmcnt(19)
	v_fma_f64 v[137:138], v[139:140], v[123:124], v[117:118]
	ds_read2_b64 v[117:120], v116 offset0:75 offset1:76
	ds_read2_b64 v[121:124], v116 offset0:77 offset1:78
	s_waitcnt vmcnt(18) lgkmcnt(1)
	v_fma_f64 v[117:118], v[145:146], v[117:118], v[137:138]
	s_waitcnt vmcnt(17)
	v_fma_f64 v[117:118], v[143:144], v[119:120], v[117:118]
	buffer_load_dword v138, off, s[0:3], 0 offset:228
	buffer_load_dword v139, off, s[0:3], 0 offset:248
	;; [unrolled: 1-line block ×7, first 2 shown]
	s_waitcnt vmcnt(23) lgkmcnt(0)
	v_fma_f64 v[117:118], v[141:142], v[121:122], v[117:118]
	s_waitcnt vmcnt(18)
	v_fma_f64 v[125:126], v[125:126], v[123:124], v[117:118]
	ds_read2_b64 v[117:120], v116 offset0:79 offset1:80
	ds_read2_b64 v[121:124], v116 offset0:81 offset1:82
	buffer_load_dword v140, off, s[0:3], 0 offset:252
	s_waitcnt vmcnt(18) lgkmcnt(1)
	v_fma_f64 v[117:118], v[149:150], v[117:118], v[125:126]
	s_waitcnt vmcnt(17)
	v_fma_f64 v[117:118], v[147:148], v[119:120], v[117:118]
	buffer_load_dword v126, off, s[0:3], 0 offset:260
	buffer_load_dword v141, off, s[0:3], 0 offset:280
	;; [unrolled: 1-line block ×8, first 2 shown]
	s_waitcnt vmcnt(24) lgkmcnt(0)
	v_fma_f64 v[117:118], v[127:128], v[121:122], v[117:118]
	s_waitcnt vmcnt(19)
	v_fma_f64 v[127:128], v[129:130], v[123:124], v[117:118]
	ds_read2_b64 v[117:120], v116 offset0:83 offset1:84
	ds_read2_b64 v[121:124], v116 offset0:85 offset1:86
	s_waitcnt vmcnt(18) lgkmcnt(1)
	v_fma_f64 v[117:118], v[135:136], v[117:118], v[127:128]
	s_waitcnt vmcnt(17)
	v_fma_f64 v[117:118], v[133:134], v[119:120], v[117:118]
	buffer_load_dword v128, off, s[0:3], 0 offset:292
	buffer_load_dword v129, off, s[0:3], 0 offset:312
	;; [unrolled: 1-line block ×7, first 2 shown]
	s_waitcnt vmcnt(23) lgkmcnt(0)
	v_fma_f64 v[117:118], v[131:132], v[121:122], v[117:118]
	s_waitcnt vmcnt(18)
	v_fma_f64 v[130:131], v[137:138], v[123:124], v[117:118]
	ds_read2_b64 v[117:120], v116 offset0:87 offset1:88
	ds_read2_b64 v[121:124], v116 offset0:89 offset1:90
	s_waitcnt vmcnt(17) lgkmcnt(1)
	v_fma_f64 v[117:118], v[145:146], v[117:118], v[130:131]
	buffer_load_dword v130, off, s[0:3], 0 offset:316
	s_waitcnt vmcnt(17)
	v_fma_f64 v[117:118], v[143:144], v[119:120], v[117:118]
	buffer_load_dword v132, off, s[0:3], 0 offset:324
	buffer_load_dword v137, off, s[0:3], 0 offset:344
	buffer_load_dword v143, off, s[0:3], 0 offset:336
	buffer_load_dword v145, off, s[0:3], 0 offset:328
	buffer_load_dword v131, off, s[0:3], 0 offset:320
	buffer_load_dword v146, off, s[0:3], 0 offset:332
	buffer_load_dword v144, off, s[0:3], 0 offset:340
	s_waitcnt vmcnt(23) lgkmcnt(0)
	v_fma_f64 v[117:118], v[139:140], v[121:122], v[117:118]
	s_waitcnt vmcnt(18)
	v_fma_f64 v[125:126], v[125:126], v[123:124], v[117:118]
	ds_read2_b64 v[117:120], v116 offset0:91 offset1:92
	ds_read2_b64 v[121:124], v116 offset0:93 offset1:94
	buffer_load_dword v138, off, s[0:3], 0 offset:348
	s_waitcnt vmcnt(18) lgkmcnt(1)
	v_fma_f64 v[117:118], v[149:150], v[117:118], v[125:126]
	s_waitcnt vmcnt(17)
	v_fma_f64 v[117:118], v[147:148], v[119:120], v[117:118]
	buffer_load_dword v126, off, s[0:3], 0 offset:356
	buffer_load_dword v139, off, s[0:3], 0 offset:376
	buffer_load_dword v147, off, s[0:3], 0 offset:368
	buffer_load_dword v149, off, s[0:3], 0 offset:360
	buffer_load_dword v125, off, s[0:3], 0 offset:352
	buffer_load_dword v150, off, s[0:3], 0 offset:364
	buffer_load_dword v148, off, s[0:3], 0 offset:372
	buffer_load_dword v140, off, s[0:3], 0 offset:380
	s_waitcnt vmcnt(24) lgkmcnt(0)
	v_fma_f64 v[117:118], v[141:142], v[121:122], v[117:118]
	s_waitcnt vmcnt(19)
	v_fma_f64 v[127:128], v[127:128], v[123:124], v[117:118]
	ds_read2_b64 v[117:120], v116 offset0:95 offset1:96
	ds_read2_b64 v[121:124], v116 offset0:97 offset1:98
	s_waitcnt vmcnt(18) lgkmcnt(1)
	v_fma_f64 v[117:118], v[135:136], v[117:118], v[127:128]
	s_waitcnt vmcnt(17)
	v_fma_f64 v[117:118], v[133:134], v[119:120], v[117:118]
	buffer_load_dword v128, off, s[0:3], 0 offset:388
	buffer_load_dword v133, off, s[0:3], 0 offset:408
	buffer_load_dword v135, off, s[0:3], 0 offset:400
	buffer_load_dword v141, off, s[0:3], 0 offset:392
	buffer_load_dword v127, off, s[0:3], 0 offset:384
	buffer_load_dword v142, off, s[0:3], 0 offset:396
	buffer_load_dword v136, off, s[0:3], 0 offset:404
	buffer_load_dword v134, off, s[0:3], 0 offset:412
	s_waitcnt vmcnt(24) lgkmcnt(0)
	v_fma_f64 v[117:118], v[129:130], v[121:122], v[117:118]
	s_waitcnt vmcnt(19)
	v_fma_f64 v[129:130], v[131:132], v[123:124], v[117:118]
	ds_read2_b64 v[117:120], v116 offset0:99 offset1:100
	ds_read2_b64 v[121:124], v116 offset0:101 offset1:102
	;; [unrolled: 18-line block ×3, first 2 shown]
	s_waitcnt vmcnt(18) lgkmcnt(1)
	v_fma_f64 v[117:118], v[149:150], v[117:118], v[125:126]
	buffer_load_dword v126, off, s[0:3], 0 offset:452
	buffer_load_dword v125, off, s[0:3], 0 offset:448
	;; [unrolled: 1-line block ×4, first 2 shown]
	s_waitcnt vmcnt(21)
	v_fma_f64 v[117:118], v[147:148], v[119:120], v[117:118]
	s_waitcnt vmcnt(20) lgkmcnt(0)
	v_fma_f64 v[117:118], v[139:140], v[121:122], v[117:118]
	s_waitcnt vmcnt(15)
	v_fma_f64 v[127:128], v[127:128], v[123:124], v[117:118]
	ds_read2_b64 v[117:120], v116 offset0:107 offset1:108
	ds_read2_b64 v[121:124], v116 offset0:109 offset1:110
	s_waitcnt vmcnt(14) lgkmcnt(1)
	v_fma_f64 v[117:118], v[141:142], v[117:118], v[127:128]
	s_waitcnt vmcnt(13)
	v_fma_f64 v[117:118], v[135:136], v[119:120], v[117:118]
	s_waitcnt vmcnt(12) lgkmcnt(0)
	v_fma_f64 v[117:118], v[133:134], v[121:122], v[117:118]
	s_waitcnt vmcnt(7)
	v_fma_f64 v[127:128], v[129:130], v[123:124], v[117:118]
	ds_read2_b64 v[117:120], v116 offset0:111 offset1:112
	ds_read2_b64 v[121:124], v116 offset0:113 offset1:114
	s_waitcnt vmcnt(6) lgkmcnt(1)
	v_fma_f64 v[116:117], v[145:146], v[117:118], v[127:128]
	s_waitcnt vmcnt(5)
	v_fma_f64 v[116:117], v[143:144], v[119:120], v[116:117]
	s_waitcnt vmcnt(4) lgkmcnt(0)
	v_fma_f64 v[116:117], v[131:132], v[121:122], v[116:117]
	s_waitcnt vmcnt(2)
	v_fma_f64 v[116:117], v[125:126], v[123:124], v[116:117]
	s_waitcnt vmcnt(0)
	v_add_f64 v[116:117], v[137:138], -v[116:117]
	buffer_store_dword v117, off, s[0:3], 0 offset:68
	buffer_store_dword v116, off, s[0:3], 0 offset:64
	s_and_saveexec_b64 s[4:5], vcc
	s_cbranch_execz .LBB56_335
; %bb.334:
	buffer_load_dword v116, off, s[0:3], 0 offset:56
	buffer_load_dword v117, off, s[0:3], 0 offset:60
	v_mov_b32_e32 v118, 0
	buffer_store_dword v118, off, s[0:3], 0 offset:56
	buffer_store_dword v118, off, s[0:3], 0 offset:60
	s_waitcnt vmcnt(2)
	ds_write_b64 v115, v[116:117]
.LBB56_335:
	s_or_b64 exec, exec, s[4:5]
	s_waitcnt lgkmcnt(0)
	; wave barrier
	buffer_load_dword v125, off, s[0:3], 0 offset:64
	buffer_load_dword v126, off, s[0:3], 0 offset:68
	;; [unrolled: 1-line block ×21, first 2 shown]
	v_mov_b32_e32 v116, 0
	ds_read_b128 v[117:120], v116 offset:528
	ds_read_b128 v[121:124], v116 offset:544
	buffer_load_dword v142, off, s[0:3], 0 offset:148
	v_cmp_lt_u32_e32 vcc, 6, v0
	s_waitcnt vmcnt(20) lgkmcnt(1)
	v_fma_f64 v[117:118], v[125:126], v[117:118], 0
	s_waitcnt vmcnt(18)
	v_fma_f64 v[117:118], v[127:128], v[119:120], v[117:118]
	buffer_load_dword v126, off, s[0:3], 0 offset:156
	buffer_load_dword v127, off, s[0:3], 0 offset:176
	;; [unrolled: 1-line block ×7, first 2 shown]
	s_waitcnt vmcnt(23) lgkmcnt(0)
	v_fma_f64 v[117:118], v[129:130], v[121:122], v[117:118]
	s_waitcnt vmcnt(21)
	v_fma_f64 v[128:129], v[131:132], v[123:124], v[117:118]
	ds_read_b128 v[117:120], v116 offset:560
	ds_read_b128 v[121:124], v116 offset:576
	s_waitcnt vmcnt(19) lgkmcnt(1)
	v_fma_f64 v[117:118], v[133:134], v[117:118], v[128:129]
	buffer_load_dword v128, off, s[0:3], 0 offset:180
	s_waitcnt vmcnt(18)
	v_fma_f64 v[117:118], v[135:136], v[119:120], v[117:118]
	buffer_load_dword v130, off, s[0:3], 0 offset:188
	buffer_load_dword v131, off, s[0:3], 0 offset:208
	buffer_load_dword v133, off, s[0:3], 0 offset:200
	buffer_load_dword v135, off, s[0:3], 0 offset:192
	buffer_load_dword v129, off, s[0:3], 0 offset:184
	buffer_load_dword v136, off, s[0:3], 0 offset:196
	buffer_load_dword v134, off, s[0:3], 0 offset:204
	buffer_load_dword v132, off, s[0:3], 0 offset:212
	s_waitcnt vmcnt(24) lgkmcnt(0)
	v_fma_f64 v[117:118], v[137:138], v[121:122], v[117:118]
	s_waitcnt vmcnt(19)
	v_fma_f64 v[137:138], v[139:140], v[123:124], v[117:118]
	ds_read_b128 v[117:120], v116 offset:592
	ds_read_b128 v[121:124], v116 offset:608
	s_waitcnt vmcnt(18) lgkmcnt(1)
	v_fma_f64 v[117:118], v[145:146], v[117:118], v[137:138]
	s_waitcnt vmcnt(17)
	v_fma_f64 v[117:118], v[143:144], v[119:120], v[117:118]
	buffer_load_dword v138, off, s[0:3], 0 offset:220
	buffer_load_dword v139, off, s[0:3], 0 offset:240
	;; [unrolled: 1-line block ×7, first 2 shown]
	s_waitcnt vmcnt(23) lgkmcnt(0)
	v_fma_f64 v[117:118], v[141:142], v[121:122], v[117:118]
	s_waitcnt vmcnt(18)
	v_fma_f64 v[125:126], v[125:126], v[123:124], v[117:118]
	ds_read_b128 v[117:120], v116 offset:624
	ds_read_b128 v[121:124], v116 offset:640
	buffer_load_dword v140, off, s[0:3], 0 offset:244
	s_waitcnt vmcnt(18) lgkmcnt(1)
	v_fma_f64 v[117:118], v[149:150], v[117:118], v[125:126]
	s_waitcnt vmcnt(17)
	v_fma_f64 v[117:118], v[147:148], v[119:120], v[117:118]
	buffer_load_dword v126, off, s[0:3], 0 offset:252
	buffer_load_dword v141, off, s[0:3], 0 offset:272
	;; [unrolled: 1-line block ×7, first 2 shown]
	s_waitcnt vmcnt(23) lgkmcnt(0)
	v_fma_f64 v[117:118], v[127:128], v[121:122], v[117:118]
	s_waitcnt vmcnt(18)
	v_fma_f64 v[127:128], v[129:130], v[123:124], v[117:118]
	ds_read_b128 v[117:120], v116 offset:656
	ds_read_b128 v[121:124], v116 offset:672
	buffer_load_dword v142, off, s[0:3], 0 offset:276
	s_waitcnt vmcnt(18) lgkmcnt(1)
	v_fma_f64 v[117:118], v[135:136], v[117:118], v[127:128]
	s_waitcnt vmcnt(17)
	v_fma_f64 v[117:118], v[133:134], v[119:120], v[117:118]
	buffer_load_dword v128, off, s[0:3], 0 offset:284
	buffer_load_dword v129, off, s[0:3], 0 offset:304
	;; [unrolled: 1-line block ×7, first 2 shown]
	s_waitcnt vmcnt(23) lgkmcnt(0)
	v_fma_f64 v[117:118], v[131:132], v[121:122], v[117:118]
	s_waitcnt vmcnt(18)
	v_fma_f64 v[130:131], v[137:138], v[123:124], v[117:118]
	ds_read_b128 v[117:120], v116 offset:688
	ds_read_b128 v[121:124], v116 offset:704
	s_waitcnt vmcnt(17) lgkmcnt(1)
	v_fma_f64 v[117:118], v[145:146], v[117:118], v[130:131]
	buffer_load_dword v130, off, s[0:3], 0 offset:308
	s_waitcnt vmcnt(17)
	v_fma_f64 v[117:118], v[143:144], v[119:120], v[117:118]
	buffer_load_dword v132, off, s[0:3], 0 offset:316
	buffer_load_dword v137, off, s[0:3], 0 offset:336
	;; [unrolled: 1-line block ×7, first 2 shown]
	s_waitcnt vmcnt(23) lgkmcnt(0)
	v_fma_f64 v[117:118], v[139:140], v[121:122], v[117:118]
	s_waitcnt vmcnt(18)
	v_fma_f64 v[125:126], v[125:126], v[123:124], v[117:118]
	ds_read_b128 v[117:120], v116 offset:720
	ds_read_b128 v[121:124], v116 offset:736
	buffer_load_dword v138, off, s[0:3], 0 offset:340
	s_waitcnt vmcnt(18) lgkmcnt(1)
	v_fma_f64 v[117:118], v[149:150], v[117:118], v[125:126]
	s_waitcnt vmcnt(17)
	v_fma_f64 v[117:118], v[147:148], v[119:120], v[117:118]
	buffer_load_dword v126, off, s[0:3], 0 offset:348
	buffer_load_dword v139, off, s[0:3], 0 offset:368
	;; [unrolled: 1-line block ×7, first 2 shown]
	s_waitcnt vmcnt(23) lgkmcnt(0)
	v_fma_f64 v[117:118], v[141:142], v[121:122], v[117:118]
	s_waitcnt vmcnt(18)
	v_fma_f64 v[127:128], v[127:128], v[123:124], v[117:118]
	ds_read_b128 v[117:120], v116 offset:752
	ds_read_b128 v[121:124], v116 offset:768
	buffer_load_dword v140, off, s[0:3], 0 offset:372
	s_waitcnt vmcnt(18) lgkmcnt(1)
	v_fma_f64 v[117:118], v[135:136], v[117:118], v[127:128]
	s_waitcnt vmcnt(17)
	v_fma_f64 v[117:118], v[133:134], v[119:120], v[117:118]
	buffer_load_dword v128, off, s[0:3], 0 offset:380
	buffer_load_dword v133, off, s[0:3], 0 offset:400
	;; [unrolled: 1-line block ×8, first 2 shown]
	s_waitcnt vmcnt(24) lgkmcnt(0)
	v_fma_f64 v[117:118], v[129:130], v[121:122], v[117:118]
	s_waitcnt vmcnt(19)
	v_fma_f64 v[129:130], v[131:132], v[123:124], v[117:118]
	ds_read_b128 v[117:120], v116 offset:784
	ds_read_b128 v[121:124], v116 offset:800
	s_waitcnt vmcnt(18) lgkmcnt(1)
	v_fma_f64 v[117:118], v[145:146], v[117:118], v[129:130]
	s_waitcnt vmcnt(17)
	v_fma_f64 v[117:118], v[143:144], v[119:120], v[117:118]
	buffer_load_dword v130, off, s[0:3], 0 offset:412
	buffer_load_dword v131, off, s[0:3], 0 offset:432
	;; [unrolled: 1-line block ×7, first 2 shown]
	s_waitcnt vmcnt(23) lgkmcnt(0)
	v_fma_f64 v[117:118], v[137:138], v[121:122], v[117:118]
	s_waitcnt vmcnt(18)
	v_fma_f64 v[125:126], v[125:126], v[123:124], v[117:118]
	ds_read_b128 v[117:120], v116 offset:816
	ds_read_b128 v[121:124], v116 offset:832
	buffer_load_dword v132, off, s[0:3], 0 offset:436
	s_waitcnt vmcnt(18) lgkmcnt(1)
	v_fma_f64 v[117:118], v[149:150], v[117:118], v[125:126]
	buffer_load_dword v126, off, s[0:3], 0 offset:444
	buffer_load_dword v137, off, s[0:3], 0 offset:448
	;; [unrolled: 1-line block ×4, first 2 shown]
	s_waitcnt vmcnt(21)
	v_fma_f64 v[117:118], v[147:148], v[119:120], v[117:118]
	s_waitcnt vmcnt(20) lgkmcnt(0)
	v_fma_f64 v[117:118], v[139:140], v[121:122], v[117:118]
	buffer_load_dword v139, off, s[0:3], 0 offset:56
	buffer_load_dword v140, off, s[0:3], 0 offset:60
	s_waitcnt vmcnt(17)
	v_fma_f64 v[127:128], v[127:128], v[123:124], v[117:118]
	ds_read_b128 v[117:120], v116 offset:848
	ds_read_b128 v[121:124], v116 offset:864
	s_waitcnt vmcnt(16) lgkmcnt(1)
	v_fma_f64 v[117:118], v[141:142], v[117:118], v[127:128]
	s_waitcnt vmcnt(15)
	v_fma_f64 v[117:118], v[135:136], v[119:120], v[117:118]
	s_waitcnt vmcnt(14) lgkmcnt(0)
	v_fma_f64 v[117:118], v[133:134], v[121:122], v[117:118]
	s_waitcnt vmcnt(9)
	v_fma_f64 v[127:128], v[129:130], v[123:124], v[117:118]
	ds_read_b128 v[117:120], v116 offset:880
	ds_read_b128 v[121:124], v116 offset:896
	s_waitcnt vmcnt(8) lgkmcnt(1)
	v_fma_f64 v[117:118], v[145:146], v[117:118], v[127:128]
	s_waitcnt vmcnt(7)
	v_fma_f64 v[117:118], v[143:144], v[119:120], v[117:118]
	ds_read_b64 v[119:120], v116 offset:912
	s_waitcnt vmcnt(6) lgkmcnt(1)
	v_fma_f64 v[117:118], v[131:132], v[121:122], v[117:118]
	s_waitcnt vmcnt(3)
	v_fma_f64 v[117:118], v[125:126], v[123:124], v[117:118]
	s_waitcnt vmcnt(2) lgkmcnt(0)
	v_fma_f64 v[117:118], v[137:138], v[119:120], v[117:118]
	s_waitcnt vmcnt(0)
	v_add_f64 v[117:118], v[139:140], -v[117:118]
	buffer_store_dword v118, off, s[0:3], 0 offset:60
	buffer_store_dword v117, off, s[0:3], 0 offset:56
	s_and_saveexec_b64 s[4:5], vcc
	s_cbranch_execz .LBB56_337
; %bb.336:
	buffer_load_dword v117, off, s[0:3], 0 offset:48
	buffer_load_dword v118, off, s[0:3], 0 offset:52
	s_waitcnt vmcnt(0)
	ds_write_b64 v115, v[117:118]
	buffer_store_dword v116, off, s[0:3], 0 offset:48
	buffer_store_dword v116, off, s[0:3], 0 offset:52
.LBB56_337:
	s_or_b64 exec, exec, s[4:5]
	s_waitcnt lgkmcnt(0)
	; wave barrier
	buffer_load_dword v125, off, s[0:3], 0 offset:56
	buffer_load_dword v126, off, s[0:3], 0 offset:60
	;; [unrolled: 1-line block ×22, first 2 shown]
	ds_read2_b64 v[117:120], v116 offset0:65 offset1:66
	ds_read2_b64 v[121:124], v116 offset0:67 offset1:68
	v_cmp_lt_u32_e32 vcc, 5, v0
	s_waitcnt vmcnt(20) lgkmcnt(1)
	v_fma_f64 v[117:118], v[125:126], v[117:118], 0
	s_waitcnt vmcnt(18)
	v_fma_f64 v[117:118], v[127:128], v[119:120], v[117:118]
	buffer_load_dword v126, off, s[0:3], 0 offset:148
	buffer_load_dword v127, off, s[0:3], 0 offset:168
	;; [unrolled: 1-line block ×7, first 2 shown]
	s_waitcnt vmcnt(23) lgkmcnt(0)
	v_fma_f64 v[117:118], v[129:130], v[121:122], v[117:118]
	s_waitcnt vmcnt(21)
	v_fma_f64 v[128:129], v[131:132], v[123:124], v[117:118]
	ds_read2_b64 v[117:120], v116 offset0:69 offset1:70
	ds_read2_b64 v[121:124], v116 offset0:71 offset1:72
	s_waitcnt vmcnt(19) lgkmcnt(1)
	v_fma_f64 v[117:118], v[133:134], v[117:118], v[128:129]
	buffer_load_dword v128, off, s[0:3], 0 offset:172
	s_waitcnt vmcnt(18)
	v_fma_f64 v[117:118], v[135:136], v[119:120], v[117:118]
	buffer_load_dword v130, off, s[0:3], 0 offset:180
	buffer_load_dword v131, off, s[0:3], 0 offset:200
	buffer_load_dword v133, off, s[0:3], 0 offset:192
	buffer_load_dword v135, off, s[0:3], 0 offset:184
	buffer_load_dword v129, off, s[0:3], 0 offset:176
	buffer_load_dword v136, off, s[0:3], 0 offset:188
	buffer_load_dword v134, off, s[0:3], 0 offset:196
	buffer_load_dword v132, off, s[0:3], 0 offset:204
	s_waitcnt vmcnt(24) lgkmcnt(0)
	v_fma_f64 v[117:118], v[137:138], v[121:122], v[117:118]
	s_waitcnt vmcnt(19)
	v_fma_f64 v[137:138], v[139:140], v[123:124], v[117:118]
	ds_read2_b64 v[117:120], v116 offset0:73 offset1:74
	ds_read2_b64 v[121:124], v116 offset0:75 offset1:76
	s_waitcnt vmcnt(18) lgkmcnt(1)
	v_fma_f64 v[117:118], v[145:146], v[117:118], v[137:138]
	s_waitcnt vmcnt(17)
	v_fma_f64 v[117:118], v[143:144], v[119:120], v[117:118]
	buffer_load_dword v138, off, s[0:3], 0 offset:212
	buffer_load_dword v139, off, s[0:3], 0 offset:232
	;; [unrolled: 1-line block ×8, first 2 shown]
	s_waitcnt vmcnt(24) lgkmcnt(0)
	v_fma_f64 v[117:118], v[141:142], v[121:122], v[117:118]
	s_waitcnt vmcnt(19)
	v_fma_f64 v[125:126], v[125:126], v[123:124], v[117:118]
	ds_read2_b64 v[117:120], v116 offset0:77 offset1:78
	ds_read2_b64 v[121:124], v116 offset0:79 offset1:80
	s_waitcnt vmcnt(18) lgkmcnt(1)
	v_fma_f64 v[117:118], v[149:150], v[117:118], v[125:126]
	s_waitcnt vmcnt(17)
	v_fma_f64 v[117:118], v[147:148], v[119:120], v[117:118]
	buffer_load_dword v126, off, s[0:3], 0 offset:244
	buffer_load_dword v141, off, s[0:3], 0 offset:264
	;; [unrolled: 1-line block ×7, first 2 shown]
	s_waitcnt vmcnt(23) lgkmcnt(0)
	v_fma_f64 v[117:118], v[127:128], v[121:122], v[117:118]
	s_waitcnt vmcnt(18)
	v_fma_f64 v[127:128], v[129:130], v[123:124], v[117:118]
	ds_read2_b64 v[117:120], v116 offset0:81 offset1:82
	ds_read2_b64 v[121:124], v116 offset0:83 offset1:84
	buffer_load_dword v142, off, s[0:3], 0 offset:268
	s_waitcnt vmcnt(18) lgkmcnt(1)
	v_fma_f64 v[117:118], v[135:136], v[117:118], v[127:128]
	s_waitcnt vmcnt(17)
	v_fma_f64 v[117:118], v[133:134], v[119:120], v[117:118]
	buffer_load_dword v128, off, s[0:3], 0 offset:276
	buffer_load_dword v129, off, s[0:3], 0 offset:296
	;; [unrolled: 1-line block ×7, first 2 shown]
	s_waitcnt vmcnt(23) lgkmcnt(0)
	v_fma_f64 v[117:118], v[131:132], v[121:122], v[117:118]
	s_waitcnt vmcnt(18)
	v_fma_f64 v[130:131], v[137:138], v[123:124], v[117:118]
	ds_read2_b64 v[117:120], v116 offset0:85 offset1:86
	ds_read2_b64 v[121:124], v116 offset0:87 offset1:88
	s_waitcnt vmcnt(17) lgkmcnt(1)
	v_fma_f64 v[117:118], v[145:146], v[117:118], v[130:131]
	buffer_load_dword v130, off, s[0:3], 0 offset:300
	s_waitcnt vmcnt(17)
	v_fma_f64 v[117:118], v[143:144], v[119:120], v[117:118]
	buffer_load_dword v132, off, s[0:3], 0 offset:308
	buffer_load_dword v137, off, s[0:3], 0 offset:328
	;; [unrolled: 1-line block ×8, first 2 shown]
	s_waitcnt vmcnt(24) lgkmcnt(0)
	v_fma_f64 v[117:118], v[139:140], v[121:122], v[117:118]
	s_waitcnt vmcnt(19)
	v_fma_f64 v[125:126], v[125:126], v[123:124], v[117:118]
	ds_read2_b64 v[117:120], v116 offset0:89 offset1:90
	ds_read2_b64 v[121:124], v116 offset0:91 offset1:92
	s_waitcnt vmcnt(18) lgkmcnt(1)
	v_fma_f64 v[117:118], v[149:150], v[117:118], v[125:126]
	s_waitcnt vmcnt(17)
	v_fma_f64 v[117:118], v[147:148], v[119:120], v[117:118]
	buffer_load_dword v126, off, s[0:3], 0 offset:340
	buffer_load_dword v139, off, s[0:3], 0 offset:360
	buffer_load_dword v147, off, s[0:3], 0 offset:352
	buffer_load_dword v149, off, s[0:3], 0 offset:344
	buffer_load_dword v125, off, s[0:3], 0 offset:336
	buffer_load_dword v150, off, s[0:3], 0 offset:348
	buffer_load_dword v148, off, s[0:3], 0 offset:356
	s_waitcnt vmcnt(23) lgkmcnt(0)
	v_fma_f64 v[117:118], v[141:142], v[121:122], v[117:118]
	s_waitcnt vmcnt(18)
	v_fma_f64 v[127:128], v[127:128], v[123:124], v[117:118]
	ds_read2_b64 v[117:120], v116 offset0:93 offset1:94
	ds_read2_b64 v[121:124], v116 offset0:95 offset1:96
	buffer_load_dword v140, off, s[0:3], 0 offset:364
	s_waitcnt vmcnt(18) lgkmcnt(1)
	v_fma_f64 v[117:118], v[135:136], v[117:118], v[127:128]
	s_waitcnt vmcnt(17)
	v_fma_f64 v[117:118], v[133:134], v[119:120], v[117:118]
	buffer_load_dword v128, off, s[0:3], 0 offset:372
	buffer_load_dword v133, off, s[0:3], 0 offset:392
	;; [unrolled: 1-line block ×8, first 2 shown]
	s_waitcnt vmcnt(24) lgkmcnt(0)
	v_fma_f64 v[117:118], v[129:130], v[121:122], v[117:118]
	s_waitcnt vmcnt(19)
	v_fma_f64 v[129:130], v[131:132], v[123:124], v[117:118]
	ds_read2_b64 v[117:120], v116 offset0:97 offset1:98
	ds_read2_b64 v[121:124], v116 offset0:99 offset1:100
	s_waitcnt vmcnt(18) lgkmcnt(1)
	v_fma_f64 v[117:118], v[145:146], v[117:118], v[129:130]
	s_waitcnt vmcnt(17)
	v_fma_f64 v[117:118], v[143:144], v[119:120], v[117:118]
	buffer_load_dword v130, off, s[0:3], 0 offset:404
	buffer_load_dword v131, off, s[0:3], 0 offset:424
	buffer_load_dword v143, off, s[0:3], 0 offset:416
	buffer_load_dword v145, off, s[0:3], 0 offset:408
	buffer_load_dword v129, off, s[0:3], 0 offset:400
	buffer_load_dword v146, off, s[0:3], 0 offset:412
	buffer_load_dword v144, off, s[0:3], 0 offset:420
	buffer_load_dword v132, off, s[0:3], 0 offset:428
	s_waitcnt vmcnt(24) lgkmcnt(0)
	v_fma_f64 v[117:118], v[137:138], v[121:122], v[117:118]
	s_waitcnt vmcnt(19)
	v_fma_f64 v[125:126], v[125:126], v[123:124], v[117:118]
	ds_read2_b64 v[117:120], v116 offset0:101 offset1:102
	ds_read2_b64 v[121:124], v116 offset0:103 offset1:104
	s_waitcnt vmcnt(18) lgkmcnt(1)
	v_fma_f64 v[117:118], v[149:150], v[117:118], v[125:126]
	s_waitcnt vmcnt(17)
	v_fma_f64 v[117:118], v[147:148], v[119:120], v[117:118]
	buffer_load_dword v126, off, s[0:3], 0 offset:436
	buffer_load_dword v137, off, s[0:3], 0 offset:448
	;; [unrolled: 1-line block ×6, first 2 shown]
	s_waitcnt vmcnt(22) lgkmcnt(0)
	v_fma_f64 v[117:118], v[139:140], v[121:122], v[117:118]
	s_waitcnt vmcnt(17)
	v_fma_f64 v[127:128], v[127:128], v[123:124], v[117:118]
	ds_read2_b64 v[117:120], v116 offset0:105 offset1:106
	buffer_load_dword v139, off, s[0:3], 0 offset:48
	buffer_load_dword v140, off, s[0:3], 0 offset:52
	ds_read2_b64 v[121:124], v116 offset0:107 offset1:108
	s_waitcnt vmcnt(18) lgkmcnt(1)
	v_fma_f64 v[117:118], v[141:142], v[117:118], v[127:128]
	s_waitcnt vmcnt(17)
	v_fma_f64 v[117:118], v[135:136], v[119:120], v[117:118]
	s_waitcnt vmcnt(16) lgkmcnt(0)
	v_fma_f64 v[117:118], v[133:134], v[121:122], v[117:118]
	s_waitcnt vmcnt(11)
	v_fma_f64 v[127:128], v[129:130], v[123:124], v[117:118]
	ds_read2_b64 v[117:120], v116 offset0:109 offset1:110
	ds_read2_b64 v[121:124], v116 offset0:111 offset1:112
	s_waitcnt vmcnt(10) lgkmcnt(1)
	v_fma_f64 v[117:118], v[145:146], v[117:118], v[127:128]
	s_waitcnt vmcnt(9)
	v_fma_f64 v[117:118], v[143:144], v[119:120], v[117:118]
	s_waitcnt vmcnt(8) lgkmcnt(0)
	v_fma_f64 v[117:118], v[131:132], v[121:122], v[117:118]
	s_waitcnt vmcnt(4)
	v_fma_f64 v[120:121], v[125:126], v[123:124], v[117:118]
	ds_read2_b64 v[116:119], v116 offset0:113 offset1:114
	s_waitcnt vmcnt(3) lgkmcnt(0)
	v_fma_f64 v[116:117], v[147:148], v[116:117], v[120:121]
	s_waitcnt vmcnt(2)
	v_fma_f64 v[116:117], v[137:138], v[118:119], v[116:117]
	s_waitcnt vmcnt(0)
	v_add_f64 v[116:117], v[139:140], -v[116:117]
	buffer_store_dword v117, off, s[0:3], 0 offset:52
	buffer_store_dword v116, off, s[0:3], 0 offset:48
	s_and_saveexec_b64 s[4:5], vcc
	s_cbranch_execz .LBB56_339
; %bb.338:
	buffer_load_dword v116, off, s[0:3], 0 offset:40
	buffer_load_dword v117, off, s[0:3], 0 offset:44
	v_mov_b32_e32 v118, 0
	buffer_store_dword v118, off, s[0:3], 0 offset:40
	buffer_store_dword v118, off, s[0:3], 0 offset:44
	s_waitcnt vmcnt(2)
	ds_write_b64 v115, v[116:117]
.LBB56_339:
	s_or_b64 exec, exec, s[4:5]
	s_waitcnt lgkmcnt(0)
	; wave barrier
	buffer_load_dword v125, off, s[0:3], 0 offset:48
	buffer_load_dword v126, off, s[0:3], 0 offset:52
	;; [unrolled: 1-line block ×22, first 2 shown]
	v_mov_b32_e32 v116, 0
	ds_read_b128 v[117:120], v116 offset:512
	ds_read_b128 v[121:124], v116 offset:528
	v_cmp_lt_u32_e32 vcc, 4, v0
	s_waitcnt vmcnt(20) lgkmcnt(1)
	v_fma_f64 v[117:118], v[125:126], v[117:118], 0
	s_waitcnt vmcnt(18)
	v_fma_f64 v[117:118], v[127:128], v[119:120], v[117:118]
	buffer_load_dword v126, off, s[0:3], 0 offset:140
	buffer_load_dword v127, off, s[0:3], 0 offset:160
	;; [unrolled: 1-line block ×7, first 2 shown]
	s_waitcnt vmcnt(23) lgkmcnt(0)
	v_fma_f64 v[117:118], v[129:130], v[121:122], v[117:118]
	s_waitcnt vmcnt(21)
	v_fma_f64 v[128:129], v[131:132], v[123:124], v[117:118]
	ds_read_b128 v[117:120], v116 offset:544
	ds_read_b128 v[121:124], v116 offset:560
	s_waitcnt vmcnt(19) lgkmcnt(1)
	v_fma_f64 v[117:118], v[133:134], v[117:118], v[128:129]
	buffer_load_dword v128, off, s[0:3], 0 offset:164
	s_waitcnt vmcnt(18)
	v_fma_f64 v[117:118], v[135:136], v[119:120], v[117:118]
	buffer_load_dword v130, off, s[0:3], 0 offset:172
	buffer_load_dword v131, off, s[0:3], 0 offset:192
	;; [unrolled: 1-line block ×8, first 2 shown]
	s_waitcnt vmcnt(24) lgkmcnt(0)
	v_fma_f64 v[117:118], v[137:138], v[121:122], v[117:118]
	s_waitcnt vmcnt(19)
	v_fma_f64 v[137:138], v[139:140], v[123:124], v[117:118]
	ds_read_b128 v[117:120], v116 offset:576
	ds_read_b128 v[121:124], v116 offset:592
	s_waitcnt vmcnt(18) lgkmcnt(1)
	v_fma_f64 v[117:118], v[145:146], v[117:118], v[137:138]
	s_waitcnt vmcnt(17)
	v_fma_f64 v[117:118], v[143:144], v[119:120], v[117:118]
	buffer_load_dword v138, off, s[0:3], 0 offset:204
	buffer_load_dword v139, off, s[0:3], 0 offset:224
	;; [unrolled: 1-line block ×8, first 2 shown]
	s_waitcnt vmcnt(24) lgkmcnt(0)
	v_fma_f64 v[117:118], v[141:142], v[121:122], v[117:118]
	s_waitcnt vmcnt(19)
	v_fma_f64 v[125:126], v[125:126], v[123:124], v[117:118]
	ds_read_b128 v[117:120], v116 offset:608
	ds_read_b128 v[121:124], v116 offset:624
	s_waitcnt vmcnt(18) lgkmcnt(1)
	v_fma_f64 v[117:118], v[149:150], v[117:118], v[125:126]
	s_waitcnt vmcnt(17)
	v_fma_f64 v[117:118], v[147:148], v[119:120], v[117:118]
	buffer_load_dword v126, off, s[0:3], 0 offset:236
	buffer_load_dword v141, off, s[0:3], 0 offset:256
	;; [unrolled: 1-line block ×7, first 2 shown]
	s_waitcnt vmcnt(23) lgkmcnt(0)
	v_fma_f64 v[117:118], v[127:128], v[121:122], v[117:118]
	s_waitcnt vmcnt(18)
	v_fma_f64 v[127:128], v[129:130], v[123:124], v[117:118]
	ds_read_b128 v[117:120], v116 offset:640
	ds_read_b128 v[121:124], v116 offset:656
	buffer_load_dword v142, off, s[0:3], 0 offset:260
	s_waitcnt vmcnt(18) lgkmcnt(1)
	v_fma_f64 v[117:118], v[135:136], v[117:118], v[127:128]
	s_waitcnt vmcnt(17)
	v_fma_f64 v[117:118], v[133:134], v[119:120], v[117:118]
	buffer_load_dword v128, off, s[0:3], 0 offset:268
	buffer_load_dword v129, off, s[0:3], 0 offset:288
	;; [unrolled: 1-line block ×7, first 2 shown]
	s_waitcnt vmcnt(23) lgkmcnt(0)
	v_fma_f64 v[117:118], v[131:132], v[121:122], v[117:118]
	s_waitcnt vmcnt(18)
	v_fma_f64 v[130:131], v[137:138], v[123:124], v[117:118]
	ds_read_b128 v[117:120], v116 offset:672
	ds_read_b128 v[121:124], v116 offset:688
	s_waitcnt vmcnt(17) lgkmcnt(1)
	v_fma_f64 v[117:118], v[145:146], v[117:118], v[130:131]
	buffer_load_dword v130, off, s[0:3], 0 offset:292
	s_waitcnt vmcnt(17)
	v_fma_f64 v[117:118], v[143:144], v[119:120], v[117:118]
	buffer_load_dword v132, off, s[0:3], 0 offset:300
	buffer_load_dword v137, off, s[0:3], 0 offset:320
	;; [unrolled: 1-line block ×8, first 2 shown]
	s_waitcnt vmcnt(24) lgkmcnt(0)
	v_fma_f64 v[117:118], v[139:140], v[121:122], v[117:118]
	s_waitcnt vmcnt(19)
	v_fma_f64 v[125:126], v[125:126], v[123:124], v[117:118]
	ds_read_b128 v[117:120], v116 offset:704
	ds_read_b128 v[121:124], v116 offset:720
	s_waitcnt vmcnt(18) lgkmcnt(1)
	v_fma_f64 v[117:118], v[149:150], v[117:118], v[125:126]
	s_waitcnt vmcnt(17)
	v_fma_f64 v[117:118], v[147:148], v[119:120], v[117:118]
	buffer_load_dword v126, off, s[0:3], 0 offset:332
	buffer_load_dword v139, off, s[0:3], 0 offset:352
	;; [unrolled: 1-line block ×7, first 2 shown]
	s_waitcnt vmcnt(23) lgkmcnt(0)
	v_fma_f64 v[117:118], v[141:142], v[121:122], v[117:118]
	s_waitcnt vmcnt(18)
	v_fma_f64 v[127:128], v[127:128], v[123:124], v[117:118]
	ds_read_b128 v[117:120], v116 offset:736
	ds_read_b128 v[121:124], v116 offset:752
	buffer_load_dword v140, off, s[0:3], 0 offset:356
	s_waitcnt vmcnt(18) lgkmcnt(1)
	v_fma_f64 v[117:118], v[135:136], v[117:118], v[127:128]
	s_waitcnt vmcnt(17)
	v_fma_f64 v[117:118], v[133:134], v[119:120], v[117:118]
	buffer_load_dword v128, off, s[0:3], 0 offset:364
	buffer_load_dword v133, off, s[0:3], 0 offset:384
	buffer_load_dword v135, off, s[0:3], 0 offset:376
	buffer_load_dword v141, off, s[0:3], 0 offset:368
	buffer_load_dword v127, off, s[0:3], 0 offset:360
	buffer_load_dword v142, off, s[0:3], 0 offset:372
	buffer_load_dword v136, off, s[0:3], 0 offset:380
	buffer_load_dword v134, off, s[0:3], 0 offset:388
	s_waitcnt vmcnt(24) lgkmcnt(0)
	v_fma_f64 v[117:118], v[129:130], v[121:122], v[117:118]
	s_waitcnt vmcnt(19)
	v_fma_f64 v[129:130], v[131:132], v[123:124], v[117:118]
	ds_read_b128 v[117:120], v116 offset:768
	ds_read_b128 v[121:124], v116 offset:784
	s_waitcnt vmcnt(18) lgkmcnt(1)
	v_fma_f64 v[117:118], v[145:146], v[117:118], v[129:130]
	s_waitcnt vmcnt(17)
	v_fma_f64 v[117:118], v[143:144], v[119:120], v[117:118]
	buffer_load_dword v130, off, s[0:3], 0 offset:396
	buffer_load_dword v131, off, s[0:3], 0 offset:416
	buffer_load_dword v143, off, s[0:3], 0 offset:408
	buffer_load_dword v145, off, s[0:3], 0 offset:400
	buffer_load_dword v129, off, s[0:3], 0 offset:392
	buffer_load_dword v146, off, s[0:3], 0 offset:404
	buffer_load_dword v144, off, s[0:3], 0 offset:412
	buffer_load_dword v132, off, s[0:3], 0 offset:420
	s_waitcnt vmcnt(24) lgkmcnt(0)
	v_fma_f64 v[117:118], v[137:138], v[121:122], v[117:118]
	s_waitcnt vmcnt(19)
	v_fma_f64 v[125:126], v[125:126], v[123:124], v[117:118]
	ds_read_b128 v[117:120], v116 offset:800
	ds_read_b128 v[121:124], v116 offset:816
	;; [unrolled: 18-line block ×3, first 2 shown]
	s_waitcnt vmcnt(18) lgkmcnt(1)
	v_fma_f64 v[117:118], v[141:142], v[117:118], v[127:128]
	buffer_load_dword v127, off, s[0:3], 0 offset:40
	buffer_load_dword v128, off, s[0:3], 0 offset:44
	s_waitcnt vmcnt(19)
	v_fma_f64 v[117:118], v[135:136], v[119:120], v[117:118]
	s_waitcnt vmcnt(18) lgkmcnt(0)
	v_fma_f64 v[117:118], v[133:134], v[121:122], v[117:118]
	s_waitcnt vmcnt(13)
	v_fma_f64 v[129:130], v[129:130], v[123:124], v[117:118]
	ds_read_b128 v[117:120], v116 offset:864
	ds_read_b128 v[121:124], v116 offset:880
	s_waitcnt vmcnt(12) lgkmcnt(1)
	v_fma_f64 v[117:118], v[145:146], v[117:118], v[129:130]
	s_waitcnt vmcnt(11)
	v_fma_f64 v[117:118], v[143:144], v[119:120], v[117:118]
	s_waitcnt vmcnt(10) lgkmcnt(0)
	v_fma_f64 v[117:118], v[131:132], v[121:122], v[117:118]
	s_waitcnt vmcnt(5)
	v_fma_f64 v[121:122], v[125:126], v[123:124], v[117:118]
	ds_read_b128 v[117:120], v116 offset:896
	ds_read_b64 v[123:124], v116 offset:912
	s_waitcnt vmcnt(4) lgkmcnt(1)
	v_fma_f64 v[117:118], v[149:150], v[117:118], v[121:122]
	s_waitcnt vmcnt(3)
	v_fma_f64 v[117:118], v[147:148], v[119:120], v[117:118]
	s_waitcnt vmcnt(2) lgkmcnt(0)
	v_fma_f64 v[117:118], v[137:138], v[123:124], v[117:118]
	s_waitcnt vmcnt(0)
	v_add_f64 v[117:118], v[127:128], -v[117:118]
	buffer_store_dword v118, off, s[0:3], 0 offset:44
	buffer_store_dword v117, off, s[0:3], 0 offset:40
	s_and_saveexec_b64 s[4:5], vcc
	s_cbranch_execz .LBB56_341
; %bb.340:
	buffer_load_dword v117, off, s[0:3], 0 offset:32
	buffer_load_dword v118, off, s[0:3], 0 offset:36
	s_waitcnt vmcnt(0)
	ds_write_b64 v115, v[117:118]
	buffer_store_dword v116, off, s[0:3], 0 offset:32
	buffer_store_dword v116, off, s[0:3], 0 offset:36
.LBB56_341:
	s_or_b64 exec, exec, s[4:5]
	s_waitcnt lgkmcnt(0)
	; wave barrier
	buffer_load_dword v125, off, s[0:3], 0 offset:40
	buffer_load_dword v126, off, s[0:3], 0 offset:44
	;; [unrolled: 1-line block ×22, first 2 shown]
	ds_read2_b64 v[117:120], v116 offset0:63 offset1:64
	ds_read2_b64 v[121:124], v116 offset0:65 offset1:66
	v_cmp_lt_u32_e32 vcc, 3, v0
	s_waitcnt vmcnt(20) lgkmcnt(1)
	v_fma_f64 v[117:118], v[125:126], v[117:118], 0
	s_waitcnt vmcnt(18)
	v_fma_f64 v[117:118], v[127:128], v[119:120], v[117:118]
	buffer_load_dword v126, off, s[0:3], 0 offset:132
	buffer_load_dword v127, off, s[0:3], 0 offset:152
	;; [unrolled: 1-line block ×7, first 2 shown]
	s_waitcnt vmcnt(23) lgkmcnt(0)
	v_fma_f64 v[117:118], v[129:130], v[121:122], v[117:118]
	s_waitcnt vmcnt(21)
	v_fma_f64 v[128:129], v[131:132], v[123:124], v[117:118]
	ds_read2_b64 v[117:120], v116 offset0:67 offset1:68
	ds_read2_b64 v[121:124], v116 offset0:69 offset1:70
	s_waitcnt vmcnt(19) lgkmcnt(1)
	v_fma_f64 v[117:118], v[133:134], v[117:118], v[128:129]
	buffer_load_dword v128, off, s[0:3], 0 offset:156
	s_waitcnt vmcnt(18)
	v_fma_f64 v[117:118], v[135:136], v[119:120], v[117:118]
	buffer_load_dword v130, off, s[0:3], 0 offset:164
	buffer_load_dword v131, off, s[0:3], 0 offset:184
	;; [unrolled: 1-line block ×8, first 2 shown]
	s_waitcnt vmcnt(24) lgkmcnt(0)
	v_fma_f64 v[117:118], v[137:138], v[121:122], v[117:118]
	s_waitcnt vmcnt(19)
	v_fma_f64 v[137:138], v[139:140], v[123:124], v[117:118]
	ds_read2_b64 v[117:120], v116 offset0:71 offset1:72
	ds_read2_b64 v[121:124], v116 offset0:73 offset1:74
	s_waitcnt vmcnt(18) lgkmcnt(1)
	v_fma_f64 v[117:118], v[145:146], v[117:118], v[137:138]
	s_waitcnt vmcnt(17)
	v_fma_f64 v[117:118], v[143:144], v[119:120], v[117:118]
	buffer_load_dword v138, off, s[0:3], 0 offset:196
	buffer_load_dword v139, off, s[0:3], 0 offset:216
	;; [unrolled: 1-line block ×8, first 2 shown]
	s_waitcnt vmcnt(24) lgkmcnt(0)
	v_fma_f64 v[117:118], v[141:142], v[121:122], v[117:118]
	s_waitcnt vmcnt(19)
	v_fma_f64 v[125:126], v[125:126], v[123:124], v[117:118]
	ds_read2_b64 v[117:120], v116 offset0:75 offset1:76
	ds_read2_b64 v[121:124], v116 offset0:77 offset1:78
	s_waitcnt vmcnt(18) lgkmcnt(1)
	v_fma_f64 v[117:118], v[149:150], v[117:118], v[125:126]
	s_waitcnt vmcnt(17)
	v_fma_f64 v[117:118], v[147:148], v[119:120], v[117:118]
	buffer_load_dword v126, off, s[0:3], 0 offset:228
	buffer_load_dword v141, off, s[0:3], 0 offset:248
	;; [unrolled: 1-line block ×7, first 2 shown]
	s_waitcnt vmcnt(23) lgkmcnt(0)
	v_fma_f64 v[117:118], v[127:128], v[121:122], v[117:118]
	s_waitcnt vmcnt(18)
	v_fma_f64 v[127:128], v[129:130], v[123:124], v[117:118]
	ds_read2_b64 v[117:120], v116 offset0:79 offset1:80
	ds_read2_b64 v[121:124], v116 offset0:81 offset1:82
	buffer_load_dword v142, off, s[0:3], 0 offset:252
	s_waitcnt vmcnt(18) lgkmcnt(1)
	v_fma_f64 v[117:118], v[135:136], v[117:118], v[127:128]
	s_waitcnt vmcnt(17)
	v_fma_f64 v[117:118], v[133:134], v[119:120], v[117:118]
	buffer_load_dword v128, off, s[0:3], 0 offset:260
	buffer_load_dword v129, off, s[0:3], 0 offset:280
	buffer_load_dword v133, off, s[0:3], 0 offset:272
	buffer_load_dword v135, off, s[0:3], 0 offset:264
	buffer_load_dword v127, off, s[0:3], 0 offset:256
	buffer_load_dword v136, off, s[0:3], 0 offset:268
	buffer_load_dword v134, off, s[0:3], 0 offset:276
	s_waitcnt vmcnt(23) lgkmcnt(0)
	v_fma_f64 v[117:118], v[131:132], v[121:122], v[117:118]
	s_waitcnt vmcnt(18)
	v_fma_f64 v[130:131], v[137:138], v[123:124], v[117:118]
	ds_read2_b64 v[117:120], v116 offset0:83 offset1:84
	ds_read2_b64 v[121:124], v116 offset0:85 offset1:86
	s_waitcnt vmcnt(17) lgkmcnt(1)
	v_fma_f64 v[117:118], v[145:146], v[117:118], v[130:131]
	buffer_load_dword v130, off, s[0:3], 0 offset:284
	s_waitcnt vmcnt(17)
	v_fma_f64 v[117:118], v[143:144], v[119:120], v[117:118]
	buffer_load_dword v132, off, s[0:3], 0 offset:292
	buffer_load_dword v137, off, s[0:3], 0 offset:312
	;; [unrolled: 1-line block ×8, first 2 shown]
	s_waitcnt vmcnt(24) lgkmcnt(0)
	v_fma_f64 v[117:118], v[139:140], v[121:122], v[117:118]
	s_waitcnt vmcnt(19)
	v_fma_f64 v[125:126], v[125:126], v[123:124], v[117:118]
	ds_read2_b64 v[117:120], v116 offset0:87 offset1:88
	ds_read2_b64 v[121:124], v116 offset0:89 offset1:90
	s_waitcnt vmcnt(18) lgkmcnt(1)
	v_fma_f64 v[117:118], v[149:150], v[117:118], v[125:126]
	s_waitcnt vmcnt(17)
	v_fma_f64 v[117:118], v[147:148], v[119:120], v[117:118]
	buffer_load_dword v126, off, s[0:3], 0 offset:324
	buffer_load_dword v139, off, s[0:3], 0 offset:344
	;; [unrolled: 1-line block ×7, first 2 shown]
	s_waitcnt vmcnt(23) lgkmcnt(0)
	v_fma_f64 v[117:118], v[141:142], v[121:122], v[117:118]
	s_waitcnt vmcnt(18)
	v_fma_f64 v[127:128], v[127:128], v[123:124], v[117:118]
	ds_read2_b64 v[117:120], v116 offset0:91 offset1:92
	ds_read2_b64 v[121:124], v116 offset0:93 offset1:94
	buffer_load_dword v140, off, s[0:3], 0 offset:348
	s_waitcnt vmcnt(18) lgkmcnt(1)
	v_fma_f64 v[117:118], v[135:136], v[117:118], v[127:128]
	s_waitcnt vmcnt(17)
	v_fma_f64 v[117:118], v[133:134], v[119:120], v[117:118]
	buffer_load_dword v128, off, s[0:3], 0 offset:356
	buffer_load_dword v133, off, s[0:3], 0 offset:376
	buffer_load_dword v135, off, s[0:3], 0 offset:368
	buffer_load_dword v141, off, s[0:3], 0 offset:360
	buffer_load_dword v127, off, s[0:3], 0 offset:352
	buffer_load_dword v142, off, s[0:3], 0 offset:364
	buffer_load_dword v136, off, s[0:3], 0 offset:372
	buffer_load_dword v134, off, s[0:3], 0 offset:380
	s_waitcnt vmcnt(24) lgkmcnt(0)
	v_fma_f64 v[117:118], v[129:130], v[121:122], v[117:118]
	s_waitcnt vmcnt(19)
	v_fma_f64 v[129:130], v[131:132], v[123:124], v[117:118]
	ds_read2_b64 v[117:120], v116 offset0:95 offset1:96
	ds_read2_b64 v[121:124], v116 offset0:97 offset1:98
	s_waitcnt vmcnt(18) lgkmcnt(1)
	v_fma_f64 v[117:118], v[145:146], v[117:118], v[129:130]
	s_waitcnt vmcnt(17)
	v_fma_f64 v[117:118], v[143:144], v[119:120], v[117:118]
	buffer_load_dword v130, off, s[0:3], 0 offset:388
	buffer_load_dword v131, off, s[0:3], 0 offset:408
	buffer_load_dword v143, off, s[0:3], 0 offset:400
	buffer_load_dword v145, off, s[0:3], 0 offset:392
	buffer_load_dword v129, off, s[0:3], 0 offset:384
	buffer_load_dword v146, off, s[0:3], 0 offset:396
	buffer_load_dword v144, off, s[0:3], 0 offset:404
	buffer_load_dword v132, off, s[0:3], 0 offset:412
	s_waitcnt vmcnt(24) lgkmcnt(0)
	v_fma_f64 v[117:118], v[137:138], v[121:122], v[117:118]
	s_waitcnt vmcnt(19)
	v_fma_f64 v[125:126], v[125:126], v[123:124], v[117:118]
	ds_read2_b64 v[117:120], v116 offset0:99 offset1:100
	ds_read2_b64 v[121:124], v116 offset0:101 offset1:102
	;; [unrolled: 18-line block ×3, first 2 shown]
	s_waitcnt vmcnt(18) lgkmcnt(1)
	v_fma_f64 v[117:118], v[141:142], v[117:118], v[127:128]
	buffer_load_dword v128, off, s[0:3], 0 offset:452
	buffer_load_dword v127, off, s[0:3], 0 offset:448
	s_waitcnt vmcnt(19)
	v_fma_f64 v[117:118], v[135:136], v[119:120], v[117:118]
	buffer_load_dword v135, off, s[0:3], 0 offset:32
	buffer_load_dword v136, off, s[0:3], 0 offset:36
	s_waitcnt vmcnt(20) lgkmcnt(0)
	v_fma_f64 v[117:118], v[133:134], v[121:122], v[117:118]
	s_waitcnt vmcnt(15)
	v_fma_f64 v[129:130], v[129:130], v[123:124], v[117:118]
	ds_read2_b64 v[117:120], v116 offset0:107 offset1:108
	ds_read2_b64 v[121:124], v116 offset0:109 offset1:110
	s_waitcnt vmcnt(14) lgkmcnt(1)
	v_fma_f64 v[117:118], v[145:146], v[117:118], v[129:130]
	s_waitcnt vmcnt(13)
	v_fma_f64 v[117:118], v[143:144], v[119:120], v[117:118]
	s_waitcnt vmcnt(12) lgkmcnt(0)
	v_fma_f64 v[117:118], v[131:132], v[121:122], v[117:118]
	s_waitcnt vmcnt(7)
	v_fma_f64 v[125:126], v[125:126], v[123:124], v[117:118]
	ds_read2_b64 v[117:120], v116 offset0:111 offset1:112
	ds_read2_b64 v[121:124], v116 offset0:113 offset1:114
	s_waitcnt vmcnt(6) lgkmcnt(1)
	v_fma_f64 v[116:117], v[149:150], v[117:118], v[125:126]
	s_waitcnt vmcnt(5)
	v_fma_f64 v[116:117], v[147:148], v[119:120], v[116:117]
	s_waitcnt vmcnt(4) lgkmcnt(0)
	v_fma_f64 v[116:117], v[137:138], v[121:122], v[116:117]
	s_waitcnt vmcnt(2)
	v_fma_f64 v[116:117], v[127:128], v[123:124], v[116:117]
	s_waitcnt vmcnt(0)
	v_add_f64 v[116:117], v[135:136], -v[116:117]
	buffer_store_dword v117, off, s[0:3], 0 offset:36
	buffer_store_dword v116, off, s[0:3], 0 offset:32
	s_and_saveexec_b64 s[4:5], vcc
	s_cbranch_execz .LBB56_343
; %bb.342:
	buffer_load_dword v116, off, s[0:3], 0 offset:24
	buffer_load_dword v117, off, s[0:3], 0 offset:28
	v_mov_b32_e32 v118, 0
	buffer_store_dword v118, off, s[0:3], 0 offset:24
	buffer_store_dword v118, off, s[0:3], 0 offset:28
	s_waitcnt vmcnt(2)
	ds_write_b64 v115, v[116:117]
.LBB56_343:
	s_or_b64 exec, exec, s[4:5]
	s_waitcnt lgkmcnt(0)
	; wave barrier
	buffer_load_dword v125, off, s[0:3], 0 offset:32
	buffer_load_dword v126, off, s[0:3], 0 offset:36
	;; [unrolled: 1-line block ×22, first 2 shown]
	v_mov_b32_e32 v116, 0
	ds_read_b128 v[117:120], v116 offset:496
	ds_read_b128 v[121:124], v116 offset:512
	v_cmp_lt_u32_e32 vcc, 2, v0
	s_waitcnt vmcnt(20) lgkmcnt(1)
	v_fma_f64 v[117:118], v[125:126], v[117:118], 0
	s_waitcnt vmcnt(18)
	v_fma_f64 v[117:118], v[127:128], v[119:120], v[117:118]
	buffer_load_dword v126, off, s[0:3], 0 offset:124
	buffer_load_dword v127, off, s[0:3], 0 offset:144
	;; [unrolled: 1-line block ×7, first 2 shown]
	s_waitcnt vmcnt(23) lgkmcnt(0)
	v_fma_f64 v[117:118], v[129:130], v[121:122], v[117:118]
	s_waitcnt vmcnt(21)
	v_fma_f64 v[128:129], v[131:132], v[123:124], v[117:118]
	ds_read_b128 v[117:120], v116 offset:528
	ds_read_b128 v[121:124], v116 offset:544
	s_waitcnt vmcnt(19) lgkmcnt(1)
	v_fma_f64 v[117:118], v[133:134], v[117:118], v[128:129]
	buffer_load_dword v128, off, s[0:3], 0 offset:148
	s_waitcnt vmcnt(18)
	v_fma_f64 v[117:118], v[135:136], v[119:120], v[117:118]
	buffer_load_dword v130, off, s[0:3], 0 offset:156
	buffer_load_dword v131, off, s[0:3], 0 offset:176
	;; [unrolled: 1-line block ×7, first 2 shown]
	s_waitcnt vmcnt(23) lgkmcnt(0)
	v_fma_f64 v[117:118], v[137:138], v[121:122], v[117:118]
	s_waitcnt vmcnt(18)
	v_fma_f64 v[137:138], v[139:140], v[123:124], v[117:118]
	ds_read_b128 v[117:120], v116 offset:560
	ds_read_b128 v[121:124], v116 offset:576
	buffer_load_dword v132, off, s[0:3], 0 offset:180
	s_waitcnt vmcnt(18) lgkmcnt(1)
	v_fma_f64 v[117:118], v[145:146], v[117:118], v[137:138]
	s_waitcnt vmcnt(17)
	v_fma_f64 v[117:118], v[143:144], v[119:120], v[117:118]
	buffer_load_dword v138, off, s[0:3], 0 offset:188
	buffer_load_dword v139, off, s[0:3], 0 offset:208
	;; [unrolled: 1-line block ×8, first 2 shown]
	s_waitcnt vmcnt(24) lgkmcnt(0)
	v_fma_f64 v[117:118], v[141:142], v[121:122], v[117:118]
	s_waitcnt vmcnt(19)
	v_fma_f64 v[125:126], v[125:126], v[123:124], v[117:118]
	ds_read_b128 v[117:120], v116 offset:592
	ds_read_b128 v[121:124], v116 offset:608
	s_waitcnt vmcnt(18) lgkmcnt(1)
	v_fma_f64 v[117:118], v[149:150], v[117:118], v[125:126]
	s_waitcnt vmcnt(17)
	v_fma_f64 v[117:118], v[147:148], v[119:120], v[117:118]
	buffer_load_dword v126, off, s[0:3], 0 offset:220
	buffer_load_dword v141, off, s[0:3], 0 offset:240
	;; [unrolled: 1-line block ×7, first 2 shown]
	s_waitcnt vmcnt(23) lgkmcnt(0)
	v_fma_f64 v[117:118], v[127:128], v[121:122], v[117:118]
	s_waitcnt vmcnt(18)
	v_fma_f64 v[127:128], v[129:130], v[123:124], v[117:118]
	ds_read_b128 v[117:120], v116 offset:624
	ds_read_b128 v[121:124], v116 offset:640
	buffer_load_dword v142, off, s[0:3], 0 offset:244
	s_waitcnt vmcnt(18) lgkmcnt(1)
	v_fma_f64 v[117:118], v[135:136], v[117:118], v[127:128]
	s_waitcnt vmcnt(17)
	v_fma_f64 v[117:118], v[133:134], v[119:120], v[117:118]
	buffer_load_dword v128, off, s[0:3], 0 offset:252
	buffer_load_dword v129, off, s[0:3], 0 offset:272
	;; [unrolled: 1-line block ×7, first 2 shown]
	s_waitcnt vmcnt(23) lgkmcnt(0)
	v_fma_f64 v[117:118], v[131:132], v[121:122], v[117:118]
	s_waitcnt vmcnt(18)
	v_fma_f64 v[130:131], v[137:138], v[123:124], v[117:118]
	ds_read_b128 v[117:120], v116 offset:656
	ds_read_b128 v[121:124], v116 offset:672
	s_waitcnt vmcnt(17) lgkmcnt(1)
	v_fma_f64 v[117:118], v[145:146], v[117:118], v[130:131]
	buffer_load_dword v130, off, s[0:3], 0 offset:276
	s_waitcnt vmcnt(17)
	v_fma_f64 v[117:118], v[143:144], v[119:120], v[117:118]
	buffer_load_dword v132, off, s[0:3], 0 offset:284
	buffer_load_dword v137, off, s[0:3], 0 offset:304
	;; [unrolled: 1-line block ×8, first 2 shown]
	s_waitcnt vmcnt(24) lgkmcnt(0)
	v_fma_f64 v[117:118], v[139:140], v[121:122], v[117:118]
	s_waitcnt vmcnt(19)
	v_fma_f64 v[125:126], v[125:126], v[123:124], v[117:118]
	ds_read_b128 v[117:120], v116 offset:688
	ds_read_b128 v[121:124], v116 offset:704
	s_waitcnt vmcnt(18) lgkmcnt(1)
	v_fma_f64 v[117:118], v[149:150], v[117:118], v[125:126]
	s_waitcnt vmcnt(17)
	v_fma_f64 v[117:118], v[147:148], v[119:120], v[117:118]
	buffer_load_dword v126, off, s[0:3], 0 offset:316
	buffer_load_dword v139, off, s[0:3], 0 offset:336
	;; [unrolled: 1-line block ×7, first 2 shown]
	s_waitcnt vmcnt(23) lgkmcnt(0)
	v_fma_f64 v[117:118], v[141:142], v[121:122], v[117:118]
	s_waitcnt vmcnt(18)
	v_fma_f64 v[127:128], v[127:128], v[123:124], v[117:118]
	ds_read_b128 v[117:120], v116 offset:720
	ds_read_b128 v[121:124], v116 offset:736
	buffer_load_dword v140, off, s[0:3], 0 offset:340
	s_waitcnt vmcnt(18) lgkmcnt(1)
	v_fma_f64 v[117:118], v[135:136], v[117:118], v[127:128]
	s_waitcnt vmcnt(17)
	v_fma_f64 v[117:118], v[133:134], v[119:120], v[117:118]
	buffer_load_dword v128, off, s[0:3], 0 offset:348
	buffer_load_dword v133, off, s[0:3], 0 offset:368
	;; [unrolled: 1-line block ×7, first 2 shown]
	s_waitcnt vmcnt(23) lgkmcnt(0)
	v_fma_f64 v[117:118], v[129:130], v[121:122], v[117:118]
	s_waitcnt vmcnt(18)
	v_fma_f64 v[129:130], v[131:132], v[123:124], v[117:118]
	ds_read_b128 v[117:120], v116 offset:752
	ds_read_b128 v[121:124], v116 offset:768
	buffer_load_dword v134, off, s[0:3], 0 offset:372
	s_waitcnt vmcnt(18) lgkmcnt(1)
	v_fma_f64 v[117:118], v[145:146], v[117:118], v[129:130]
	s_waitcnt vmcnt(17)
	v_fma_f64 v[117:118], v[143:144], v[119:120], v[117:118]
	buffer_load_dword v130, off, s[0:3], 0 offset:380
	buffer_load_dword v131, off, s[0:3], 0 offset:400
	;; [unrolled: 1-line block ×8, first 2 shown]
	s_waitcnt vmcnt(24) lgkmcnt(0)
	v_fma_f64 v[117:118], v[137:138], v[121:122], v[117:118]
	s_waitcnt vmcnt(19)
	v_fma_f64 v[125:126], v[125:126], v[123:124], v[117:118]
	ds_read_b128 v[117:120], v116 offset:784
	ds_read_b128 v[121:124], v116 offset:800
	s_waitcnt vmcnt(18) lgkmcnt(1)
	v_fma_f64 v[117:118], v[149:150], v[117:118], v[125:126]
	s_waitcnt vmcnt(17)
	v_fma_f64 v[117:118], v[147:148], v[119:120], v[117:118]
	buffer_load_dword v126, off, s[0:3], 0 offset:412
	buffer_load_dword v137, off, s[0:3], 0 offset:432
	;; [unrolled: 1-line block ×7, first 2 shown]
	s_waitcnt vmcnt(23) lgkmcnt(0)
	v_fma_f64 v[117:118], v[139:140], v[121:122], v[117:118]
	s_waitcnt vmcnt(18)
	v_fma_f64 v[127:128], v[127:128], v[123:124], v[117:118]
	ds_read_b128 v[117:120], v116 offset:816
	ds_read_b128 v[121:124], v116 offset:832
	buffer_load_dword v138, off, s[0:3], 0 offset:436
	s_waitcnt vmcnt(18) lgkmcnt(1)
	v_fma_f64 v[117:118], v[141:142], v[117:118], v[127:128]
	s_waitcnt vmcnt(17)
	v_fma_f64 v[117:118], v[135:136], v[119:120], v[117:118]
	buffer_load_dword v128, off, s[0:3], 0 offset:444
	buffer_load_dword v135, off, s[0:3], 0 offset:448
	;; [unrolled: 1-line block ×4, first 2 shown]
	s_waitcnt vmcnt(20) lgkmcnt(0)
	v_fma_f64 v[117:118], v[133:134], v[121:122], v[117:118]
	buffer_load_dword v133, off, s[0:3], 0 offset:24
	buffer_load_dword v134, off, s[0:3], 0 offset:28
	s_waitcnt vmcnt(17)
	v_fma_f64 v[129:130], v[129:130], v[123:124], v[117:118]
	ds_read_b128 v[117:120], v116 offset:848
	ds_read_b128 v[121:124], v116 offset:864
	s_waitcnt vmcnt(16) lgkmcnt(1)
	v_fma_f64 v[117:118], v[145:146], v[117:118], v[129:130]
	s_waitcnt vmcnt(15)
	v_fma_f64 v[117:118], v[143:144], v[119:120], v[117:118]
	s_waitcnt vmcnt(14) lgkmcnt(0)
	v_fma_f64 v[117:118], v[131:132], v[121:122], v[117:118]
	s_waitcnt vmcnt(9)
	v_fma_f64 v[125:126], v[125:126], v[123:124], v[117:118]
	ds_read_b128 v[117:120], v116 offset:880
	ds_read_b128 v[121:124], v116 offset:896
	s_waitcnt vmcnt(8) lgkmcnt(1)
	v_fma_f64 v[117:118], v[149:150], v[117:118], v[125:126]
	s_waitcnt vmcnt(7)
	v_fma_f64 v[117:118], v[147:148], v[119:120], v[117:118]
	ds_read_b64 v[119:120], v116 offset:912
	s_waitcnt vmcnt(6) lgkmcnt(1)
	v_fma_f64 v[117:118], v[137:138], v[121:122], v[117:118]
	s_waitcnt vmcnt(3)
	v_fma_f64 v[117:118], v[127:128], v[123:124], v[117:118]
	s_waitcnt vmcnt(2) lgkmcnt(0)
	v_fma_f64 v[117:118], v[135:136], v[119:120], v[117:118]
	s_waitcnt vmcnt(0)
	v_add_f64 v[117:118], v[133:134], -v[117:118]
	buffer_store_dword v118, off, s[0:3], 0 offset:28
	buffer_store_dword v117, off, s[0:3], 0 offset:24
	s_and_saveexec_b64 s[4:5], vcc
	s_cbranch_execz .LBB56_345
; %bb.344:
	buffer_load_dword v117, off, s[0:3], 0 offset:16
	buffer_load_dword v118, off, s[0:3], 0 offset:20
	s_waitcnt vmcnt(0)
	ds_write_b64 v115, v[117:118]
	buffer_store_dword v116, off, s[0:3], 0 offset:16
	buffer_store_dword v116, off, s[0:3], 0 offset:20
.LBB56_345:
	s_or_b64 exec, exec, s[4:5]
	s_waitcnt lgkmcnt(0)
	; wave barrier
	buffer_load_dword v125, off, s[0:3], 0 offset:24
	buffer_load_dword v126, off, s[0:3], 0 offset:28
	buffer_load_dword v127, off, s[0:3], 0 offset:32
	buffer_load_dword v128, off, s[0:3], 0 offset:36
	buffer_load_dword v129, off, s[0:3], 0 offset:40
	buffer_load_dword v130, off, s[0:3], 0 offset:44
	buffer_load_dword v131, off, s[0:3], 0 offset:48
	buffer_load_dword v132, off, s[0:3], 0 offset:52
	buffer_load_dword v133, off, s[0:3], 0 offset:56
	buffer_load_dword v134, off, s[0:3], 0 offset:60
	buffer_load_dword v135, off, s[0:3], 0 offset:64
	buffer_load_dword v136, off, s[0:3], 0 offset:68
	buffer_load_dword v137, off, s[0:3], 0 offset:72
	buffer_load_dword v138, off, s[0:3], 0 offset:76
	buffer_load_dword v140, off, s[0:3], 0 offset:84
	buffer_load_dword v141, off, s[0:3], 0 offset:104
	buffer_load_dword v143, off, s[0:3], 0 offset:96
	buffer_load_dword v145, off, s[0:3], 0 offset:88
	buffer_load_dword v139, off, s[0:3], 0 offset:80
	buffer_load_dword v146, off, s[0:3], 0 offset:92
	buffer_load_dword v144, off, s[0:3], 0 offset:100
	buffer_load_dword v142, off, s[0:3], 0 offset:108
	ds_read2_b64 v[117:120], v116 offset0:61 offset1:62
	ds_read2_b64 v[121:124], v116 offset0:63 offset1:64
	v_cmp_lt_u32_e32 vcc, 1, v0
	s_waitcnt vmcnt(20) lgkmcnt(1)
	v_fma_f64 v[117:118], v[125:126], v[117:118], 0
	s_waitcnt vmcnt(18)
	v_fma_f64 v[117:118], v[127:128], v[119:120], v[117:118]
	buffer_load_dword v126, off, s[0:3], 0 offset:116
	buffer_load_dword v127, off, s[0:3], 0 offset:136
	;; [unrolled: 1-line block ×7, first 2 shown]
	s_waitcnt vmcnt(23) lgkmcnt(0)
	v_fma_f64 v[117:118], v[129:130], v[121:122], v[117:118]
	s_waitcnt vmcnt(21)
	v_fma_f64 v[128:129], v[131:132], v[123:124], v[117:118]
	ds_read2_b64 v[117:120], v116 offset0:65 offset1:66
	ds_read2_b64 v[121:124], v116 offset0:67 offset1:68
	s_waitcnt vmcnt(19) lgkmcnt(1)
	v_fma_f64 v[117:118], v[133:134], v[117:118], v[128:129]
	buffer_load_dword v128, off, s[0:3], 0 offset:140
	s_waitcnt vmcnt(18)
	v_fma_f64 v[117:118], v[135:136], v[119:120], v[117:118]
	buffer_load_dword v130, off, s[0:3], 0 offset:148
	buffer_load_dword v131, off, s[0:3], 0 offset:168
	;; [unrolled: 1-line block ×7, first 2 shown]
	s_waitcnt vmcnt(23) lgkmcnt(0)
	v_fma_f64 v[117:118], v[137:138], v[121:122], v[117:118]
	s_waitcnt vmcnt(18)
	v_fma_f64 v[137:138], v[139:140], v[123:124], v[117:118]
	ds_read2_b64 v[117:120], v116 offset0:69 offset1:70
	ds_read2_b64 v[121:124], v116 offset0:71 offset1:72
	buffer_load_dword v132, off, s[0:3], 0 offset:172
	s_waitcnt vmcnt(18) lgkmcnt(1)
	v_fma_f64 v[117:118], v[145:146], v[117:118], v[137:138]
	s_waitcnt vmcnt(17)
	v_fma_f64 v[117:118], v[143:144], v[119:120], v[117:118]
	buffer_load_dword v138, off, s[0:3], 0 offset:180
	buffer_load_dword v139, off, s[0:3], 0 offset:200
	buffer_load_dword v143, off, s[0:3], 0 offset:192
	buffer_load_dword v145, off, s[0:3], 0 offset:184
	buffer_load_dword v137, off, s[0:3], 0 offset:176
	buffer_load_dword v146, off, s[0:3], 0 offset:188
	buffer_load_dword v144, off, s[0:3], 0 offset:196
	buffer_load_dword v140, off, s[0:3], 0 offset:204
	s_waitcnt vmcnt(24) lgkmcnt(0)
	v_fma_f64 v[117:118], v[141:142], v[121:122], v[117:118]
	s_waitcnt vmcnt(19)
	v_fma_f64 v[125:126], v[125:126], v[123:124], v[117:118]
	ds_read2_b64 v[117:120], v116 offset0:73 offset1:74
	ds_read2_b64 v[121:124], v116 offset0:75 offset1:76
	s_waitcnt vmcnt(18) lgkmcnt(1)
	v_fma_f64 v[117:118], v[149:150], v[117:118], v[125:126]
	s_waitcnt vmcnt(17)
	v_fma_f64 v[117:118], v[147:148], v[119:120], v[117:118]
	buffer_load_dword v126, off, s[0:3], 0 offset:212
	buffer_load_dword v141, off, s[0:3], 0 offset:232
	;; [unrolled: 1-line block ×8, first 2 shown]
	s_waitcnt vmcnt(24) lgkmcnt(0)
	v_fma_f64 v[117:118], v[127:128], v[121:122], v[117:118]
	s_waitcnt vmcnt(19)
	v_fma_f64 v[127:128], v[129:130], v[123:124], v[117:118]
	ds_read2_b64 v[117:120], v116 offset0:77 offset1:78
	ds_read2_b64 v[121:124], v116 offset0:79 offset1:80
	s_waitcnt vmcnt(18) lgkmcnt(1)
	v_fma_f64 v[117:118], v[135:136], v[117:118], v[127:128]
	s_waitcnt vmcnt(17)
	v_fma_f64 v[117:118], v[133:134], v[119:120], v[117:118]
	buffer_load_dword v128, off, s[0:3], 0 offset:244
	buffer_load_dword v129, off, s[0:3], 0 offset:264
	buffer_load_dword v133, off, s[0:3], 0 offset:256
	buffer_load_dword v135, off, s[0:3], 0 offset:248
	buffer_load_dword v127, off, s[0:3], 0 offset:240
	buffer_load_dword v136, off, s[0:3], 0 offset:252
	buffer_load_dword v134, off, s[0:3], 0 offset:260
	s_waitcnt vmcnt(23) lgkmcnt(0)
	v_fma_f64 v[117:118], v[131:132], v[121:122], v[117:118]
	s_waitcnt vmcnt(18)
	v_fma_f64 v[130:131], v[137:138], v[123:124], v[117:118]
	ds_read2_b64 v[117:120], v116 offset0:81 offset1:82
	ds_read2_b64 v[121:124], v116 offset0:83 offset1:84
	s_waitcnt vmcnt(17) lgkmcnt(1)
	v_fma_f64 v[117:118], v[145:146], v[117:118], v[130:131]
	buffer_load_dword v130, off, s[0:3], 0 offset:268
	s_waitcnt vmcnt(17)
	v_fma_f64 v[117:118], v[143:144], v[119:120], v[117:118]
	buffer_load_dword v132, off, s[0:3], 0 offset:276
	buffer_load_dword v137, off, s[0:3], 0 offset:296
	;; [unrolled: 1-line block ×8, first 2 shown]
	s_waitcnt vmcnt(24) lgkmcnt(0)
	v_fma_f64 v[117:118], v[139:140], v[121:122], v[117:118]
	s_waitcnt vmcnt(19)
	v_fma_f64 v[125:126], v[125:126], v[123:124], v[117:118]
	ds_read2_b64 v[117:120], v116 offset0:85 offset1:86
	ds_read2_b64 v[121:124], v116 offset0:87 offset1:88
	s_waitcnt vmcnt(18) lgkmcnt(1)
	v_fma_f64 v[117:118], v[149:150], v[117:118], v[125:126]
	s_waitcnt vmcnt(17)
	v_fma_f64 v[117:118], v[147:148], v[119:120], v[117:118]
	buffer_load_dword v126, off, s[0:3], 0 offset:308
	buffer_load_dword v139, off, s[0:3], 0 offset:328
	;; [unrolled: 1-line block ×8, first 2 shown]
	s_waitcnt vmcnt(24) lgkmcnt(0)
	v_fma_f64 v[117:118], v[141:142], v[121:122], v[117:118]
	s_waitcnt vmcnt(19)
	v_fma_f64 v[127:128], v[127:128], v[123:124], v[117:118]
	ds_read2_b64 v[117:120], v116 offset0:89 offset1:90
	ds_read2_b64 v[121:124], v116 offset0:91 offset1:92
	s_waitcnt vmcnt(18) lgkmcnt(1)
	v_fma_f64 v[117:118], v[135:136], v[117:118], v[127:128]
	s_waitcnt vmcnt(17)
	v_fma_f64 v[117:118], v[133:134], v[119:120], v[117:118]
	buffer_load_dword v128, off, s[0:3], 0 offset:340
	buffer_load_dword v133, off, s[0:3], 0 offset:360
	;; [unrolled: 1-line block ×7, first 2 shown]
	s_waitcnt vmcnt(23) lgkmcnt(0)
	v_fma_f64 v[117:118], v[129:130], v[121:122], v[117:118]
	s_waitcnt vmcnt(18)
	v_fma_f64 v[129:130], v[131:132], v[123:124], v[117:118]
	ds_read2_b64 v[117:120], v116 offset0:93 offset1:94
	ds_read2_b64 v[121:124], v116 offset0:95 offset1:96
	buffer_load_dword v134, off, s[0:3], 0 offset:364
	s_waitcnt vmcnt(18) lgkmcnt(1)
	v_fma_f64 v[117:118], v[145:146], v[117:118], v[129:130]
	s_waitcnt vmcnt(17)
	v_fma_f64 v[117:118], v[143:144], v[119:120], v[117:118]
	buffer_load_dword v130, off, s[0:3], 0 offset:372
	buffer_load_dword v131, off, s[0:3], 0 offset:392
	buffer_load_dword v143, off, s[0:3], 0 offset:384
	buffer_load_dword v145, off, s[0:3], 0 offset:376
	buffer_load_dword v129, off, s[0:3], 0 offset:368
	buffer_load_dword v146, off, s[0:3], 0 offset:380
	buffer_load_dword v144, off, s[0:3], 0 offset:388
	buffer_load_dword v132, off, s[0:3], 0 offset:396
	s_waitcnt vmcnt(24) lgkmcnt(0)
	v_fma_f64 v[117:118], v[137:138], v[121:122], v[117:118]
	s_waitcnt vmcnt(19)
	v_fma_f64 v[125:126], v[125:126], v[123:124], v[117:118]
	ds_read2_b64 v[117:120], v116 offset0:97 offset1:98
	ds_read2_b64 v[121:124], v116 offset0:99 offset1:100
	s_waitcnt vmcnt(18) lgkmcnt(1)
	v_fma_f64 v[117:118], v[149:150], v[117:118], v[125:126]
	s_waitcnt vmcnt(17)
	v_fma_f64 v[117:118], v[147:148], v[119:120], v[117:118]
	buffer_load_dword v126, off, s[0:3], 0 offset:404
	buffer_load_dword v137, off, s[0:3], 0 offset:424
	;; [unrolled: 1-line block ×8, first 2 shown]
	s_waitcnt vmcnt(24) lgkmcnt(0)
	v_fma_f64 v[117:118], v[139:140], v[121:122], v[117:118]
	s_waitcnt vmcnt(19)
	v_fma_f64 v[127:128], v[127:128], v[123:124], v[117:118]
	ds_read2_b64 v[117:120], v116 offset0:101 offset1:102
	ds_read2_b64 v[121:124], v116 offset0:103 offset1:104
	s_waitcnt vmcnt(18) lgkmcnt(1)
	v_fma_f64 v[117:118], v[141:142], v[117:118], v[127:128]
	s_waitcnt vmcnt(17)
	v_fma_f64 v[117:118], v[135:136], v[119:120], v[117:118]
	buffer_load_dword v128, off, s[0:3], 0 offset:436
	buffer_load_dword v135, off, s[0:3], 0 offset:448
	;; [unrolled: 1-line block ×6, first 2 shown]
	s_waitcnt vmcnt(22) lgkmcnt(0)
	v_fma_f64 v[117:118], v[133:134], v[121:122], v[117:118]
	s_waitcnt vmcnt(17)
	v_fma_f64 v[129:130], v[129:130], v[123:124], v[117:118]
	ds_read2_b64 v[117:120], v116 offset0:105 offset1:106
	buffer_load_dword v133, off, s[0:3], 0 offset:16
	buffer_load_dword v134, off, s[0:3], 0 offset:20
	ds_read2_b64 v[121:124], v116 offset0:107 offset1:108
	s_waitcnt vmcnt(18) lgkmcnt(1)
	v_fma_f64 v[117:118], v[145:146], v[117:118], v[129:130]
	s_waitcnt vmcnt(17)
	v_fma_f64 v[117:118], v[143:144], v[119:120], v[117:118]
	s_waitcnt vmcnt(16) lgkmcnt(0)
	v_fma_f64 v[117:118], v[131:132], v[121:122], v[117:118]
	s_waitcnt vmcnt(11)
	v_fma_f64 v[125:126], v[125:126], v[123:124], v[117:118]
	ds_read2_b64 v[117:120], v116 offset0:109 offset1:110
	ds_read2_b64 v[121:124], v116 offset0:111 offset1:112
	s_waitcnt vmcnt(10) lgkmcnt(1)
	v_fma_f64 v[117:118], v[149:150], v[117:118], v[125:126]
	s_waitcnt vmcnt(9)
	v_fma_f64 v[117:118], v[147:148], v[119:120], v[117:118]
	s_waitcnt vmcnt(8) lgkmcnt(0)
	v_fma_f64 v[117:118], v[137:138], v[121:122], v[117:118]
	s_waitcnt vmcnt(4)
	v_fma_f64 v[120:121], v[127:128], v[123:124], v[117:118]
	ds_read2_b64 v[116:119], v116 offset0:113 offset1:114
	s_waitcnt vmcnt(3) lgkmcnt(0)
	v_fma_f64 v[116:117], v[139:140], v[116:117], v[120:121]
	s_waitcnt vmcnt(2)
	v_fma_f64 v[116:117], v[135:136], v[118:119], v[116:117]
	s_waitcnt vmcnt(0)
	v_add_f64 v[116:117], v[133:134], -v[116:117]
	buffer_store_dword v117, off, s[0:3], 0 offset:20
	buffer_store_dword v116, off, s[0:3], 0 offset:16
	s_and_saveexec_b64 s[4:5], vcc
	s_cbranch_execz .LBB56_347
; %bb.346:
	buffer_load_dword v116, off, s[0:3], 0 offset:8
	buffer_load_dword v117, off, s[0:3], 0 offset:12
	v_mov_b32_e32 v118, 0
	buffer_store_dword v118, off, s[0:3], 0 offset:8
	buffer_store_dword v118, off, s[0:3], 0 offset:12
	s_waitcnt vmcnt(2)
	ds_write_b64 v115, v[116:117]
.LBB56_347:
	s_or_b64 exec, exec, s[4:5]
	s_waitcnt lgkmcnt(0)
	; wave barrier
	buffer_load_dword v125, off, s[0:3], 0 offset:16
	buffer_load_dword v126, off, s[0:3], 0 offset:20
	;; [unrolled: 1-line block ×22, first 2 shown]
	v_mov_b32_e32 v116, 0
	ds_read_b128 v[117:120], v116 offset:480
	ds_read_b128 v[121:124], v116 offset:496
	v_cmp_ne_u32_e32 vcc, 0, v0
	s_waitcnt vmcnt(20) lgkmcnt(1)
	v_fma_f64 v[117:118], v[125:126], v[117:118], 0
	s_waitcnt vmcnt(18)
	v_fma_f64 v[117:118], v[127:128], v[119:120], v[117:118]
	buffer_load_dword v126, off, s[0:3], 0 offset:108
	buffer_load_dword v127, off, s[0:3], 0 offset:128
	;; [unrolled: 1-line block ×7, first 2 shown]
	s_waitcnt vmcnt(23) lgkmcnt(0)
	v_fma_f64 v[117:118], v[129:130], v[121:122], v[117:118]
	s_waitcnt vmcnt(21)
	v_fma_f64 v[128:129], v[131:132], v[123:124], v[117:118]
	ds_read_b128 v[117:120], v116 offset:512
	ds_read_b128 v[121:124], v116 offset:528
	s_waitcnt vmcnt(19) lgkmcnt(1)
	v_fma_f64 v[117:118], v[133:134], v[117:118], v[128:129]
	buffer_load_dword v128, off, s[0:3], 0 offset:132
	s_waitcnt vmcnt(18)
	v_fma_f64 v[117:118], v[135:136], v[119:120], v[117:118]
	buffer_load_dword v130, off, s[0:3], 0 offset:140
	buffer_load_dword v131, off, s[0:3], 0 offset:160
	;; [unrolled: 1-line block ×7, first 2 shown]
	s_waitcnt vmcnt(23) lgkmcnt(0)
	v_fma_f64 v[117:118], v[137:138], v[121:122], v[117:118]
	s_waitcnt vmcnt(18)
	v_fma_f64 v[137:138], v[139:140], v[123:124], v[117:118]
	ds_read_b128 v[117:120], v116 offset:544
	ds_read_b128 v[121:124], v116 offset:560
	buffer_load_dword v132, off, s[0:3], 0 offset:164
	s_waitcnt vmcnt(18) lgkmcnt(1)
	v_fma_f64 v[117:118], v[145:146], v[117:118], v[137:138]
	s_waitcnt vmcnt(17)
	v_fma_f64 v[117:118], v[143:144], v[119:120], v[117:118]
	buffer_load_dword v138, off, s[0:3], 0 offset:172
	buffer_load_dword v139, off, s[0:3], 0 offset:192
	;; [unrolled: 1-line block ×8, first 2 shown]
	s_waitcnt vmcnt(24) lgkmcnt(0)
	v_fma_f64 v[117:118], v[141:142], v[121:122], v[117:118]
	s_waitcnt vmcnt(19)
	v_fma_f64 v[125:126], v[125:126], v[123:124], v[117:118]
	ds_read_b128 v[117:120], v116 offset:576
	ds_read_b128 v[121:124], v116 offset:592
	s_waitcnt vmcnt(18) lgkmcnt(1)
	v_fma_f64 v[117:118], v[149:150], v[117:118], v[125:126]
	s_waitcnt vmcnt(17)
	v_fma_f64 v[117:118], v[147:148], v[119:120], v[117:118]
	buffer_load_dword v126, off, s[0:3], 0 offset:204
	buffer_load_dword v141, off, s[0:3], 0 offset:224
	;; [unrolled: 1-line block ×8, first 2 shown]
	s_waitcnt vmcnt(24) lgkmcnt(0)
	v_fma_f64 v[117:118], v[127:128], v[121:122], v[117:118]
	s_waitcnt vmcnt(19)
	v_fma_f64 v[127:128], v[129:130], v[123:124], v[117:118]
	ds_read_b128 v[117:120], v116 offset:608
	ds_read_b128 v[121:124], v116 offset:624
	s_waitcnt vmcnt(18) lgkmcnt(1)
	v_fma_f64 v[117:118], v[135:136], v[117:118], v[127:128]
	s_waitcnt vmcnt(17)
	v_fma_f64 v[117:118], v[133:134], v[119:120], v[117:118]
	buffer_load_dword v128, off, s[0:3], 0 offset:236
	buffer_load_dword v129, off, s[0:3], 0 offset:256
	;; [unrolled: 1-line block ×7, first 2 shown]
	s_waitcnt vmcnt(23) lgkmcnt(0)
	v_fma_f64 v[117:118], v[131:132], v[121:122], v[117:118]
	s_waitcnt vmcnt(18)
	v_fma_f64 v[130:131], v[137:138], v[123:124], v[117:118]
	ds_read_b128 v[117:120], v116 offset:640
	ds_read_b128 v[121:124], v116 offset:656
	s_waitcnt vmcnt(17) lgkmcnt(1)
	v_fma_f64 v[117:118], v[145:146], v[117:118], v[130:131]
	buffer_load_dword v130, off, s[0:3], 0 offset:260
	s_waitcnt vmcnt(17)
	v_fma_f64 v[117:118], v[143:144], v[119:120], v[117:118]
	buffer_load_dword v132, off, s[0:3], 0 offset:268
	buffer_load_dword v137, off, s[0:3], 0 offset:288
	;; [unrolled: 1-line block ×8, first 2 shown]
	s_waitcnt vmcnt(24) lgkmcnt(0)
	v_fma_f64 v[117:118], v[139:140], v[121:122], v[117:118]
	s_waitcnt vmcnt(19)
	v_fma_f64 v[125:126], v[125:126], v[123:124], v[117:118]
	ds_read_b128 v[117:120], v116 offset:672
	ds_read_b128 v[121:124], v116 offset:688
	s_waitcnt vmcnt(18) lgkmcnt(1)
	v_fma_f64 v[117:118], v[149:150], v[117:118], v[125:126]
	s_waitcnt vmcnt(17)
	v_fma_f64 v[117:118], v[147:148], v[119:120], v[117:118]
	buffer_load_dword v126, off, s[0:3], 0 offset:300
	buffer_load_dword v139, off, s[0:3], 0 offset:320
	buffer_load_dword v147, off, s[0:3], 0 offset:312
	buffer_load_dword v149, off, s[0:3], 0 offset:304
	buffer_load_dword v125, off, s[0:3], 0 offset:296
	buffer_load_dword v150, off, s[0:3], 0 offset:308
	buffer_load_dword v148, off, s[0:3], 0 offset:316
	buffer_load_dword v140, off, s[0:3], 0 offset:324
	s_waitcnt vmcnt(24) lgkmcnt(0)
	v_fma_f64 v[117:118], v[141:142], v[121:122], v[117:118]
	s_waitcnt vmcnt(19)
	v_fma_f64 v[127:128], v[127:128], v[123:124], v[117:118]
	ds_read_b128 v[117:120], v116 offset:704
	ds_read_b128 v[121:124], v116 offset:720
	s_waitcnt vmcnt(18) lgkmcnt(1)
	v_fma_f64 v[117:118], v[135:136], v[117:118], v[127:128]
	s_waitcnt vmcnt(17)
	v_fma_f64 v[117:118], v[133:134], v[119:120], v[117:118]
	buffer_load_dword v128, off, s[0:3], 0 offset:332
	buffer_load_dword v133, off, s[0:3], 0 offset:352
	;; [unrolled: 1-line block ×7, first 2 shown]
	s_waitcnt vmcnt(23) lgkmcnt(0)
	v_fma_f64 v[117:118], v[129:130], v[121:122], v[117:118]
	s_waitcnt vmcnt(18)
	v_fma_f64 v[129:130], v[131:132], v[123:124], v[117:118]
	ds_read_b128 v[117:120], v116 offset:736
	ds_read_b128 v[121:124], v116 offset:752
	buffer_load_dword v134, off, s[0:3], 0 offset:356
	s_waitcnt vmcnt(18) lgkmcnt(1)
	v_fma_f64 v[117:118], v[145:146], v[117:118], v[129:130]
	s_waitcnt vmcnt(17)
	v_fma_f64 v[117:118], v[143:144], v[119:120], v[117:118]
	buffer_load_dword v130, off, s[0:3], 0 offset:364
	buffer_load_dword v131, off, s[0:3], 0 offset:384
	buffer_load_dword v143, off, s[0:3], 0 offset:376
	buffer_load_dword v145, off, s[0:3], 0 offset:368
	buffer_load_dword v129, off, s[0:3], 0 offset:360
	buffer_load_dword v146, off, s[0:3], 0 offset:372
	buffer_load_dword v144, off, s[0:3], 0 offset:380
	buffer_load_dword v132, off, s[0:3], 0 offset:388
	s_waitcnt vmcnt(24) lgkmcnt(0)
	v_fma_f64 v[117:118], v[137:138], v[121:122], v[117:118]
	s_waitcnt vmcnt(19)
	v_fma_f64 v[125:126], v[125:126], v[123:124], v[117:118]
	ds_read_b128 v[117:120], v116 offset:768
	ds_read_b128 v[121:124], v116 offset:784
	s_waitcnt vmcnt(18) lgkmcnt(1)
	v_fma_f64 v[117:118], v[149:150], v[117:118], v[125:126]
	s_waitcnt vmcnt(17)
	v_fma_f64 v[117:118], v[147:148], v[119:120], v[117:118]
	buffer_load_dword v126, off, s[0:3], 0 offset:396
	buffer_load_dword v137, off, s[0:3], 0 offset:416
	buffer_load_dword v147, off, s[0:3], 0 offset:408
	buffer_load_dword v149, off, s[0:3], 0 offset:400
	buffer_load_dword v125, off, s[0:3], 0 offset:392
	buffer_load_dword v150, off, s[0:3], 0 offset:404
	buffer_load_dword v148, off, s[0:3], 0 offset:412
	buffer_load_dword v138, off, s[0:3], 0 offset:420
	s_waitcnt vmcnt(24) lgkmcnt(0)
	v_fma_f64 v[117:118], v[139:140], v[121:122], v[117:118]
	s_waitcnt vmcnt(19)
	v_fma_f64 v[127:128], v[127:128], v[123:124], v[117:118]
	ds_read_b128 v[117:120], v116 offset:800
	ds_read_b128 v[121:124], v116 offset:816
	;; [unrolled: 18-line block ×3, first 2 shown]
	s_waitcnt vmcnt(18) lgkmcnt(1)
	v_fma_f64 v[117:118], v[145:146], v[117:118], v[129:130]
	buffer_load_dword v129, off, s[0:3], 0 offset:8
	buffer_load_dword v130, off, s[0:3], 0 offset:12
	s_waitcnt vmcnt(19)
	v_fma_f64 v[117:118], v[143:144], v[119:120], v[117:118]
	s_waitcnt vmcnt(18) lgkmcnt(0)
	v_fma_f64 v[117:118], v[131:132], v[121:122], v[117:118]
	s_waitcnt vmcnt(13)
	v_fma_f64 v[125:126], v[125:126], v[123:124], v[117:118]
	ds_read_b128 v[117:120], v116 offset:864
	ds_read_b128 v[121:124], v116 offset:880
	s_waitcnt vmcnt(12) lgkmcnt(1)
	v_fma_f64 v[117:118], v[149:150], v[117:118], v[125:126]
	s_waitcnt vmcnt(11)
	v_fma_f64 v[117:118], v[147:148], v[119:120], v[117:118]
	s_waitcnt vmcnt(10) lgkmcnt(0)
	v_fma_f64 v[117:118], v[137:138], v[121:122], v[117:118]
	s_waitcnt vmcnt(5)
	v_fma_f64 v[121:122], v[127:128], v[123:124], v[117:118]
	ds_read_b128 v[117:120], v116 offset:896
	ds_read_b64 v[123:124], v116 offset:912
	s_waitcnt vmcnt(4) lgkmcnt(1)
	v_fma_f64 v[117:118], v[141:142], v[117:118], v[121:122]
	s_waitcnt vmcnt(3)
	v_fma_f64 v[117:118], v[139:140], v[119:120], v[117:118]
	s_waitcnt vmcnt(2) lgkmcnt(0)
	v_fma_f64 v[117:118], v[135:136], v[123:124], v[117:118]
	s_waitcnt vmcnt(0)
	v_add_f64 v[117:118], v[129:130], -v[117:118]
	buffer_store_dword v118, off, s[0:3], 0 offset:12
	buffer_store_dword v117, off, s[0:3], 0 offset:8
	s_and_saveexec_b64 s[4:5], vcc
	s_cbranch_execz .LBB56_349
; %bb.348:
	buffer_load_dword v117, off, s[0:3], 0
	buffer_load_dword v118, off, s[0:3], 0 offset:4
	s_waitcnt vmcnt(0)
	ds_write_b64 v115, v[117:118]
	buffer_store_dword v116, off, s[0:3], 0
	buffer_store_dword v116, off, s[0:3], 0 offset:4
.LBB56_349:
	s_or_b64 exec, exec, s[4:5]
	s_waitcnt lgkmcnt(0)
	; wave barrier
	buffer_load_dword v125, off, s[0:3], 0 offset:8
	buffer_load_dword v126, off, s[0:3], 0 offset:12
	;; [unrolled: 1-line block ×22, first 2 shown]
	ds_read2_b64 v[117:120], v116 offset0:59 offset1:60
	ds_read2_b64 v[121:124], v116 offset0:61 offset1:62
	s_and_b64 vcc, exec, s[22:23]
	s_waitcnt vmcnt(20) lgkmcnt(1)
	v_fma_f64 v[117:118], v[125:126], v[117:118], 0
	s_waitcnt vmcnt(18)
	v_fma_f64 v[117:118], v[127:128], v[119:120], v[117:118]
	buffer_load_dword v126, off, s[0:3], 0 offset:100
	buffer_load_dword v127, off, s[0:3], 0 offset:120
	;; [unrolled: 1-line block ×7, first 2 shown]
	s_waitcnt vmcnt(23) lgkmcnt(0)
	v_fma_f64 v[117:118], v[129:130], v[121:122], v[117:118]
	s_waitcnt vmcnt(21)
	v_fma_f64 v[128:129], v[131:132], v[123:124], v[117:118]
	ds_read2_b64 v[117:120], v116 offset0:63 offset1:64
	ds_read2_b64 v[121:124], v116 offset0:65 offset1:66
	s_waitcnt vmcnt(19) lgkmcnt(1)
	v_fma_f64 v[117:118], v[133:134], v[117:118], v[128:129]
	buffer_load_dword v128, off, s[0:3], 0 offset:124
	s_waitcnt vmcnt(18)
	v_fma_f64 v[117:118], v[135:136], v[119:120], v[117:118]
	buffer_load_dword v130, off, s[0:3], 0 offset:132
	buffer_load_dword v131, off, s[0:3], 0 offset:152
	;; [unrolled: 1-line block ×7, first 2 shown]
	s_waitcnt vmcnt(23) lgkmcnt(0)
	v_fma_f64 v[117:118], v[137:138], v[121:122], v[117:118]
	s_waitcnt vmcnt(18)
	v_fma_f64 v[137:138], v[139:140], v[123:124], v[117:118]
	ds_read2_b64 v[117:120], v116 offset0:67 offset1:68
	ds_read2_b64 v[121:124], v116 offset0:69 offset1:70
	buffer_load_dword v132, off, s[0:3], 0 offset:156
	s_waitcnt vmcnt(18) lgkmcnt(1)
	v_fma_f64 v[117:118], v[145:146], v[117:118], v[137:138]
	s_waitcnt vmcnt(17)
	v_fma_f64 v[117:118], v[143:144], v[119:120], v[117:118]
	buffer_load_dword v138, off, s[0:3], 0 offset:164
	buffer_load_dword v139, off, s[0:3], 0 offset:184
	;; [unrolled: 1-line block ×8, first 2 shown]
	s_waitcnt vmcnt(24) lgkmcnt(0)
	v_fma_f64 v[117:118], v[141:142], v[121:122], v[117:118]
	s_waitcnt vmcnt(19)
	v_fma_f64 v[125:126], v[125:126], v[123:124], v[117:118]
	ds_read2_b64 v[117:120], v116 offset0:71 offset1:72
	ds_read2_b64 v[121:124], v116 offset0:73 offset1:74
	s_waitcnt vmcnt(18) lgkmcnt(1)
	v_fma_f64 v[117:118], v[149:150], v[117:118], v[125:126]
	s_waitcnt vmcnt(17)
	v_fma_f64 v[117:118], v[147:148], v[119:120], v[117:118]
	buffer_load_dword v126, off, s[0:3], 0 offset:196
	buffer_load_dword v141, off, s[0:3], 0 offset:216
	;; [unrolled: 1-line block ×8, first 2 shown]
	s_waitcnt vmcnt(24) lgkmcnt(0)
	v_fma_f64 v[117:118], v[127:128], v[121:122], v[117:118]
	s_waitcnt vmcnt(19)
	v_fma_f64 v[127:128], v[129:130], v[123:124], v[117:118]
	ds_read2_b64 v[117:120], v116 offset0:75 offset1:76
	ds_read2_b64 v[121:124], v116 offset0:77 offset1:78
	s_waitcnt vmcnt(18) lgkmcnt(1)
	v_fma_f64 v[117:118], v[135:136], v[117:118], v[127:128]
	s_waitcnt vmcnt(17)
	v_fma_f64 v[117:118], v[133:134], v[119:120], v[117:118]
	buffer_load_dword v128, off, s[0:3], 0 offset:228
	buffer_load_dword v129, off, s[0:3], 0 offset:248
	;; [unrolled: 1-line block ×7, first 2 shown]
	s_waitcnt vmcnt(23) lgkmcnt(0)
	v_fma_f64 v[117:118], v[131:132], v[121:122], v[117:118]
	s_waitcnt vmcnt(18)
	v_fma_f64 v[130:131], v[137:138], v[123:124], v[117:118]
	ds_read2_b64 v[117:120], v116 offset0:79 offset1:80
	ds_read2_b64 v[121:124], v116 offset0:81 offset1:82
	s_waitcnt vmcnt(17) lgkmcnt(1)
	v_fma_f64 v[117:118], v[145:146], v[117:118], v[130:131]
	buffer_load_dword v130, off, s[0:3], 0 offset:252
	s_waitcnt vmcnt(17)
	v_fma_f64 v[117:118], v[143:144], v[119:120], v[117:118]
	buffer_load_dword v132, off, s[0:3], 0 offset:260
	buffer_load_dword v137, off, s[0:3], 0 offset:280
	;; [unrolled: 1-line block ×8, first 2 shown]
	s_waitcnt vmcnt(24) lgkmcnt(0)
	v_fma_f64 v[117:118], v[139:140], v[121:122], v[117:118]
	s_waitcnt vmcnt(19)
	v_fma_f64 v[125:126], v[125:126], v[123:124], v[117:118]
	ds_read2_b64 v[117:120], v116 offset0:83 offset1:84
	ds_read2_b64 v[121:124], v116 offset0:85 offset1:86
	s_waitcnt vmcnt(18) lgkmcnt(1)
	v_fma_f64 v[117:118], v[149:150], v[117:118], v[125:126]
	s_waitcnt vmcnt(17)
	v_fma_f64 v[117:118], v[147:148], v[119:120], v[117:118]
	buffer_load_dword v126, off, s[0:3], 0 offset:292
	buffer_load_dword v139, off, s[0:3], 0 offset:312
	;; [unrolled: 1-line block ×8, first 2 shown]
	s_waitcnt vmcnt(24) lgkmcnt(0)
	v_fma_f64 v[117:118], v[141:142], v[121:122], v[117:118]
	s_waitcnt vmcnt(19)
	v_fma_f64 v[127:128], v[127:128], v[123:124], v[117:118]
	ds_read2_b64 v[117:120], v116 offset0:87 offset1:88
	ds_read2_b64 v[121:124], v116 offset0:89 offset1:90
	s_waitcnt vmcnt(18) lgkmcnt(1)
	v_fma_f64 v[117:118], v[135:136], v[117:118], v[127:128]
	s_waitcnt vmcnt(17)
	v_fma_f64 v[117:118], v[133:134], v[119:120], v[117:118]
	buffer_load_dword v128, off, s[0:3], 0 offset:324
	buffer_load_dword v133, off, s[0:3], 0 offset:344
	;; [unrolled: 1-line block ×7, first 2 shown]
	s_waitcnt vmcnt(23) lgkmcnt(0)
	v_fma_f64 v[117:118], v[129:130], v[121:122], v[117:118]
	s_waitcnt vmcnt(18)
	v_fma_f64 v[129:130], v[131:132], v[123:124], v[117:118]
	ds_read2_b64 v[117:120], v116 offset0:91 offset1:92
	ds_read2_b64 v[121:124], v116 offset0:93 offset1:94
	buffer_load_dword v134, off, s[0:3], 0 offset:348
	s_waitcnt vmcnt(18) lgkmcnt(1)
	v_fma_f64 v[117:118], v[145:146], v[117:118], v[129:130]
	s_waitcnt vmcnt(17)
	v_fma_f64 v[117:118], v[143:144], v[119:120], v[117:118]
	buffer_load_dword v130, off, s[0:3], 0 offset:356
	buffer_load_dword v131, off, s[0:3], 0 offset:376
	;; [unrolled: 1-line block ×8, first 2 shown]
	s_waitcnt vmcnt(24) lgkmcnt(0)
	v_fma_f64 v[117:118], v[137:138], v[121:122], v[117:118]
	s_waitcnt vmcnt(19)
	v_fma_f64 v[125:126], v[125:126], v[123:124], v[117:118]
	ds_read2_b64 v[117:120], v116 offset0:95 offset1:96
	ds_read2_b64 v[121:124], v116 offset0:97 offset1:98
	s_waitcnt vmcnt(18) lgkmcnt(1)
	v_fma_f64 v[117:118], v[149:150], v[117:118], v[125:126]
	s_waitcnt vmcnt(17)
	v_fma_f64 v[117:118], v[147:148], v[119:120], v[117:118]
	buffer_load_dword v138, off, s[0:3], 0 offset:388
	buffer_load_dword v147, off, s[0:3], 0 offset:408
	buffer_load_dword v149, off, s[0:3], 0 offset:400
	buffer_load_dword v151, off, s[0:3], 0 offset:392
	buffer_load_dword v137, off, s[0:3], 0 offset:384
	buffer_load_dword v152, off, s[0:3], 0 offset:396
	buffer_load_dword v150, off, s[0:3], 0 offset:404
	buffer_load_dword v148, off, s[0:3], 0 offset:412
	s_waitcnt vmcnt(24) lgkmcnt(0)
	v_fma_f64 v[117:118], v[139:140], v[121:122], v[117:118]
	s_waitcnt vmcnt(19)
	v_fma_f64 v[125:126], v[127:128], v[123:124], v[117:118]
	ds_read2_b64 v[117:120], v116 offset0:99 offset1:100
	ds_read2_b64 v[121:124], v116 offset0:101 offset1:102
	s_waitcnt vmcnt(18) lgkmcnt(1)
	v_fma_f64 v[117:118], v[141:142], v[117:118], v[125:126]
	s_waitcnt vmcnt(17)
	v_fma_f64 v[118:119], v[135:136], v[119:120], v[117:118]
	buffer_load_dword v128, off, s[0:3], 0 offset:420
	buffer_load_dword v117, off, s[0:3], 0 offset:440
	;; [unrolled: 1-line block ×7, first 2 shown]
	s_waitcnt vmcnt(23) lgkmcnt(0)
	v_fma_f64 v[118:119], v[133:134], v[121:122], v[118:119]
	s_waitcnt vmcnt(18)
	v_fma_f64 v[129:130], v[129:130], v[123:124], v[118:119]
	ds_read2_b64 v[119:122], v116 offset0:103 offset1:104
	ds_read2_b64 v[123:126], v116 offset0:105 offset1:106
	buffer_load_dword v118, off, s[0:3], 0 offset:444
	s_waitcnt vmcnt(18) lgkmcnt(1)
	v_fma_f64 v[119:120], v[145:146], v[119:120], v[129:130]
	buffer_load_dword v130, off, s[0:3], 0 offset:452
	buffer_load_dword v129, off, s[0:3], 0 offset:448
	buffer_load_dword v133, off, s[0:3], 0
	buffer_load_dword v134, off, s[0:3], 0 offset:4
	s_waitcnt vmcnt(21)
	v_fma_f64 v[119:120], v[143:144], v[121:122], v[119:120]
	s_waitcnt vmcnt(20) lgkmcnt(0)
	v_fma_f64 v[119:120], v[131:132], v[123:124], v[119:120]
	s_waitcnt vmcnt(15)
	v_fma_f64 v[131:132], v[137:138], v[125:126], v[119:120]
	ds_read2_b64 v[119:122], v116 offset0:107 offset1:108
	ds_read2_b64 v[123:126], v116 offset0:109 offset1:110
	s_waitcnt vmcnt(14) lgkmcnt(1)
	v_fma_f64 v[119:120], v[151:152], v[119:120], v[131:132]
	s_waitcnt vmcnt(13)
	v_fma_f64 v[119:120], v[149:150], v[121:122], v[119:120]
	s_waitcnt vmcnt(12) lgkmcnt(0)
	v_fma_f64 v[119:120], v[147:148], v[123:124], v[119:120]
	s_waitcnt vmcnt(7)
	v_fma_f64 v[127:128], v[127:128], v[125:126], v[119:120]
	ds_read2_b64 v[119:122], v116 offset0:111 offset1:112
	ds_read2_b64 v[123:126], v116 offset0:113 offset1:114
	s_waitcnt vmcnt(6) lgkmcnt(1)
	v_fma_f64 v[115:116], v[139:140], v[119:120], v[127:128]
	s_waitcnt vmcnt(5)
	v_fma_f64 v[115:116], v[135:136], v[121:122], v[115:116]
	s_waitcnt vmcnt(4) lgkmcnt(0)
	v_fma_f64 v[115:116], v[117:118], v[123:124], v[115:116]
	s_waitcnt vmcnt(2)
	v_fma_f64 v[115:116], v[129:130], v[125:126], v[115:116]
	s_waitcnt vmcnt(0)
	v_add_f64 v[115:116], v[133:134], -v[115:116]
	buffer_store_dword v116, off, s[0:3], 0 offset:4
	buffer_store_dword v115, off, s[0:3], 0
	s_cbranch_vccz .LBB56_462
; %bb.350:
	v_mov_b32_e32 v0, 0
	global_load_dword v115, v0, s[20:21] offset:220
	s_waitcnt vmcnt(0)
	v_add_u32_e32 v115, -1, v115
	v_cmp_ne_u32_e32 vcc, 55, v115
	s_cbranch_vccz .LBB56_352
; %bb.351:
	v_lshlrev_b32_e32 v115, 3, v115
	buffer_load_dword v116, v115, s[0:3], 0 offen
	buffer_load_dword v119, v115, s[0:3], 0 offen offset:4
	s_waitcnt vmcnt(1)
	buffer_store_dword v116, off, s[0:3], 0 offset:440
	s_waitcnt vmcnt(1)
	buffer_store_dword v119, off, s[0:3], 0 offset:444
	buffer_store_dword v117, v115, s[0:3], 0 offen
	buffer_store_dword v118, v115, s[0:3], 0 offen offset:4
.LBB56_352:
	global_load_dword v0, v0, s[20:21] offset:216
	s_waitcnt vmcnt(0)
	v_add_u32_e32 v0, -1, v0
	v_cmp_eq_u32_e32 vcc, 54, v0
	s_cbranch_vccnz .LBB56_354
; %bb.353:
	v_lshlrev_b32_e32 v0, 3, v0
	buffer_load_dword v115, v0, s[0:3], 0 offen
	buffer_load_dword v116, v0, s[0:3], 0 offen offset:4
	buffer_load_dword v117, off, s[0:3], 0 offset:436
	buffer_load_dword v118, off, s[0:3], 0 offset:432
	s_waitcnt vmcnt(3)
	buffer_store_dword v115, off, s[0:3], 0 offset:432
	s_waitcnt vmcnt(3)
	buffer_store_dword v116, off, s[0:3], 0 offset:436
	s_waitcnt vmcnt(3)
	buffer_store_dword v117, v0, s[0:3], 0 offen offset:4
	s_waitcnt vmcnt(3)
	buffer_store_dword v118, v0, s[0:3], 0 offen
.LBB56_354:
	v_mov_b32_e32 v0, 0
	global_load_dword v115, v0, s[20:21] offset:212
	s_waitcnt vmcnt(0)
	v_add_u32_e32 v115, -1, v115
	v_cmp_eq_u32_e32 vcc, 53, v115
	s_cbranch_vccnz .LBB56_356
; %bb.355:
	v_lshlrev_b32_e32 v115, 3, v115
	buffer_load_dword v116, v115, s[0:3], 0 offen
	buffer_load_dword v117, v115, s[0:3], 0 offen offset:4
	buffer_load_dword v118, off, s[0:3], 0 offset:424
	buffer_load_dword v119, off, s[0:3], 0 offset:428
	s_waitcnt vmcnt(3)
	buffer_store_dword v116, off, s[0:3], 0 offset:424
	s_waitcnt vmcnt(3)
	buffer_store_dword v117, off, s[0:3], 0 offset:428
	s_waitcnt vmcnt(3)
	buffer_store_dword v118, v115, s[0:3], 0 offen
	s_waitcnt vmcnt(3)
	buffer_store_dword v119, v115, s[0:3], 0 offen offset:4
.LBB56_356:
	global_load_dword v0, v0, s[20:21] offset:208
	s_waitcnt vmcnt(0)
	v_add_u32_e32 v0, -1, v0
	v_cmp_eq_u32_e32 vcc, 52, v0
	s_cbranch_vccnz .LBB56_358
; %bb.357:
	v_lshlrev_b32_e32 v0, 3, v0
	buffer_load_dword v115, v0, s[0:3], 0 offen
	buffer_load_dword v116, v0, s[0:3], 0 offen offset:4
	buffer_load_dword v117, off, s[0:3], 0 offset:420
	buffer_load_dword v118, off, s[0:3], 0 offset:416
	s_waitcnt vmcnt(3)
	buffer_store_dword v115, off, s[0:3], 0 offset:416
	s_waitcnt vmcnt(3)
	buffer_store_dword v116, off, s[0:3], 0 offset:420
	s_waitcnt vmcnt(3)
	buffer_store_dword v117, v0, s[0:3], 0 offen offset:4
	s_waitcnt vmcnt(3)
	buffer_store_dword v118, v0, s[0:3], 0 offen
.LBB56_358:
	v_mov_b32_e32 v0, 0
	global_load_dword v115, v0, s[20:21] offset:204
	s_waitcnt vmcnt(0)
	v_add_u32_e32 v115, -1, v115
	v_cmp_eq_u32_e32 vcc, 51, v115
	s_cbranch_vccnz .LBB56_360
; %bb.359:
	v_lshlrev_b32_e32 v115, 3, v115
	buffer_load_dword v116, v115, s[0:3], 0 offen
	buffer_load_dword v117, v115, s[0:3], 0 offen offset:4
	buffer_load_dword v118, off, s[0:3], 0 offset:408
	buffer_load_dword v119, off, s[0:3], 0 offset:412
	s_waitcnt vmcnt(3)
	buffer_store_dword v116, off, s[0:3], 0 offset:408
	s_waitcnt vmcnt(3)
	buffer_store_dword v117, off, s[0:3], 0 offset:412
	s_waitcnt vmcnt(3)
	buffer_store_dword v118, v115, s[0:3], 0 offen
	s_waitcnt vmcnt(3)
	buffer_store_dword v119, v115, s[0:3], 0 offen offset:4
.LBB56_360:
	;; [unrolled: 41-line block ×27, first 2 shown]
	global_load_dword v0, v0, s[20:21]
	s_nop 0
	buffer_load_dword v115, off, s[0:3], 0
	buffer_load_dword v116, off, s[0:3], 0 offset:4
	s_waitcnt vmcnt(2)
	v_add_u32_e32 v0, -1, v0
	v_cmp_eq_u32_e32 vcc, 0, v0
	s_cbranch_vccnz .LBB56_462
; %bb.461:
	v_lshlrev_b32_e32 v0, 3, v0
	buffer_load_dword v117, v0, s[0:3], 0 offen offset:4
	buffer_load_dword v118, v0, s[0:3], 0 offen
	s_waitcnt vmcnt(1)
	buffer_store_dword v117, off, s[0:3], 0 offset:4
	s_waitcnt vmcnt(1)
	buffer_store_dword v118, off, s[0:3], 0
	buffer_store_dword v116, v0, s[0:3], 0 offen offset:4
	buffer_store_dword v115, v0, s[0:3], 0 offen
	buffer_load_dword v115, off, s[0:3], 0
	s_nop 0
	buffer_load_dword v116, off, s[0:3], 0 offset:4
.LBB56_462:
	buffer_load_dword v117, off, s[0:3], 0 offset:8
	buffer_load_dword v118, off, s[0:3], 0 offset:12
	;; [unrolled: 1-line block ×112, first 2 shown]
	s_waitcnt vmcnt(62)
	global_store_dwordx2 v[103:104], v[115:116], off
	global_store_dwordx2 v[107:108], v[117:118], off
	;; [unrolled: 1-line block ×26, first 2 shown]
	s_waitcnt vmcnt(62)
	global_store_dwordx2 v[49:50], v[167:168], off
	global_store_dwordx2 v[51:52], v[169:170], off
	;; [unrolled: 1-line block ×13, first 2 shown]
	s_waitcnt vmcnt(62)
	global_store_dwordx2 v[75:76], v[193:194], off
	global_store_dwordx2 v[77:78], v[195:196], off
	;; [unrolled: 1-line block ×6, first 2 shown]
	s_waitcnt vmcnt(62)
	global_store_dwordx2 v[87:88], v[205:206], off
	global_store_dwordx2 v[89:90], v[207:208], off
	;; [unrolled: 1-line block ×3, first 2 shown]
	s_waitcnt vmcnt(62)
	global_store_dwordx2 v[93:94], v[211:212], off
	global_store_dwordx2 v[95:96], v[213:214], off
	s_waitcnt vmcnt(62)
	global_store_dwordx2 v[97:98], v[215:216], off
	s_waitcnt vmcnt(61)
	;; [unrolled: 2-line block ×7, first 2 shown]
	global_store_dwordx2 v[113:114], v[227:228], off
	s_endpgm
	.section	.rodata,"a",@progbits
	.p2align	6, 0x0
	.amdhsa_kernel _ZN9rocsolver6v33100L18getri_kernel_smallILi57EdPdEEvT1_iilPiilS4_bb
		.amdhsa_group_segment_fixed_size 920
		.amdhsa_private_segment_fixed_size 464
		.amdhsa_kernarg_size 60
		.amdhsa_user_sgpr_count 6
		.amdhsa_user_sgpr_private_segment_buffer 1
		.amdhsa_user_sgpr_dispatch_ptr 0
		.amdhsa_user_sgpr_queue_ptr 0
		.amdhsa_user_sgpr_kernarg_segment_ptr 1
		.amdhsa_user_sgpr_dispatch_id 0
		.amdhsa_user_sgpr_flat_scratch_init 0
		.amdhsa_user_sgpr_private_segment_size 0
		.amdhsa_uses_dynamic_stack 0
		.amdhsa_system_sgpr_private_segment_wavefront_offset 1
		.amdhsa_system_sgpr_workgroup_id_x 1
		.amdhsa_system_sgpr_workgroup_id_y 0
		.amdhsa_system_sgpr_workgroup_id_z 0
		.amdhsa_system_sgpr_workgroup_info 0
		.amdhsa_system_vgpr_workitem_id 0
		.amdhsa_next_free_vgpr 229
		.amdhsa_next_free_sgpr 24
		.amdhsa_reserve_vcc 1
		.amdhsa_reserve_flat_scratch 0
		.amdhsa_float_round_mode_32 0
		.amdhsa_float_round_mode_16_64 0
		.amdhsa_float_denorm_mode_32 3
		.amdhsa_float_denorm_mode_16_64 3
		.amdhsa_dx10_clamp 1
		.amdhsa_ieee_mode 1
		.amdhsa_fp16_overflow 0
		.amdhsa_exception_fp_ieee_invalid_op 0
		.amdhsa_exception_fp_denorm_src 0
		.amdhsa_exception_fp_ieee_div_zero 0
		.amdhsa_exception_fp_ieee_overflow 0
		.amdhsa_exception_fp_ieee_underflow 0
		.amdhsa_exception_fp_ieee_inexact 0
		.amdhsa_exception_int_div_zero 0
	.end_amdhsa_kernel
	.section	.text._ZN9rocsolver6v33100L18getri_kernel_smallILi57EdPdEEvT1_iilPiilS4_bb,"axG",@progbits,_ZN9rocsolver6v33100L18getri_kernel_smallILi57EdPdEEvT1_iilPiilS4_bb,comdat
.Lfunc_end56:
	.size	_ZN9rocsolver6v33100L18getri_kernel_smallILi57EdPdEEvT1_iilPiilS4_bb, .Lfunc_end56-_ZN9rocsolver6v33100L18getri_kernel_smallILi57EdPdEEvT1_iilPiilS4_bb
                                        ; -- End function
	.set _ZN9rocsolver6v33100L18getri_kernel_smallILi57EdPdEEvT1_iilPiilS4_bb.num_vgpr, 229
	.set _ZN9rocsolver6v33100L18getri_kernel_smallILi57EdPdEEvT1_iilPiilS4_bb.num_agpr, 0
	.set _ZN9rocsolver6v33100L18getri_kernel_smallILi57EdPdEEvT1_iilPiilS4_bb.numbered_sgpr, 24
	.set _ZN9rocsolver6v33100L18getri_kernel_smallILi57EdPdEEvT1_iilPiilS4_bb.num_named_barrier, 0
	.set _ZN9rocsolver6v33100L18getri_kernel_smallILi57EdPdEEvT1_iilPiilS4_bb.private_seg_size, 464
	.set _ZN9rocsolver6v33100L18getri_kernel_smallILi57EdPdEEvT1_iilPiilS4_bb.uses_vcc, 1
	.set _ZN9rocsolver6v33100L18getri_kernel_smallILi57EdPdEEvT1_iilPiilS4_bb.uses_flat_scratch, 0
	.set _ZN9rocsolver6v33100L18getri_kernel_smallILi57EdPdEEvT1_iilPiilS4_bb.has_dyn_sized_stack, 0
	.set _ZN9rocsolver6v33100L18getri_kernel_smallILi57EdPdEEvT1_iilPiilS4_bb.has_recursion, 0
	.set _ZN9rocsolver6v33100L18getri_kernel_smallILi57EdPdEEvT1_iilPiilS4_bb.has_indirect_call, 0
	.section	.AMDGPU.csdata,"",@progbits
; Kernel info:
; codeLenInByte = 78968
; TotalNumSgprs: 28
; NumVgprs: 229
; ScratchSize: 464
; MemoryBound: 1
; FloatMode: 240
; IeeeMode: 1
; LDSByteSize: 920 bytes/workgroup (compile time only)
; SGPRBlocks: 3
; VGPRBlocks: 57
; NumSGPRsForWavesPerEU: 28
; NumVGPRsForWavesPerEU: 229
; Occupancy: 1
; WaveLimiterHint : 1
; COMPUTE_PGM_RSRC2:SCRATCH_EN: 1
; COMPUTE_PGM_RSRC2:USER_SGPR: 6
; COMPUTE_PGM_RSRC2:TRAP_HANDLER: 0
; COMPUTE_PGM_RSRC2:TGID_X_EN: 1
; COMPUTE_PGM_RSRC2:TGID_Y_EN: 0
; COMPUTE_PGM_RSRC2:TGID_Z_EN: 0
; COMPUTE_PGM_RSRC2:TIDIG_COMP_CNT: 0
	.section	.text._ZN9rocsolver6v33100L18getri_kernel_smallILi58EdPdEEvT1_iilPiilS4_bb,"axG",@progbits,_ZN9rocsolver6v33100L18getri_kernel_smallILi58EdPdEEvT1_iilPiilS4_bb,comdat
	.globl	_ZN9rocsolver6v33100L18getri_kernel_smallILi58EdPdEEvT1_iilPiilS4_bb ; -- Begin function _ZN9rocsolver6v33100L18getri_kernel_smallILi58EdPdEEvT1_iilPiilS4_bb
	.p2align	8
	.type	_ZN9rocsolver6v33100L18getri_kernel_smallILi58EdPdEEvT1_iilPiilS4_bb,@function
_ZN9rocsolver6v33100L18getri_kernel_smallILi58EdPdEEvT1_iilPiilS4_bb: ; @_ZN9rocsolver6v33100L18getri_kernel_smallILi58EdPdEEvT1_iilPiilS4_bb
; %bb.0:
	s_add_u32 s0, s0, s7
	s_addc_u32 s1, s1, 0
	v_cmp_gt_u32_e32 vcc, 58, v0
	s_and_saveexec_b64 s[8:9], vcc
	s_cbranch_execz .LBB57_240
; %bb.1:
	s_load_dword s12, s[4:5], 0x38
	s_load_dwordx4 s[16:19], s[4:5], 0x10
	s_load_dwordx4 s[8:11], s[4:5], 0x28
                                        ; implicit-def: $sgpr20_sgpr21
	s_waitcnt lgkmcnt(0)
	s_bitcmp1_b32 s12, 8
	s_cselect_b64 s[22:23], -1, 0
	s_ashr_i32 s7, s6, 31
	s_bfe_u32 s12, s12, 0x10008
	s_cmp_eq_u32 s12, 0
	s_cbranch_scc1 .LBB57_3
; %bb.2:
	s_load_dword s12, s[4:5], 0x20
	s_mul_i32 s13, s8, s7
	s_mul_hi_u32 s14, s8, s6
	s_mul_i32 s9, s9, s6
	s_add_i32 s14, s14, s13
	s_add_i32 s9, s14, s9
	s_mul_i32 s8, s8, s6
	s_waitcnt lgkmcnt(0)
	s_ashr_i32 s13, s12, 31
	s_lshl_b64 s[8:9], s[8:9], 2
	s_add_u32 s14, s18, s8
	s_addc_u32 s15, s19, s9
	s_lshl_b64 s[8:9], s[12:13], 2
	s_add_u32 s20, s14, s8
	s_addc_u32 s21, s15, s9
.LBB57_3:
	s_load_dwordx4 s[12:15], s[4:5], 0x0
	s_load_dword s8, s[4:5], 0x38
	s_mul_i32 s9, s16, s7
	s_mul_hi_u32 s18, s16, s6
	s_add_i32 s9, s18, s9
	s_waitcnt lgkmcnt(0)
	s_ashr_i32 s5, s14, 31
	s_mov_b32 s4, s14
	s_mul_i32 s14, s17, s6
	s_add_i32 s17, s9, s14
	s_mul_i32 s16, s16, s6
	s_lshl_b64 s[16:17], s[16:17], 3
	s_add_u32 s9, s12, s16
	s_addc_u32 s12, s13, s17
	s_lshl_b64 s[4:5], s[4:5], 3
	s_add_u32 s4, s9, s4
	s_addc_u32 s5, s12, s5
	s_add_i32 s9, s15, s15
	v_add_u32_e32 v3, s9, v0
	v_ashrrev_i32_e32 v4, 31, v3
	v_lshlrev_b64 v[1:2], 3, v[3:4]
	v_add_u32_e32 v5, s15, v3
	v_mov_b32_e32 v4, s5
	v_add_co_u32_e32 v1, vcc, s4, v1
	v_ashrrev_i32_e32 v6, 31, v5
	v_addc_co_u32_e32 v2, vcc, v4, v2, vcc
	v_lshlrev_b64 v[3:4], 3, v[5:6]
	v_add_u32_e32 v7, s15, v5
	v_mov_b32_e32 v6, s5
	v_add_co_u32_e32 v3, vcc, s4, v3
	v_ashrrev_i32_e32 v8, 31, v7
	v_addc_co_u32_e32 v4, vcc, v6, v4, vcc
	;; [unrolled: 6-line block ×8, first 2 shown]
	v_lshlrev_b64 v[17:18], 3, v[19:20]
	v_mov_b32_e32 v21, s5
	v_add_co_u32_e32 v17, vcc, s4, v17
	v_addc_co_u32_e32 v18, vcc, v21, v18, vcc
	v_add_u32_e32 v21, s15, v19
	v_ashrrev_i32_e32 v22, 31, v21
	v_lshlrev_b64 v[19:20], 3, v[21:22]
	v_mov_b32_e32 v23, s5
	v_add_co_u32_e32 v19, vcc, s4, v19
	v_addc_co_u32_e32 v20, vcc, v23, v20, vcc
	v_add_u32_e32 v23, s15, v21
	v_ashrrev_i32_e32 v24, 31, v23
	;; [unrolled: 6-line block ×40, first 2 shown]
	v_lshlrev_b64 v[97:98], 3, v[99:100]
	v_mov_b32_e32 v101, s5
	v_add_co_u32_e32 v97, vcc, s4, v97
	v_addc_co_u32_e32 v98, vcc, v101, v98, vcc
	v_lshlrev_b32_e32 v119, 3, v0
	v_add_u32_e32 v101, s15, v99
	global_load_dwordx2 v[117:118], v119, s[4:5]
	global_load_dwordx2 v[122:123], v[1:2], off
	global_load_dwordx2 v[124:125], v[3:4], off
	;; [unrolled: 1-line block ×3, first 2 shown]
	v_mov_b32_e32 v99, s5
	v_add_co_u32_e32 v105, vcc, s4, v119
	s_ashr_i32 s13, s15, 31
	s_mov_b32 s12, s15
	v_addc_co_u32_e32 v106, vcc, 0, v99, vcc
	s_lshl_b64 s[12:13], s[12:13], 3
	v_mov_b32_e32 v99, s13
	v_add_co_u32_e32 v109, vcc, s12, v105
	v_addc_co_u32_e32 v110, vcc, v106, v99, vcc
	global_load_dwordx2 v[120:121], v[109:110], off
	global_load_dwordx2 v[128:129], v[7:8], off
	;; [unrolled: 1-line block ×9, first 2 shown]
	v_ashrrev_i32_e32 v102, 31, v101
	v_lshlrev_b64 v[99:100], 3, v[101:102]
	v_mov_b32_e32 v103, s5
	v_add_co_u32_e32 v99, vcc, s4, v99
	v_addc_co_u32_e32 v100, vcc, v103, v100, vcc
	v_add_u32_e32 v103, s15, v101
	v_ashrrev_i32_e32 v104, 31, v103
	v_lshlrev_b64 v[101:102], 3, v[103:104]
	v_mov_b32_e32 v107, s5
	v_add_co_u32_e32 v101, vcc, s4, v101
	v_addc_co_u32_e32 v102, vcc, v107, v102, vcc
	v_add_u32_e32 v107, s15, v103
	;; [unrolled: 6-line block ×3, first 2 shown]
	global_load_dwordx2 v[144:145], v[23:24], off
	global_load_dwordx2 v[146:147], v[25:26], off
	v_ashrrev_i32_e32 v112, 31, v111
	v_lshlrev_b64 v[107:108], 3, v[111:112]
	v_mov_b32_e32 v113, s5
	v_add_co_u32_e32 v107, vcc, s4, v107
	v_addc_co_u32_e32 v108, vcc, v113, v108, vcc
	v_add_u32_e32 v113, s15, v111
	v_ashrrev_i32_e32 v114, 31, v113
	v_lshlrev_b64 v[111:112], 3, v[113:114]
	v_mov_b32_e32 v115, s5
	v_add_co_u32_e32 v111, vcc, s4, v111
	global_load_dwordx2 v[148:149], v[27:28], off
	global_load_dwordx2 v[150:151], v[29:30], off
	v_addc_co_u32_e32 v112, vcc, v115, v112, vcc
	v_add_u32_e32 v115, s15, v113
	v_ashrrev_i32_e32 v116, 31, v115
	v_lshlrev_b64 v[113:114], 3, v[115:116]
	v_mov_b32_e32 v152, s5
	v_add_co_u32_e32 v113, vcc, s4, v113
	v_addc_co_u32_e32 v114, vcc, v152, v114, vcc
	global_load_dwordx2 v[152:153], v[31:32], off
	global_load_dwordx2 v[154:155], v[33:34], off
	;; [unrolled: 1-line block ×5, first 2 shown]
	v_add_u32_e32 v115, s15, v115
	v_ashrrev_i32_e32 v116, 31, v115
	v_lshlrev_b64 v[115:116], 3, v[115:116]
	v_mov_b32_e32 v162, s5
	v_add_co_u32_e32 v115, vcc, s4, v115
	v_addc_co_u32_e32 v116, vcc, v162, v116, vcc
	global_load_dwordx2 v[162:163], v[41:42], off
	global_load_dwordx2 v[164:165], v[43:44], off
	global_load_dwordx2 v[166:167], v[47:48], off
	global_load_dwordx2 v[168:169], v[51:52], off
	global_load_dwordx2 v[170:171], v[55:56], off
	global_load_dwordx2 v[172:173], v[59:60], off
	global_load_dwordx2 v[174:175], v[63:64], off
	global_load_dwordx2 v[176:177], v[67:68], off
	global_load_dwordx2 v[178:179], v[71:72], off
	global_load_dwordx2 v[180:181], v[75:76], off
	global_load_dwordx2 v[182:183], v[79:80], off
	global_load_dwordx2 v[184:185], v[83:84], off
	global_load_dwordx2 v[186:187], v[87:88], off
	global_load_dwordx2 v[188:189], v[91:92], off
	global_load_dwordx2 v[190:191], v[95:96], off
	global_load_dwordx2 v[192:193], v[99:100], off
	global_load_dwordx2 v[194:195], v[103:104], off
	global_load_dwordx2 v[196:197], v[111:112], off
	global_load_dwordx2 v[198:199], v[115:116], off
	s_bitcmp0_b32 s8, 0
	s_waitcnt vmcnt(40)
	buffer_store_dword v118, off, s[0:3], 0 offset:4
	buffer_store_dword v117, off, s[0:3], 0
	global_load_dwordx2 v[117:118], v[45:46], off
	s_mov_b64 s[8:9], -1
	s_waitcnt vmcnt(39)
	buffer_store_dword v121, off, s[0:3], 0 offset:12
	buffer_store_dword v120, off, s[0:3], 0 offset:8
	global_load_dwordx2 v[120:121], v[49:50], off
	s_nop 0
	buffer_store_dword v123, off, s[0:3], 0 offset:20
	buffer_store_dword v122, off, s[0:3], 0 offset:16
	global_load_dwordx2 v[122:123], v[53:54], off
	s_nop 0
	;; [unrolled: 4-line block ×3, first 2 shown]
	buffer_store_dword v127, off, s[0:3], 0 offset:36
	buffer_store_dword v126, off, s[0:3], 0 offset:32
	global_load_dwordx2 v[126:127], v[61:62], off
	s_waitcnt vmcnt(50)
	buffer_store_dword v129, off, s[0:3], 0 offset:44
	buffer_store_dword v128, off, s[0:3], 0 offset:40
	global_load_dwordx2 v[128:129], v[65:66], off
	s_waitcnt vmcnt(52)
	;; [unrolled: 4-line block ×8, first 2 shown]
	buffer_store_dword v142, off, s[0:3], 0 offset:96
	buffer_store_dword v143, off, s[0:3], 0 offset:100
	global_load_dwordx2 v[142:143], v[93:94], off
	s_nop 0
	buffer_store_dword v144, off, s[0:3], 0 offset:104
	buffer_store_dword v145, off, s[0:3], 0 offset:108
	global_load_dwordx2 v[144:145], v[97:98], off
	s_nop 0
	buffer_store_dword v147, off, s[0:3], 0 offset:116
	buffer_store_dword v146, off, s[0:3], 0 offset:112
	global_load_dwordx2 v[146:147], v[101:102], off
	s_waitcnt vmcnt(62)
	buffer_store_dword v148, off, s[0:3], 0 offset:120
	buffer_store_dword v149, off, s[0:3], 0 offset:124
	global_load_dwordx2 v[148:149], v[107:108], off
	s_nop 0
	buffer_store_dword v150, off, s[0:3], 0 offset:128
	buffer_store_dword v151, off, s[0:3], 0 offset:132
	global_load_dwordx2 v[150:151], v[113:114], off
	s_nop 0
	buffer_store_dword v152, off, s[0:3], 0 offset:136
	buffer_store_dword v153, off, s[0:3], 0 offset:140
	;; [unrolled: 1-line block ×14, first 2 shown]
	s_waitcnt vmcnt(62)
	buffer_store_dword v117, off, s[0:3], 0 offset:192
	buffer_store_dword v118, off, s[0:3], 0 offset:196
	buffer_store_dword v167, off, s[0:3], 0 offset:204
	buffer_store_dword v166, off, s[0:3], 0 offset:200
	s_waitcnt vmcnt(62)
	buffer_store_dword v121, off, s[0:3], 0 offset:212
	buffer_store_dword v120, off, s[0:3], 0 offset:208
	buffer_store_dword v168, off, s[0:3], 0 offset:216
	buffer_store_dword v169, off, s[0:3], 0 offset:220
	;; [unrolled: 5-line block ×4, first 2 shown]
	buffer_store_dword v127, off, s[0:3], 0 offset:260
	buffer_store_dword v126, off, s[0:3], 0 offset:256
	;; [unrolled: 1-line block ×4, first 2 shown]
	s_waitcnt vmcnt(62)
	buffer_store_dword v128, off, s[0:3], 0 offset:272
	buffer_store_dword v129, off, s[0:3], 0 offset:276
	;; [unrolled: 1-line block ×8, first 2 shown]
	s_waitcnt vmcnt(62)
	buffer_store_dword v133, off, s[0:3], 0 offset:308
	buffer_store_dword v132, off, s[0:3], 0 offset:304
	buffer_store_dword v180, off, s[0:3], 0 offset:312
	buffer_store_dword v181, off, s[0:3], 0 offset:316
	buffer_store_dword v134, off, s[0:3], 0 offset:320
	buffer_store_dword v135, off, s[0:3], 0 offset:324
	buffer_store_dword v182, off, s[0:3], 0 offset:328
	buffer_store_dword v183, off, s[0:3], 0 offset:332
	buffer_store_dword v136, off, s[0:3], 0 offset:336
	buffer_store_dword v137, off, s[0:3], 0 offset:340
	buffer_store_dword v185, off, s[0:3], 0 offset:348
	buffer_store_dword v184, off, s[0:3], 0 offset:344
	s_waitcnt vmcnt(62)
	buffer_store_dword v139, off, s[0:3], 0 offset:356
	buffer_store_dword v138, off, s[0:3], 0 offset:352
	;; [unrolled: 1-line block ×16, first 2 shown]
	s_waitcnt vmcnt(62)
	buffer_store_dword v146, off, s[0:3], 0 offset:416
	buffer_store_dword v147, off, s[0:3], 0 offset:420
	;; [unrolled: 1-line block ×12, first 2 shown]
	s_cbranch_scc1 .LBB57_238
; %bb.4:
	v_cmp_eq_u32_e64 s[4:5], 0, v0
	s_and_saveexec_b64 s[8:9], s[4:5]
; %bb.5:
	v_mov_b32_e32 v117, 0
	ds_write_b32 v117, v117 offset:928
; %bb.6:
	s_or_b64 exec, exec, s[8:9]
	v_mov_b32_e32 v117, 0
	v_lshl_add_u32 v117, v0, 3, v117
	s_waitcnt lgkmcnt(0)
	; wave barrier
	buffer_load_dword v120, v117, s[0:3], 0 offen
	buffer_load_dword v121, v117, s[0:3], 0 offen offset:4
	s_waitcnt vmcnt(0)
	v_cmp_eq_f64_e32 vcc, 0, v[120:121]
	s_and_saveexec_b64 s[12:13], vcc
	s_cbranch_execz .LBB57_10
; %bb.7:
	v_mov_b32_e32 v118, 0
	ds_read_b32 v121, v118 offset:928
	v_add_u32_e32 v120, 1, v0
	s_waitcnt lgkmcnt(0)
	v_readfirstlane_b32 s8, v121
	s_cmp_eq_u32 s8, 0
	s_cselect_b64 s[14:15], -1, 0
	v_cmp_gt_i32_e32 vcc, s8, v120
	s_or_b64 s[14:15], s[14:15], vcc
	s_and_b64 exec, exec, s[14:15]
	s_cbranch_execz .LBB57_10
; %bb.8:
	s_mov_b64 s[14:15], 0
	v_mov_b32_e32 v121, s8
.LBB57_9:                               ; =>This Inner Loop Header: Depth=1
	ds_cmpst_rtn_b32 v121, v118, v121, v120 offset:928
	s_waitcnt lgkmcnt(0)
	v_cmp_ne_u32_e32 vcc, 0, v121
	v_cmp_le_i32_e64 s[8:9], v121, v120
	s_and_b64 s[8:9], vcc, s[8:9]
	s_and_b64 s[8:9], exec, s[8:9]
	s_or_b64 s[14:15], s[8:9], s[14:15]
	s_andn2_b64 exec, exec, s[14:15]
	s_cbranch_execnz .LBB57_9
.LBB57_10:
	s_or_b64 exec, exec, s[12:13]
	v_mov_b32_e32 v120, 0
	; wave barrier
	ds_read_b32 v118, v120 offset:928
	s_and_saveexec_b64 s[8:9], s[4:5]
	s_cbranch_execz .LBB57_12
; %bb.11:
	s_lshl_b64 s[12:13], s[6:7], 2
	s_add_u32 s12, s10, s12
	s_addc_u32 s13, s11, s13
	s_waitcnt lgkmcnt(0)
	global_store_dword v120, v118, s[12:13]
.LBB57_12:
	s_or_b64 exec, exec, s[8:9]
	s_waitcnt lgkmcnt(0)
	v_cmp_ne_u32_e32 vcc, 0, v118
	s_mov_b64 s[8:9], 0
	s_cbranch_vccnz .LBB57_238
; %bb.13:
	buffer_load_dword v120, v117, s[0:3], 0 offen
	buffer_load_dword v121, v117, s[0:3], 0 offen offset:4
	s_waitcnt vmcnt(0)
	v_div_scale_f64 v[122:123], s[8:9], v[120:121], v[120:121], 1.0
	v_rcp_f64_e32 v[124:125], v[122:123]
	v_fma_f64 v[126:127], -v[122:123], v[124:125], 1.0
	v_fma_f64 v[124:125], v[124:125], v[126:127], v[124:125]
	v_div_scale_f64 v[126:127], vcc, 1.0, v[120:121], 1.0
	v_fma_f64 v[128:129], -v[122:123], v[124:125], 1.0
	v_fma_f64 v[124:125], v[124:125], v[128:129], v[124:125]
	v_mul_f64 v[128:129], v[126:127], v[124:125]
	v_fma_f64 v[122:123], -v[122:123], v[128:129], v[126:127]
	v_div_fmas_f64 v[122:123], v[122:123], v[124:125], v[128:129]
	v_div_fixup_f64 v[121:122], v[122:123], v[120:121], 1.0
	v_add_u32_e32 v120, 0x1d0, v119
	buffer_store_dword v122, v117, s[0:3], 0 offen offset:4
	buffer_store_dword v121, v117, s[0:3], 0 offen
	buffer_load_dword v124, off, s[0:3], 0 offset:12
	buffer_load_dword v123, off, s[0:3], 0 offset:8
	v_xor_b32_e32 v122, 0x80000000, v122
	s_waitcnt vmcnt(0)
	ds_write2_b64 v119, v[121:122], v[123:124] offset1:58
	s_waitcnt lgkmcnt(0)
	; wave barrier
	s_and_saveexec_b64 s[8:9], s[4:5]
	s_cbranch_execz .LBB57_15
; %bb.14:
	buffer_load_dword v121, v117, s[0:3], 0 offen
	buffer_load_dword v122, v117, s[0:3], 0 offen offset:4
	ds_read_b64 v[123:124], v120
	v_mov_b32_e32 v118, 0
	ds_read_b64 v[125:126], v118 offset:8
	s_waitcnt vmcnt(0) lgkmcnt(1)
	v_fma_f64 v[121:122], v[121:122], v[123:124], 0
	s_waitcnt lgkmcnt(0)
	v_mul_f64 v[121:122], v[121:122], v[125:126]
	buffer_store_dword v121, off, s[0:3], 0 offset:8
	buffer_store_dword v122, off, s[0:3], 0 offset:12
.LBB57_15:
	s_or_b64 exec, exec, s[8:9]
	; wave barrier
	buffer_load_dword v121, off, s[0:3], 0 offset:16
	buffer_load_dword v122, off, s[0:3], 0 offset:20
	v_cmp_gt_u32_e32 vcc, 2, v0
	s_waitcnt vmcnt(0)
	ds_write_b64 v120, v[121:122]
	s_waitcnt lgkmcnt(0)
	; wave barrier
	s_and_saveexec_b64 s[8:9], vcc
	s_cbranch_execz .LBB57_17
; %bb.16:
	buffer_load_dword v121, v117, s[0:3], 0 offen
	buffer_load_dword v122, v117, s[0:3], 0 offen offset:4
                                        ; kill: killed $vgpr117
	s_nop 0
	buffer_load_dword v117, off, s[0:3], 0 offset:8
	buffer_load_dword v118, off, s[0:3], 0 offset:12
	ds_read_b64 v[123:124], v120
	s_waitcnt vmcnt(2) lgkmcnt(0)
	v_fma_f64 v[125:126], v[121:122], v[123:124], 0
	v_mov_b32_e32 v121, 0
	ds_read2_b64 v[121:124], v121 offset0:2 offset1:59
	s_waitcnt vmcnt(0) lgkmcnt(0)
	v_fma_f64 v[117:118], v[117:118], v[123:124], v[125:126]
	v_cndmask_b32_e64 v118, v126, v118, s[4:5]
	v_cndmask_b32_e64 v117, v125, v117, s[4:5]
	v_mul_f64 v[117:118], v[117:118], v[121:122]
	buffer_store_dword v118, off, s[0:3], 0 offset:20
	buffer_store_dword v117, off, s[0:3], 0 offset:16
.LBB57_17:
	s_or_b64 exec, exec, s[8:9]
	; wave barrier
	buffer_load_dword v117, off, s[0:3], 0 offset:24
	buffer_load_dword v118, off, s[0:3], 0 offset:28
	v_cmp_gt_u32_e32 vcc, 3, v0
	v_add_u32_e32 v121, -1, v0
	s_waitcnt vmcnt(0)
	ds_write_b64 v120, v[117:118]
	s_waitcnt lgkmcnt(0)
	; wave barrier
	s_and_saveexec_b64 s[4:5], vcc
	s_cbranch_execz .LBB57_21
; %bb.18:
	v_mov_b32_e32 v117, 0
	v_add_u32_e32 v122, -1, v0
	v_add_u32_e32 v123, 0x1d0, v119
	v_mov_b32_e32 v124, v119
	v_mov_b32_e32 v118, 0
	s_mov_b64 s[8:9], 0
.LBB57_19:                              ; =>This Inner Loop Header: Depth=1
	buffer_load_dword v125, v124, s[0:3], 0 offen
	buffer_load_dword v126, v124, s[0:3], 0 offen offset:4
	ds_read_b64 v[127:128], v123
	v_add_u32_e32 v122, 1, v122
	v_cmp_lt_u32_e32 vcc, 1, v122
	v_add_u32_e32 v123, 8, v123
	s_or_b64 s[8:9], vcc, s[8:9]
	v_add_u32_e32 v124, 8, v124
	s_waitcnt vmcnt(0) lgkmcnt(0)
	v_fma_f64 v[117:118], v[125:126], v[127:128], v[117:118]
	s_andn2_b64 exec, exec, s[8:9]
	s_cbranch_execnz .LBB57_19
; %bb.20:
	s_or_b64 exec, exec, s[8:9]
	v_mov_b32_e32 v122, 0
	ds_read_b64 v[122:123], v122 offset:24
	s_waitcnt lgkmcnt(0)
	v_mul_f64 v[117:118], v[117:118], v[122:123]
	buffer_store_dword v118, off, s[0:3], 0 offset:28
	buffer_store_dword v117, off, s[0:3], 0 offset:24
.LBB57_21:
	s_or_b64 exec, exec, s[4:5]
	; wave barrier
	buffer_load_dword v117, off, s[0:3], 0 offset:32
	buffer_load_dword v118, off, s[0:3], 0 offset:36
	v_cmp_gt_u32_e32 vcc, 4, v0
	s_waitcnt vmcnt(0)
	ds_write_b64 v120, v[117:118]
	s_waitcnt lgkmcnt(0)
	; wave barrier
	s_and_saveexec_b64 s[4:5], vcc
	s_cbranch_execz .LBB57_25
; %bb.22:
	v_mov_b32_e32 v117, 0
	v_add_u32_e32 v122, -1, v0
	v_add_u32_e32 v123, 0x1d0, v119
	v_mov_b32_e32 v124, v119
	v_mov_b32_e32 v118, 0
	s_mov_b64 s[8:9], 0
.LBB57_23:                              ; =>This Inner Loop Header: Depth=1
	buffer_load_dword v125, v124, s[0:3], 0 offen
	buffer_load_dword v126, v124, s[0:3], 0 offen offset:4
	ds_read_b64 v[127:128], v123
	v_add_u32_e32 v122, 1, v122
	v_cmp_lt_u32_e32 vcc, 2, v122
	v_add_u32_e32 v123, 8, v123
	s_or_b64 s[8:9], vcc, s[8:9]
	v_add_u32_e32 v124, 8, v124
	s_waitcnt vmcnt(0) lgkmcnt(0)
	v_fma_f64 v[117:118], v[125:126], v[127:128], v[117:118]
	s_andn2_b64 exec, exec, s[8:9]
	s_cbranch_execnz .LBB57_23
; %bb.24:
	s_or_b64 exec, exec, s[8:9]
	v_mov_b32_e32 v122, 0
	ds_read_b64 v[122:123], v122 offset:32
	s_waitcnt lgkmcnt(0)
	v_mul_f64 v[117:118], v[117:118], v[122:123]
	buffer_store_dword v118, off, s[0:3], 0 offset:36
	buffer_store_dword v117, off, s[0:3], 0 offset:32
.LBB57_25:
	s_or_b64 exec, exec, s[4:5]
	; wave barrier
	buffer_load_dword v117, off, s[0:3], 0 offset:40
	buffer_load_dword v118, off, s[0:3], 0 offset:44
	v_cmp_gt_u32_e32 vcc, 5, v0
	;; [unrolled: 40-line block ×21, first 2 shown]
	s_waitcnt vmcnt(0)
	ds_write_b64 v120, v[117:118]
	s_waitcnt lgkmcnt(0)
	; wave barrier
	s_and_saveexec_b64 s[4:5], vcc
	s_cbranch_execz .LBB57_105
; %bb.102:
	v_mov_b32_e32 v117, 0
	v_add_u32_e32 v122, -1, v0
	v_add_u32_e32 v123, 0x1d0, v119
	v_mov_b32_e32 v124, v119
	v_mov_b32_e32 v118, 0
	s_mov_b64 s[8:9], 0
.LBB57_103:                             ; =>This Inner Loop Header: Depth=1
	buffer_load_dword v125, v124, s[0:3], 0 offen
	buffer_load_dword v126, v124, s[0:3], 0 offen offset:4
	ds_read_b64 v[127:128], v123
	v_add_u32_e32 v122, 1, v122
	v_cmp_lt_u32_e32 vcc, 22, v122
	v_add_u32_e32 v123, 8, v123
	s_or_b64 s[8:9], vcc, s[8:9]
	v_add_u32_e32 v124, 8, v124
	s_waitcnt vmcnt(0) lgkmcnt(0)
	v_fma_f64 v[117:118], v[125:126], v[127:128], v[117:118]
	s_andn2_b64 exec, exec, s[8:9]
	s_cbranch_execnz .LBB57_103
; %bb.104:
	s_or_b64 exec, exec, s[8:9]
	v_mov_b32_e32 v122, 0
	ds_read_b64 v[122:123], v122 offset:192
	s_waitcnt lgkmcnt(0)
	v_mul_f64 v[117:118], v[117:118], v[122:123]
	buffer_store_dword v118, off, s[0:3], 0 offset:196
	buffer_store_dword v117, off, s[0:3], 0 offset:192
.LBB57_105:
	s_or_b64 exec, exec, s[4:5]
	; wave barrier
	buffer_load_dword v117, off, s[0:3], 0 offset:200
	buffer_load_dword v118, off, s[0:3], 0 offset:204
	v_cmp_gt_u32_e32 vcc, 25, v0
	s_waitcnt vmcnt(0)
	ds_write_b64 v120, v[117:118]
	s_waitcnt lgkmcnt(0)
	; wave barrier
	s_and_saveexec_b64 s[4:5], vcc
	s_cbranch_execz .LBB57_109
; %bb.106:
	v_mov_b32_e32 v117, 0
	v_add_u32_e32 v122, -1, v0
	v_add_u32_e32 v123, 0x1d0, v119
	v_mov_b32_e32 v124, v119
	v_mov_b32_e32 v118, 0
	s_mov_b64 s[8:9], 0
.LBB57_107:                             ; =>This Inner Loop Header: Depth=1
	buffer_load_dword v125, v124, s[0:3], 0 offen
	buffer_load_dword v126, v124, s[0:3], 0 offen offset:4
	ds_read_b64 v[127:128], v123
	v_add_u32_e32 v122, 1, v122
	v_cmp_lt_u32_e32 vcc, 23, v122
	v_add_u32_e32 v123, 8, v123
	s_or_b64 s[8:9], vcc, s[8:9]
	v_add_u32_e32 v124, 8, v124
	s_waitcnt vmcnt(0) lgkmcnt(0)
	v_fma_f64 v[117:118], v[125:126], v[127:128], v[117:118]
	s_andn2_b64 exec, exec, s[8:9]
	s_cbranch_execnz .LBB57_107
; %bb.108:
	s_or_b64 exec, exec, s[8:9]
	v_mov_b32_e32 v122, 0
	ds_read_b64 v[122:123], v122 offset:200
	s_waitcnt lgkmcnt(0)
	v_mul_f64 v[117:118], v[117:118], v[122:123]
	buffer_store_dword v118, off, s[0:3], 0 offset:204
	buffer_store_dword v117, off, s[0:3], 0 offset:200
.LBB57_109:
	s_or_b64 exec, exec, s[4:5]
	; wave barrier
	buffer_load_dword v117, off, s[0:3], 0 offset:208
	buffer_load_dword v118, off, s[0:3], 0 offset:212
	v_cmp_gt_u32_e32 vcc, 26, v0
	;; [unrolled: 40-line block ×32, first 2 shown]
	s_waitcnt vmcnt(0)
	ds_write_b64 v120, v[117:118]
	s_waitcnt lgkmcnt(0)
	; wave barrier
	s_and_saveexec_b64 s[4:5], vcc
	s_cbranch_execz .LBB57_233
; %bb.230:
	v_mov_b32_e32 v117, 0
	v_add_u32_e32 v122, -1, v0
	v_add_u32_e32 v123, 0x1d0, v119
	v_mov_b32_e32 v124, v119
	v_mov_b32_e32 v118, 0
	s_mov_b64 s[8:9], 0
.LBB57_231:                             ; =>This Inner Loop Header: Depth=1
	buffer_load_dword v125, v124, s[0:3], 0 offen
	buffer_load_dword v126, v124, s[0:3], 0 offen offset:4
	ds_read_b64 v[127:128], v123
	v_add_u32_e32 v122, 1, v122
	v_cmp_lt_u32_e32 vcc, 54, v122
	v_add_u32_e32 v123, 8, v123
	s_or_b64 s[8:9], vcc, s[8:9]
	v_add_u32_e32 v124, 8, v124
	s_waitcnt vmcnt(0) lgkmcnt(0)
	v_fma_f64 v[117:118], v[125:126], v[127:128], v[117:118]
	s_andn2_b64 exec, exec, s[8:9]
	s_cbranch_execnz .LBB57_231
; %bb.232:
	s_or_b64 exec, exec, s[8:9]
	v_mov_b32_e32 v122, 0
	ds_read_b64 v[122:123], v122 offset:448
	s_waitcnt lgkmcnt(0)
	v_mul_f64 v[117:118], v[117:118], v[122:123]
	buffer_store_dword v118, off, s[0:3], 0 offset:452
	buffer_store_dword v117, off, s[0:3], 0 offset:448
.LBB57_233:
	s_or_b64 exec, exec, s[4:5]
	; wave barrier
	buffer_load_dword v117, off, s[0:3], 0 offset:456
	buffer_load_dword v118, off, s[0:3], 0 offset:460
	v_cmp_ne_u32_e32 vcc, 57, v0
	s_waitcnt vmcnt(0)
	ds_write_b64 v120, v[117:118]
	s_waitcnt lgkmcnt(0)
	; wave barrier
	s_and_saveexec_b64 s[4:5], vcc
	s_cbranch_execz .LBB57_237
; %bb.234:
	v_mov_b32_e32 v117, 0
	v_add_u32_e32 v120, 0x1d0, v119
	v_mov_b32_e32 v118, 0
	s_mov_b64 s[8:9], 0
.LBB57_235:                             ; =>This Inner Loop Header: Depth=1
	buffer_load_dword v122, v119, s[0:3], 0 offen
	buffer_load_dword v123, v119, s[0:3], 0 offen offset:4
	ds_read_b64 v[124:125], v120
	v_add_u32_e32 v121, 1, v121
	v_cmp_lt_u32_e32 vcc, 55, v121
	v_add_u32_e32 v120, 8, v120
	s_or_b64 s[8:9], vcc, s[8:9]
	v_add_u32_e32 v119, 8, v119
	s_waitcnt vmcnt(0) lgkmcnt(0)
	v_fma_f64 v[117:118], v[122:123], v[124:125], v[117:118]
	s_andn2_b64 exec, exec, s[8:9]
	s_cbranch_execnz .LBB57_235
; %bb.236:
	s_or_b64 exec, exec, s[8:9]
	v_mov_b32_e32 v119, 0
	ds_read_b64 v[119:120], v119 offset:456
	s_waitcnt lgkmcnt(0)
	v_mul_f64 v[117:118], v[117:118], v[119:120]
	buffer_store_dword v118, off, s[0:3], 0 offset:460
	buffer_store_dword v117, off, s[0:3], 0 offset:456
.LBB57_237:
	s_or_b64 exec, exec, s[4:5]
	s_mov_b64 s[8:9], -1
	; wave barrier
.LBB57_238:
	s_and_b64 vcc, exec, s[8:9]
	s_cbranch_vccz .LBB57_240
; %bb.239:
	s_lshl_b64 s[4:5], s[6:7], 2
	s_add_u32 s4, s10, s4
	s_addc_u32 s5, s11, s5
	v_mov_b32_e32 v117, 0
	global_load_dword v117, v117, s[4:5]
	s_waitcnt vmcnt(0)
	v_cmp_ne_u32_e32 vcc, 0, v117
	s_cbranch_vccz .LBB57_241
.LBB57_240:
	s_endpgm
.LBB57_241:
	v_mov_b32_e32 v117, 0x1d0
	v_lshl_add_u32 v117, v0, 3, v117
	v_cmp_eq_u32_e32 vcc, 57, v0
	s_and_saveexec_b64 s[4:5], vcc
	s_cbranch_execz .LBB57_243
; %bb.242:
	buffer_load_dword v118, off, s[0:3], 0 offset:448
	buffer_load_dword v119, off, s[0:3], 0 offset:452
	v_mov_b32_e32 v120, 0
	buffer_store_dword v120, off, s[0:3], 0 offset:448
	buffer_store_dword v120, off, s[0:3], 0 offset:452
	s_waitcnt vmcnt(2)
	ds_write_b64 v117, v[118:119]
.LBB57_243:
	s_or_b64 exec, exec, s[4:5]
	s_waitcnt lgkmcnt(0)
	; wave barrier
	buffer_load_dword v119, off, s[0:3], 0 offset:456
	buffer_load_dword v120, off, s[0:3], 0 offset:460
	;; [unrolled: 1-line block ×4, first 2 shown]
	v_mov_b32_e32 v118, 0
	ds_read_b64 v[123:124], v118 offset:920
	v_cmp_lt_u32_e32 vcc, 55, v0
	s_waitcnt vmcnt(2) lgkmcnt(0)
	v_fma_f64 v[119:120], v[119:120], v[123:124], 0
	s_waitcnt vmcnt(0)
	v_add_f64 v[119:120], v[121:122], -v[119:120]
	buffer_store_dword v119, off, s[0:3], 0 offset:448
	buffer_store_dword v120, off, s[0:3], 0 offset:452
	s_and_saveexec_b64 s[4:5], vcc
	s_cbranch_execz .LBB57_245
; %bb.244:
	buffer_load_dword v119, off, s[0:3], 0 offset:440
	buffer_load_dword v120, off, s[0:3], 0 offset:444
	s_waitcnt vmcnt(0)
	ds_write_b64 v117, v[119:120]
	buffer_store_dword v118, off, s[0:3], 0 offset:440
	buffer_store_dword v118, off, s[0:3], 0 offset:444
.LBB57_245:
	s_or_b64 exec, exec, s[4:5]
	s_waitcnt lgkmcnt(0)
	; wave barrier
	buffer_load_dword v122, off, s[0:3], 0 offset:448
	buffer_load_dword v123, off, s[0:3], 0 offset:452
	;; [unrolled: 1-line block ×6, first 2 shown]
	ds_read_b128 v[118:121], v118 offset:912
	v_cmp_lt_u32_e32 vcc, 54, v0
	s_waitcnt vmcnt(4) lgkmcnt(0)
	v_fma_f64 v[118:119], v[122:123], v[118:119], 0
	s_waitcnt vmcnt(2)
	v_fma_f64 v[118:119], v[124:125], v[120:121], v[118:119]
	s_waitcnt vmcnt(0)
	v_add_f64 v[118:119], v[126:127], -v[118:119]
	buffer_store_dword v118, off, s[0:3], 0 offset:440
	buffer_store_dword v119, off, s[0:3], 0 offset:444
	s_and_saveexec_b64 s[4:5], vcc
	s_cbranch_execz .LBB57_247
; %bb.246:
	buffer_load_dword v118, off, s[0:3], 0 offset:432
	buffer_load_dword v119, off, s[0:3], 0 offset:436
	v_mov_b32_e32 v120, 0
	buffer_store_dword v120, off, s[0:3], 0 offset:432
	buffer_store_dword v120, off, s[0:3], 0 offset:436
	s_waitcnt vmcnt(2)
	ds_write_b64 v117, v[118:119]
.LBB57_247:
	s_or_b64 exec, exec, s[4:5]
	s_waitcnt lgkmcnt(0)
	; wave barrier
	buffer_load_dword v123, off, s[0:3], 0 offset:440
	buffer_load_dword v124, off, s[0:3], 0 offset:444
	;; [unrolled: 1-line block ×8, first 2 shown]
	v_mov_b32_e32 v118, 0
	ds_read2_b64 v[119:122], v118 offset0:113 offset1:114
	ds_read_b64 v[131:132], v118 offset:920
	v_cmp_lt_u32_e32 vcc, 53, v0
	s_waitcnt vmcnt(6) lgkmcnt(1)
	v_fma_f64 v[119:120], v[123:124], v[119:120], 0
	s_waitcnt vmcnt(4)
	v_fma_f64 v[119:120], v[125:126], v[121:122], v[119:120]
	s_waitcnt vmcnt(2) lgkmcnt(0)
	v_fma_f64 v[119:120], v[127:128], v[131:132], v[119:120]
	s_waitcnt vmcnt(0)
	v_add_f64 v[119:120], v[129:130], -v[119:120]
	buffer_store_dword v119, off, s[0:3], 0 offset:432
	buffer_store_dword v120, off, s[0:3], 0 offset:436
	s_and_saveexec_b64 s[4:5], vcc
	s_cbranch_execz .LBB57_249
; %bb.248:
	buffer_load_dword v119, off, s[0:3], 0 offset:424
	buffer_load_dword v120, off, s[0:3], 0 offset:428
	s_waitcnt vmcnt(0)
	ds_write_b64 v117, v[119:120]
	buffer_store_dword v118, off, s[0:3], 0 offset:424
	buffer_store_dword v118, off, s[0:3], 0 offset:428
.LBB57_249:
	s_or_b64 exec, exec, s[4:5]
	s_waitcnt lgkmcnt(0)
	; wave barrier
	buffer_load_dword v127, off, s[0:3], 0 offset:432
	buffer_load_dword v128, off, s[0:3], 0 offset:436
	;; [unrolled: 1-line block ×10, first 2 shown]
	ds_read_b128 v[119:122], v118 offset:896
	ds_read_b128 v[123:126], v118 offset:912
	v_cmp_lt_u32_e32 vcc, 52, v0
	s_waitcnt vmcnt(8) lgkmcnt(1)
	v_fma_f64 v[118:119], v[127:128], v[119:120], 0
	s_waitcnt vmcnt(6)
	v_fma_f64 v[118:119], v[129:130], v[121:122], v[118:119]
	s_waitcnt vmcnt(4) lgkmcnt(0)
	v_fma_f64 v[118:119], v[131:132], v[123:124], v[118:119]
	s_waitcnt vmcnt(2)
	v_fma_f64 v[118:119], v[133:134], v[125:126], v[118:119]
	s_waitcnt vmcnt(0)
	v_add_f64 v[118:119], v[135:136], -v[118:119]
	buffer_store_dword v118, off, s[0:3], 0 offset:424
	buffer_store_dword v119, off, s[0:3], 0 offset:428
	s_and_saveexec_b64 s[4:5], vcc
	s_cbranch_execz .LBB57_251
; %bb.250:
	buffer_load_dword v118, off, s[0:3], 0 offset:416
	buffer_load_dword v119, off, s[0:3], 0 offset:420
	v_mov_b32_e32 v120, 0
	buffer_store_dword v120, off, s[0:3], 0 offset:416
	buffer_store_dword v120, off, s[0:3], 0 offset:420
	s_waitcnt vmcnt(2)
	ds_write_b64 v117, v[118:119]
.LBB57_251:
	s_or_b64 exec, exec, s[4:5]
	s_waitcnt lgkmcnt(0)
	; wave barrier
	buffer_load_dword v127, off, s[0:3], 0 offset:424
	buffer_load_dword v128, off, s[0:3], 0 offset:428
	;; [unrolled: 1-line block ×12, first 2 shown]
	v_mov_b32_e32 v118, 0
	ds_read2_b64 v[119:122], v118 offset0:111 offset1:112
	ds_read2_b64 v[123:126], v118 offset0:113 offset1:114
	v_cmp_lt_u32_e32 vcc, 51, v0
	s_waitcnt vmcnt(10) lgkmcnt(1)
	v_fma_f64 v[119:120], v[127:128], v[119:120], 0
	s_waitcnt vmcnt(8)
	v_fma_f64 v[119:120], v[129:130], v[121:122], v[119:120]
	ds_read_b64 v[121:122], v118 offset:920
	s_waitcnt vmcnt(6) lgkmcnt(1)
	v_fma_f64 v[119:120], v[131:132], v[123:124], v[119:120]
	s_waitcnt vmcnt(4)
	v_fma_f64 v[119:120], v[133:134], v[125:126], v[119:120]
	s_waitcnt vmcnt(2) lgkmcnt(0)
	v_fma_f64 v[119:120], v[135:136], v[121:122], v[119:120]
	s_waitcnt vmcnt(0)
	v_add_f64 v[119:120], v[137:138], -v[119:120]
	buffer_store_dword v119, off, s[0:3], 0 offset:416
	buffer_store_dword v120, off, s[0:3], 0 offset:420
	s_and_saveexec_b64 s[4:5], vcc
	s_cbranch_execz .LBB57_253
; %bb.252:
	buffer_load_dword v119, off, s[0:3], 0 offset:408
	buffer_load_dword v120, off, s[0:3], 0 offset:412
	s_waitcnt vmcnt(0)
	ds_write_b64 v117, v[119:120]
	buffer_store_dword v118, off, s[0:3], 0 offset:408
	buffer_store_dword v118, off, s[0:3], 0 offset:412
.LBB57_253:
	s_or_b64 exec, exec, s[4:5]
	s_waitcnt lgkmcnt(0)
	; wave barrier
	buffer_load_dword v127, off, s[0:3], 0 offset:416
	buffer_load_dword v128, off, s[0:3], 0 offset:420
	buffer_load_dword v129, off, s[0:3], 0 offset:424
	buffer_load_dword v130, off, s[0:3], 0 offset:428
	buffer_load_dword v131, off, s[0:3], 0 offset:432
	buffer_load_dword v132, off, s[0:3], 0 offset:436
	buffer_load_dword v133, off, s[0:3], 0 offset:440
	buffer_load_dword v134, off, s[0:3], 0 offset:444
	buffer_load_dword v135, off, s[0:3], 0 offset:448
	buffer_load_dword v136, off, s[0:3], 0 offset:452
	buffer_load_dword v137, off, s[0:3], 0 offset:456
	buffer_load_dword v138, off, s[0:3], 0 offset:460
	buffer_load_dword v139, off, s[0:3], 0 offset:408
	buffer_load_dword v140, off, s[0:3], 0 offset:412
	ds_read_b128 v[119:122], v118 offset:880
	ds_read_b128 v[123:126], v118 offset:896
	v_cmp_lt_u32_e32 vcc, 50, v0
	s_waitcnt vmcnt(12) lgkmcnt(1)
	v_fma_f64 v[119:120], v[127:128], v[119:120], 0
	s_waitcnt vmcnt(10)
	v_fma_f64 v[119:120], v[129:130], v[121:122], v[119:120]
	s_waitcnt vmcnt(8) lgkmcnt(0)
	v_fma_f64 v[119:120], v[131:132], v[123:124], v[119:120]
	s_waitcnt vmcnt(6)
	v_fma_f64 v[122:123], v[133:134], v[125:126], v[119:120]
	ds_read_b128 v[118:121], v118 offset:912
	s_waitcnt vmcnt(4) lgkmcnt(0)
	v_fma_f64 v[118:119], v[135:136], v[118:119], v[122:123]
	s_waitcnt vmcnt(2)
	v_fma_f64 v[118:119], v[137:138], v[120:121], v[118:119]
	s_waitcnt vmcnt(0)
	v_add_f64 v[118:119], v[139:140], -v[118:119]
	buffer_store_dword v118, off, s[0:3], 0 offset:408
	buffer_store_dword v119, off, s[0:3], 0 offset:412
	s_and_saveexec_b64 s[4:5], vcc
	s_cbranch_execz .LBB57_255
; %bb.254:
	buffer_load_dword v118, off, s[0:3], 0 offset:400
	buffer_load_dword v119, off, s[0:3], 0 offset:404
	v_mov_b32_e32 v120, 0
	buffer_store_dword v120, off, s[0:3], 0 offset:400
	buffer_store_dword v120, off, s[0:3], 0 offset:404
	s_waitcnt vmcnt(2)
	ds_write_b64 v117, v[118:119]
.LBB57_255:
	s_or_b64 exec, exec, s[4:5]
	s_waitcnt lgkmcnt(0)
	; wave barrier
	buffer_load_dword v127, off, s[0:3], 0 offset:408
	buffer_load_dword v128, off, s[0:3], 0 offset:412
	;; [unrolled: 1-line block ×16, first 2 shown]
	v_mov_b32_e32 v118, 0
	ds_read2_b64 v[119:122], v118 offset0:109 offset1:110
	ds_read2_b64 v[123:126], v118 offset0:111 offset1:112
	v_cmp_lt_u32_e32 vcc, 49, v0
	s_waitcnt vmcnt(14) lgkmcnt(1)
	v_fma_f64 v[119:120], v[127:128], v[119:120], 0
	s_waitcnt vmcnt(12)
	v_fma_f64 v[119:120], v[129:130], v[121:122], v[119:120]
	s_waitcnt vmcnt(10) lgkmcnt(0)
	v_fma_f64 v[119:120], v[131:132], v[123:124], v[119:120]
	s_waitcnt vmcnt(8)
	v_fma_f64 v[123:124], v[133:134], v[125:126], v[119:120]
	ds_read2_b64 v[119:122], v118 offset0:113 offset1:114
	ds_read_b64 v[125:126], v118 offset:920
	s_waitcnt vmcnt(6) lgkmcnt(1)
	v_fma_f64 v[119:120], v[135:136], v[119:120], v[123:124]
	s_waitcnt vmcnt(4)
	v_fma_f64 v[119:120], v[137:138], v[121:122], v[119:120]
	s_waitcnt vmcnt(2) lgkmcnt(0)
	v_fma_f64 v[119:120], v[139:140], v[125:126], v[119:120]
	s_waitcnt vmcnt(0)
	v_add_f64 v[119:120], v[141:142], -v[119:120]
	buffer_store_dword v119, off, s[0:3], 0 offset:400
	buffer_store_dword v120, off, s[0:3], 0 offset:404
	s_and_saveexec_b64 s[4:5], vcc
	s_cbranch_execz .LBB57_257
; %bb.256:
	buffer_load_dword v119, off, s[0:3], 0 offset:392
	buffer_load_dword v120, off, s[0:3], 0 offset:396
	s_waitcnt vmcnt(0)
	ds_write_b64 v117, v[119:120]
	buffer_store_dword v118, off, s[0:3], 0 offset:392
	buffer_store_dword v118, off, s[0:3], 0 offset:396
.LBB57_257:
	s_or_b64 exec, exec, s[4:5]
	s_waitcnt lgkmcnt(0)
	; wave barrier
	buffer_load_dword v127, off, s[0:3], 0 offset:400
	buffer_load_dword v128, off, s[0:3], 0 offset:404
	;; [unrolled: 1-line block ×18, first 2 shown]
	ds_read_b128 v[119:122], v118 offset:864
	ds_read_b128 v[123:126], v118 offset:880
	v_cmp_lt_u32_e32 vcc, 48, v0
	s_waitcnt vmcnt(16) lgkmcnt(1)
	v_fma_f64 v[119:120], v[127:128], v[119:120], 0
	s_waitcnt vmcnt(14)
	v_fma_f64 v[119:120], v[129:130], v[121:122], v[119:120]
	s_waitcnt vmcnt(12) lgkmcnt(0)
	v_fma_f64 v[119:120], v[131:132], v[123:124], v[119:120]
	s_waitcnt vmcnt(10)
	v_fma_f64 v[127:128], v[133:134], v[125:126], v[119:120]
	ds_read_b128 v[119:122], v118 offset:896
	ds_read_b128 v[123:126], v118 offset:912
	s_waitcnt vmcnt(8) lgkmcnt(1)
	v_fma_f64 v[118:119], v[135:136], v[119:120], v[127:128]
	s_waitcnt vmcnt(6)
	v_fma_f64 v[118:119], v[137:138], v[121:122], v[118:119]
	s_waitcnt vmcnt(4) lgkmcnt(0)
	v_fma_f64 v[118:119], v[139:140], v[123:124], v[118:119]
	s_waitcnt vmcnt(2)
	v_fma_f64 v[118:119], v[141:142], v[125:126], v[118:119]
	s_waitcnt vmcnt(0)
	v_add_f64 v[118:119], v[143:144], -v[118:119]
	buffer_store_dword v118, off, s[0:3], 0 offset:392
	buffer_store_dword v119, off, s[0:3], 0 offset:396
	s_and_saveexec_b64 s[4:5], vcc
	s_cbranch_execz .LBB57_259
; %bb.258:
	buffer_load_dword v118, off, s[0:3], 0 offset:384
	buffer_load_dword v119, off, s[0:3], 0 offset:388
	v_mov_b32_e32 v120, 0
	buffer_store_dword v120, off, s[0:3], 0 offset:384
	buffer_store_dword v120, off, s[0:3], 0 offset:388
	s_waitcnt vmcnt(2)
	ds_write_b64 v117, v[118:119]
.LBB57_259:
	s_or_b64 exec, exec, s[4:5]
	s_waitcnt lgkmcnt(0)
	; wave barrier
	buffer_load_dword v127, off, s[0:3], 0 offset:392
	buffer_load_dword v128, off, s[0:3], 0 offset:396
	buffer_load_dword v129, off, s[0:3], 0 offset:400
	buffer_load_dword v130, off, s[0:3], 0 offset:404
	buffer_load_dword v131, off, s[0:3], 0 offset:408
	buffer_load_dword v132, off, s[0:3], 0 offset:412
	buffer_load_dword v133, off, s[0:3], 0 offset:416
	buffer_load_dword v134, off, s[0:3], 0 offset:420
	buffer_load_dword v135, off, s[0:3], 0 offset:424
	buffer_load_dword v136, off, s[0:3], 0 offset:428
	buffer_load_dword v137, off, s[0:3], 0 offset:432
	buffer_load_dword v138, off, s[0:3], 0 offset:436
	buffer_load_dword v139, off, s[0:3], 0 offset:440
	buffer_load_dword v140, off, s[0:3], 0 offset:444
	buffer_load_dword v142, off, s[0:3], 0 offset:452
	buffer_load_dword v143, off, s[0:3], 0 offset:456
	buffer_load_dword v141, off, s[0:3], 0 offset:448
	buffer_load_dword v144, off, s[0:3], 0 offset:460
	buffer_load_dword v145, off, s[0:3], 0 offset:384
	buffer_load_dword v146, off, s[0:3], 0 offset:388
	v_mov_b32_e32 v118, 0
	ds_read2_b64 v[119:122], v118 offset0:107 offset1:108
	ds_read2_b64 v[123:126], v118 offset0:109 offset1:110
	v_cmp_lt_u32_e32 vcc, 47, v0
	s_waitcnt vmcnt(18) lgkmcnt(1)
	v_fma_f64 v[119:120], v[127:128], v[119:120], 0
	s_waitcnt vmcnt(16)
	v_fma_f64 v[119:120], v[129:130], v[121:122], v[119:120]
	s_waitcnt vmcnt(14) lgkmcnt(0)
	v_fma_f64 v[119:120], v[131:132], v[123:124], v[119:120]
	s_waitcnt vmcnt(12)
	v_fma_f64 v[127:128], v[133:134], v[125:126], v[119:120]
	ds_read2_b64 v[119:122], v118 offset0:111 offset1:112
	ds_read2_b64 v[123:126], v118 offset0:113 offset1:114
	s_waitcnt vmcnt(10) lgkmcnt(1)
	v_fma_f64 v[119:120], v[135:136], v[119:120], v[127:128]
	s_waitcnt vmcnt(8)
	v_fma_f64 v[119:120], v[137:138], v[121:122], v[119:120]
	ds_read_b64 v[121:122], v118 offset:920
	s_waitcnt vmcnt(6) lgkmcnt(1)
	v_fma_f64 v[119:120], v[139:140], v[123:124], v[119:120]
	s_waitcnt vmcnt(3)
	v_fma_f64 v[119:120], v[141:142], v[125:126], v[119:120]
	s_waitcnt vmcnt(2) lgkmcnt(0)
	v_fma_f64 v[119:120], v[143:144], v[121:122], v[119:120]
	s_waitcnt vmcnt(0)
	v_add_f64 v[119:120], v[145:146], -v[119:120]
	buffer_store_dword v119, off, s[0:3], 0 offset:384
	buffer_store_dword v120, off, s[0:3], 0 offset:388
	s_and_saveexec_b64 s[4:5], vcc
	s_cbranch_execz .LBB57_261
; %bb.260:
	buffer_load_dword v119, off, s[0:3], 0 offset:376
	buffer_load_dword v120, off, s[0:3], 0 offset:380
	s_waitcnt vmcnt(0)
	ds_write_b64 v117, v[119:120]
	buffer_store_dword v118, off, s[0:3], 0 offset:376
	buffer_store_dword v118, off, s[0:3], 0 offset:380
.LBB57_261:
	s_or_b64 exec, exec, s[4:5]
	s_waitcnt lgkmcnt(0)
	; wave barrier
	buffer_load_dword v127, off, s[0:3], 0 offset:384
	buffer_load_dword v128, off, s[0:3], 0 offset:388
	;; [unrolled: 1-line block ×20, first 2 shown]
	ds_read_b128 v[119:122], v118 offset:848
	buffer_load_dword v147, off, s[0:3], 0 offset:376
	buffer_load_dword v148, off, s[0:3], 0 offset:380
	ds_read_b128 v[123:126], v118 offset:864
	v_cmp_lt_u32_e32 vcc, 46, v0
	s_waitcnt vmcnt(20) lgkmcnt(1)
	v_fma_f64 v[119:120], v[127:128], v[119:120], 0
	s_waitcnt vmcnt(18)
	v_fma_f64 v[119:120], v[129:130], v[121:122], v[119:120]
	s_waitcnt vmcnt(16) lgkmcnt(0)
	v_fma_f64 v[119:120], v[131:132], v[123:124], v[119:120]
	s_waitcnt vmcnt(14)
	v_fma_f64 v[127:128], v[133:134], v[125:126], v[119:120]
	ds_read_b128 v[119:122], v118 offset:880
	ds_read_b128 v[123:126], v118 offset:896
	s_waitcnt vmcnt(12) lgkmcnt(1)
	v_fma_f64 v[119:120], v[135:136], v[119:120], v[127:128]
	s_waitcnt vmcnt(10)
	v_fma_f64 v[119:120], v[137:138], v[121:122], v[119:120]
	s_waitcnt vmcnt(8) lgkmcnt(0)
	v_fma_f64 v[119:120], v[139:140], v[123:124], v[119:120]
	s_waitcnt vmcnt(4)
	v_fma_f64 v[122:123], v[141:142], v[125:126], v[119:120]
	ds_read_b128 v[118:121], v118 offset:912
	s_waitcnt vmcnt(3) lgkmcnt(0)
	v_fma_f64 v[118:119], v[145:146], v[118:119], v[122:123]
	s_waitcnt vmcnt(2)
	v_fma_f64 v[118:119], v[143:144], v[120:121], v[118:119]
	s_waitcnt vmcnt(0)
	v_add_f64 v[118:119], v[147:148], -v[118:119]
	buffer_store_dword v118, off, s[0:3], 0 offset:376
	buffer_store_dword v119, off, s[0:3], 0 offset:380
	s_and_saveexec_b64 s[4:5], vcc
	s_cbranch_execz .LBB57_263
; %bb.262:
	buffer_load_dword v118, off, s[0:3], 0 offset:368
	buffer_load_dword v119, off, s[0:3], 0 offset:372
	v_mov_b32_e32 v120, 0
	buffer_store_dword v120, off, s[0:3], 0 offset:368
	buffer_store_dword v120, off, s[0:3], 0 offset:372
	s_waitcnt vmcnt(2)
	ds_write_b64 v117, v[118:119]
.LBB57_263:
	s_or_b64 exec, exec, s[4:5]
	s_waitcnt lgkmcnt(0)
	; wave barrier
	buffer_load_dword v127, off, s[0:3], 0 offset:376
	buffer_load_dword v128, off, s[0:3], 0 offset:380
	;; [unrolled: 1-line block ×21, first 2 shown]
	v_mov_b32_e32 v118, 0
	ds_read2_b64 v[119:122], v118 offset0:105 offset1:106
	ds_read2_b64 v[123:126], v118 offset0:107 offset1:108
	buffer_load_dword v144, off, s[0:3], 0 offset:460
	v_cmp_lt_u32_e32 vcc, 45, v0
	s_waitcnt vmcnt(20) lgkmcnt(1)
	v_fma_f64 v[119:120], v[127:128], v[119:120], 0
	buffer_load_dword v127, off, s[0:3], 0 offset:368
	buffer_load_dword v128, off, s[0:3], 0 offset:372
	s_waitcnt vmcnt(20)
	v_fma_f64 v[119:120], v[129:130], v[121:122], v[119:120]
	s_waitcnt vmcnt(18) lgkmcnt(0)
	v_fma_f64 v[119:120], v[131:132], v[123:124], v[119:120]
	s_waitcnt vmcnt(16)
	v_fma_f64 v[129:130], v[133:134], v[125:126], v[119:120]
	ds_read2_b64 v[119:122], v118 offset0:109 offset1:110
	ds_read2_b64 v[123:126], v118 offset0:111 offset1:112
	s_waitcnt vmcnt(14) lgkmcnt(1)
	v_fma_f64 v[119:120], v[135:136], v[119:120], v[129:130]
	s_waitcnt vmcnt(12)
	v_fma_f64 v[119:120], v[137:138], v[121:122], v[119:120]
	s_waitcnt vmcnt(10) lgkmcnt(0)
	v_fma_f64 v[119:120], v[139:140], v[123:124], v[119:120]
	s_waitcnt vmcnt(5)
	v_fma_f64 v[123:124], v[141:142], v[125:126], v[119:120]
	ds_read2_b64 v[119:122], v118 offset0:113 offset1:114
	ds_read_b64 v[125:126], v118 offset:920
	s_waitcnt vmcnt(4) lgkmcnt(1)
	v_fma_f64 v[119:120], v[147:148], v[119:120], v[123:124]
	s_waitcnt vmcnt(3)
	v_fma_f64 v[119:120], v[145:146], v[121:122], v[119:120]
	s_waitcnt vmcnt(2) lgkmcnt(0)
	v_fma_f64 v[119:120], v[143:144], v[125:126], v[119:120]
	s_waitcnt vmcnt(0)
	v_add_f64 v[119:120], v[127:128], -v[119:120]
	buffer_store_dword v120, off, s[0:3], 0 offset:372
	buffer_store_dword v119, off, s[0:3], 0 offset:368
	s_and_saveexec_b64 s[4:5], vcc
	s_cbranch_execz .LBB57_265
; %bb.264:
	buffer_load_dword v119, off, s[0:3], 0 offset:360
	buffer_load_dword v120, off, s[0:3], 0 offset:364
	s_waitcnt vmcnt(0)
	ds_write_b64 v117, v[119:120]
	buffer_store_dword v118, off, s[0:3], 0 offset:360
	buffer_store_dword v118, off, s[0:3], 0 offset:364
.LBB57_265:
	s_or_b64 exec, exec, s[4:5]
	s_waitcnt lgkmcnt(0)
	; wave barrier
	buffer_load_dword v127, off, s[0:3], 0 offset:368
	buffer_load_dword v128, off, s[0:3], 0 offset:372
	;; [unrolled: 1-line block ×21, first 2 shown]
	ds_read_b128 v[119:122], v118 offset:832
	ds_read_b128 v[123:126], v118 offset:848
	buffer_load_dword v144, off, s[0:3], 0 offset:452
	v_cmp_lt_u32_e32 vcc, 44, v0
	s_waitcnt vmcnt(20) lgkmcnt(1)
	v_fma_f64 v[119:120], v[127:128], v[119:120], 0
	buffer_load_dword v128, off, s[0:3], 0 offset:460
	buffer_load_dword v127, off, s[0:3], 0 offset:456
	s_waitcnt vmcnt(20)
	v_fma_f64 v[119:120], v[129:130], v[121:122], v[119:120]
	buffer_load_dword v129, off, s[0:3], 0 offset:360
	buffer_load_dword v130, off, s[0:3], 0 offset:364
	s_waitcnt vmcnt(20) lgkmcnt(0)
	v_fma_f64 v[119:120], v[131:132], v[123:124], v[119:120]
	s_waitcnt vmcnt(18)
	v_fma_f64 v[131:132], v[133:134], v[125:126], v[119:120]
	ds_read_b128 v[119:122], v118 offset:864
	ds_read_b128 v[123:126], v118 offset:880
	s_waitcnt vmcnt(16) lgkmcnt(1)
	v_fma_f64 v[119:120], v[135:136], v[119:120], v[131:132]
	s_waitcnt vmcnt(14)
	v_fma_f64 v[119:120], v[137:138], v[121:122], v[119:120]
	s_waitcnt vmcnt(12) lgkmcnt(0)
	v_fma_f64 v[119:120], v[139:140], v[123:124], v[119:120]
	s_waitcnt vmcnt(7)
	v_fma_f64 v[131:132], v[141:142], v[125:126], v[119:120]
	ds_read_b128 v[119:122], v118 offset:896
	ds_read_b128 v[123:126], v118 offset:912
	s_waitcnt vmcnt(6) lgkmcnt(1)
	v_fma_f64 v[118:119], v[147:148], v[119:120], v[131:132]
	s_waitcnt vmcnt(5)
	v_fma_f64 v[118:119], v[145:146], v[121:122], v[118:119]
	s_waitcnt vmcnt(4) lgkmcnt(0)
	v_fma_f64 v[118:119], v[143:144], v[123:124], v[118:119]
	s_waitcnt vmcnt(2)
	v_fma_f64 v[118:119], v[127:128], v[125:126], v[118:119]
	s_waitcnt vmcnt(0)
	v_add_f64 v[118:119], v[129:130], -v[118:119]
	buffer_store_dword v119, off, s[0:3], 0 offset:364
	buffer_store_dword v118, off, s[0:3], 0 offset:360
	s_and_saveexec_b64 s[4:5], vcc
	s_cbranch_execz .LBB57_267
; %bb.266:
	buffer_load_dword v118, off, s[0:3], 0 offset:352
	buffer_load_dword v119, off, s[0:3], 0 offset:356
	v_mov_b32_e32 v120, 0
	buffer_store_dword v120, off, s[0:3], 0 offset:352
	buffer_store_dword v120, off, s[0:3], 0 offset:356
	s_waitcnt vmcnt(2)
	ds_write_b64 v117, v[118:119]
.LBB57_267:
	s_or_b64 exec, exec, s[4:5]
	s_waitcnt lgkmcnt(0)
	; wave barrier
	buffer_load_dword v127, off, s[0:3], 0 offset:360
	buffer_load_dword v128, off, s[0:3], 0 offset:364
	;; [unrolled: 1-line block ×21, first 2 shown]
	v_mov_b32_e32 v118, 0
	ds_read2_b64 v[119:122], v118 offset0:103 offset1:104
	ds_read2_b64 v[123:126], v118 offset0:105 offset1:106
	buffer_load_dword v144, off, s[0:3], 0 offset:444
	v_cmp_lt_u32_e32 vcc, 43, v0
	s_waitcnt vmcnt(20) lgkmcnt(1)
	v_fma_f64 v[119:120], v[127:128], v[119:120], 0
	s_waitcnt vmcnt(18)
	v_fma_f64 v[119:120], v[129:130], v[121:122], v[119:120]
	buffer_load_dword v128, off, s[0:3], 0 offset:452
	buffer_load_dword v129, off, s[0:3], 0 offset:456
	;; [unrolled: 1-line block ×4, first 2 shown]
	s_waitcnt vmcnt(20) lgkmcnt(0)
	v_fma_f64 v[119:120], v[131:132], v[123:124], v[119:120]
	buffer_load_dword v131, off, s[0:3], 0 offset:352
	buffer_load_dword v132, off, s[0:3], 0 offset:356
	s_waitcnt vmcnt(20)
	v_fma_f64 v[133:134], v[133:134], v[125:126], v[119:120]
	ds_read2_b64 v[119:122], v118 offset0:107 offset1:108
	ds_read2_b64 v[123:126], v118 offset0:109 offset1:110
	s_waitcnt vmcnt(18) lgkmcnt(1)
	v_fma_f64 v[119:120], v[135:136], v[119:120], v[133:134]
	s_waitcnt vmcnt(16)
	v_fma_f64 v[119:120], v[137:138], v[121:122], v[119:120]
	s_waitcnt vmcnt(14) lgkmcnt(0)
	v_fma_f64 v[119:120], v[139:140], v[123:124], v[119:120]
	s_waitcnt vmcnt(9)
	v_fma_f64 v[133:134], v[141:142], v[125:126], v[119:120]
	ds_read2_b64 v[119:122], v118 offset0:111 offset1:112
	ds_read2_b64 v[123:126], v118 offset0:113 offset1:114
	s_waitcnt vmcnt(8) lgkmcnt(1)
	v_fma_f64 v[119:120], v[147:148], v[119:120], v[133:134]
	s_waitcnt vmcnt(7)
	v_fma_f64 v[119:120], v[145:146], v[121:122], v[119:120]
	ds_read_b64 v[121:122], v118 offset:920
	s_waitcnt vmcnt(6) lgkmcnt(1)
	v_fma_f64 v[119:120], v[143:144], v[123:124], v[119:120]
	s_waitcnt vmcnt(3)
	v_fma_f64 v[119:120], v[127:128], v[125:126], v[119:120]
	s_waitcnt vmcnt(2) lgkmcnt(0)
	v_fma_f64 v[119:120], v[129:130], v[121:122], v[119:120]
	s_waitcnt vmcnt(0)
	v_add_f64 v[119:120], v[131:132], -v[119:120]
	buffer_store_dword v120, off, s[0:3], 0 offset:356
	buffer_store_dword v119, off, s[0:3], 0 offset:352
	s_and_saveexec_b64 s[4:5], vcc
	s_cbranch_execz .LBB57_269
; %bb.268:
	buffer_load_dword v119, off, s[0:3], 0 offset:344
	buffer_load_dword v120, off, s[0:3], 0 offset:348
	s_waitcnt vmcnt(0)
	ds_write_b64 v117, v[119:120]
	buffer_store_dword v118, off, s[0:3], 0 offset:344
	buffer_store_dword v118, off, s[0:3], 0 offset:348
.LBB57_269:
	s_or_b64 exec, exec, s[4:5]
	s_waitcnt lgkmcnt(0)
	; wave barrier
	buffer_load_dword v127, off, s[0:3], 0 offset:352
	buffer_load_dword v128, off, s[0:3], 0 offset:356
	;; [unrolled: 1-line block ×22, first 2 shown]
	ds_read_b128 v[119:122], v118 offset:816
	ds_read_b128 v[123:126], v118 offset:832
	v_cmp_lt_u32_e32 vcc, 42, v0
	s_waitcnt vmcnt(20) lgkmcnt(1)
	v_fma_f64 v[119:120], v[127:128], v[119:120], 0
	s_waitcnt vmcnt(18)
	v_fma_f64 v[119:120], v[129:130], v[121:122], v[119:120]
	buffer_load_dword v128, off, s[0:3], 0 offset:444
	buffer_load_dword v129, off, s[0:3], 0 offset:456
	;; [unrolled: 1-line block ×6, first 2 shown]
	s_waitcnt vmcnt(22) lgkmcnt(0)
	v_fma_f64 v[119:120], v[131:132], v[123:124], v[119:120]
	s_waitcnt vmcnt(20)
	v_fma_f64 v[131:132], v[133:134], v[125:126], v[119:120]
	ds_read_b128 v[119:122], v118 offset:848
	buffer_load_dword v133, off, s[0:3], 0 offset:344
	buffer_load_dword v134, off, s[0:3], 0 offset:348
	ds_read_b128 v[123:126], v118 offset:864
	s_waitcnt vmcnt(20) lgkmcnt(1)
	v_fma_f64 v[119:120], v[135:136], v[119:120], v[131:132]
	s_waitcnt vmcnt(18)
	v_fma_f64 v[119:120], v[137:138], v[121:122], v[119:120]
	s_waitcnt vmcnt(16) lgkmcnt(0)
	v_fma_f64 v[119:120], v[139:140], v[123:124], v[119:120]
	s_waitcnt vmcnt(11)
	v_fma_f64 v[131:132], v[141:142], v[125:126], v[119:120]
	ds_read_b128 v[119:122], v118 offset:880
	ds_read_b128 v[123:126], v118 offset:896
	s_waitcnt vmcnt(10) lgkmcnt(1)
	v_fma_f64 v[119:120], v[147:148], v[119:120], v[131:132]
	s_waitcnt vmcnt(9)
	v_fma_f64 v[119:120], v[145:146], v[121:122], v[119:120]
	s_waitcnt vmcnt(8) lgkmcnt(0)
	v_fma_f64 v[119:120], v[143:144], v[123:124], v[119:120]
	s_waitcnt vmcnt(4)
	v_fma_f64 v[122:123], v[127:128], v[125:126], v[119:120]
	ds_read_b128 v[118:121], v118 offset:912
	s_waitcnt vmcnt(3) lgkmcnt(0)
	v_fma_f64 v[118:119], v[149:150], v[118:119], v[122:123]
	s_waitcnt vmcnt(2)
	v_fma_f64 v[118:119], v[129:130], v[120:121], v[118:119]
	s_waitcnt vmcnt(0)
	v_add_f64 v[118:119], v[133:134], -v[118:119]
	buffer_store_dword v119, off, s[0:3], 0 offset:348
	buffer_store_dword v118, off, s[0:3], 0 offset:344
	s_and_saveexec_b64 s[4:5], vcc
	s_cbranch_execz .LBB57_271
; %bb.270:
	buffer_load_dword v118, off, s[0:3], 0 offset:336
	buffer_load_dword v119, off, s[0:3], 0 offset:340
	v_mov_b32_e32 v120, 0
	buffer_store_dword v120, off, s[0:3], 0 offset:336
	buffer_store_dword v120, off, s[0:3], 0 offset:340
	s_waitcnt vmcnt(2)
	ds_write_b64 v117, v[118:119]
.LBB57_271:
	s_or_b64 exec, exec, s[4:5]
	s_waitcnt lgkmcnt(0)
	; wave barrier
	buffer_load_dword v127, off, s[0:3], 0 offset:344
	buffer_load_dword v128, off, s[0:3], 0 offset:348
	;; [unrolled: 1-line block ×22, first 2 shown]
	v_mov_b32_e32 v118, 0
	ds_read2_b64 v[119:122], v118 offset0:101 offset1:102
	ds_read2_b64 v[123:126], v118 offset0:103 offset1:104
	v_cmp_lt_u32_e32 vcc, 41, v0
	s_waitcnt vmcnt(20) lgkmcnt(1)
	v_fma_f64 v[119:120], v[127:128], v[119:120], 0
	s_waitcnt vmcnt(18)
	v_fma_f64 v[119:120], v[129:130], v[121:122], v[119:120]
	buffer_load_dword v128, off, s[0:3], 0 offset:436
	buffer_load_dword v129, off, s[0:3], 0 offset:456
	;; [unrolled: 1-line block ×8, first 2 shown]
	s_waitcnt vmcnt(24) lgkmcnt(0)
	v_fma_f64 v[119:120], v[131:132], v[123:124], v[119:120]
	s_waitcnt vmcnt(22)
	v_fma_f64 v[131:132], v[133:134], v[125:126], v[119:120]
	ds_read2_b64 v[119:122], v118 offset0:105 offset1:106
	ds_read2_b64 v[123:126], v118 offset0:107 offset1:108
	s_waitcnt vmcnt(20) lgkmcnt(1)
	v_fma_f64 v[119:120], v[135:136], v[119:120], v[131:132]
	buffer_load_dword v131, off, s[0:3], 0 offset:336
	buffer_load_dword v132, off, s[0:3], 0 offset:340
	s_waitcnt vmcnt(20)
	v_fma_f64 v[119:120], v[137:138], v[121:122], v[119:120]
	s_waitcnt vmcnt(18) lgkmcnt(0)
	v_fma_f64 v[119:120], v[139:140], v[123:124], v[119:120]
	s_waitcnt vmcnt(13)
	v_fma_f64 v[133:134], v[141:142], v[125:126], v[119:120]
	ds_read2_b64 v[119:122], v118 offset0:109 offset1:110
	ds_read2_b64 v[123:126], v118 offset0:111 offset1:112
	s_waitcnt vmcnt(12) lgkmcnt(1)
	v_fma_f64 v[119:120], v[147:148], v[119:120], v[133:134]
	s_waitcnt vmcnt(11)
	v_fma_f64 v[119:120], v[145:146], v[121:122], v[119:120]
	s_waitcnt vmcnt(10) lgkmcnt(0)
	v_fma_f64 v[119:120], v[143:144], v[123:124], v[119:120]
	s_waitcnt vmcnt(5)
	v_fma_f64 v[123:124], v[127:128], v[125:126], v[119:120]
	ds_read2_b64 v[119:122], v118 offset0:113 offset1:114
	ds_read_b64 v[125:126], v118 offset:920
	s_waitcnt vmcnt(4) lgkmcnt(1)
	v_fma_f64 v[119:120], v[151:152], v[119:120], v[123:124]
	s_waitcnt vmcnt(3)
	v_fma_f64 v[119:120], v[149:150], v[121:122], v[119:120]
	s_waitcnt vmcnt(2) lgkmcnt(0)
	v_fma_f64 v[119:120], v[129:130], v[125:126], v[119:120]
	s_waitcnt vmcnt(0)
	v_add_f64 v[119:120], v[131:132], -v[119:120]
	buffer_store_dword v120, off, s[0:3], 0 offset:340
	buffer_store_dword v119, off, s[0:3], 0 offset:336
	s_and_saveexec_b64 s[4:5], vcc
	s_cbranch_execz .LBB57_273
; %bb.272:
	buffer_load_dword v119, off, s[0:3], 0 offset:328
	buffer_load_dword v120, off, s[0:3], 0 offset:332
	s_waitcnt vmcnt(0)
	ds_write_b64 v117, v[119:120]
	buffer_store_dword v118, off, s[0:3], 0 offset:328
	buffer_store_dword v118, off, s[0:3], 0 offset:332
.LBB57_273:
	s_or_b64 exec, exec, s[4:5]
	s_waitcnt lgkmcnt(0)
	; wave barrier
	buffer_load_dword v127, off, s[0:3], 0 offset:336
	buffer_load_dword v128, off, s[0:3], 0 offset:340
	;; [unrolled: 1-line block ×22, first 2 shown]
	ds_read_b128 v[119:122], v118 offset:800
	ds_read_b128 v[123:126], v118 offset:816
	v_cmp_lt_u32_e32 vcc, 40, v0
	s_waitcnt vmcnt(20) lgkmcnt(1)
	v_fma_f64 v[119:120], v[127:128], v[119:120], 0
	s_waitcnt vmcnt(18)
	v_fma_f64 v[119:120], v[129:130], v[121:122], v[119:120]
	buffer_load_dword v128, off, s[0:3], 0 offset:428
	buffer_load_dword v129, off, s[0:3], 0 offset:448
	;; [unrolled: 1-line block ×8, first 2 shown]
	s_waitcnt vmcnt(24) lgkmcnt(0)
	v_fma_f64 v[119:120], v[131:132], v[123:124], v[119:120]
	s_waitcnt vmcnt(22)
	v_fma_f64 v[131:132], v[133:134], v[125:126], v[119:120]
	ds_read_b128 v[119:122], v118 offset:832
	ds_read_b128 v[123:126], v118 offset:848
	s_waitcnt vmcnt(20) lgkmcnt(1)
	v_fma_f64 v[119:120], v[135:136], v[119:120], v[131:132]
	buffer_load_dword v132, off, s[0:3], 0 offset:460
	buffer_load_dword v131, off, s[0:3], 0 offset:456
	;; [unrolled: 1-line block ×4, first 2 shown]
	s_waitcnt vmcnt(22)
	v_fma_f64 v[119:120], v[137:138], v[121:122], v[119:120]
	s_waitcnt vmcnt(20) lgkmcnt(0)
	v_fma_f64 v[119:120], v[139:140], v[123:124], v[119:120]
	s_waitcnt vmcnt(15)
	v_fma_f64 v[135:136], v[141:142], v[125:126], v[119:120]
	ds_read_b128 v[119:122], v118 offset:864
	ds_read_b128 v[123:126], v118 offset:880
	s_waitcnt vmcnt(14) lgkmcnt(1)
	v_fma_f64 v[119:120], v[147:148], v[119:120], v[135:136]
	s_waitcnt vmcnt(13)
	v_fma_f64 v[119:120], v[145:146], v[121:122], v[119:120]
	s_waitcnt vmcnt(12) lgkmcnt(0)
	v_fma_f64 v[119:120], v[143:144], v[123:124], v[119:120]
	s_waitcnt vmcnt(7)
	v_fma_f64 v[127:128], v[127:128], v[125:126], v[119:120]
	ds_read_b128 v[119:122], v118 offset:896
	ds_read_b128 v[123:126], v118 offset:912
	s_waitcnt vmcnt(6) lgkmcnt(1)
	v_fma_f64 v[118:119], v[151:152], v[119:120], v[127:128]
	s_waitcnt vmcnt(5)
	v_fma_f64 v[118:119], v[149:150], v[121:122], v[118:119]
	s_waitcnt vmcnt(4) lgkmcnt(0)
	v_fma_f64 v[118:119], v[129:130], v[123:124], v[118:119]
	s_waitcnt vmcnt(2)
	v_fma_f64 v[118:119], v[131:132], v[125:126], v[118:119]
	s_waitcnt vmcnt(0)
	v_add_f64 v[118:119], v[133:134], -v[118:119]
	buffer_store_dword v119, off, s[0:3], 0 offset:332
	buffer_store_dword v118, off, s[0:3], 0 offset:328
	s_and_saveexec_b64 s[4:5], vcc
	s_cbranch_execz .LBB57_275
; %bb.274:
	buffer_load_dword v118, off, s[0:3], 0 offset:320
	buffer_load_dword v119, off, s[0:3], 0 offset:324
	v_mov_b32_e32 v120, 0
	buffer_store_dword v120, off, s[0:3], 0 offset:320
	buffer_store_dword v120, off, s[0:3], 0 offset:324
	s_waitcnt vmcnt(2)
	ds_write_b64 v117, v[118:119]
.LBB57_275:
	s_or_b64 exec, exec, s[4:5]
	s_waitcnt lgkmcnt(0)
	; wave barrier
	buffer_load_dword v127, off, s[0:3], 0 offset:328
	buffer_load_dword v128, off, s[0:3], 0 offset:332
	;; [unrolled: 1-line block ×22, first 2 shown]
	v_mov_b32_e32 v118, 0
	ds_read2_b64 v[119:122], v118 offset0:99 offset1:100
	ds_read2_b64 v[123:126], v118 offset0:101 offset1:102
	v_cmp_lt_u32_e32 vcc, 39, v0
	s_waitcnt vmcnt(20) lgkmcnt(1)
	v_fma_f64 v[119:120], v[127:128], v[119:120], 0
	s_waitcnt vmcnt(18)
	v_fma_f64 v[119:120], v[129:130], v[121:122], v[119:120]
	buffer_load_dword v128, off, s[0:3], 0 offset:420
	buffer_load_dword v129, off, s[0:3], 0 offset:440
	;; [unrolled: 1-line block ×7, first 2 shown]
	s_waitcnt vmcnt(23) lgkmcnt(0)
	v_fma_f64 v[119:120], v[131:132], v[123:124], v[119:120]
	s_waitcnt vmcnt(21)
	v_fma_f64 v[130:131], v[133:134], v[125:126], v[119:120]
	ds_read2_b64 v[119:122], v118 offset0:103 offset1:104
	ds_read2_b64 v[123:126], v118 offset0:105 offset1:106
	s_waitcnt vmcnt(19) lgkmcnt(1)
	v_fma_f64 v[119:120], v[135:136], v[119:120], v[130:131]
	buffer_load_dword v130, off, s[0:3], 0 offset:444
	buffer_load_dword v132, off, s[0:3], 0 offset:452
	;; [unrolled: 1-line block ×7, first 2 shown]
	s_waitcnt vmcnt(24)
	v_fma_f64 v[119:120], v[137:138], v[121:122], v[119:120]
	s_waitcnt vmcnt(22) lgkmcnt(0)
	v_fma_f64 v[119:120], v[139:140], v[123:124], v[119:120]
	s_waitcnt vmcnt(17)
	v_fma_f64 v[137:138], v[141:142], v[125:126], v[119:120]
	ds_read2_b64 v[119:122], v118 offset0:107 offset1:108
	ds_read2_b64 v[123:126], v118 offset0:109 offset1:110
	s_waitcnt vmcnt(16) lgkmcnt(1)
	v_fma_f64 v[119:120], v[147:148], v[119:120], v[137:138]
	s_waitcnt vmcnt(15)
	v_fma_f64 v[119:120], v[145:146], v[121:122], v[119:120]
	s_waitcnt vmcnt(14) lgkmcnt(0)
	v_fma_f64 v[119:120], v[143:144], v[123:124], v[119:120]
	s_waitcnt vmcnt(9)
	v_fma_f64 v[127:128], v[127:128], v[125:126], v[119:120]
	ds_read2_b64 v[119:122], v118 offset0:111 offset1:112
	ds_read2_b64 v[123:126], v118 offset0:113 offset1:114
	s_waitcnt vmcnt(8) lgkmcnt(1)
	v_fma_f64 v[119:120], v[151:152], v[119:120], v[127:128]
	s_waitcnt vmcnt(7)
	v_fma_f64 v[119:120], v[149:150], v[121:122], v[119:120]
	ds_read_b64 v[121:122], v118 offset:920
	s_waitcnt vmcnt(6) lgkmcnt(1)
	v_fma_f64 v[119:120], v[129:130], v[123:124], v[119:120]
	s_waitcnt vmcnt(3)
	v_fma_f64 v[119:120], v[131:132], v[125:126], v[119:120]
	s_waitcnt vmcnt(2) lgkmcnt(0)
	v_fma_f64 v[119:120], v[133:134], v[121:122], v[119:120]
	s_waitcnt vmcnt(0)
	v_add_f64 v[119:120], v[135:136], -v[119:120]
	buffer_store_dword v120, off, s[0:3], 0 offset:324
	buffer_store_dword v119, off, s[0:3], 0 offset:320
	s_and_saveexec_b64 s[4:5], vcc
	s_cbranch_execz .LBB57_277
; %bb.276:
	buffer_load_dword v119, off, s[0:3], 0 offset:312
	buffer_load_dword v120, off, s[0:3], 0 offset:316
	s_waitcnt vmcnt(0)
	ds_write_b64 v117, v[119:120]
	buffer_store_dword v118, off, s[0:3], 0 offset:312
	buffer_store_dword v118, off, s[0:3], 0 offset:316
.LBB57_277:
	s_or_b64 exec, exec, s[4:5]
	s_waitcnt lgkmcnt(0)
	; wave barrier
	buffer_load_dword v127, off, s[0:3], 0 offset:320
	buffer_load_dword v128, off, s[0:3], 0 offset:324
	;; [unrolled: 1-line block ×22, first 2 shown]
	ds_read_b128 v[119:122], v118 offset:784
	ds_read_b128 v[123:126], v118 offset:800
	v_cmp_lt_u32_e32 vcc, 38, v0
	s_waitcnt vmcnt(20) lgkmcnt(1)
	v_fma_f64 v[119:120], v[127:128], v[119:120], 0
	s_waitcnt vmcnt(18)
	v_fma_f64 v[119:120], v[129:130], v[121:122], v[119:120]
	buffer_load_dword v128, off, s[0:3], 0 offset:412
	buffer_load_dword v129, off, s[0:3], 0 offset:432
	;; [unrolled: 1-line block ×7, first 2 shown]
	s_waitcnt vmcnt(23) lgkmcnt(0)
	v_fma_f64 v[119:120], v[131:132], v[123:124], v[119:120]
	s_waitcnt vmcnt(21)
	v_fma_f64 v[130:131], v[133:134], v[125:126], v[119:120]
	ds_read_b128 v[119:122], v118 offset:816
	ds_read_b128 v[123:126], v118 offset:832
	s_waitcnt vmcnt(19) lgkmcnt(1)
	v_fma_f64 v[119:120], v[135:136], v[119:120], v[130:131]
	buffer_load_dword v130, off, s[0:3], 0 offset:436
	buffer_load_dword v132, off, s[0:3], 0 offset:444
	;; [unrolled: 1-line block ×7, first 2 shown]
	s_waitcnt vmcnt(24)
	v_fma_f64 v[119:120], v[137:138], v[121:122], v[119:120]
	s_waitcnt vmcnt(22) lgkmcnt(0)
	v_fma_f64 v[119:120], v[139:140], v[123:124], v[119:120]
	s_waitcnt vmcnt(17)
	v_fma_f64 v[137:138], v[141:142], v[125:126], v[119:120]
	ds_read_b128 v[119:122], v118 offset:848
	buffer_load_dword v139, off, s[0:3], 0 offset:312
	buffer_load_dword v140, off, s[0:3], 0 offset:316
	ds_read_b128 v[123:126], v118 offset:864
	s_waitcnt vmcnt(18) lgkmcnt(1)
	v_fma_f64 v[119:120], v[147:148], v[119:120], v[137:138]
	s_waitcnt vmcnt(17)
	v_fma_f64 v[119:120], v[145:146], v[121:122], v[119:120]
	s_waitcnt vmcnt(16) lgkmcnt(0)
	v_fma_f64 v[119:120], v[143:144], v[123:124], v[119:120]
	s_waitcnt vmcnt(11)
	v_fma_f64 v[127:128], v[127:128], v[125:126], v[119:120]
	ds_read_b128 v[119:122], v118 offset:880
	ds_read_b128 v[123:126], v118 offset:896
	s_waitcnt vmcnt(10) lgkmcnt(1)
	v_fma_f64 v[119:120], v[151:152], v[119:120], v[127:128]
	s_waitcnt vmcnt(9)
	v_fma_f64 v[119:120], v[149:150], v[121:122], v[119:120]
	s_waitcnt vmcnt(8) lgkmcnt(0)
	v_fma_f64 v[119:120], v[129:130], v[123:124], v[119:120]
	s_waitcnt vmcnt(4)
	v_fma_f64 v[122:123], v[131:132], v[125:126], v[119:120]
	ds_read_b128 v[118:121], v118 offset:912
	s_waitcnt vmcnt(3) lgkmcnt(0)
	v_fma_f64 v[118:119], v[135:136], v[118:119], v[122:123]
	s_waitcnt vmcnt(2)
	v_fma_f64 v[118:119], v[133:134], v[120:121], v[118:119]
	s_waitcnt vmcnt(0)
	v_add_f64 v[118:119], v[139:140], -v[118:119]
	buffer_store_dword v119, off, s[0:3], 0 offset:316
	buffer_store_dword v118, off, s[0:3], 0 offset:312
	s_and_saveexec_b64 s[4:5], vcc
	s_cbranch_execz .LBB57_279
; %bb.278:
	buffer_load_dword v118, off, s[0:3], 0 offset:304
	buffer_load_dword v119, off, s[0:3], 0 offset:308
	v_mov_b32_e32 v120, 0
	buffer_store_dword v120, off, s[0:3], 0 offset:304
	buffer_store_dword v120, off, s[0:3], 0 offset:308
	s_waitcnt vmcnt(2)
	ds_write_b64 v117, v[118:119]
.LBB57_279:
	s_or_b64 exec, exec, s[4:5]
	s_waitcnt lgkmcnt(0)
	; wave barrier
	buffer_load_dword v127, off, s[0:3], 0 offset:312
	buffer_load_dword v128, off, s[0:3], 0 offset:316
	;; [unrolled: 1-line block ×22, first 2 shown]
	v_mov_b32_e32 v118, 0
	ds_read2_b64 v[119:122], v118 offset0:97 offset1:98
	ds_read2_b64 v[123:126], v118 offset0:99 offset1:100
	v_cmp_lt_u32_e32 vcc, 37, v0
	s_waitcnt vmcnt(20) lgkmcnt(1)
	v_fma_f64 v[119:120], v[127:128], v[119:120], 0
	s_waitcnt vmcnt(18)
	v_fma_f64 v[119:120], v[129:130], v[121:122], v[119:120]
	buffer_load_dword v128, off, s[0:3], 0 offset:404
	buffer_load_dword v129, off, s[0:3], 0 offset:424
	;; [unrolled: 1-line block ×7, first 2 shown]
	s_waitcnt vmcnt(23) lgkmcnt(0)
	v_fma_f64 v[119:120], v[131:132], v[123:124], v[119:120]
	s_waitcnt vmcnt(21)
	v_fma_f64 v[130:131], v[133:134], v[125:126], v[119:120]
	ds_read2_b64 v[119:122], v118 offset0:101 offset1:102
	ds_read2_b64 v[123:126], v118 offset0:103 offset1:104
	s_waitcnt vmcnt(19) lgkmcnt(1)
	v_fma_f64 v[119:120], v[135:136], v[119:120], v[130:131]
	buffer_load_dword v130, off, s[0:3], 0 offset:428
	s_waitcnt vmcnt(18)
	v_fma_f64 v[119:120], v[137:138], v[121:122], v[119:120]
	buffer_load_dword v132, off, s[0:3], 0 offset:436
	buffer_load_dword v133, off, s[0:3], 0 offset:456
	;; [unrolled: 1-line block ×8, first 2 shown]
	s_waitcnt vmcnt(24) lgkmcnt(0)
	v_fma_f64 v[119:120], v[139:140], v[123:124], v[119:120]
	s_waitcnt vmcnt(19)
	v_fma_f64 v[139:140], v[141:142], v[125:126], v[119:120]
	ds_read2_b64 v[119:122], v118 offset0:105 offset1:106
	ds_read2_b64 v[123:126], v118 offset0:107 offset1:108
	s_waitcnt vmcnt(18) lgkmcnt(1)
	v_fma_f64 v[119:120], v[147:148], v[119:120], v[139:140]
	buffer_load_dword v139, off, s[0:3], 0 offset:304
	buffer_load_dword v140, off, s[0:3], 0 offset:308
	s_waitcnt vmcnt(19)
	v_fma_f64 v[119:120], v[145:146], v[121:122], v[119:120]
	s_waitcnt vmcnt(18) lgkmcnt(0)
	v_fma_f64 v[119:120], v[143:144], v[123:124], v[119:120]
	s_waitcnt vmcnt(13)
	v_fma_f64 v[127:128], v[127:128], v[125:126], v[119:120]
	ds_read2_b64 v[119:122], v118 offset0:109 offset1:110
	ds_read2_b64 v[123:126], v118 offset0:111 offset1:112
	s_waitcnt vmcnt(12) lgkmcnt(1)
	v_fma_f64 v[119:120], v[151:152], v[119:120], v[127:128]
	s_waitcnt vmcnt(11)
	v_fma_f64 v[119:120], v[149:150], v[121:122], v[119:120]
	s_waitcnt vmcnt(10) lgkmcnt(0)
	v_fma_f64 v[119:120], v[129:130], v[123:124], v[119:120]
	s_waitcnt vmcnt(5)
	v_fma_f64 v[123:124], v[131:132], v[125:126], v[119:120]
	ds_read2_b64 v[119:122], v118 offset0:113 offset1:114
	ds_read_b64 v[125:126], v118 offset:920
	s_waitcnt vmcnt(4) lgkmcnt(1)
	v_fma_f64 v[119:120], v[137:138], v[119:120], v[123:124]
	s_waitcnt vmcnt(3)
	v_fma_f64 v[119:120], v[135:136], v[121:122], v[119:120]
	s_waitcnt vmcnt(2) lgkmcnt(0)
	v_fma_f64 v[119:120], v[133:134], v[125:126], v[119:120]
	s_waitcnt vmcnt(0)
	v_add_f64 v[119:120], v[139:140], -v[119:120]
	buffer_store_dword v120, off, s[0:3], 0 offset:308
	buffer_store_dword v119, off, s[0:3], 0 offset:304
	s_and_saveexec_b64 s[4:5], vcc
	s_cbranch_execz .LBB57_281
; %bb.280:
	buffer_load_dword v119, off, s[0:3], 0 offset:296
	buffer_load_dword v120, off, s[0:3], 0 offset:300
	s_waitcnt vmcnt(0)
	ds_write_b64 v117, v[119:120]
	buffer_store_dword v118, off, s[0:3], 0 offset:296
	buffer_store_dword v118, off, s[0:3], 0 offset:300
.LBB57_281:
	s_or_b64 exec, exec, s[4:5]
	s_waitcnt lgkmcnt(0)
	; wave barrier
	buffer_load_dword v127, off, s[0:3], 0 offset:304
	buffer_load_dword v128, off, s[0:3], 0 offset:308
	;; [unrolled: 1-line block ×22, first 2 shown]
	ds_read_b128 v[119:122], v118 offset:768
	ds_read_b128 v[123:126], v118 offset:784
	v_cmp_lt_u32_e32 vcc, 36, v0
	s_waitcnt vmcnt(20) lgkmcnt(1)
	v_fma_f64 v[119:120], v[127:128], v[119:120], 0
	s_waitcnt vmcnt(18)
	v_fma_f64 v[119:120], v[129:130], v[121:122], v[119:120]
	buffer_load_dword v128, off, s[0:3], 0 offset:396
	buffer_load_dword v129, off, s[0:3], 0 offset:416
	;; [unrolled: 1-line block ×7, first 2 shown]
	s_waitcnt vmcnt(23) lgkmcnt(0)
	v_fma_f64 v[119:120], v[131:132], v[123:124], v[119:120]
	s_waitcnt vmcnt(21)
	v_fma_f64 v[130:131], v[133:134], v[125:126], v[119:120]
	ds_read_b128 v[119:122], v118 offset:800
	ds_read_b128 v[123:126], v118 offset:816
	s_waitcnt vmcnt(19) lgkmcnt(1)
	v_fma_f64 v[119:120], v[135:136], v[119:120], v[130:131]
	buffer_load_dword v130, off, s[0:3], 0 offset:420
	s_waitcnt vmcnt(18)
	v_fma_f64 v[119:120], v[137:138], v[121:122], v[119:120]
	buffer_load_dword v132, off, s[0:3], 0 offset:428
	buffer_load_dword v133, off, s[0:3], 0 offset:448
	;; [unrolled: 1-line block ×8, first 2 shown]
	s_waitcnt vmcnt(24) lgkmcnt(0)
	v_fma_f64 v[119:120], v[139:140], v[123:124], v[119:120]
	s_waitcnt vmcnt(19)
	v_fma_f64 v[139:140], v[141:142], v[125:126], v[119:120]
	ds_read_b128 v[119:122], v118 offset:832
	ds_read_b128 v[123:126], v118 offset:848
	s_waitcnt vmcnt(18) lgkmcnt(1)
	v_fma_f64 v[119:120], v[147:148], v[119:120], v[139:140]
	buffer_load_dword v140, off, s[0:3], 0 offset:460
	buffer_load_dword v139, off, s[0:3], 0 offset:456
	;; [unrolled: 1-line block ×4, first 2 shown]
	s_waitcnt vmcnt(21)
	v_fma_f64 v[119:120], v[145:146], v[121:122], v[119:120]
	s_waitcnt vmcnt(20) lgkmcnt(0)
	v_fma_f64 v[119:120], v[143:144], v[123:124], v[119:120]
	s_waitcnt vmcnt(15)
	v_fma_f64 v[127:128], v[127:128], v[125:126], v[119:120]
	ds_read_b128 v[119:122], v118 offset:864
	ds_read_b128 v[123:126], v118 offset:880
	s_waitcnt vmcnt(14) lgkmcnt(1)
	v_fma_f64 v[119:120], v[151:152], v[119:120], v[127:128]
	s_waitcnt vmcnt(13)
	v_fma_f64 v[119:120], v[149:150], v[121:122], v[119:120]
	s_waitcnt vmcnt(12) lgkmcnt(0)
	v_fma_f64 v[119:120], v[129:130], v[123:124], v[119:120]
	s_waitcnt vmcnt(7)
	v_fma_f64 v[127:128], v[131:132], v[125:126], v[119:120]
	ds_read_b128 v[119:122], v118 offset:896
	ds_read_b128 v[123:126], v118 offset:912
	s_waitcnt vmcnt(6) lgkmcnt(1)
	v_fma_f64 v[118:119], v[137:138], v[119:120], v[127:128]
	s_waitcnt vmcnt(5)
	v_fma_f64 v[118:119], v[135:136], v[121:122], v[118:119]
	s_waitcnt vmcnt(4) lgkmcnt(0)
	v_fma_f64 v[118:119], v[133:134], v[123:124], v[118:119]
	s_waitcnt vmcnt(2)
	v_fma_f64 v[118:119], v[139:140], v[125:126], v[118:119]
	s_waitcnt vmcnt(0)
	v_add_f64 v[118:119], v[141:142], -v[118:119]
	buffer_store_dword v119, off, s[0:3], 0 offset:300
	buffer_store_dword v118, off, s[0:3], 0 offset:296
	s_and_saveexec_b64 s[4:5], vcc
	s_cbranch_execz .LBB57_283
; %bb.282:
	buffer_load_dword v118, off, s[0:3], 0 offset:288
	buffer_load_dword v119, off, s[0:3], 0 offset:292
	v_mov_b32_e32 v120, 0
	buffer_store_dword v120, off, s[0:3], 0 offset:288
	buffer_store_dword v120, off, s[0:3], 0 offset:292
	s_waitcnt vmcnt(2)
	ds_write_b64 v117, v[118:119]
.LBB57_283:
	s_or_b64 exec, exec, s[4:5]
	s_waitcnt lgkmcnt(0)
	; wave barrier
	buffer_load_dword v127, off, s[0:3], 0 offset:296
	buffer_load_dword v128, off, s[0:3], 0 offset:300
	;; [unrolled: 1-line block ×21, first 2 shown]
	v_mov_b32_e32 v118, 0
	ds_read2_b64 v[119:122], v118 offset0:95 offset1:96
	ds_read2_b64 v[123:126], v118 offset0:97 offset1:98
	buffer_load_dword v144, off, s[0:3], 0 offset:380
	v_cmp_lt_u32_e32 vcc, 35, v0
	s_waitcnt vmcnt(20) lgkmcnt(1)
	v_fma_f64 v[119:120], v[127:128], v[119:120], 0
	s_waitcnt vmcnt(18)
	v_fma_f64 v[119:120], v[129:130], v[121:122], v[119:120]
	buffer_load_dword v128, off, s[0:3], 0 offset:388
	buffer_load_dword v129, off, s[0:3], 0 offset:408
	;; [unrolled: 1-line block ×7, first 2 shown]
	s_waitcnt vmcnt(23) lgkmcnt(0)
	v_fma_f64 v[119:120], v[131:132], v[123:124], v[119:120]
	s_waitcnt vmcnt(21)
	v_fma_f64 v[130:131], v[133:134], v[125:126], v[119:120]
	ds_read2_b64 v[119:122], v118 offset0:99 offset1:100
	ds_read2_b64 v[123:126], v118 offset0:101 offset1:102
	s_waitcnt vmcnt(19) lgkmcnt(1)
	v_fma_f64 v[119:120], v[135:136], v[119:120], v[130:131]
	buffer_load_dword v130, off, s[0:3], 0 offset:412
	s_waitcnt vmcnt(18)
	v_fma_f64 v[119:120], v[137:138], v[121:122], v[119:120]
	buffer_load_dword v132, off, s[0:3], 0 offset:420
	buffer_load_dword v133, off, s[0:3], 0 offset:440
	;; [unrolled: 1-line block ×7, first 2 shown]
	s_waitcnt vmcnt(23) lgkmcnt(0)
	v_fma_f64 v[119:120], v[139:140], v[123:124], v[119:120]
	s_waitcnt vmcnt(18)
	v_fma_f64 v[139:140], v[141:142], v[125:126], v[119:120]
	ds_read2_b64 v[119:122], v118 offset0:103 offset1:104
	ds_read2_b64 v[123:126], v118 offset0:105 offset1:106
	buffer_load_dword v134, off, s[0:3], 0 offset:444
	s_waitcnt vmcnt(18) lgkmcnt(1)
	v_fma_f64 v[119:120], v[147:148], v[119:120], v[139:140]
	buffer_load_dword v140, off, s[0:3], 0 offset:452
	buffer_load_dword v141, off, s[0:3], 0 offset:456
	;; [unrolled: 1-line block ×4, first 2 shown]
	s_waitcnt vmcnt(21)
	v_fma_f64 v[119:120], v[145:146], v[121:122], v[119:120]
	s_waitcnt vmcnt(20) lgkmcnt(0)
	v_fma_f64 v[119:120], v[143:144], v[123:124], v[119:120]
	buffer_load_dword v143, off, s[0:3], 0 offset:288
	buffer_load_dword v144, off, s[0:3], 0 offset:292
	s_waitcnt vmcnt(17)
	v_fma_f64 v[127:128], v[127:128], v[125:126], v[119:120]
	ds_read2_b64 v[119:122], v118 offset0:107 offset1:108
	ds_read2_b64 v[123:126], v118 offset0:109 offset1:110
	s_waitcnt vmcnt(16) lgkmcnt(1)
	v_fma_f64 v[119:120], v[151:152], v[119:120], v[127:128]
	s_waitcnt vmcnt(15)
	v_fma_f64 v[119:120], v[149:150], v[121:122], v[119:120]
	s_waitcnt vmcnt(14) lgkmcnt(0)
	v_fma_f64 v[119:120], v[129:130], v[123:124], v[119:120]
	s_waitcnt vmcnt(9)
	v_fma_f64 v[127:128], v[131:132], v[125:126], v[119:120]
	ds_read2_b64 v[119:122], v118 offset0:111 offset1:112
	ds_read2_b64 v[123:126], v118 offset0:113 offset1:114
	s_waitcnt vmcnt(8) lgkmcnt(1)
	v_fma_f64 v[119:120], v[137:138], v[119:120], v[127:128]
	s_waitcnt vmcnt(7)
	v_fma_f64 v[119:120], v[135:136], v[121:122], v[119:120]
	ds_read_b64 v[121:122], v118 offset:920
	s_waitcnt vmcnt(6) lgkmcnt(1)
	v_fma_f64 v[119:120], v[133:134], v[123:124], v[119:120]
	s_waitcnt vmcnt(3)
	v_fma_f64 v[119:120], v[139:140], v[125:126], v[119:120]
	s_waitcnt vmcnt(2) lgkmcnt(0)
	v_fma_f64 v[119:120], v[141:142], v[121:122], v[119:120]
	s_waitcnt vmcnt(0)
	v_add_f64 v[119:120], v[143:144], -v[119:120]
	buffer_store_dword v120, off, s[0:3], 0 offset:292
	buffer_store_dword v119, off, s[0:3], 0 offset:288
	s_and_saveexec_b64 s[4:5], vcc
	s_cbranch_execz .LBB57_285
; %bb.284:
	buffer_load_dword v119, off, s[0:3], 0 offset:280
	buffer_load_dword v120, off, s[0:3], 0 offset:284
	s_waitcnt vmcnt(0)
	ds_write_b64 v117, v[119:120]
	buffer_store_dword v118, off, s[0:3], 0 offset:280
	buffer_store_dword v118, off, s[0:3], 0 offset:284
.LBB57_285:
	s_or_b64 exec, exec, s[4:5]
	s_waitcnt lgkmcnt(0)
	; wave barrier
	buffer_load_dword v127, off, s[0:3], 0 offset:288
	buffer_load_dword v128, off, s[0:3], 0 offset:292
	;; [unrolled: 1-line block ×21, first 2 shown]
	ds_read_b128 v[119:122], v118 offset:752
	ds_read_b128 v[123:126], v118 offset:768
	buffer_load_dword v144, off, s[0:3], 0 offset:372
	v_cmp_lt_u32_e32 vcc, 34, v0
	s_waitcnt vmcnt(20) lgkmcnt(1)
	v_fma_f64 v[119:120], v[127:128], v[119:120], 0
	s_waitcnt vmcnt(18)
	v_fma_f64 v[119:120], v[129:130], v[121:122], v[119:120]
	buffer_load_dword v128, off, s[0:3], 0 offset:380
	buffer_load_dword v129, off, s[0:3], 0 offset:400
	;; [unrolled: 1-line block ×7, first 2 shown]
	s_waitcnt vmcnt(23) lgkmcnt(0)
	v_fma_f64 v[119:120], v[131:132], v[123:124], v[119:120]
	s_waitcnt vmcnt(21)
	v_fma_f64 v[130:131], v[133:134], v[125:126], v[119:120]
	ds_read_b128 v[119:122], v118 offset:784
	ds_read_b128 v[123:126], v118 offset:800
	s_waitcnt vmcnt(19) lgkmcnt(1)
	v_fma_f64 v[119:120], v[135:136], v[119:120], v[130:131]
	buffer_load_dword v130, off, s[0:3], 0 offset:404
	s_waitcnt vmcnt(18)
	v_fma_f64 v[119:120], v[137:138], v[121:122], v[119:120]
	buffer_load_dword v132, off, s[0:3], 0 offset:412
	buffer_load_dword v133, off, s[0:3], 0 offset:432
	buffer_load_dword v135, off, s[0:3], 0 offset:424
	buffer_load_dword v137, off, s[0:3], 0 offset:416
	buffer_load_dword v131, off, s[0:3], 0 offset:408
	buffer_load_dword v138, off, s[0:3], 0 offset:420
	buffer_load_dword v136, off, s[0:3], 0 offset:428
	buffer_load_dword v134, off, s[0:3], 0 offset:436
	s_waitcnt vmcnt(24) lgkmcnt(0)
	v_fma_f64 v[119:120], v[139:140], v[123:124], v[119:120]
	s_waitcnt vmcnt(19)
	v_fma_f64 v[139:140], v[141:142], v[125:126], v[119:120]
	ds_read_b128 v[119:122], v118 offset:816
	ds_read_b128 v[123:126], v118 offset:832
	s_waitcnt vmcnt(18) lgkmcnt(1)
	v_fma_f64 v[119:120], v[147:148], v[119:120], v[139:140]
	s_waitcnt vmcnt(17)
	v_fma_f64 v[119:120], v[145:146], v[121:122], v[119:120]
	buffer_load_dword v140, off, s[0:3], 0 offset:444
	buffer_load_dword v141, off, s[0:3], 0 offset:456
	;; [unrolled: 1-line block ×6, first 2 shown]
	s_waitcnt vmcnt(22) lgkmcnt(0)
	v_fma_f64 v[119:120], v[143:144], v[123:124], v[119:120]
	s_waitcnt vmcnt(17)
	v_fma_f64 v[127:128], v[127:128], v[125:126], v[119:120]
	ds_read_b128 v[119:122], v118 offset:848
	buffer_load_dword v143, off, s[0:3], 0 offset:280
	buffer_load_dword v144, off, s[0:3], 0 offset:284
	ds_read_b128 v[123:126], v118 offset:864
	s_waitcnt vmcnt(18) lgkmcnt(1)
	v_fma_f64 v[119:120], v[151:152], v[119:120], v[127:128]
	s_waitcnt vmcnt(17)
	v_fma_f64 v[119:120], v[149:150], v[121:122], v[119:120]
	s_waitcnt vmcnt(16) lgkmcnt(0)
	v_fma_f64 v[119:120], v[129:130], v[123:124], v[119:120]
	s_waitcnt vmcnt(11)
	v_fma_f64 v[127:128], v[131:132], v[125:126], v[119:120]
	ds_read_b128 v[119:122], v118 offset:880
	ds_read_b128 v[123:126], v118 offset:896
	s_waitcnt vmcnt(10) lgkmcnt(1)
	v_fma_f64 v[119:120], v[137:138], v[119:120], v[127:128]
	s_waitcnt vmcnt(9)
	v_fma_f64 v[119:120], v[135:136], v[121:122], v[119:120]
	s_waitcnt vmcnt(8) lgkmcnt(0)
	v_fma_f64 v[119:120], v[133:134], v[123:124], v[119:120]
	s_waitcnt vmcnt(4)
	v_fma_f64 v[122:123], v[139:140], v[125:126], v[119:120]
	ds_read_b128 v[118:121], v118 offset:912
	s_waitcnt vmcnt(3) lgkmcnt(0)
	v_fma_f64 v[118:119], v[145:146], v[118:119], v[122:123]
	s_waitcnt vmcnt(2)
	v_fma_f64 v[118:119], v[141:142], v[120:121], v[118:119]
	s_waitcnt vmcnt(0)
	v_add_f64 v[118:119], v[143:144], -v[118:119]
	buffer_store_dword v119, off, s[0:3], 0 offset:284
	buffer_store_dword v118, off, s[0:3], 0 offset:280
	s_and_saveexec_b64 s[4:5], vcc
	s_cbranch_execz .LBB57_287
; %bb.286:
	buffer_load_dword v118, off, s[0:3], 0 offset:272
	buffer_load_dword v119, off, s[0:3], 0 offset:276
	v_mov_b32_e32 v120, 0
	buffer_store_dword v120, off, s[0:3], 0 offset:272
	buffer_store_dword v120, off, s[0:3], 0 offset:276
	s_waitcnt vmcnt(2)
	ds_write_b64 v117, v[118:119]
.LBB57_287:
	s_or_b64 exec, exec, s[4:5]
	s_waitcnt lgkmcnt(0)
	; wave barrier
	buffer_load_dword v127, off, s[0:3], 0 offset:280
	buffer_load_dword v128, off, s[0:3], 0 offset:284
	;; [unrolled: 1-line block ×21, first 2 shown]
	v_mov_b32_e32 v118, 0
	ds_read2_b64 v[119:122], v118 offset0:93 offset1:94
	ds_read2_b64 v[123:126], v118 offset0:95 offset1:96
	buffer_load_dword v144, off, s[0:3], 0 offset:364
	v_cmp_lt_u32_e32 vcc, 33, v0
	s_waitcnt vmcnt(20) lgkmcnt(1)
	v_fma_f64 v[119:120], v[127:128], v[119:120], 0
	s_waitcnt vmcnt(18)
	v_fma_f64 v[119:120], v[129:130], v[121:122], v[119:120]
	buffer_load_dword v128, off, s[0:3], 0 offset:372
	buffer_load_dword v129, off, s[0:3], 0 offset:392
	buffer_load_dword v149, off, s[0:3], 0 offset:384
	buffer_load_dword v151, off, s[0:3], 0 offset:376
	buffer_load_dword v127, off, s[0:3], 0 offset:368
	buffer_load_dword v152, off, s[0:3], 0 offset:380
	buffer_load_dword v150, off, s[0:3], 0 offset:388
	s_waitcnt vmcnt(23) lgkmcnt(0)
	v_fma_f64 v[119:120], v[131:132], v[123:124], v[119:120]
	s_waitcnt vmcnt(21)
	v_fma_f64 v[130:131], v[133:134], v[125:126], v[119:120]
	ds_read2_b64 v[119:122], v118 offset0:97 offset1:98
	ds_read2_b64 v[123:126], v118 offset0:99 offset1:100
	s_waitcnt vmcnt(19) lgkmcnt(1)
	v_fma_f64 v[119:120], v[135:136], v[119:120], v[130:131]
	buffer_load_dword v130, off, s[0:3], 0 offset:396
	s_waitcnt vmcnt(18)
	v_fma_f64 v[119:120], v[137:138], v[121:122], v[119:120]
	buffer_load_dword v132, off, s[0:3], 0 offset:404
	buffer_load_dword v133, off, s[0:3], 0 offset:424
	;; [unrolled: 1-line block ×8, first 2 shown]
	s_waitcnt vmcnt(24) lgkmcnt(0)
	v_fma_f64 v[119:120], v[139:140], v[123:124], v[119:120]
	s_waitcnt vmcnt(19)
	v_fma_f64 v[139:140], v[141:142], v[125:126], v[119:120]
	ds_read2_b64 v[119:122], v118 offset0:101 offset1:102
	ds_read2_b64 v[123:126], v118 offset0:103 offset1:104
	s_waitcnt vmcnt(18) lgkmcnt(1)
	v_fma_f64 v[119:120], v[147:148], v[119:120], v[139:140]
	s_waitcnt vmcnt(17)
	v_fma_f64 v[119:120], v[145:146], v[121:122], v[119:120]
	buffer_load_dword v140, off, s[0:3], 0 offset:436
	buffer_load_dword v141, off, s[0:3], 0 offset:456
	;; [unrolled: 1-line block ×8, first 2 shown]
	s_waitcnt vmcnt(24) lgkmcnt(0)
	v_fma_f64 v[119:120], v[143:144], v[123:124], v[119:120]
	s_waitcnt vmcnt(19)
	v_fma_f64 v[127:128], v[127:128], v[125:126], v[119:120]
	ds_read2_b64 v[119:122], v118 offset0:105 offset1:106
	ds_read2_b64 v[123:126], v118 offset0:107 offset1:108
	s_waitcnt vmcnt(18) lgkmcnt(1)
	v_fma_f64 v[119:120], v[151:152], v[119:120], v[127:128]
	buffer_load_dword v127, off, s[0:3], 0 offset:272
	buffer_load_dword v128, off, s[0:3], 0 offset:276
	s_waitcnt vmcnt(19)
	v_fma_f64 v[119:120], v[149:150], v[121:122], v[119:120]
	s_waitcnt vmcnt(18) lgkmcnt(0)
	v_fma_f64 v[119:120], v[129:130], v[123:124], v[119:120]
	s_waitcnt vmcnt(13)
	v_fma_f64 v[129:130], v[131:132], v[125:126], v[119:120]
	ds_read2_b64 v[119:122], v118 offset0:109 offset1:110
	ds_read2_b64 v[123:126], v118 offset0:111 offset1:112
	s_waitcnt vmcnt(12) lgkmcnt(1)
	v_fma_f64 v[119:120], v[137:138], v[119:120], v[129:130]
	s_waitcnt vmcnt(11)
	v_fma_f64 v[119:120], v[135:136], v[121:122], v[119:120]
	s_waitcnt vmcnt(10) lgkmcnt(0)
	v_fma_f64 v[119:120], v[133:134], v[123:124], v[119:120]
	s_waitcnt vmcnt(5)
	v_fma_f64 v[123:124], v[139:140], v[125:126], v[119:120]
	ds_read2_b64 v[119:122], v118 offset0:113 offset1:114
	ds_read_b64 v[125:126], v118 offset:920
	s_waitcnt vmcnt(4) lgkmcnt(1)
	v_fma_f64 v[119:120], v[147:148], v[119:120], v[123:124]
	s_waitcnt vmcnt(3)
	v_fma_f64 v[119:120], v[145:146], v[121:122], v[119:120]
	s_waitcnt vmcnt(2) lgkmcnt(0)
	v_fma_f64 v[119:120], v[141:142], v[125:126], v[119:120]
	s_waitcnt vmcnt(0)
	v_add_f64 v[119:120], v[127:128], -v[119:120]
	buffer_store_dword v120, off, s[0:3], 0 offset:276
	buffer_store_dword v119, off, s[0:3], 0 offset:272
	s_and_saveexec_b64 s[4:5], vcc
	s_cbranch_execz .LBB57_289
; %bb.288:
	buffer_load_dword v119, off, s[0:3], 0 offset:264
	buffer_load_dword v120, off, s[0:3], 0 offset:268
	s_waitcnt vmcnt(0)
	ds_write_b64 v117, v[119:120]
	buffer_store_dword v118, off, s[0:3], 0 offset:264
	buffer_store_dword v118, off, s[0:3], 0 offset:268
.LBB57_289:
	s_or_b64 exec, exec, s[4:5]
	s_waitcnt lgkmcnt(0)
	; wave barrier
	buffer_load_dword v127, off, s[0:3], 0 offset:272
	buffer_load_dword v128, off, s[0:3], 0 offset:276
	;; [unrolled: 1-line block ×21, first 2 shown]
	ds_read_b128 v[119:122], v118 offset:736
	ds_read_b128 v[123:126], v118 offset:752
	buffer_load_dword v144, off, s[0:3], 0 offset:356
	v_cmp_lt_u32_e32 vcc, 32, v0
	s_waitcnt vmcnt(20) lgkmcnt(1)
	v_fma_f64 v[119:120], v[127:128], v[119:120], 0
	s_waitcnt vmcnt(18)
	v_fma_f64 v[119:120], v[129:130], v[121:122], v[119:120]
	buffer_load_dword v128, off, s[0:3], 0 offset:364
	buffer_load_dword v129, off, s[0:3], 0 offset:384
	;; [unrolled: 1-line block ×7, first 2 shown]
	s_waitcnt vmcnt(23) lgkmcnt(0)
	v_fma_f64 v[119:120], v[131:132], v[123:124], v[119:120]
	s_waitcnt vmcnt(21)
	v_fma_f64 v[130:131], v[133:134], v[125:126], v[119:120]
	ds_read_b128 v[119:122], v118 offset:768
	ds_read_b128 v[123:126], v118 offset:784
	s_waitcnt vmcnt(19) lgkmcnt(1)
	v_fma_f64 v[119:120], v[135:136], v[119:120], v[130:131]
	buffer_load_dword v130, off, s[0:3], 0 offset:388
	s_waitcnt vmcnt(18)
	v_fma_f64 v[119:120], v[137:138], v[121:122], v[119:120]
	buffer_load_dword v132, off, s[0:3], 0 offset:396
	buffer_load_dword v133, off, s[0:3], 0 offset:416
	;; [unrolled: 1-line block ×8, first 2 shown]
	s_waitcnt vmcnt(24) lgkmcnt(0)
	v_fma_f64 v[119:120], v[139:140], v[123:124], v[119:120]
	s_waitcnt vmcnt(19)
	v_fma_f64 v[139:140], v[141:142], v[125:126], v[119:120]
	ds_read_b128 v[119:122], v118 offset:800
	ds_read_b128 v[123:126], v118 offset:816
	s_waitcnt vmcnt(18) lgkmcnt(1)
	v_fma_f64 v[119:120], v[147:148], v[119:120], v[139:140]
	s_waitcnt vmcnt(17)
	v_fma_f64 v[119:120], v[145:146], v[121:122], v[119:120]
	buffer_load_dword v140, off, s[0:3], 0 offset:428
	buffer_load_dword v141, off, s[0:3], 0 offset:448
	;; [unrolled: 1-line block ×8, first 2 shown]
	s_waitcnt vmcnt(24) lgkmcnt(0)
	v_fma_f64 v[119:120], v[143:144], v[123:124], v[119:120]
	s_waitcnt vmcnt(19)
	v_fma_f64 v[127:128], v[127:128], v[125:126], v[119:120]
	ds_read_b128 v[119:122], v118 offset:832
	ds_read_b128 v[123:126], v118 offset:848
	s_waitcnt vmcnt(18) lgkmcnt(1)
	v_fma_f64 v[119:120], v[151:152], v[119:120], v[127:128]
	buffer_load_dword v128, off, s[0:3], 0 offset:460
	buffer_load_dword v127, off, s[0:3], 0 offset:456
	;; [unrolled: 1-line block ×4, first 2 shown]
	s_waitcnt vmcnt(21)
	v_fma_f64 v[119:120], v[149:150], v[121:122], v[119:120]
	s_waitcnt vmcnt(20) lgkmcnt(0)
	v_fma_f64 v[119:120], v[129:130], v[123:124], v[119:120]
	s_waitcnt vmcnt(15)
	v_fma_f64 v[129:130], v[131:132], v[125:126], v[119:120]
	ds_read_b128 v[119:122], v118 offset:864
	ds_read_b128 v[123:126], v118 offset:880
	s_waitcnt vmcnt(14) lgkmcnt(1)
	v_fma_f64 v[119:120], v[137:138], v[119:120], v[129:130]
	s_waitcnt vmcnt(13)
	v_fma_f64 v[119:120], v[135:136], v[121:122], v[119:120]
	s_waitcnt vmcnt(12) lgkmcnt(0)
	v_fma_f64 v[119:120], v[133:134], v[123:124], v[119:120]
	s_waitcnt vmcnt(7)
	v_fma_f64 v[129:130], v[139:140], v[125:126], v[119:120]
	ds_read_b128 v[119:122], v118 offset:896
	ds_read_b128 v[123:126], v118 offset:912
	s_waitcnt vmcnt(6) lgkmcnt(1)
	v_fma_f64 v[118:119], v[147:148], v[119:120], v[129:130]
	s_waitcnt vmcnt(5)
	v_fma_f64 v[118:119], v[145:146], v[121:122], v[118:119]
	s_waitcnt vmcnt(4) lgkmcnt(0)
	v_fma_f64 v[118:119], v[141:142], v[123:124], v[118:119]
	s_waitcnt vmcnt(2)
	v_fma_f64 v[118:119], v[127:128], v[125:126], v[118:119]
	s_waitcnt vmcnt(0)
	v_add_f64 v[118:119], v[143:144], -v[118:119]
	buffer_store_dword v119, off, s[0:3], 0 offset:268
	buffer_store_dword v118, off, s[0:3], 0 offset:264
	s_and_saveexec_b64 s[4:5], vcc
	s_cbranch_execz .LBB57_291
; %bb.290:
	buffer_load_dword v118, off, s[0:3], 0 offset:256
	buffer_load_dword v119, off, s[0:3], 0 offset:260
	v_mov_b32_e32 v120, 0
	buffer_store_dword v120, off, s[0:3], 0 offset:256
	buffer_store_dword v120, off, s[0:3], 0 offset:260
	s_waitcnt vmcnt(2)
	ds_write_b64 v117, v[118:119]
.LBB57_291:
	s_or_b64 exec, exec, s[4:5]
	s_waitcnt lgkmcnt(0)
	; wave barrier
	buffer_load_dword v127, off, s[0:3], 0 offset:264
	buffer_load_dword v128, off, s[0:3], 0 offset:268
	;; [unrolled: 1-line block ×21, first 2 shown]
	v_mov_b32_e32 v118, 0
	ds_read2_b64 v[119:122], v118 offset0:91 offset1:92
	ds_read2_b64 v[123:126], v118 offset0:93 offset1:94
	buffer_load_dword v144, off, s[0:3], 0 offset:348
	v_cmp_lt_u32_e32 vcc, 31, v0
	s_waitcnt vmcnt(20) lgkmcnt(1)
	v_fma_f64 v[119:120], v[127:128], v[119:120], 0
	s_waitcnt vmcnt(18)
	v_fma_f64 v[119:120], v[129:130], v[121:122], v[119:120]
	buffer_load_dword v128, off, s[0:3], 0 offset:356
	buffer_load_dword v129, off, s[0:3], 0 offset:376
	;; [unrolled: 1-line block ×7, first 2 shown]
	s_waitcnt vmcnt(23) lgkmcnt(0)
	v_fma_f64 v[119:120], v[131:132], v[123:124], v[119:120]
	s_waitcnt vmcnt(21)
	v_fma_f64 v[130:131], v[133:134], v[125:126], v[119:120]
	ds_read2_b64 v[119:122], v118 offset0:95 offset1:96
	ds_read2_b64 v[123:126], v118 offset0:97 offset1:98
	s_waitcnt vmcnt(19) lgkmcnt(1)
	v_fma_f64 v[119:120], v[135:136], v[119:120], v[130:131]
	buffer_load_dword v130, off, s[0:3], 0 offset:380
	s_waitcnt vmcnt(18)
	v_fma_f64 v[119:120], v[137:138], v[121:122], v[119:120]
	buffer_load_dword v132, off, s[0:3], 0 offset:388
	buffer_load_dword v133, off, s[0:3], 0 offset:408
	;; [unrolled: 1-line block ×8, first 2 shown]
	s_waitcnt vmcnt(24) lgkmcnt(0)
	v_fma_f64 v[119:120], v[139:140], v[123:124], v[119:120]
	s_waitcnt vmcnt(19)
	v_fma_f64 v[139:140], v[141:142], v[125:126], v[119:120]
	ds_read2_b64 v[119:122], v118 offset0:99 offset1:100
	ds_read2_b64 v[123:126], v118 offset0:101 offset1:102
	s_waitcnt vmcnt(18) lgkmcnt(1)
	v_fma_f64 v[119:120], v[147:148], v[119:120], v[139:140]
	s_waitcnt vmcnt(17)
	v_fma_f64 v[119:120], v[145:146], v[121:122], v[119:120]
	buffer_load_dword v140, off, s[0:3], 0 offset:420
	buffer_load_dword v141, off, s[0:3], 0 offset:440
	;; [unrolled: 1-line block ×7, first 2 shown]
	s_waitcnt vmcnt(23) lgkmcnt(0)
	v_fma_f64 v[119:120], v[143:144], v[123:124], v[119:120]
	s_waitcnt vmcnt(18)
	v_fma_f64 v[127:128], v[127:128], v[125:126], v[119:120]
	ds_read2_b64 v[119:122], v118 offset0:103 offset1:104
	ds_read2_b64 v[123:126], v118 offset0:105 offset1:106
	buffer_load_dword v142, off, s[0:3], 0 offset:444
	s_waitcnt vmcnt(18) lgkmcnt(1)
	v_fma_f64 v[119:120], v[151:152], v[119:120], v[127:128]
	buffer_load_dword v128, off, s[0:3], 0 offset:452
	buffer_load_dword v143, off, s[0:3], 0 offset:456
	;; [unrolled: 1-line block ×4, first 2 shown]
	s_waitcnt vmcnt(21)
	v_fma_f64 v[119:120], v[149:150], v[121:122], v[119:120]
	s_waitcnt vmcnt(20) lgkmcnt(0)
	v_fma_f64 v[119:120], v[129:130], v[123:124], v[119:120]
	buffer_load_dword v129, off, s[0:3], 0 offset:256
	buffer_load_dword v130, off, s[0:3], 0 offset:260
	s_waitcnt vmcnt(17)
	v_fma_f64 v[131:132], v[131:132], v[125:126], v[119:120]
	ds_read2_b64 v[119:122], v118 offset0:107 offset1:108
	ds_read2_b64 v[123:126], v118 offset0:109 offset1:110
	s_waitcnt vmcnt(16) lgkmcnt(1)
	v_fma_f64 v[119:120], v[137:138], v[119:120], v[131:132]
	s_waitcnt vmcnt(15)
	v_fma_f64 v[119:120], v[135:136], v[121:122], v[119:120]
	s_waitcnt vmcnt(14) lgkmcnt(0)
	v_fma_f64 v[119:120], v[133:134], v[123:124], v[119:120]
	s_waitcnt vmcnt(9)
	v_fma_f64 v[131:132], v[139:140], v[125:126], v[119:120]
	ds_read2_b64 v[119:122], v118 offset0:111 offset1:112
	ds_read2_b64 v[123:126], v118 offset0:113 offset1:114
	s_waitcnt vmcnt(8) lgkmcnt(1)
	v_fma_f64 v[119:120], v[147:148], v[119:120], v[131:132]
	s_waitcnt vmcnt(7)
	v_fma_f64 v[119:120], v[145:146], v[121:122], v[119:120]
	ds_read_b64 v[121:122], v118 offset:920
	s_waitcnt vmcnt(6) lgkmcnt(1)
	v_fma_f64 v[119:120], v[141:142], v[123:124], v[119:120]
	s_waitcnt vmcnt(3)
	v_fma_f64 v[119:120], v[127:128], v[125:126], v[119:120]
	s_waitcnt vmcnt(2) lgkmcnt(0)
	v_fma_f64 v[119:120], v[143:144], v[121:122], v[119:120]
	s_waitcnt vmcnt(0)
	v_add_f64 v[119:120], v[129:130], -v[119:120]
	buffer_store_dword v120, off, s[0:3], 0 offset:260
	buffer_store_dword v119, off, s[0:3], 0 offset:256
	s_and_saveexec_b64 s[4:5], vcc
	s_cbranch_execz .LBB57_293
; %bb.292:
	buffer_load_dword v119, off, s[0:3], 0 offset:248
	buffer_load_dword v120, off, s[0:3], 0 offset:252
	s_waitcnt vmcnt(0)
	ds_write_b64 v117, v[119:120]
	buffer_store_dword v118, off, s[0:3], 0 offset:248
	buffer_store_dword v118, off, s[0:3], 0 offset:252
.LBB57_293:
	s_or_b64 exec, exec, s[4:5]
	s_waitcnt lgkmcnt(0)
	; wave barrier
	buffer_load_dword v127, off, s[0:3], 0 offset:256
	buffer_load_dword v128, off, s[0:3], 0 offset:260
	;; [unrolled: 1-line block ×22, first 2 shown]
	ds_read_b128 v[119:122], v118 offset:720
	ds_read_b128 v[123:126], v118 offset:736
	v_cmp_lt_u32_e32 vcc, 30, v0
	s_waitcnt vmcnt(20) lgkmcnt(1)
	v_fma_f64 v[119:120], v[127:128], v[119:120], 0
	s_waitcnt vmcnt(18)
	v_fma_f64 v[119:120], v[129:130], v[121:122], v[119:120]
	buffer_load_dword v128, off, s[0:3], 0 offset:348
	buffer_load_dword v129, off, s[0:3], 0 offset:368
	;; [unrolled: 1-line block ×7, first 2 shown]
	s_waitcnt vmcnt(23) lgkmcnt(0)
	v_fma_f64 v[119:120], v[131:132], v[123:124], v[119:120]
	s_waitcnt vmcnt(21)
	v_fma_f64 v[130:131], v[133:134], v[125:126], v[119:120]
	ds_read_b128 v[119:122], v118 offset:752
	ds_read_b128 v[123:126], v118 offset:768
	s_waitcnt vmcnt(19) lgkmcnt(1)
	v_fma_f64 v[119:120], v[135:136], v[119:120], v[130:131]
	buffer_load_dword v130, off, s[0:3], 0 offset:372
	s_waitcnt vmcnt(18)
	v_fma_f64 v[119:120], v[137:138], v[121:122], v[119:120]
	buffer_load_dword v132, off, s[0:3], 0 offset:380
	buffer_load_dword v133, off, s[0:3], 0 offset:400
	;; [unrolled: 1-line block ×8, first 2 shown]
	s_waitcnt vmcnt(24) lgkmcnt(0)
	v_fma_f64 v[119:120], v[139:140], v[123:124], v[119:120]
	s_waitcnt vmcnt(19)
	v_fma_f64 v[139:140], v[141:142], v[125:126], v[119:120]
	ds_read_b128 v[119:122], v118 offset:784
	ds_read_b128 v[123:126], v118 offset:800
	s_waitcnt vmcnt(18) lgkmcnt(1)
	v_fma_f64 v[119:120], v[147:148], v[119:120], v[139:140]
	s_waitcnt vmcnt(17)
	v_fma_f64 v[119:120], v[145:146], v[121:122], v[119:120]
	buffer_load_dword v140, off, s[0:3], 0 offset:412
	buffer_load_dword v141, off, s[0:3], 0 offset:432
	;; [unrolled: 1-line block ×8, first 2 shown]
	s_waitcnt vmcnt(24) lgkmcnt(0)
	v_fma_f64 v[119:120], v[143:144], v[123:124], v[119:120]
	s_waitcnt vmcnt(19)
	v_fma_f64 v[127:128], v[127:128], v[125:126], v[119:120]
	ds_read_b128 v[119:122], v118 offset:816
	ds_read_b128 v[123:126], v118 offset:832
	s_waitcnt vmcnt(18) lgkmcnt(1)
	v_fma_f64 v[119:120], v[151:152], v[119:120], v[127:128]
	s_waitcnt vmcnt(17)
	v_fma_f64 v[119:120], v[149:150], v[121:122], v[119:120]
	buffer_load_dword v128, off, s[0:3], 0 offset:444
	buffer_load_dword v143, off, s[0:3], 0 offset:456
	;; [unrolled: 1-line block ×6, first 2 shown]
	s_waitcnt vmcnt(22) lgkmcnt(0)
	v_fma_f64 v[119:120], v[129:130], v[123:124], v[119:120]
	s_waitcnt vmcnt(17)
	v_fma_f64 v[129:130], v[131:132], v[125:126], v[119:120]
	ds_read_b128 v[119:122], v118 offset:848
	buffer_load_dword v131, off, s[0:3], 0 offset:248
	buffer_load_dword v132, off, s[0:3], 0 offset:252
	ds_read_b128 v[123:126], v118 offset:864
	s_waitcnt vmcnt(18) lgkmcnt(1)
	v_fma_f64 v[119:120], v[137:138], v[119:120], v[129:130]
	s_waitcnt vmcnt(17)
	v_fma_f64 v[119:120], v[135:136], v[121:122], v[119:120]
	s_waitcnt vmcnt(16) lgkmcnt(0)
	v_fma_f64 v[119:120], v[133:134], v[123:124], v[119:120]
	s_waitcnt vmcnt(11)
	v_fma_f64 v[129:130], v[139:140], v[125:126], v[119:120]
	ds_read_b128 v[119:122], v118 offset:880
	ds_read_b128 v[123:126], v118 offset:896
	s_waitcnt vmcnt(10) lgkmcnt(1)
	v_fma_f64 v[119:120], v[147:148], v[119:120], v[129:130]
	s_waitcnt vmcnt(9)
	v_fma_f64 v[119:120], v[145:146], v[121:122], v[119:120]
	s_waitcnt vmcnt(8) lgkmcnt(0)
	v_fma_f64 v[119:120], v[141:142], v[123:124], v[119:120]
	s_waitcnt vmcnt(4)
	v_fma_f64 v[122:123], v[127:128], v[125:126], v[119:120]
	ds_read_b128 v[118:121], v118 offset:912
	s_waitcnt vmcnt(3) lgkmcnt(0)
	v_fma_f64 v[118:119], v[149:150], v[118:119], v[122:123]
	s_waitcnt vmcnt(2)
	v_fma_f64 v[118:119], v[143:144], v[120:121], v[118:119]
	s_waitcnt vmcnt(0)
	v_add_f64 v[118:119], v[131:132], -v[118:119]
	buffer_store_dword v119, off, s[0:3], 0 offset:252
	buffer_store_dword v118, off, s[0:3], 0 offset:248
	s_and_saveexec_b64 s[4:5], vcc
	s_cbranch_execz .LBB57_295
; %bb.294:
	buffer_load_dword v118, off, s[0:3], 0 offset:240
	buffer_load_dword v119, off, s[0:3], 0 offset:244
	v_mov_b32_e32 v120, 0
	buffer_store_dword v120, off, s[0:3], 0 offset:240
	buffer_store_dword v120, off, s[0:3], 0 offset:244
	s_waitcnt vmcnt(2)
	ds_write_b64 v117, v[118:119]
.LBB57_295:
	s_or_b64 exec, exec, s[4:5]
	s_waitcnt lgkmcnt(0)
	; wave barrier
	buffer_load_dword v127, off, s[0:3], 0 offset:248
	buffer_load_dword v128, off, s[0:3], 0 offset:252
	buffer_load_dword v129, off, s[0:3], 0 offset:256
	buffer_load_dword v130, off, s[0:3], 0 offset:260
	buffer_load_dword v131, off, s[0:3], 0 offset:264
	buffer_load_dword v132, off, s[0:3], 0 offset:268
	buffer_load_dword v133, off, s[0:3], 0 offset:272
	buffer_load_dword v134, off, s[0:3], 0 offset:276
	buffer_load_dword v135, off, s[0:3], 0 offset:280
	buffer_load_dword v136, off, s[0:3], 0 offset:284
	buffer_load_dword v137, off, s[0:3], 0 offset:288
	buffer_load_dword v138, off, s[0:3], 0 offset:292
	buffer_load_dword v139, off, s[0:3], 0 offset:296
	buffer_load_dword v140, off, s[0:3], 0 offset:300
	buffer_load_dword v142, off, s[0:3], 0 offset:308
	buffer_load_dword v143, off, s[0:3], 0 offset:328
	buffer_load_dword v145, off, s[0:3], 0 offset:320
	buffer_load_dword v147, off, s[0:3], 0 offset:312
	buffer_load_dword v141, off, s[0:3], 0 offset:304
	buffer_load_dword v148, off, s[0:3], 0 offset:316
	buffer_load_dword v146, off, s[0:3], 0 offset:324
	buffer_load_dword v144, off, s[0:3], 0 offset:332
	v_mov_b32_e32 v118, 0
	ds_read2_b64 v[119:122], v118 offset0:89 offset1:90
	ds_read2_b64 v[123:126], v118 offset0:91 offset1:92
	v_cmp_lt_u32_e32 vcc, 29, v0
	s_waitcnt vmcnt(20) lgkmcnt(1)
	v_fma_f64 v[119:120], v[127:128], v[119:120], 0
	s_waitcnt vmcnt(18)
	v_fma_f64 v[119:120], v[129:130], v[121:122], v[119:120]
	buffer_load_dword v128, off, s[0:3], 0 offset:340
	buffer_load_dword v129, off, s[0:3], 0 offset:360
	;; [unrolled: 1-line block ×7, first 2 shown]
	s_waitcnt vmcnt(23) lgkmcnt(0)
	v_fma_f64 v[119:120], v[131:132], v[123:124], v[119:120]
	s_waitcnt vmcnt(21)
	v_fma_f64 v[130:131], v[133:134], v[125:126], v[119:120]
	ds_read2_b64 v[119:122], v118 offset0:93 offset1:94
	ds_read2_b64 v[123:126], v118 offset0:95 offset1:96
	s_waitcnt vmcnt(19) lgkmcnt(1)
	v_fma_f64 v[119:120], v[135:136], v[119:120], v[130:131]
	buffer_load_dword v130, off, s[0:3], 0 offset:364
	s_waitcnt vmcnt(18)
	v_fma_f64 v[119:120], v[137:138], v[121:122], v[119:120]
	buffer_load_dword v132, off, s[0:3], 0 offset:372
	buffer_load_dword v133, off, s[0:3], 0 offset:392
	buffer_load_dword v135, off, s[0:3], 0 offset:384
	buffer_load_dword v137, off, s[0:3], 0 offset:376
	buffer_load_dword v131, off, s[0:3], 0 offset:368
	buffer_load_dword v138, off, s[0:3], 0 offset:380
	buffer_load_dword v136, off, s[0:3], 0 offset:388
	buffer_load_dword v134, off, s[0:3], 0 offset:396
	s_waitcnt vmcnt(24) lgkmcnt(0)
	v_fma_f64 v[119:120], v[139:140], v[123:124], v[119:120]
	s_waitcnt vmcnt(19)
	v_fma_f64 v[139:140], v[141:142], v[125:126], v[119:120]
	ds_read2_b64 v[119:122], v118 offset0:97 offset1:98
	ds_read2_b64 v[123:126], v118 offset0:99 offset1:100
	s_waitcnt vmcnt(18) lgkmcnt(1)
	v_fma_f64 v[119:120], v[147:148], v[119:120], v[139:140]
	s_waitcnt vmcnt(17)
	v_fma_f64 v[119:120], v[145:146], v[121:122], v[119:120]
	buffer_load_dword v140, off, s[0:3], 0 offset:404
	buffer_load_dword v141, off, s[0:3], 0 offset:424
	buffer_load_dword v145, off, s[0:3], 0 offset:416
	buffer_load_dword v147, off, s[0:3], 0 offset:408
	buffer_load_dword v139, off, s[0:3], 0 offset:400
	buffer_load_dword v148, off, s[0:3], 0 offset:412
	buffer_load_dword v146, off, s[0:3], 0 offset:420
	buffer_load_dword v142, off, s[0:3], 0 offset:428
	s_waitcnt vmcnt(24) lgkmcnt(0)
	v_fma_f64 v[119:120], v[143:144], v[123:124], v[119:120]
	s_waitcnt vmcnt(19)
	v_fma_f64 v[127:128], v[127:128], v[125:126], v[119:120]
	ds_read2_b64 v[119:122], v118 offset0:101 offset1:102
	ds_read2_b64 v[123:126], v118 offset0:103 offset1:104
	s_waitcnt vmcnt(18) lgkmcnt(1)
	v_fma_f64 v[119:120], v[151:152], v[119:120], v[127:128]
	;; [unrolled: 18-line block ×3, first 2 shown]
	buffer_load_dword v129, off, s[0:3], 0 offset:240
	buffer_load_dword v130, off, s[0:3], 0 offset:244
	s_waitcnt vmcnt(19)
	v_fma_f64 v[119:120], v[135:136], v[121:122], v[119:120]
	s_waitcnt vmcnt(18) lgkmcnt(0)
	v_fma_f64 v[119:120], v[133:134], v[123:124], v[119:120]
	s_waitcnt vmcnt(13)
	v_fma_f64 v[131:132], v[139:140], v[125:126], v[119:120]
	ds_read2_b64 v[119:122], v118 offset0:109 offset1:110
	ds_read2_b64 v[123:126], v118 offset0:111 offset1:112
	s_waitcnt vmcnt(12) lgkmcnt(1)
	v_fma_f64 v[119:120], v[147:148], v[119:120], v[131:132]
	s_waitcnt vmcnt(11)
	v_fma_f64 v[119:120], v[145:146], v[121:122], v[119:120]
	s_waitcnt vmcnt(10) lgkmcnt(0)
	v_fma_f64 v[119:120], v[141:142], v[123:124], v[119:120]
	s_waitcnt vmcnt(5)
	v_fma_f64 v[123:124], v[127:128], v[125:126], v[119:120]
	ds_read2_b64 v[119:122], v118 offset0:113 offset1:114
	ds_read_b64 v[125:126], v118 offset:920
	s_waitcnt vmcnt(4) lgkmcnt(1)
	v_fma_f64 v[119:120], v[151:152], v[119:120], v[123:124]
	s_waitcnt vmcnt(3)
	v_fma_f64 v[119:120], v[149:150], v[121:122], v[119:120]
	s_waitcnt vmcnt(2) lgkmcnt(0)
	v_fma_f64 v[119:120], v[143:144], v[125:126], v[119:120]
	s_waitcnt vmcnt(0)
	v_add_f64 v[119:120], v[129:130], -v[119:120]
	buffer_store_dword v120, off, s[0:3], 0 offset:244
	buffer_store_dword v119, off, s[0:3], 0 offset:240
	s_and_saveexec_b64 s[4:5], vcc
	s_cbranch_execz .LBB57_297
; %bb.296:
	buffer_load_dword v119, off, s[0:3], 0 offset:232
	buffer_load_dword v120, off, s[0:3], 0 offset:236
	s_waitcnt vmcnt(0)
	ds_write_b64 v117, v[119:120]
	buffer_store_dword v118, off, s[0:3], 0 offset:232
	buffer_store_dword v118, off, s[0:3], 0 offset:236
.LBB57_297:
	s_or_b64 exec, exec, s[4:5]
	s_waitcnt lgkmcnt(0)
	; wave barrier
	buffer_load_dword v127, off, s[0:3], 0 offset:240
	buffer_load_dword v128, off, s[0:3], 0 offset:244
	;; [unrolled: 1-line block ×22, first 2 shown]
	ds_read_b128 v[119:122], v118 offset:704
	ds_read_b128 v[123:126], v118 offset:720
	v_cmp_lt_u32_e32 vcc, 28, v0
	s_waitcnt vmcnt(20) lgkmcnt(1)
	v_fma_f64 v[119:120], v[127:128], v[119:120], 0
	s_waitcnt vmcnt(18)
	v_fma_f64 v[119:120], v[129:130], v[121:122], v[119:120]
	buffer_load_dword v128, off, s[0:3], 0 offset:332
	buffer_load_dword v129, off, s[0:3], 0 offset:352
	;; [unrolled: 1-line block ×7, first 2 shown]
	s_waitcnt vmcnt(23) lgkmcnt(0)
	v_fma_f64 v[119:120], v[131:132], v[123:124], v[119:120]
	s_waitcnt vmcnt(21)
	v_fma_f64 v[130:131], v[133:134], v[125:126], v[119:120]
	ds_read_b128 v[119:122], v118 offset:736
	ds_read_b128 v[123:126], v118 offset:752
	s_waitcnt vmcnt(19) lgkmcnt(1)
	v_fma_f64 v[119:120], v[135:136], v[119:120], v[130:131]
	buffer_load_dword v130, off, s[0:3], 0 offset:356
	s_waitcnt vmcnt(18)
	v_fma_f64 v[119:120], v[137:138], v[121:122], v[119:120]
	buffer_load_dword v132, off, s[0:3], 0 offset:364
	buffer_load_dword v133, off, s[0:3], 0 offset:384
	buffer_load_dword v135, off, s[0:3], 0 offset:376
	buffer_load_dword v137, off, s[0:3], 0 offset:368
	buffer_load_dword v131, off, s[0:3], 0 offset:360
	buffer_load_dword v138, off, s[0:3], 0 offset:372
	buffer_load_dword v136, off, s[0:3], 0 offset:380
	buffer_load_dword v134, off, s[0:3], 0 offset:388
	s_waitcnt vmcnt(24) lgkmcnt(0)
	v_fma_f64 v[119:120], v[139:140], v[123:124], v[119:120]
	s_waitcnt vmcnt(19)
	v_fma_f64 v[139:140], v[141:142], v[125:126], v[119:120]
	ds_read_b128 v[119:122], v118 offset:768
	ds_read_b128 v[123:126], v118 offset:784
	s_waitcnt vmcnt(18) lgkmcnt(1)
	v_fma_f64 v[119:120], v[147:148], v[119:120], v[139:140]
	s_waitcnt vmcnt(17)
	v_fma_f64 v[119:120], v[145:146], v[121:122], v[119:120]
	buffer_load_dword v140, off, s[0:3], 0 offset:396
	buffer_load_dword v141, off, s[0:3], 0 offset:416
	buffer_load_dword v145, off, s[0:3], 0 offset:408
	buffer_load_dword v147, off, s[0:3], 0 offset:400
	buffer_load_dword v139, off, s[0:3], 0 offset:392
	buffer_load_dword v148, off, s[0:3], 0 offset:404
	buffer_load_dword v146, off, s[0:3], 0 offset:412
	buffer_load_dword v142, off, s[0:3], 0 offset:420
	s_waitcnt vmcnt(24) lgkmcnt(0)
	v_fma_f64 v[119:120], v[143:144], v[123:124], v[119:120]
	s_waitcnt vmcnt(19)
	v_fma_f64 v[127:128], v[127:128], v[125:126], v[119:120]
	ds_read_b128 v[119:122], v118 offset:800
	ds_read_b128 v[123:126], v118 offset:816
	s_waitcnt vmcnt(18) lgkmcnt(1)
	v_fma_f64 v[119:120], v[151:152], v[119:120], v[127:128]
	;; [unrolled: 18-line block ×3, first 2 shown]
	buffer_load_dword v130, off, s[0:3], 0 offset:460
	buffer_load_dword v129, off, s[0:3], 0 offset:456
	;; [unrolled: 1-line block ×4, first 2 shown]
	s_waitcnt vmcnt(21)
	v_fma_f64 v[119:120], v[135:136], v[121:122], v[119:120]
	s_waitcnt vmcnt(20) lgkmcnt(0)
	v_fma_f64 v[119:120], v[133:134], v[123:124], v[119:120]
	s_waitcnt vmcnt(15)
	v_fma_f64 v[133:134], v[139:140], v[125:126], v[119:120]
	ds_read_b128 v[119:122], v118 offset:864
	ds_read_b128 v[123:126], v118 offset:880
	s_waitcnt vmcnt(14) lgkmcnt(1)
	v_fma_f64 v[119:120], v[147:148], v[119:120], v[133:134]
	s_waitcnt vmcnt(13)
	v_fma_f64 v[119:120], v[145:146], v[121:122], v[119:120]
	s_waitcnt vmcnt(12) lgkmcnt(0)
	v_fma_f64 v[119:120], v[141:142], v[123:124], v[119:120]
	s_waitcnt vmcnt(7)
	v_fma_f64 v[127:128], v[127:128], v[125:126], v[119:120]
	ds_read_b128 v[119:122], v118 offset:896
	ds_read_b128 v[123:126], v118 offset:912
	s_waitcnt vmcnt(6) lgkmcnt(1)
	v_fma_f64 v[118:119], v[151:152], v[119:120], v[127:128]
	s_waitcnt vmcnt(5)
	v_fma_f64 v[118:119], v[149:150], v[121:122], v[118:119]
	s_waitcnt vmcnt(4) lgkmcnt(0)
	v_fma_f64 v[118:119], v[143:144], v[123:124], v[118:119]
	s_waitcnt vmcnt(2)
	v_fma_f64 v[118:119], v[129:130], v[125:126], v[118:119]
	s_waitcnt vmcnt(0)
	v_add_f64 v[118:119], v[131:132], -v[118:119]
	buffer_store_dword v119, off, s[0:3], 0 offset:236
	buffer_store_dword v118, off, s[0:3], 0 offset:232
	s_and_saveexec_b64 s[4:5], vcc
	s_cbranch_execz .LBB57_299
; %bb.298:
	buffer_load_dword v118, off, s[0:3], 0 offset:224
	buffer_load_dword v119, off, s[0:3], 0 offset:228
	v_mov_b32_e32 v120, 0
	buffer_store_dword v120, off, s[0:3], 0 offset:224
	buffer_store_dword v120, off, s[0:3], 0 offset:228
	s_waitcnt vmcnt(2)
	ds_write_b64 v117, v[118:119]
.LBB57_299:
	s_or_b64 exec, exec, s[4:5]
	s_waitcnt lgkmcnt(0)
	; wave barrier
	buffer_load_dword v127, off, s[0:3], 0 offset:232
	buffer_load_dword v128, off, s[0:3], 0 offset:236
	;; [unrolled: 1-line block ×22, first 2 shown]
	v_mov_b32_e32 v118, 0
	ds_read2_b64 v[119:122], v118 offset0:87 offset1:88
	ds_read2_b64 v[123:126], v118 offset0:89 offset1:90
	v_cmp_lt_u32_e32 vcc, 27, v0
	s_waitcnt vmcnt(20) lgkmcnt(1)
	v_fma_f64 v[119:120], v[127:128], v[119:120], 0
	s_waitcnt vmcnt(18)
	v_fma_f64 v[119:120], v[129:130], v[121:122], v[119:120]
	buffer_load_dword v128, off, s[0:3], 0 offset:324
	buffer_load_dword v129, off, s[0:3], 0 offset:344
	;; [unrolled: 1-line block ×7, first 2 shown]
	s_waitcnt vmcnt(23) lgkmcnt(0)
	v_fma_f64 v[119:120], v[131:132], v[123:124], v[119:120]
	s_waitcnt vmcnt(21)
	v_fma_f64 v[130:131], v[133:134], v[125:126], v[119:120]
	ds_read2_b64 v[119:122], v118 offset0:91 offset1:92
	ds_read2_b64 v[123:126], v118 offset0:93 offset1:94
	s_waitcnt vmcnt(19) lgkmcnt(1)
	v_fma_f64 v[119:120], v[135:136], v[119:120], v[130:131]
	buffer_load_dword v130, off, s[0:3], 0 offset:348
	s_waitcnt vmcnt(18)
	v_fma_f64 v[119:120], v[137:138], v[121:122], v[119:120]
	buffer_load_dword v132, off, s[0:3], 0 offset:356
	buffer_load_dword v133, off, s[0:3], 0 offset:376
	;; [unrolled: 1-line block ×7, first 2 shown]
	s_waitcnt vmcnt(23) lgkmcnt(0)
	v_fma_f64 v[119:120], v[139:140], v[123:124], v[119:120]
	s_waitcnt vmcnt(18)
	v_fma_f64 v[139:140], v[141:142], v[125:126], v[119:120]
	ds_read2_b64 v[119:122], v118 offset0:95 offset1:96
	ds_read2_b64 v[123:126], v118 offset0:97 offset1:98
	buffer_load_dword v134, off, s[0:3], 0 offset:380
	s_waitcnt vmcnt(18) lgkmcnt(1)
	v_fma_f64 v[119:120], v[147:148], v[119:120], v[139:140]
	s_waitcnt vmcnt(17)
	v_fma_f64 v[119:120], v[145:146], v[121:122], v[119:120]
	buffer_load_dword v140, off, s[0:3], 0 offset:388
	buffer_load_dword v141, off, s[0:3], 0 offset:408
	;; [unrolled: 1-line block ×8, first 2 shown]
	s_waitcnt vmcnt(24) lgkmcnt(0)
	v_fma_f64 v[119:120], v[143:144], v[123:124], v[119:120]
	s_waitcnt vmcnt(19)
	v_fma_f64 v[127:128], v[127:128], v[125:126], v[119:120]
	ds_read2_b64 v[119:122], v118 offset0:99 offset1:100
	ds_read2_b64 v[123:126], v118 offset0:101 offset1:102
	s_waitcnt vmcnt(18) lgkmcnt(1)
	v_fma_f64 v[119:120], v[151:152], v[119:120], v[127:128]
	s_waitcnt vmcnt(17)
	v_fma_f64 v[119:120], v[149:150], v[121:122], v[119:120]
	buffer_load_dword v128, off, s[0:3], 0 offset:420
	buffer_load_dword v143, off, s[0:3], 0 offset:440
	;; [unrolled: 1-line block ×7, first 2 shown]
	s_waitcnt vmcnt(23) lgkmcnt(0)
	v_fma_f64 v[119:120], v[129:130], v[123:124], v[119:120]
	s_waitcnt vmcnt(18)
	v_fma_f64 v[129:130], v[131:132], v[125:126], v[119:120]
	ds_read2_b64 v[119:122], v118 offset0:103 offset1:104
	ds_read2_b64 v[123:126], v118 offset0:105 offset1:106
	buffer_load_dword v144, off, s[0:3], 0 offset:444
	s_waitcnt vmcnt(18) lgkmcnt(1)
	v_fma_f64 v[119:120], v[137:138], v[119:120], v[129:130]
	buffer_load_dword v130, off, s[0:3], 0 offset:452
	buffer_load_dword v131, off, s[0:3], 0 offset:456
	;; [unrolled: 1-line block ×4, first 2 shown]
	s_waitcnt vmcnt(21)
	v_fma_f64 v[119:120], v[135:136], v[121:122], v[119:120]
	s_waitcnt vmcnt(20) lgkmcnt(0)
	v_fma_f64 v[119:120], v[133:134], v[123:124], v[119:120]
	buffer_load_dword v133, off, s[0:3], 0 offset:224
	buffer_load_dword v134, off, s[0:3], 0 offset:228
	s_waitcnt vmcnt(17)
	v_fma_f64 v[135:136], v[139:140], v[125:126], v[119:120]
	ds_read2_b64 v[119:122], v118 offset0:107 offset1:108
	ds_read2_b64 v[123:126], v118 offset0:109 offset1:110
	s_waitcnt vmcnt(16) lgkmcnt(1)
	v_fma_f64 v[119:120], v[147:148], v[119:120], v[135:136]
	s_waitcnt vmcnt(15)
	v_fma_f64 v[119:120], v[145:146], v[121:122], v[119:120]
	s_waitcnt vmcnt(14) lgkmcnt(0)
	v_fma_f64 v[119:120], v[141:142], v[123:124], v[119:120]
	s_waitcnt vmcnt(9)
	v_fma_f64 v[127:128], v[127:128], v[125:126], v[119:120]
	ds_read2_b64 v[119:122], v118 offset0:111 offset1:112
	ds_read2_b64 v[123:126], v118 offset0:113 offset1:114
	s_waitcnt vmcnt(8) lgkmcnt(1)
	v_fma_f64 v[119:120], v[151:152], v[119:120], v[127:128]
	s_waitcnt vmcnt(7)
	v_fma_f64 v[119:120], v[149:150], v[121:122], v[119:120]
	ds_read_b64 v[121:122], v118 offset:920
	s_waitcnt vmcnt(6) lgkmcnt(1)
	v_fma_f64 v[119:120], v[143:144], v[123:124], v[119:120]
	s_waitcnt vmcnt(3)
	v_fma_f64 v[119:120], v[129:130], v[125:126], v[119:120]
	s_waitcnt vmcnt(2) lgkmcnt(0)
	v_fma_f64 v[119:120], v[131:132], v[121:122], v[119:120]
	s_waitcnt vmcnt(0)
	v_add_f64 v[119:120], v[133:134], -v[119:120]
	buffer_store_dword v120, off, s[0:3], 0 offset:228
	buffer_store_dword v119, off, s[0:3], 0 offset:224
	s_and_saveexec_b64 s[4:5], vcc
	s_cbranch_execz .LBB57_301
; %bb.300:
	buffer_load_dword v119, off, s[0:3], 0 offset:216
	buffer_load_dword v120, off, s[0:3], 0 offset:220
	s_waitcnt vmcnt(0)
	ds_write_b64 v117, v[119:120]
	buffer_store_dword v118, off, s[0:3], 0 offset:216
	buffer_store_dword v118, off, s[0:3], 0 offset:220
.LBB57_301:
	s_or_b64 exec, exec, s[4:5]
	s_waitcnt lgkmcnt(0)
	; wave barrier
	buffer_load_dword v127, off, s[0:3], 0 offset:224
	buffer_load_dword v128, off, s[0:3], 0 offset:228
	;; [unrolled: 1-line block ×22, first 2 shown]
	ds_read_b128 v[119:122], v118 offset:688
	ds_read_b128 v[123:126], v118 offset:704
	v_cmp_lt_u32_e32 vcc, 26, v0
	s_waitcnt vmcnt(20) lgkmcnt(1)
	v_fma_f64 v[119:120], v[127:128], v[119:120], 0
	s_waitcnt vmcnt(18)
	v_fma_f64 v[119:120], v[129:130], v[121:122], v[119:120]
	buffer_load_dword v128, off, s[0:3], 0 offset:316
	buffer_load_dword v129, off, s[0:3], 0 offset:336
	;; [unrolled: 1-line block ×7, first 2 shown]
	s_waitcnt vmcnt(23) lgkmcnt(0)
	v_fma_f64 v[119:120], v[131:132], v[123:124], v[119:120]
	s_waitcnt vmcnt(21)
	v_fma_f64 v[130:131], v[133:134], v[125:126], v[119:120]
	ds_read_b128 v[119:122], v118 offset:720
	ds_read_b128 v[123:126], v118 offset:736
	s_waitcnt vmcnt(19) lgkmcnt(1)
	v_fma_f64 v[119:120], v[135:136], v[119:120], v[130:131]
	buffer_load_dword v130, off, s[0:3], 0 offset:340
	s_waitcnt vmcnt(18)
	v_fma_f64 v[119:120], v[137:138], v[121:122], v[119:120]
	buffer_load_dword v132, off, s[0:3], 0 offset:348
	buffer_load_dword v133, off, s[0:3], 0 offset:368
	;; [unrolled: 1-line block ×7, first 2 shown]
	s_waitcnt vmcnt(23) lgkmcnt(0)
	v_fma_f64 v[119:120], v[139:140], v[123:124], v[119:120]
	s_waitcnt vmcnt(18)
	v_fma_f64 v[139:140], v[141:142], v[125:126], v[119:120]
	ds_read_b128 v[119:122], v118 offset:752
	ds_read_b128 v[123:126], v118 offset:768
	buffer_load_dword v134, off, s[0:3], 0 offset:372
	s_waitcnt vmcnt(18) lgkmcnt(1)
	v_fma_f64 v[119:120], v[147:148], v[119:120], v[139:140]
	s_waitcnt vmcnt(17)
	v_fma_f64 v[119:120], v[145:146], v[121:122], v[119:120]
	buffer_load_dword v140, off, s[0:3], 0 offset:380
	buffer_load_dword v141, off, s[0:3], 0 offset:400
	;; [unrolled: 1-line block ×8, first 2 shown]
	s_waitcnt vmcnt(24) lgkmcnt(0)
	v_fma_f64 v[119:120], v[143:144], v[123:124], v[119:120]
	s_waitcnt vmcnt(19)
	v_fma_f64 v[127:128], v[127:128], v[125:126], v[119:120]
	ds_read_b128 v[119:122], v118 offset:784
	ds_read_b128 v[123:126], v118 offset:800
	s_waitcnt vmcnt(18) lgkmcnt(1)
	v_fma_f64 v[119:120], v[151:152], v[119:120], v[127:128]
	s_waitcnt vmcnt(17)
	v_fma_f64 v[119:120], v[149:150], v[121:122], v[119:120]
	buffer_load_dword v128, off, s[0:3], 0 offset:412
	buffer_load_dword v143, off, s[0:3], 0 offset:432
	;; [unrolled: 1-line block ×8, first 2 shown]
	s_waitcnt vmcnt(24) lgkmcnt(0)
	v_fma_f64 v[119:120], v[129:130], v[123:124], v[119:120]
	s_waitcnt vmcnt(19)
	v_fma_f64 v[129:130], v[131:132], v[125:126], v[119:120]
	ds_read_b128 v[119:122], v118 offset:816
	ds_read_b128 v[123:126], v118 offset:832
	s_waitcnt vmcnt(18) lgkmcnt(1)
	v_fma_f64 v[119:120], v[137:138], v[119:120], v[129:130]
	s_waitcnt vmcnt(17)
	v_fma_f64 v[119:120], v[135:136], v[121:122], v[119:120]
	buffer_load_dword v130, off, s[0:3], 0 offset:444
	buffer_load_dword v131, off, s[0:3], 0 offset:456
	;; [unrolled: 1-line block ×6, first 2 shown]
	s_waitcnt vmcnt(22) lgkmcnt(0)
	v_fma_f64 v[119:120], v[133:134], v[123:124], v[119:120]
	s_waitcnt vmcnt(17)
	v_fma_f64 v[133:134], v[139:140], v[125:126], v[119:120]
	ds_read_b128 v[119:122], v118 offset:848
	buffer_load_dword v137, off, s[0:3], 0 offset:216
	buffer_load_dword v138, off, s[0:3], 0 offset:220
	ds_read_b128 v[123:126], v118 offset:864
	s_waitcnt vmcnt(18) lgkmcnt(1)
	v_fma_f64 v[119:120], v[147:148], v[119:120], v[133:134]
	s_waitcnt vmcnt(17)
	v_fma_f64 v[119:120], v[145:146], v[121:122], v[119:120]
	s_waitcnt vmcnt(16) lgkmcnt(0)
	v_fma_f64 v[119:120], v[141:142], v[123:124], v[119:120]
	s_waitcnt vmcnt(11)
	v_fma_f64 v[127:128], v[127:128], v[125:126], v[119:120]
	ds_read_b128 v[119:122], v118 offset:880
	ds_read_b128 v[123:126], v118 offset:896
	s_waitcnt vmcnt(10) lgkmcnt(1)
	v_fma_f64 v[119:120], v[151:152], v[119:120], v[127:128]
	s_waitcnt vmcnt(9)
	v_fma_f64 v[119:120], v[149:150], v[121:122], v[119:120]
	s_waitcnt vmcnt(8) lgkmcnt(0)
	v_fma_f64 v[119:120], v[143:144], v[123:124], v[119:120]
	s_waitcnt vmcnt(4)
	v_fma_f64 v[122:123], v[129:130], v[125:126], v[119:120]
	ds_read_b128 v[118:121], v118 offset:912
	s_waitcnt vmcnt(3) lgkmcnt(0)
	v_fma_f64 v[118:119], v[135:136], v[118:119], v[122:123]
	s_waitcnt vmcnt(2)
	v_fma_f64 v[118:119], v[131:132], v[120:121], v[118:119]
	s_waitcnt vmcnt(0)
	v_add_f64 v[118:119], v[137:138], -v[118:119]
	buffer_store_dword v119, off, s[0:3], 0 offset:220
	buffer_store_dword v118, off, s[0:3], 0 offset:216
	s_and_saveexec_b64 s[4:5], vcc
	s_cbranch_execz .LBB57_303
; %bb.302:
	buffer_load_dword v118, off, s[0:3], 0 offset:208
	buffer_load_dword v119, off, s[0:3], 0 offset:212
	v_mov_b32_e32 v120, 0
	buffer_store_dword v120, off, s[0:3], 0 offset:208
	buffer_store_dword v120, off, s[0:3], 0 offset:212
	s_waitcnt vmcnt(2)
	ds_write_b64 v117, v[118:119]
.LBB57_303:
	s_or_b64 exec, exec, s[4:5]
	s_waitcnt lgkmcnt(0)
	; wave barrier
	buffer_load_dword v127, off, s[0:3], 0 offset:216
	buffer_load_dword v128, off, s[0:3], 0 offset:220
	;; [unrolled: 1-line block ×22, first 2 shown]
	v_mov_b32_e32 v118, 0
	ds_read2_b64 v[119:122], v118 offset0:85 offset1:86
	ds_read2_b64 v[123:126], v118 offset0:87 offset1:88
	v_cmp_lt_u32_e32 vcc, 25, v0
	s_waitcnt vmcnt(20) lgkmcnt(1)
	v_fma_f64 v[119:120], v[127:128], v[119:120], 0
	s_waitcnt vmcnt(18)
	v_fma_f64 v[119:120], v[129:130], v[121:122], v[119:120]
	buffer_load_dword v128, off, s[0:3], 0 offset:308
	buffer_load_dword v129, off, s[0:3], 0 offset:328
	;; [unrolled: 1-line block ×7, first 2 shown]
	s_waitcnt vmcnt(23) lgkmcnt(0)
	v_fma_f64 v[119:120], v[131:132], v[123:124], v[119:120]
	s_waitcnt vmcnt(21)
	v_fma_f64 v[130:131], v[133:134], v[125:126], v[119:120]
	ds_read2_b64 v[119:122], v118 offset0:89 offset1:90
	ds_read2_b64 v[123:126], v118 offset0:91 offset1:92
	s_waitcnt vmcnt(19) lgkmcnt(1)
	v_fma_f64 v[119:120], v[135:136], v[119:120], v[130:131]
	buffer_load_dword v130, off, s[0:3], 0 offset:332
	s_waitcnt vmcnt(18)
	v_fma_f64 v[119:120], v[137:138], v[121:122], v[119:120]
	buffer_load_dword v132, off, s[0:3], 0 offset:340
	buffer_load_dword v133, off, s[0:3], 0 offset:360
	;; [unrolled: 1-line block ×7, first 2 shown]
	s_waitcnt vmcnt(23) lgkmcnt(0)
	v_fma_f64 v[119:120], v[139:140], v[123:124], v[119:120]
	s_waitcnt vmcnt(18)
	v_fma_f64 v[139:140], v[141:142], v[125:126], v[119:120]
	ds_read2_b64 v[119:122], v118 offset0:93 offset1:94
	ds_read2_b64 v[123:126], v118 offset0:95 offset1:96
	buffer_load_dword v134, off, s[0:3], 0 offset:364
	s_waitcnt vmcnt(18) lgkmcnt(1)
	v_fma_f64 v[119:120], v[147:148], v[119:120], v[139:140]
	s_waitcnt vmcnt(17)
	v_fma_f64 v[119:120], v[145:146], v[121:122], v[119:120]
	buffer_load_dword v140, off, s[0:3], 0 offset:372
	buffer_load_dword v141, off, s[0:3], 0 offset:392
	buffer_load_dword v145, off, s[0:3], 0 offset:384
	buffer_load_dword v147, off, s[0:3], 0 offset:376
	buffer_load_dword v139, off, s[0:3], 0 offset:368
	buffer_load_dword v148, off, s[0:3], 0 offset:380
	buffer_load_dword v146, off, s[0:3], 0 offset:388
	buffer_load_dword v142, off, s[0:3], 0 offset:396
	s_waitcnt vmcnt(24) lgkmcnt(0)
	v_fma_f64 v[119:120], v[143:144], v[123:124], v[119:120]
	s_waitcnt vmcnt(19)
	v_fma_f64 v[127:128], v[127:128], v[125:126], v[119:120]
	ds_read2_b64 v[119:122], v118 offset0:97 offset1:98
	ds_read2_b64 v[123:126], v118 offset0:99 offset1:100
	s_waitcnt vmcnt(18) lgkmcnt(1)
	v_fma_f64 v[119:120], v[151:152], v[119:120], v[127:128]
	s_waitcnt vmcnt(17)
	v_fma_f64 v[119:120], v[149:150], v[121:122], v[119:120]
	buffer_load_dword v128, off, s[0:3], 0 offset:404
	buffer_load_dword v143, off, s[0:3], 0 offset:424
	buffer_load_dword v149, off, s[0:3], 0 offset:416
	buffer_load_dword v151, off, s[0:3], 0 offset:408
	buffer_load_dword v127, off, s[0:3], 0 offset:400
	buffer_load_dword v152, off, s[0:3], 0 offset:412
	buffer_load_dword v150, off, s[0:3], 0 offset:420
	buffer_load_dword v144, off, s[0:3], 0 offset:428
	s_waitcnt vmcnt(24) lgkmcnt(0)
	v_fma_f64 v[119:120], v[129:130], v[123:124], v[119:120]
	s_waitcnt vmcnt(19)
	v_fma_f64 v[129:130], v[131:132], v[125:126], v[119:120]
	ds_read2_b64 v[119:122], v118 offset0:101 offset1:102
	ds_read2_b64 v[123:126], v118 offset0:103 offset1:104
	;; [unrolled: 18-line block ×3, first 2 shown]
	s_waitcnt vmcnt(18) lgkmcnt(1)
	v_fma_f64 v[119:120], v[147:148], v[119:120], v[133:134]
	buffer_load_dword v133, off, s[0:3], 0 offset:208
	buffer_load_dword v134, off, s[0:3], 0 offset:212
	s_waitcnt vmcnt(19)
	v_fma_f64 v[119:120], v[145:146], v[121:122], v[119:120]
	s_waitcnt vmcnt(18) lgkmcnt(0)
	v_fma_f64 v[119:120], v[141:142], v[123:124], v[119:120]
	s_waitcnt vmcnt(13)
	v_fma_f64 v[127:128], v[127:128], v[125:126], v[119:120]
	ds_read2_b64 v[119:122], v118 offset0:109 offset1:110
	ds_read2_b64 v[123:126], v118 offset0:111 offset1:112
	s_waitcnt vmcnt(12) lgkmcnt(1)
	v_fma_f64 v[119:120], v[151:152], v[119:120], v[127:128]
	s_waitcnt vmcnt(11)
	v_fma_f64 v[119:120], v[149:150], v[121:122], v[119:120]
	s_waitcnt vmcnt(10) lgkmcnt(0)
	v_fma_f64 v[119:120], v[143:144], v[123:124], v[119:120]
	s_waitcnt vmcnt(5)
	v_fma_f64 v[123:124], v[129:130], v[125:126], v[119:120]
	ds_read2_b64 v[119:122], v118 offset0:113 offset1:114
	ds_read_b64 v[125:126], v118 offset:920
	s_waitcnt vmcnt(4) lgkmcnt(1)
	v_fma_f64 v[119:120], v[137:138], v[119:120], v[123:124]
	s_waitcnt vmcnt(3)
	v_fma_f64 v[119:120], v[135:136], v[121:122], v[119:120]
	s_waitcnt vmcnt(2) lgkmcnt(0)
	v_fma_f64 v[119:120], v[131:132], v[125:126], v[119:120]
	s_waitcnt vmcnt(0)
	v_add_f64 v[119:120], v[133:134], -v[119:120]
	buffer_store_dword v120, off, s[0:3], 0 offset:212
	buffer_store_dword v119, off, s[0:3], 0 offset:208
	s_and_saveexec_b64 s[4:5], vcc
	s_cbranch_execz .LBB57_305
; %bb.304:
	buffer_load_dword v119, off, s[0:3], 0 offset:200
	buffer_load_dword v120, off, s[0:3], 0 offset:204
	s_waitcnt vmcnt(0)
	ds_write_b64 v117, v[119:120]
	buffer_store_dword v118, off, s[0:3], 0 offset:200
	buffer_store_dword v118, off, s[0:3], 0 offset:204
.LBB57_305:
	s_or_b64 exec, exec, s[4:5]
	s_waitcnt lgkmcnt(0)
	; wave barrier
	buffer_load_dword v127, off, s[0:3], 0 offset:208
	buffer_load_dword v128, off, s[0:3], 0 offset:212
	;; [unrolled: 1-line block ×22, first 2 shown]
	ds_read_b128 v[119:122], v118 offset:672
	ds_read_b128 v[123:126], v118 offset:688
	v_cmp_lt_u32_e32 vcc, 24, v0
	s_waitcnt vmcnt(20) lgkmcnt(1)
	v_fma_f64 v[119:120], v[127:128], v[119:120], 0
	s_waitcnt vmcnt(18)
	v_fma_f64 v[119:120], v[129:130], v[121:122], v[119:120]
	buffer_load_dword v128, off, s[0:3], 0 offset:300
	buffer_load_dword v129, off, s[0:3], 0 offset:320
	;; [unrolled: 1-line block ×7, first 2 shown]
	s_waitcnt vmcnt(23) lgkmcnt(0)
	v_fma_f64 v[119:120], v[131:132], v[123:124], v[119:120]
	s_waitcnt vmcnt(21)
	v_fma_f64 v[130:131], v[133:134], v[125:126], v[119:120]
	ds_read_b128 v[119:122], v118 offset:704
	ds_read_b128 v[123:126], v118 offset:720
	s_waitcnt vmcnt(19) lgkmcnt(1)
	v_fma_f64 v[119:120], v[135:136], v[119:120], v[130:131]
	buffer_load_dword v130, off, s[0:3], 0 offset:324
	s_waitcnt vmcnt(18)
	v_fma_f64 v[119:120], v[137:138], v[121:122], v[119:120]
	buffer_load_dword v132, off, s[0:3], 0 offset:332
	buffer_load_dword v133, off, s[0:3], 0 offset:352
	;; [unrolled: 1-line block ×7, first 2 shown]
	s_waitcnt vmcnt(23) lgkmcnt(0)
	v_fma_f64 v[119:120], v[139:140], v[123:124], v[119:120]
	s_waitcnt vmcnt(18)
	v_fma_f64 v[139:140], v[141:142], v[125:126], v[119:120]
	ds_read_b128 v[119:122], v118 offset:736
	ds_read_b128 v[123:126], v118 offset:752
	buffer_load_dword v134, off, s[0:3], 0 offset:356
	s_waitcnt vmcnt(18) lgkmcnt(1)
	v_fma_f64 v[119:120], v[147:148], v[119:120], v[139:140]
	s_waitcnt vmcnt(17)
	v_fma_f64 v[119:120], v[145:146], v[121:122], v[119:120]
	buffer_load_dword v140, off, s[0:3], 0 offset:364
	buffer_load_dword v141, off, s[0:3], 0 offset:384
	buffer_load_dword v145, off, s[0:3], 0 offset:376
	buffer_load_dword v147, off, s[0:3], 0 offset:368
	buffer_load_dword v139, off, s[0:3], 0 offset:360
	buffer_load_dword v148, off, s[0:3], 0 offset:372
	buffer_load_dword v146, off, s[0:3], 0 offset:380
	buffer_load_dword v142, off, s[0:3], 0 offset:388
	s_waitcnt vmcnt(24) lgkmcnt(0)
	v_fma_f64 v[119:120], v[143:144], v[123:124], v[119:120]
	s_waitcnt vmcnt(19)
	v_fma_f64 v[127:128], v[127:128], v[125:126], v[119:120]
	ds_read_b128 v[119:122], v118 offset:768
	ds_read_b128 v[123:126], v118 offset:784
	s_waitcnt vmcnt(18) lgkmcnt(1)
	v_fma_f64 v[119:120], v[151:152], v[119:120], v[127:128]
	s_waitcnt vmcnt(17)
	v_fma_f64 v[119:120], v[149:150], v[121:122], v[119:120]
	buffer_load_dword v128, off, s[0:3], 0 offset:396
	buffer_load_dword v143, off, s[0:3], 0 offset:416
	buffer_load_dword v149, off, s[0:3], 0 offset:408
	buffer_load_dword v151, off, s[0:3], 0 offset:400
	buffer_load_dword v127, off, s[0:3], 0 offset:392
	buffer_load_dword v152, off, s[0:3], 0 offset:404
	buffer_load_dword v150, off, s[0:3], 0 offset:412
	buffer_load_dword v144, off, s[0:3], 0 offset:420
	s_waitcnt vmcnt(24) lgkmcnt(0)
	v_fma_f64 v[119:120], v[129:130], v[123:124], v[119:120]
	s_waitcnt vmcnt(19)
	v_fma_f64 v[129:130], v[131:132], v[125:126], v[119:120]
	ds_read_b128 v[119:122], v118 offset:800
	ds_read_b128 v[123:126], v118 offset:816
	;; [unrolled: 18-line block ×3, first 2 shown]
	s_waitcnt vmcnt(18) lgkmcnt(1)
	v_fma_f64 v[119:120], v[147:148], v[119:120], v[133:134]
	buffer_load_dword v134, off, s[0:3], 0 offset:460
	buffer_load_dword v133, off, s[0:3], 0 offset:456
	buffer_load_dword v139, off, s[0:3], 0 offset:200
	buffer_load_dword v140, off, s[0:3], 0 offset:204
	s_waitcnt vmcnt(21)
	v_fma_f64 v[119:120], v[145:146], v[121:122], v[119:120]
	s_waitcnt vmcnt(20) lgkmcnt(0)
	v_fma_f64 v[119:120], v[141:142], v[123:124], v[119:120]
	s_waitcnt vmcnt(15)
	v_fma_f64 v[127:128], v[127:128], v[125:126], v[119:120]
	ds_read_b128 v[119:122], v118 offset:864
	ds_read_b128 v[123:126], v118 offset:880
	s_waitcnt vmcnt(14) lgkmcnt(1)
	v_fma_f64 v[119:120], v[151:152], v[119:120], v[127:128]
	s_waitcnt vmcnt(13)
	v_fma_f64 v[119:120], v[149:150], v[121:122], v[119:120]
	s_waitcnt vmcnt(12) lgkmcnt(0)
	v_fma_f64 v[119:120], v[143:144], v[123:124], v[119:120]
	s_waitcnt vmcnt(7)
	v_fma_f64 v[127:128], v[129:130], v[125:126], v[119:120]
	ds_read_b128 v[119:122], v118 offset:896
	ds_read_b128 v[123:126], v118 offset:912
	s_waitcnt vmcnt(6) lgkmcnt(1)
	v_fma_f64 v[118:119], v[137:138], v[119:120], v[127:128]
	s_waitcnt vmcnt(5)
	v_fma_f64 v[118:119], v[135:136], v[121:122], v[118:119]
	s_waitcnt vmcnt(4) lgkmcnt(0)
	v_fma_f64 v[118:119], v[131:132], v[123:124], v[118:119]
	s_waitcnt vmcnt(2)
	v_fma_f64 v[118:119], v[133:134], v[125:126], v[118:119]
	s_waitcnt vmcnt(0)
	v_add_f64 v[118:119], v[139:140], -v[118:119]
	buffer_store_dword v119, off, s[0:3], 0 offset:204
	buffer_store_dword v118, off, s[0:3], 0 offset:200
	s_and_saveexec_b64 s[4:5], vcc
	s_cbranch_execz .LBB57_307
; %bb.306:
	buffer_load_dword v118, off, s[0:3], 0 offset:192
	buffer_load_dword v119, off, s[0:3], 0 offset:196
	v_mov_b32_e32 v120, 0
	buffer_store_dword v120, off, s[0:3], 0 offset:192
	buffer_store_dword v120, off, s[0:3], 0 offset:196
	s_waitcnt vmcnt(2)
	ds_write_b64 v117, v[118:119]
.LBB57_307:
	s_or_b64 exec, exec, s[4:5]
	s_waitcnt lgkmcnt(0)
	; wave barrier
	buffer_load_dword v127, off, s[0:3], 0 offset:200
	buffer_load_dword v128, off, s[0:3], 0 offset:204
	;; [unrolled: 1-line block ×21, first 2 shown]
	v_mov_b32_e32 v118, 0
	ds_read2_b64 v[119:122], v118 offset0:83 offset1:84
	ds_read2_b64 v[123:126], v118 offset0:85 offset1:86
	buffer_load_dword v144, off, s[0:3], 0 offset:284
	v_cmp_lt_u32_e32 vcc, 23, v0
	s_waitcnt vmcnt(20) lgkmcnt(1)
	v_fma_f64 v[119:120], v[127:128], v[119:120], 0
	s_waitcnt vmcnt(18)
	v_fma_f64 v[119:120], v[129:130], v[121:122], v[119:120]
	buffer_load_dword v128, off, s[0:3], 0 offset:292
	buffer_load_dword v129, off, s[0:3], 0 offset:312
	;; [unrolled: 1-line block ×7, first 2 shown]
	s_waitcnt vmcnt(23) lgkmcnt(0)
	v_fma_f64 v[119:120], v[131:132], v[123:124], v[119:120]
	s_waitcnt vmcnt(21)
	v_fma_f64 v[130:131], v[133:134], v[125:126], v[119:120]
	ds_read2_b64 v[119:122], v118 offset0:87 offset1:88
	ds_read2_b64 v[123:126], v118 offset0:89 offset1:90
	s_waitcnt vmcnt(19) lgkmcnt(1)
	v_fma_f64 v[119:120], v[135:136], v[119:120], v[130:131]
	buffer_load_dword v130, off, s[0:3], 0 offset:316
	s_waitcnt vmcnt(18)
	v_fma_f64 v[119:120], v[137:138], v[121:122], v[119:120]
	buffer_load_dword v132, off, s[0:3], 0 offset:324
	buffer_load_dword v133, off, s[0:3], 0 offset:344
	buffer_load_dword v135, off, s[0:3], 0 offset:336
	buffer_load_dword v137, off, s[0:3], 0 offset:328
	buffer_load_dword v131, off, s[0:3], 0 offset:320
	buffer_load_dword v138, off, s[0:3], 0 offset:332
	buffer_load_dword v136, off, s[0:3], 0 offset:340
	s_waitcnt vmcnt(23) lgkmcnt(0)
	v_fma_f64 v[119:120], v[139:140], v[123:124], v[119:120]
	s_waitcnt vmcnt(18)
	v_fma_f64 v[139:140], v[141:142], v[125:126], v[119:120]
	ds_read2_b64 v[119:122], v118 offset0:91 offset1:92
	ds_read2_b64 v[123:126], v118 offset0:93 offset1:94
	buffer_load_dword v134, off, s[0:3], 0 offset:348
	s_waitcnt vmcnt(18) lgkmcnt(1)
	v_fma_f64 v[119:120], v[147:148], v[119:120], v[139:140]
	s_waitcnt vmcnt(17)
	v_fma_f64 v[119:120], v[145:146], v[121:122], v[119:120]
	buffer_load_dword v140, off, s[0:3], 0 offset:356
	buffer_load_dword v141, off, s[0:3], 0 offset:376
	;; [unrolled: 1-line block ×7, first 2 shown]
	s_waitcnt vmcnt(23) lgkmcnt(0)
	v_fma_f64 v[119:120], v[143:144], v[123:124], v[119:120]
	s_waitcnt vmcnt(18)
	v_fma_f64 v[127:128], v[127:128], v[125:126], v[119:120]
	ds_read2_b64 v[119:122], v118 offset0:95 offset1:96
	ds_read2_b64 v[123:126], v118 offset0:97 offset1:98
	buffer_load_dword v142, off, s[0:3], 0 offset:380
	s_waitcnt vmcnt(18) lgkmcnt(1)
	v_fma_f64 v[119:120], v[151:152], v[119:120], v[127:128]
	s_waitcnt vmcnt(17)
	v_fma_f64 v[119:120], v[149:150], v[121:122], v[119:120]
	buffer_load_dword v128, off, s[0:3], 0 offset:388
	buffer_load_dword v143, off, s[0:3], 0 offset:408
	;; [unrolled: 1-line block ×8, first 2 shown]
	s_waitcnt vmcnt(24) lgkmcnt(0)
	v_fma_f64 v[119:120], v[129:130], v[123:124], v[119:120]
	s_waitcnt vmcnt(19)
	v_fma_f64 v[129:130], v[131:132], v[125:126], v[119:120]
	ds_read2_b64 v[119:122], v118 offset0:99 offset1:100
	ds_read2_b64 v[123:126], v118 offset0:101 offset1:102
	s_waitcnt vmcnt(18) lgkmcnt(1)
	v_fma_f64 v[119:120], v[137:138], v[119:120], v[129:130]
	s_waitcnt vmcnt(17)
	v_fma_f64 v[119:120], v[135:136], v[121:122], v[119:120]
	buffer_load_dword v130, off, s[0:3], 0 offset:420
	buffer_load_dword v131, off, s[0:3], 0 offset:440
	;; [unrolled: 1-line block ×7, first 2 shown]
	s_waitcnt vmcnt(23) lgkmcnt(0)
	v_fma_f64 v[119:120], v[133:134], v[123:124], v[119:120]
	s_waitcnt vmcnt(18)
	v_fma_f64 v[132:133], v[139:140], v[125:126], v[119:120]
	ds_read2_b64 v[119:122], v118 offset0:103 offset1:104
	ds_read2_b64 v[123:126], v118 offset0:105 offset1:106
	s_waitcnt vmcnt(17) lgkmcnt(1)
	v_fma_f64 v[119:120], v[147:148], v[119:120], v[132:133]
	buffer_load_dword v132, off, s[0:3], 0 offset:444
	buffer_load_dword v134, off, s[0:3], 0 offset:452
	;; [unrolled: 1-line block ×5, first 2 shown]
	s_waitcnt vmcnt(21)
	v_fma_f64 v[119:120], v[145:146], v[121:122], v[119:120]
	s_waitcnt vmcnt(20) lgkmcnt(0)
	v_fma_f64 v[119:120], v[141:142], v[123:124], v[119:120]
	buffer_load_dword v141, off, s[0:3], 0 offset:192
	buffer_load_dword v142, off, s[0:3], 0 offset:196
	s_waitcnt vmcnt(17)
	v_fma_f64 v[127:128], v[127:128], v[125:126], v[119:120]
	ds_read2_b64 v[119:122], v118 offset0:107 offset1:108
	ds_read2_b64 v[123:126], v118 offset0:109 offset1:110
	s_waitcnt vmcnt(16) lgkmcnt(1)
	v_fma_f64 v[119:120], v[151:152], v[119:120], v[127:128]
	s_waitcnt vmcnt(15)
	v_fma_f64 v[119:120], v[149:150], v[121:122], v[119:120]
	s_waitcnt vmcnt(14) lgkmcnt(0)
	v_fma_f64 v[119:120], v[143:144], v[123:124], v[119:120]
	s_waitcnt vmcnt(9)
	v_fma_f64 v[127:128], v[129:130], v[125:126], v[119:120]
	ds_read2_b64 v[119:122], v118 offset0:111 offset1:112
	ds_read2_b64 v[123:126], v118 offset0:113 offset1:114
	s_waitcnt vmcnt(8) lgkmcnt(1)
	v_fma_f64 v[119:120], v[137:138], v[119:120], v[127:128]
	s_waitcnt vmcnt(7)
	v_fma_f64 v[119:120], v[135:136], v[121:122], v[119:120]
	ds_read_b64 v[121:122], v118 offset:920
	s_waitcnt vmcnt(6) lgkmcnt(1)
	v_fma_f64 v[119:120], v[131:132], v[123:124], v[119:120]
	s_waitcnt vmcnt(3)
	v_fma_f64 v[119:120], v[133:134], v[125:126], v[119:120]
	s_waitcnt vmcnt(2) lgkmcnt(0)
	v_fma_f64 v[119:120], v[139:140], v[121:122], v[119:120]
	s_waitcnt vmcnt(0)
	v_add_f64 v[119:120], v[141:142], -v[119:120]
	buffer_store_dword v120, off, s[0:3], 0 offset:196
	buffer_store_dword v119, off, s[0:3], 0 offset:192
	s_and_saveexec_b64 s[4:5], vcc
	s_cbranch_execz .LBB57_309
; %bb.308:
	buffer_load_dword v119, off, s[0:3], 0 offset:184
	buffer_load_dword v120, off, s[0:3], 0 offset:188
	s_waitcnt vmcnt(0)
	ds_write_b64 v117, v[119:120]
	buffer_store_dword v118, off, s[0:3], 0 offset:184
	buffer_store_dword v118, off, s[0:3], 0 offset:188
.LBB57_309:
	s_or_b64 exec, exec, s[4:5]
	s_waitcnt lgkmcnt(0)
	; wave barrier
	buffer_load_dword v127, off, s[0:3], 0 offset:192
	buffer_load_dword v128, off, s[0:3], 0 offset:196
	;; [unrolled: 1-line block ×21, first 2 shown]
	ds_read_b128 v[119:122], v118 offset:656
	ds_read_b128 v[123:126], v118 offset:672
	buffer_load_dword v144, off, s[0:3], 0 offset:276
	v_cmp_lt_u32_e32 vcc, 22, v0
	s_waitcnt vmcnt(20) lgkmcnt(1)
	v_fma_f64 v[119:120], v[127:128], v[119:120], 0
	s_waitcnt vmcnt(18)
	v_fma_f64 v[119:120], v[129:130], v[121:122], v[119:120]
	buffer_load_dword v128, off, s[0:3], 0 offset:284
	buffer_load_dword v129, off, s[0:3], 0 offset:304
	buffer_load_dword v149, off, s[0:3], 0 offset:296
	buffer_load_dword v151, off, s[0:3], 0 offset:288
	buffer_load_dword v127, off, s[0:3], 0 offset:280
	buffer_load_dword v152, off, s[0:3], 0 offset:292
	buffer_load_dword v150, off, s[0:3], 0 offset:300
	s_waitcnt vmcnt(23) lgkmcnt(0)
	v_fma_f64 v[119:120], v[131:132], v[123:124], v[119:120]
	s_waitcnt vmcnt(21)
	v_fma_f64 v[130:131], v[133:134], v[125:126], v[119:120]
	ds_read_b128 v[119:122], v118 offset:688
	ds_read_b128 v[123:126], v118 offset:704
	s_waitcnt vmcnt(19) lgkmcnt(1)
	v_fma_f64 v[119:120], v[135:136], v[119:120], v[130:131]
	buffer_load_dword v130, off, s[0:3], 0 offset:308
	s_waitcnt vmcnt(18)
	v_fma_f64 v[119:120], v[137:138], v[121:122], v[119:120]
	buffer_load_dword v132, off, s[0:3], 0 offset:316
	buffer_load_dword v133, off, s[0:3], 0 offset:336
	;; [unrolled: 1-line block ×8, first 2 shown]
	s_waitcnt vmcnt(24) lgkmcnt(0)
	v_fma_f64 v[119:120], v[139:140], v[123:124], v[119:120]
	s_waitcnt vmcnt(19)
	v_fma_f64 v[139:140], v[141:142], v[125:126], v[119:120]
	ds_read_b128 v[119:122], v118 offset:720
	ds_read_b128 v[123:126], v118 offset:736
	s_waitcnt vmcnt(18) lgkmcnt(1)
	v_fma_f64 v[119:120], v[147:148], v[119:120], v[139:140]
	s_waitcnt vmcnt(17)
	v_fma_f64 v[119:120], v[145:146], v[121:122], v[119:120]
	buffer_load_dword v140, off, s[0:3], 0 offset:348
	buffer_load_dword v141, off, s[0:3], 0 offset:368
	;; [unrolled: 1-line block ×7, first 2 shown]
	s_waitcnt vmcnt(23) lgkmcnt(0)
	v_fma_f64 v[119:120], v[143:144], v[123:124], v[119:120]
	s_waitcnt vmcnt(18)
	v_fma_f64 v[127:128], v[127:128], v[125:126], v[119:120]
	ds_read_b128 v[119:122], v118 offset:752
	ds_read_b128 v[123:126], v118 offset:768
	buffer_load_dword v142, off, s[0:3], 0 offset:372
	s_waitcnt vmcnt(18) lgkmcnt(1)
	v_fma_f64 v[119:120], v[151:152], v[119:120], v[127:128]
	s_waitcnt vmcnt(17)
	v_fma_f64 v[119:120], v[149:150], v[121:122], v[119:120]
	buffer_load_dword v128, off, s[0:3], 0 offset:380
	buffer_load_dword v143, off, s[0:3], 0 offset:400
	buffer_load_dword v149, off, s[0:3], 0 offset:392
	buffer_load_dword v151, off, s[0:3], 0 offset:384
	buffer_load_dword v127, off, s[0:3], 0 offset:376
	buffer_load_dword v152, off, s[0:3], 0 offset:388
	buffer_load_dword v150, off, s[0:3], 0 offset:396
	buffer_load_dword v144, off, s[0:3], 0 offset:404
	s_waitcnt vmcnt(24) lgkmcnt(0)
	v_fma_f64 v[119:120], v[129:130], v[123:124], v[119:120]
	s_waitcnt vmcnt(19)
	v_fma_f64 v[129:130], v[131:132], v[125:126], v[119:120]
	ds_read_b128 v[119:122], v118 offset:784
	ds_read_b128 v[123:126], v118 offset:800
	s_waitcnt vmcnt(18) lgkmcnt(1)
	v_fma_f64 v[119:120], v[137:138], v[119:120], v[129:130]
	s_waitcnt vmcnt(17)
	v_fma_f64 v[119:120], v[135:136], v[121:122], v[119:120]
	buffer_load_dword v130, off, s[0:3], 0 offset:412
	buffer_load_dword v131, off, s[0:3], 0 offset:432
	;; [unrolled: 1-line block ×7, first 2 shown]
	s_waitcnt vmcnt(23) lgkmcnt(0)
	v_fma_f64 v[119:120], v[133:134], v[123:124], v[119:120]
	s_waitcnt vmcnt(18)
	v_fma_f64 v[132:133], v[139:140], v[125:126], v[119:120]
	ds_read_b128 v[119:122], v118 offset:816
	ds_read_b128 v[123:126], v118 offset:832
	s_waitcnt vmcnt(17) lgkmcnt(1)
	v_fma_f64 v[119:120], v[147:148], v[119:120], v[132:133]
	buffer_load_dword v132, off, s[0:3], 0 offset:436
	s_waitcnt vmcnt(17)
	v_fma_f64 v[119:120], v[145:146], v[121:122], v[119:120]
	buffer_load_dword v134, off, s[0:3], 0 offset:444
	buffer_load_dword v139, off, s[0:3], 0 offset:456
	;; [unrolled: 1-line block ×6, first 2 shown]
	s_waitcnt vmcnt(22) lgkmcnt(0)
	v_fma_f64 v[119:120], v[141:142], v[123:124], v[119:120]
	s_waitcnt vmcnt(17)
	v_fma_f64 v[127:128], v[127:128], v[125:126], v[119:120]
	ds_read_b128 v[119:122], v118 offset:848
	buffer_load_dword v141, off, s[0:3], 0 offset:184
	buffer_load_dword v142, off, s[0:3], 0 offset:188
	ds_read_b128 v[123:126], v118 offset:864
	s_waitcnt vmcnt(18) lgkmcnt(1)
	v_fma_f64 v[119:120], v[151:152], v[119:120], v[127:128]
	s_waitcnt vmcnt(17)
	v_fma_f64 v[119:120], v[149:150], v[121:122], v[119:120]
	s_waitcnt vmcnt(16) lgkmcnt(0)
	v_fma_f64 v[119:120], v[143:144], v[123:124], v[119:120]
	s_waitcnt vmcnt(11)
	v_fma_f64 v[127:128], v[129:130], v[125:126], v[119:120]
	ds_read_b128 v[119:122], v118 offset:880
	ds_read_b128 v[123:126], v118 offset:896
	s_waitcnt vmcnt(10) lgkmcnt(1)
	v_fma_f64 v[119:120], v[137:138], v[119:120], v[127:128]
	s_waitcnt vmcnt(9)
	v_fma_f64 v[119:120], v[135:136], v[121:122], v[119:120]
	s_waitcnt vmcnt(8) lgkmcnt(0)
	v_fma_f64 v[119:120], v[131:132], v[123:124], v[119:120]
	s_waitcnt vmcnt(4)
	v_fma_f64 v[122:123], v[133:134], v[125:126], v[119:120]
	ds_read_b128 v[118:121], v118 offset:912
	s_waitcnt vmcnt(3) lgkmcnt(0)
	v_fma_f64 v[118:119], v[145:146], v[118:119], v[122:123]
	s_waitcnt vmcnt(2)
	v_fma_f64 v[118:119], v[139:140], v[120:121], v[118:119]
	s_waitcnt vmcnt(0)
	v_add_f64 v[118:119], v[141:142], -v[118:119]
	buffer_store_dword v119, off, s[0:3], 0 offset:188
	buffer_store_dword v118, off, s[0:3], 0 offset:184
	s_and_saveexec_b64 s[4:5], vcc
	s_cbranch_execz .LBB57_311
; %bb.310:
	buffer_load_dword v118, off, s[0:3], 0 offset:176
	buffer_load_dword v119, off, s[0:3], 0 offset:180
	v_mov_b32_e32 v120, 0
	buffer_store_dword v120, off, s[0:3], 0 offset:176
	buffer_store_dword v120, off, s[0:3], 0 offset:180
	s_waitcnt vmcnt(2)
	ds_write_b64 v117, v[118:119]
.LBB57_311:
	s_or_b64 exec, exec, s[4:5]
	s_waitcnt lgkmcnt(0)
	; wave barrier
	buffer_load_dword v127, off, s[0:3], 0 offset:184
	buffer_load_dword v128, off, s[0:3], 0 offset:188
	;; [unrolled: 1-line block ×21, first 2 shown]
	v_mov_b32_e32 v118, 0
	ds_read2_b64 v[119:122], v118 offset0:81 offset1:82
	ds_read2_b64 v[123:126], v118 offset0:83 offset1:84
	buffer_load_dword v144, off, s[0:3], 0 offset:268
	v_cmp_lt_u32_e32 vcc, 21, v0
	s_waitcnt vmcnt(20) lgkmcnt(1)
	v_fma_f64 v[119:120], v[127:128], v[119:120], 0
	s_waitcnt vmcnt(18)
	v_fma_f64 v[119:120], v[129:130], v[121:122], v[119:120]
	buffer_load_dword v128, off, s[0:3], 0 offset:276
	buffer_load_dword v129, off, s[0:3], 0 offset:296
	;; [unrolled: 1-line block ×7, first 2 shown]
	s_waitcnt vmcnt(23) lgkmcnt(0)
	v_fma_f64 v[119:120], v[131:132], v[123:124], v[119:120]
	s_waitcnt vmcnt(21)
	v_fma_f64 v[130:131], v[133:134], v[125:126], v[119:120]
	ds_read2_b64 v[119:122], v118 offset0:85 offset1:86
	ds_read2_b64 v[123:126], v118 offset0:87 offset1:88
	s_waitcnt vmcnt(19) lgkmcnt(1)
	v_fma_f64 v[119:120], v[135:136], v[119:120], v[130:131]
	buffer_load_dword v130, off, s[0:3], 0 offset:300
	s_waitcnt vmcnt(18)
	v_fma_f64 v[119:120], v[137:138], v[121:122], v[119:120]
	buffer_load_dword v132, off, s[0:3], 0 offset:308
	buffer_load_dword v133, off, s[0:3], 0 offset:328
	;; [unrolled: 1-line block ×8, first 2 shown]
	s_waitcnt vmcnt(24) lgkmcnt(0)
	v_fma_f64 v[119:120], v[139:140], v[123:124], v[119:120]
	s_waitcnt vmcnt(19)
	v_fma_f64 v[139:140], v[141:142], v[125:126], v[119:120]
	ds_read2_b64 v[119:122], v118 offset0:89 offset1:90
	ds_read2_b64 v[123:126], v118 offset0:91 offset1:92
	s_waitcnt vmcnt(18) lgkmcnt(1)
	v_fma_f64 v[119:120], v[147:148], v[119:120], v[139:140]
	s_waitcnt vmcnt(17)
	v_fma_f64 v[119:120], v[145:146], v[121:122], v[119:120]
	buffer_load_dword v140, off, s[0:3], 0 offset:340
	buffer_load_dword v141, off, s[0:3], 0 offset:360
	;; [unrolled: 1-line block ×7, first 2 shown]
	s_waitcnt vmcnt(23) lgkmcnt(0)
	v_fma_f64 v[119:120], v[143:144], v[123:124], v[119:120]
	s_waitcnt vmcnt(18)
	v_fma_f64 v[127:128], v[127:128], v[125:126], v[119:120]
	ds_read2_b64 v[119:122], v118 offset0:93 offset1:94
	ds_read2_b64 v[123:126], v118 offset0:95 offset1:96
	buffer_load_dword v142, off, s[0:3], 0 offset:364
	s_waitcnt vmcnt(18) lgkmcnt(1)
	v_fma_f64 v[119:120], v[151:152], v[119:120], v[127:128]
	s_waitcnt vmcnt(17)
	v_fma_f64 v[119:120], v[149:150], v[121:122], v[119:120]
	buffer_load_dword v128, off, s[0:3], 0 offset:372
	buffer_load_dword v143, off, s[0:3], 0 offset:392
	;; [unrolled: 1-line block ×8, first 2 shown]
	s_waitcnt vmcnt(24) lgkmcnt(0)
	v_fma_f64 v[119:120], v[129:130], v[123:124], v[119:120]
	s_waitcnt vmcnt(19)
	v_fma_f64 v[129:130], v[131:132], v[125:126], v[119:120]
	ds_read2_b64 v[119:122], v118 offset0:97 offset1:98
	ds_read2_b64 v[123:126], v118 offset0:99 offset1:100
	s_waitcnt vmcnt(18) lgkmcnt(1)
	v_fma_f64 v[119:120], v[137:138], v[119:120], v[129:130]
	s_waitcnt vmcnt(17)
	v_fma_f64 v[119:120], v[135:136], v[121:122], v[119:120]
	buffer_load_dword v130, off, s[0:3], 0 offset:404
	buffer_load_dword v131, off, s[0:3], 0 offset:424
	;; [unrolled: 1-line block ×7, first 2 shown]
	s_waitcnt vmcnt(23) lgkmcnt(0)
	v_fma_f64 v[119:120], v[133:134], v[123:124], v[119:120]
	s_waitcnt vmcnt(18)
	v_fma_f64 v[132:133], v[139:140], v[125:126], v[119:120]
	ds_read2_b64 v[119:122], v118 offset0:101 offset1:102
	ds_read2_b64 v[123:126], v118 offset0:103 offset1:104
	s_waitcnt vmcnt(17) lgkmcnt(1)
	v_fma_f64 v[119:120], v[147:148], v[119:120], v[132:133]
	buffer_load_dword v132, off, s[0:3], 0 offset:428
	s_waitcnt vmcnt(17)
	v_fma_f64 v[119:120], v[145:146], v[121:122], v[119:120]
	buffer_load_dword v134, off, s[0:3], 0 offset:436
	buffer_load_dword v139, off, s[0:3], 0 offset:456
	;; [unrolled: 1-line block ×8, first 2 shown]
	s_waitcnt vmcnt(24) lgkmcnt(0)
	v_fma_f64 v[119:120], v[141:142], v[123:124], v[119:120]
	s_waitcnt vmcnt(19)
	v_fma_f64 v[127:128], v[127:128], v[125:126], v[119:120]
	ds_read2_b64 v[119:122], v118 offset0:105 offset1:106
	ds_read2_b64 v[123:126], v118 offset0:107 offset1:108
	s_waitcnt vmcnt(18) lgkmcnt(1)
	v_fma_f64 v[119:120], v[151:152], v[119:120], v[127:128]
	buffer_load_dword v127, off, s[0:3], 0 offset:176
	buffer_load_dword v128, off, s[0:3], 0 offset:180
	s_waitcnt vmcnt(19)
	v_fma_f64 v[119:120], v[149:150], v[121:122], v[119:120]
	s_waitcnt vmcnt(18) lgkmcnt(0)
	v_fma_f64 v[119:120], v[143:144], v[123:124], v[119:120]
	s_waitcnt vmcnt(13)
	v_fma_f64 v[129:130], v[129:130], v[125:126], v[119:120]
	ds_read2_b64 v[119:122], v118 offset0:109 offset1:110
	ds_read2_b64 v[123:126], v118 offset0:111 offset1:112
	s_waitcnt vmcnt(12) lgkmcnt(1)
	v_fma_f64 v[119:120], v[137:138], v[119:120], v[129:130]
	s_waitcnt vmcnt(11)
	v_fma_f64 v[119:120], v[135:136], v[121:122], v[119:120]
	s_waitcnt vmcnt(10) lgkmcnt(0)
	v_fma_f64 v[119:120], v[131:132], v[123:124], v[119:120]
	s_waitcnt vmcnt(5)
	v_fma_f64 v[123:124], v[133:134], v[125:126], v[119:120]
	ds_read2_b64 v[119:122], v118 offset0:113 offset1:114
	ds_read_b64 v[125:126], v118 offset:920
	s_waitcnt vmcnt(4) lgkmcnt(1)
	v_fma_f64 v[119:120], v[147:148], v[119:120], v[123:124]
	s_waitcnt vmcnt(3)
	v_fma_f64 v[119:120], v[145:146], v[121:122], v[119:120]
	s_waitcnt vmcnt(2) lgkmcnt(0)
	v_fma_f64 v[119:120], v[139:140], v[125:126], v[119:120]
	s_waitcnt vmcnt(0)
	v_add_f64 v[119:120], v[127:128], -v[119:120]
	buffer_store_dword v120, off, s[0:3], 0 offset:180
	buffer_store_dword v119, off, s[0:3], 0 offset:176
	s_and_saveexec_b64 s[4:5], vcc
	s_cbranch_execz .LBB57_313
; %bb.312:
	buffer_load_dword v119, off, s[0:3], 0 offset:168
	buffer_load_dword v120, off, s[0:3], 0 offset:172
	s_waitcnt vmcnt(0)
	ds_write_b64 v117, v[119:120]
	buffer_store_dword v118, off, s[0:3], 0 offset:168
	buffer_store_dword v118, off, s[0:3], 0 offset:172
.LBB57_313:
	s_or_b64 exec, exec, s[4:5]
	s_waitcnt lgkmcnt(0)
	; wave barrier
	buffer_load_dword v127, off, s[0:3], 0 offset:176
	buffer_load_dword v128, off, s[0:3], 0 offset:180
	;; [unrolled: 1-line block ×21, first 2 shown]
	ds_read_b128 v[119:122], v118 offset:640
	ds_read_b128 v[123:126], v118 offset:656
	buffer_load_dword v144, off, s[0:3], 0 offset:260
	v_cmp_lt_u32_e32 vcc, 20, v0
	s_waitcnt vmcnt(20) lgkmcnt(1)
	v_fma_f64 v[119:120], v[127:128], v[119:120], 0
	s_waitcnt vmcnt(18)
	v_fma_f64 v[119:120], v[129:130], v[121:122], v[119:120]
	buffer_load_dword v128, off, s[0:3], 0 offset:268
	buffer_load_dword v129, off, s[0:3], 0 offset:288
	buffer_load_dword v149, off, s[0:3], 0 offset:280
	buffer_load_dword v151, off, s[0:3], 0 offset:272
	buffer_load_dword v127, off, s[0:3], 0 offset:264
	buffer_load_dword v152, off, s[0:3], 0 offset:276
	buffer_load_dword v150, off, s[0:3], 0 offset:284
	s_waitcnt vmcnt(23) lgkmcnt(0)
	v_fma_f64 v[119:120], v[131:132], v[123:124], v[119:120]
	s_waitcnt vmcnt(21)
	v_fma_f64 v[130:131], v[133:134], v[125:126], v[119:120]
	ds_read_b128 v[119:122], v118 offset:672
	ds_read_b128 v[123:126], v118 offset:688
	s_waitcnt vmcnt(19) lgkmcnt(1)
	v_fma_f64 v[119:120], v[135:136], v[119:120], v[130:131]
	buffer_load_dword v130, off, s[0:3], 0 offset:292
	s_waitcnt vmcnt(18)
	v_fma_f64 v[119:120], v[137:138], v[121:122], v[119:120]
	buffer_load_dword v132, off, s[0:3], 0 offset:300
	buffer_load_dword v133, off, s[0:3], 0 offset:320
	;; [unrolled: 1-line block ×8, first 2 shown]
	s_waitcnt vmcnt(24) lgkmcnt(0)
	v_fma_f64 v[119:120], v[139:140], v[123:124], v[119:120]
	s_waitcnt vmcnt(19)
	v_fma_f64 v[139:140], v[141:142], v[125:126], v[119:120]
	ds_read_b128 v[119:122], v118 offset:704
	ds_read_b128 v[123:126], v118 offset:720
	s_waitcnt vmcnt(18) lgkmcnt(1)
	v_fma_f64 v[119:120], v[147:148], v[119:120], v[139:140]
	s_waitcnt vmcnt(17)
	v_fma_f64 v[119:120], v[145:146], v[121:122], v[119:120]
	buffer_load_dword v140, off, s[0:3], 0 offset:332
	buffer_load_dword v141, off, s[0:3], 0 offset:352
	;; [unrolled: 1-line block ×7, first 2 shown]
	s_waitcnt vmcnt(23) lgkmcnt(0)
	v_fma_f64 v[119:120], v[143:144], v[123:124], v[119:120]
	s_waitcnt vmcnt(18)
	v_fma_f64 v[127:128], v[127:128], v[125:126], v[119:120]
	ds_read_b128 v[119:122], v118 offset:736
	ds_read_b128 v[123:126], v118 offset:752
	buffer_load_dword v142, off, s[0:3], 0 offset:356
	s_waitcnt vmcnt(18) lgkmcnt(1)
	v_fma_f64 v[119:120], v[151:152], v[119:120], v[127:128]
	s_waitcnt vmcnt(17)
	v_fma_f64 v[119:120], v[149:150], v[121:122], v[119:120]
	buffer_load_dword v128, off, s[0:3], 0 offset:364
	buffer_load_dword v143, off, s[0:3], 0 offset:384
	buffer_load_dword v149, off, s[0:3], 0 offset:376
	buffer_load_dword v151, off, s[0:3], 0 offset:368
	buffer_load_dword v127, off, s[0:3], 0 offset:360
	buffer_load_dword v152, off, s[0:3], 0 offset:372
	buffer_load_dword v150, off, s[0:3], 0 offset:380
	buffer_load_dword v144, off, s[0:3], 0 offset:388
	s_waitcnt vmcnt(24) lgkmcnt(0)
	v_fma_f64 v[119:120], v[129:130], v[123:124], v[119:120]
	s_waitcnt vmcnt(19)
	v_fma_f64 v[129:130], v[131:132], v[125:126], v[119:120]
	ds_read_b128 v[119:122], v118 offset:768
	ds_read_b128 v[123:126], v118 offset:784
	s_waitcnt vmcnt(18) lgkmcnt(1)
	v_fma_f64 v[119:120], v[137:138], v[119:120], v[129:130]
	s_waitcnt vmcnt(17)
	v_fma_f64 v[119:120], v[135:136], v[121:122], v[119:120]
	buffer_load_dword v130, off, s[0:3], 0 offset:396
	buffer_load_dword v131, off, s[0:3], 0 offset:416
	;; [unrolled: 1-line block ×7, first 2 shown]
	s_waitcnt vmcnt(23) lgkmcnt(0)
	v_fma_f64 v[119:120], v[133:134], v[123:124], v[119:120]
	s_waitcnt vmcnt(18)
	v_fma_f64 v[132:133], v[139:140], v[125:126], v[119:120]
	ds_read_b128 v[119:122], v118 offset:800
	ds_read_b128 v[123:126], v118 offset:816
	s_waitcnt vmcnt(17) lgkmcnt(1)
	v_fma_f64 v[119:120], v[147:148], v[119:120], v[132:133]
	buffer_load_dword v132, off, s[0:3], 0 offset:420
	s_waitcnt vmcnt(17)
	v_fma_f64 v[119:120], v[145:146], v[121:122], v[119:120]
	buffer_load_dword v134, off, s[0:3], 0 offset:428
	buffer_load_dword v139, off, s[0:3], 0 offset:448
	;; [unrolled: 1-line block ×8, first 2 shown]
	s_waitcnt vmcnt(24) lgkmcnt(0)
	v_fma_f64 v[119:120], v[141:142], v[123:124], v[119:120]
	s_waitcnt vmcnt(19)
	v_fma_f64 v[127:128], v[127:128], v[125:126], v[119:120]
	ds_read_b128 v[119:122], v118 offset:832
	ds_read_b128 v[123:126], v118 offset:848
	s_waitcnt vmcnt(18) lgkmcnt(1)
	v_fma_f64 v[119:120], v[151:152], v[119:120], v[127:128]
	buffer_load_dword v128, off, s[0:3], 0 offset:460
	buffer_load_dword v127, off, s[0:3], 0 offset:456
	;; [unrolled: 1-line block ×4, first 2 shown]
	s_waitcnt vmcnt(21)
	v_fma_f64 v[119:120], v[149:150], v[121:122], v[119:120]
	s_waitcnt vmcnt(20) lgkmcnt(0)
	v_fma_f64 v[119:120], v[143:144], v[123:124], v[119:120]
	s_waitcnt vmcnt(15)
	v_fma_f64 v[129:130], v[129:130], v[125:126], v[119:120]
	ds_read_b128 v[119:122], v118 offset:864
	ds_read_b128 v[123:126], v118 offset:880
	s_waitcnt vmcnt(14) lgkmcnt(1)
	v_fma_f64 v[119:120], v[137:138], v[119:120], v[129:130]
	s_waitcnt vmcnt(13)
	v_fma_f64 v[119:120], v[135:136], v[121:122], v[119:120]
	s_waitcnt vmcnt(12) lgkmcnt(0)
	v_fma_f64 v[119:120], v[131:132], v[123:124], v[119:120]
	s_waitcnt vmcnt(7)
	v_fma_f64 v[129:130], v[133:134], v[125:126], v[119:120]
	ds_read_b128 v[119:122], v118 offset:896
	ds_read_b128 v[123:126], v118 offset:912
	s_waitcnt vmcnt(6) lgkmcnt(1)
	v_fma_f64 v[118:119], v[147:148], v[119:120], v[129:130]
	s_waitcnt vmcnt(5)
	v_fma_f64 v[118:119], v[145:146], v[121:122], v[118:119]
	s_waitcnt vmcnt(4) lgkmcnt(0)
	v_fma_f64 v[118:119], v[139:140], v[123:124], v[118:119]
	s_waitcnt vmcnt(2)
	v_fma_f64 v[118:119], v[127:128], v[125:126], v[118:119]
	s_waitcnt vmcnt(0)
	v_add_f64 v[118:119], v[141:142], -v[118:119]
	buffer_store_dword v119, off, s[0:3], 0 offset:172
	buffer_store_dword v118, off, s[0:3], 0 offset:168
	s_and_saveexec_b64 s[4:5], vcc
	s_cbranch_execz .LBB57_315
; %bb.314:
	buffer_load_dword v118, off, s[0:3], 0 offset:160
	buffer_load_dword v119, off, s[0:3], 0 offset:164
	v_mov_b32_e32 v120, 0
	buffer_store_dword v120, off, s[0:3], 0 offset:160
	buffer_store_dword v120, off, s[0:3], 0 offset:164
	s_waitcnt vmcnt(2)
	ds_write_b64 v117, v[118:119]
.LBB57_315:
	s_or_b64 exec, exec, s[4:5]
	s_waitcnt lgkmcnt(0)
	; wave barrier
	buffer_load_dword v127, off, s[0:3], 0 offset:168
	buffer_load_dword v128, off, s[0:3], 0 offset:172
	;; [unrolled: 1-line block ×21, first 2 shown]
	v_mov_b32_e32 v118, 0
	ds_read2_b64 v[119:122], v118 offset0:79 offset1:80
	ds_read2_b64 v[123:126], v118 offset0:81 offset1:82
	buffer_load_dword v144, off, s[0:3], 0 offset:252
	v_cmp_lt_u32_e32 vcc, 19, v0
	s_waitcnt vmcnt(20) lgkmcnt(1)
	v_fma_f64 v[119:120], v[127:128], v[119:120], 0
	s_waitcnt vmcnt(18)
	v_fma_f64 v[119:120], v[129:130], v[121:122], v[119:120]
	buffer_load_dword v128, off, s[0:3], 0 offset:260
	buffer_load_dword v129, off, s[0:3], 0 offset:280
	;; [unrolled: 1-line block ×7, first 2 shown]
	s_waitcnt vmcnt(23) lgkmcnt(0)
	v_fma_f64 v[119:120], v[131:132], v[123:124], v[119:120]
	s_waitcnt vmcnt(21)
	v_fma_f64 v[130:131], v[133:134], v[125:126], v[119:120]
	ds_read2_b64 v[119:122], v118 offset0:83 offset1:84
	ds_read2_b64 v[123:126], v118 offset0:85 offset1:86
	s_waitcnt vmcnt(19) lgkmcnt(1)
	v_fma_f64 v[119:120], v[135:136], v[119:120], v[130:131]
	buffer_load_dword v130, off, s[0:3], 0 offset:284
	s_waitcnt vmcnt(18)
	v_fma_f64 v[119:120], v[137:138], v[121:122], v[119:120]
	buffer_load_dword v132, off, s[0:3], 0 offset:292
	buffer_load_dword v133, off, s[0:3], 0 offset:312
	;; [unrolled: 1-line block ×8, first 2 shown]
	s_waitcnt vmcnt(24) lgkmcnt(0)
	v_fma_f64 v[119:120], v[139:140], v[123:124], v[119:120]
	s_waitcnt vmcnt(19)
	v_fma_f64 v[139:140], v[141:142], v[125:126], v[119:120]
	ds_read2_b64 v[119:122], v118 offset0:87 offset1:88
	ds_read2_b64 v[123:126], v118 offset0:89 offset1:90
	s_waitcnt vmcnt(18) lgkmcnt(1)
	v_fma_f64 v[119:120], v[147:148], v[119:120], v[139:140]
	s_waitcnt vmcnt(17)
	v_fma_f64 v[119:120], v[145:146], v[121:122], v[119:120]
	buffer_load_dword v140, off, s[0:3], 0 offset:324
	buffer_load_dword v141, off, s[0:3], 0 offset:344
	;; [unrolled: 1-line block ×7, first 2 shown]
	s_waitcnt vmcnt(23) lgkmcnt(0)
	v_fma_f64 v[119:120], v[143:144], v[123:124], v[119:120]
	s_waitcnt vmcnt(18)
	v_fma_f64 v[127:128], v[127:128], v[125:126], v[119:120]
	ds_read2_b64 v[119:122], v118 offset0:91 offset1:92
	ds_read2_b64 v[123:126], v118 offset0:93 offset1:94
	buffer_load_dword v142, off, s[0:3], 0 offset:348
	s_waitcnt vmcnt(18) lgkmcnt(1)
	v_fma_f64 v[119:120], v[151:152], v[119:120], v[127:128]
	s_waitcnt vmcnt(17)
	v_fma_f64 v[119:120], v[149:150], v[121:122], v[119:120]
	buffer_load_dword v128, off, s[0:3], 0 offset:356
	buffer_load_dword v143, off, s[0:3], 0 offset:376
	;; [unrolled: 1-line block ×7, first 2 shown]
	s_waitcnt vmcnt(23) lgkmcnt(0)
	v_fma_f64 v[119:120], v[129:130], v[123:124], v[119:120]
	s_waitcnt vmcnt(18)
	v_fma_f64 v[129:130], v[131:132], v[125:126], v[119:120]
	ds_read2_b64 v[119:122], v118 offset0:95 offset1:96
	ds_read2_b64 v[123:126], v118 offset0:97 offset1:98
	buffer_load_dword v144, off, s[0:3], 0 offset:380
	s_waitcnt vmcnt(18) lgkmcnt(1)
	v_fma_f64 v[119:120], v[137:138], v[119:120], v[129:130]
	s_waitcnt vmcnt(17)
	v_fma_f64 v[119:120], v[135:136], v[121:122], v[119:120]
	buffer_load_dword v130, off, s[0:3], 0 offset:388
	buffer_load_dword v131, off, s[0:3], 0 offset:408
	buffer_load_dword v135, off, s[0:3], 0 offset:400
	buffer_load_dword v137, off, s[0:3], 0 offset:392
	buffer_load_dword v129, off, s[0:3], 0 offset:384
	buffer_load_dword v138, off, s[0:3], 0 offset:396
	buffer_load_dword v136, off, s[0:3], 0 offset:404
	s_waitcnt vmcnt(23) lgkmcnt(0)
	v_fma_f64 v[119:120], v[133:134], v[123:124], v[119:120]
	s_waitcnt vmcnt(18)
	v_fma_f64 v[132:133], v[139:140], v[125:126], v[119:120]
	ds_read2_b64 v[119:122], v118 offset0:99 offset1:100
	ds_read2_b64 v[123:126], v118 offset0:101 offset1:102
	s_waitcnt vmcnt(17) lgkmcnt(1)
	v_fma_f64 v[119:120], v[147:148], v[119:120], v[132:133]
	buffer_load_dword v132, off, s[0:3], 0 offset:412
	s_waitcnt vmcnt(17)
	v_fma_f64 v[119:120], v[145:146], v[121:122], v[119:120]
	buffer_load_dword v134, off, s[0:3], 0 offset:420
	buffer_load_dword v139, off, s[0:3], 0 offset:440
	;; [unrolled: 1-line block ×7, first 2 shown]
	s_waitcnt vmcnt(23) lgkmcnt(0)
	v_fma_f64 v[119:120], v[141:142], v[123:124], v[119:120]
	s_waitcnt vmcnt(18)
	v_fma_f64 v[127:128], v[127:128], v[125:126], v[119:120]
	ds_read2_b64 v[119:122], v118 offset0:103 offset1:104
	ds_read2_b64 v[123:126], v118 offset0:105 offset1:106
	buffer_load_dword v140, off, s[0:3], 0 offset:444
	s_waitcnt vmcnt(18) lgkmcnt(1)
	v_fma_f64 v[119:120], v[151:152], v[119:120], v[127:128]
	buffer_load_dword v128, off, s[0:3], 0 offset:452
	buffer_load_dword v141, off, s[0:3], 0 offset:456
	;; [unrolled: 1-line block ×4, first 2 shown]
	s_waitcnt vmcnt(21)
	v_fma_f64 v[119:120], v[149:150], v[121:122], v[119:120]
	s_waitcnt vmcnt(20) lgkmcnt(0)
	v_fma_f64 v[119:120], v[143:144], v[123:124], v[119:120]
	buffer_load_dword v143, off, s[0:3], 0 offset:160
	buffer_load_dword v144, off, s[0:3], 0 offset:164
	s_waitcnt vmcnt(17)
	v_fma_f64 v[129:130], v[129:130], v[125:126], v[119:120]
	ds_read2_b64 v[119:122], v118 offset0:107 offset1:108
	ds_read2_b64 v[123:126], v118 offset0:109 offset1:110
	s_waitcnt vmcnt(16) lgkmcnt(1)
	v_fma_f64 v[119:120], v[137:138], v[119:120], v[129:130]
	s_waitcnt vmcnt(15)
	v_fma_f64 v[119:120], v[135:136], v[121:122], v[119:120]
	s_waitcnt vmcnt(14) lgkmcnt(0)
	v_fma_f64 v[119:120], v[131:132], v[123:124], v[119:120]
	s_waitcnt vmcnt(9)
	v_fma_f64 v[129:130], v[133:134], v[125:126], v[119:120]
	ds_read2_b64 v[119:122], v118 offset0:111 offset1:112
	ds_read2_b64 v[123:126], v118 offset0:113 offset1:114
	s_waitcnt vmcnt(8) lgkmcnt(1)
	v_fma_f64 v[119:120], v[147:148], v[119:120], v[129:130]
	s_waitcnt vmcnt(7)
	v_fma_f64 v[119:120], v[145:146], v[121:122], v[119:120]
	ds_read_b64 v[121:122], v118 offset:920
	s_waitcnt vmcnt(6) lgkmcnt(1)
	v_fma_f64 v[119:120], v[139:140], v[123:124], v[119:120]
	s_waitcnt vmcnt(3)
	v_fma_f64 v[119:120], v[127:128], v[125:126], v[119:120]
	s_waitcnt vmcnt(2) lgkmcnt(0)
	v_fma_f64 v[119:120], v[141:142], v[121:122], v[119:120]
	s_waitcnt vmcnt(0)
	v_add_f64 v[119:120], v[143:144], -v[119:120]
	buffer_store_dword v120, off, s[0:3], 0 offset:164
	buffer_store_dword v119, off, s[0:3], 0 offset:160
	s_and_saveexec_b64 s[4:5], vcc
	s_cbranch_execz .LBB57_317
; %bb.316:
	buffer_load_dword v119, off, s[0:3], 0 offset:152
	buffer_load_dword v120, off, s[0:3], 0 offset:156
	s_waitcnt vmcnt(0)
	ds_write_b64 v117, v[119:120]
	buffer_store_dword v118, off, s[0:3], 0 offset:152
	buffer_store_dword v118, off, s[0:3], 0 offset:156
.LBB57_317:
	s_or_b64 exec, exec, s[4:5]
	s_waitcnt lgkmcnt(0)
	; wave barrier
	buffer_load_dword v127, off, s[0:3], 0 offset:160
	buffer_load_dword v128, off, s[0:3], 0 offset:164
	;; [unrolled: 1-line block ×22, first 2 shown]
	ds_read_b128 v[119:122], v118 offset:624
	ds_read_b128 v[123:126], v118 offset:640
	v_cmp_lt_u32_e32 vcc, 18, v0
	s_waitcnt vmcnt(20) lgkmcnt(1)
	v_fma_f64 v[119:120], v[127:128], v[119:120], 0
	s_waitcnt vmcnt(18)
	v_fma_f64 v[119:120], v[129:130], v[121:122], v[119:120]
	buffer_load_dword v128, off, s[0:3], 0 offset:252
	buffer_load_dword v129, off, s[0:3], 0 offset:272
	;; [unrolled: 1-line block ×7, first 2 shown]
	s_waitcnt vmcnt(23) lgkmcnt(0)
	v_fma_f64 v[119:120], v[131:132], v[123:124], v[119:120]
	s_waitcnt vmcnt(21)
	v_fma_f64 v[130:131], v[133:134], v[125:126], v[119:120]
	ds_read_b128 v[119:122], v118 offset:656
	ds_read_b128 v[123:126], v118 offset:672
	s_waitcnt vmcnt(19) lgkmcnt(1)
	v_fma_f64 v[119:120], v[135:136], v[119:120], v[130:131]
	buffer_load_dword v130, off, s[0:3], 0 offset:276
	s_waitcnt vmcnt(18)
	v_fma_f64 v[119:120], v[137:138], v[121:122], v[119:120]
	buffer_load_dword v132, off, s[0:3], 0 offset:284
	buffer_load_dword v133, off, s[0:3], 0 offset:304
	;; [unrolled: 1-line block ×8, first 2 shown]
	s_waitcnt vmcnt(24) lgkmcnt(0)
	v_fma_f64 v[119:120], v[139:140], v[123:124], v[119:120]
	s_waitcnt vmcnt(19)
	v_fma_f64 v[139:140], v[141:142], v[125:126], v[119:120]
	ds_read_b128 v[119:122], v118 offset:688
	ds_read_b128 v[123:126], v118 offset:704
	s_waitcnt vmcnt(18) lgkmcnt(1)
	v_fma_f64 v[119:120], v[147:148], v[119:120], v[139:140]
	s_waitcnt vmcnt(17)
	v_fma_f64 v[119:120], v[145:146], v[121:122], v[119:120]
	buffer_load_dword v140, off, s[0:3], 0 offset:316
	buffer_load_dword v141, off, s[0:3], 0 offset:336
	buffer_load_dword v145, off, s[0:3], 0 offset:328
	buffer_load_dword v147, off, s[0:3], 0 offset:320
	buffer_load_dword v139, off, s[0:3], 0 offset:312
	buffer_load_dword v148, off, s[0:3], 0 offset:324
	buffer_load_dword v146, off, s[0:3], 0 offset:332
	buffer_load_dword v142, off, s[0:3], 0 offset:340
	s_waitcnt vmcnt(24) lgkmcnt(0)
	v_fma_f64 v[119:120], v[143:144], v[123:124], v[119:120]
	s_waitcnt vmcnt(19)
	v_fma_f64 v[127:128], v[127:128], v[125:126], v[119:120]
	ds_read_b128 v[119:122], v118 offset:720
	ds_read_b128 v[123:126], v118 offset:736
	s_waitcnt vmcnt(18) lgkmcnt(1)
	v_fma_f64 v[119:120], v[151:152], v[119:120], v[127:128]
	s_waitcnt vmcnt(17)
	v_fma_f64 v[119:120], v[149:150], v[121:122], v[119:120]
	buffer_load_dword v128, off, s[0:3], 0 offset:348
	buffer_load_dword v143, off, s[0:3], 0 offset:368
	;; [unrolled: 1-line block ×7, first 2 shown]
	s_waitcnt vmcnt(23) lgkmcnt(0)
	v_fma_f64 v[119:120], v[129:130], v[123:124], v[119:120]
	s_waitcnt vmcnt(18)
	v_fma_f64 v[129:130], v[131:132], v[125:126], v[119:120]
	ds_read_b128 v[119:122], v118 offset:752
	ds_read_b128 v[123:126], v118 offset:768
	buffer_load_dword v144, off, s[0:3], 0 offset:372
	s_waitcnt vmcnt(18) lgkmcnt(1)
	v_fma_f64 v[119:120], v[137:138], v[119:120], v[129:130]
	s_waitcnt vmcnt(17)
	v_fma_f64 v[119:120], v[135:136], v[121:122], v[119:120]
	buffer_load_dword v130, off, s[0:3], 0 offset:380
	buffer_load_dword v131, off, s[0:3], 0 offset:400
	;; [unrolled: 1-line block ×7, first 2 shown]
	s_waitcnt vmcnt(23) lgkmcnt(0)
	v_fma_f64 v[119:120], v[133:134], v[123:124], v[119:120]
	s_waitcnt vmcnt(18)
	v_fma_f64 v[132:133], v[139:140], v[125:126], v[119:120]
	ds_read_b128 v[119:122], v118 offset:784
	ds_read_b128 v[123:126], v118 offset:800
	s_waitcnt vmcnt(17) lgkmcnt(1)
	v_fma_f64 v[119:120], v[147:148], v[119:120], v[132:133]
	buffer_load_dword v132, off, s[0:3], 0 offset:404
	s_waitcnt vmcnt(17)
	v_fma_f64 v[119:120], v[145:146], v[121:122], v[119:120]
	buffer_load_dword v134, off, s[0:3], 0 offset:412
	buffer_load_dword v139, off, s[0:3], 0 offset:432
	;; [unrolled: 1-line block ×8, first 2 shown]
	s_waitcnt vmcnt(24) lgkmcnt(0)
	v_fma_f64 v[119:120], v[141:142], v[123:124], v[119:120]
	s_waitcnt vmcnt(19)
	v_fma_f64 v[127:128], v[127:128], v[125:126], v[119:120]
	ds_read_b128 v[119:122], v118 offset:816
	ds_read_b128 v[123:126], v118 offset:832
	s_waitcnt vmcnt(18) lgkmcnt(1)
	v_fma_f64 v[119:120], v[151:152], v[119:120], v[127:128]
	s_waitcnt vmcnt(17)
	v_fma_f64 v[119:120], v[149:150], v[121:122], v[119:120]
	buffer_load_dword v128, off, s[0:3], 0 offset:444
	buffer_load_dword v141, off, s[0:3], 0 offset:456
	;; [unrolled: 1-line block ×6, first 2 shown]
	s_waitcnt vmcnt(22) lgkmcnt(0)
	v_fma_f64 v[119:120], v[143:144], v[123:124], v[119:120]
	s_waitcnt vmcnt(17)
	v_fma_f64 v[129:130], v[129:130], v[125:126], v[119:120]
	ds_read_b128 v[119:122], v118 offset:848
	buffer_load_dword v143, off, s[0:3], 0 offset:152
	buffer_load_dword v144, off, s[0:3], 0 offset:156
	ds_read_b128 v[123:126], v118 offset:864
	s_waitcnt vmcnt(18) lgkmcnt(1)
	v_fma_f64 v[119:120], v[137:138], v[119:120], v[129:130]
	s_waitcnt vmcnt(17)
	v_fma_f64 v[119:120], v[135:136], v[121:122], v[119:120]
	s_waitcnt vmcnt(16) lgkmcnt(0)
	v_fma_f64 v[119:120], v[131:132], v[123:124], v[119:120]
	s_waitcnt vmcnt(11)
	v_fma_f64 v[129:130], v[133:134], v[125:126], v[119:120]
	ds_read_b128 v[119:122], v118 offset:880
	ds_read_b128 v[123:126], v118 offset:896
	s_waitcnt vmcnt(10) lgkmcnt(1)
	v_fma_f64 v[119:120], v[147:148], v[119:120], v[129:130]
	s_waitcnt vmcnt(9)
	v_fma_f64 v[119:120], v[145:146], v[121:122], v[119:120]
	s_waitcnt vmcnt(8) lgkmcnt(0)
	v_fma_f64 v[119:120], v[139:140], v[123:124], v[119:120]
	s_waitcnt vmcnt(4)
	v_fma_f64 v[122:123], v[127:128], v[125:126], v[119:120]
	ds_read_b128 v[118:121], v118 offset:912
	s_waitcnt vmcnt(3) lgkmcnt(0)
	v_fma_f64 v[118:119], v[149:150], v[118:119], v[122:123]
	s_waitcnt vmcnt(2)
	v_fma_f64 v[118:119], v[141:142], v[120:121], v[118:119]
	s_waitcnt vmcnt(0)
	v_add_f64 v[118:119], v[143:144], -v[118:119]
	buffer_store_dword v119, off, s[0:3], 0 offset:156
	buffer_store_dword v118, off, s[0:3], 0 offset:152
	s_and_saveexec_b64 s[4:5], vcc
	s_cbranch_execz .LBB57_319
; %bb.318:
	buffer_load_dword v118, off, s[0:3], 0 offset:144
	buffer_load_dword v119, off, s[0:3], 0 offset:148
	v_mov_b32_e32 v120, 0
	buffer_store_dword v120, off, s[0:3], 0 offset:144
	buffer_store_dword v120, off, s[0:3], 0 offset:148
	s_waitcnt vmcnt(2)
	ds_write_b64 v117, v[118:119]
.LBB57_319:
	s_or_b64 exec, exec, s[4:5]
	s_waitcnt lgkmcnt(0)
	; wave barrier
	buffer_load_dword v127, off, s[0:3], 0 offset:152
	buffer_load_dword v128, off, s[0:3], 0 offset:156
	;; [unrolled: 1-line block ×22, first 2 shown]
	v_mov_b32_e32 v118, 0
	ds_read2_b64 v[119:122], v118 offset0:77 offset1:78
	ds_read2_b64 v[123:126], v118 offset0:79 offset1:80
	v_cmp_lt_u32_e32 vcc, 17, v0
	s_waitcnt vmcnt(20) lgkmcnt(1)
	v_fma_f64 v[119:120], v[127:128], v[119:120], 0
	s_waitcnt vmcnt(18)
	v_fma_f64 v[119:120], v[129:130], v[121:122], v[119:120]
	buffer_load_dword v128, off, s[0:3], 0 offset:244
	buffer_load_dword v129, off, s[0:3], 0 offset:264
	;; [unrolled: 1-line block ×7, first 2 shown]
	s_waitcnt vmcnt(23) lgkmcnt(0)
	v_fma_f64 v[119:120], v[131:132], v[123:124], v[119:120]
	s_waitcnt vmcnt(21)
	v_fma_f64 v[130:131], v[133:134], v[125:126], v[119:120]
	ds_read2_b64 v[119:122], v118 offset0:81 offset1:82
	ds_read2_b64 v[123:126], v118 offset0:83 offset1:84
	s_waitcnt vmcnt(19) lgkmcnt(1)
	v_fma_f64 v[119:120], v[135:136], v[119:120], v[130:131]
	buffer_load_dword v130, off, s[0:3], 0 offset:268
	s_waitcnt vmcnt(18)
	v_fma_f64 v[119:120], v[137:138], v[121:122], v[119:120]
	buffer_load_dword v132, off, s[0:3], 0 offset:276
	buffer_load_dword v133, off, s[0:3], 0 offset:296
	;; [unrolled: 1-line block ×8, first 2 shown]
	s_waitcnt vmcnt(24) lgkmcnt(0)
	v_fma_f64 v[119:120], v[139:140], v[123:124], v[119:120]
	s_waitcnt vmcnt(19)
	v_fma_f64 v[139:140], v[141:142], v[125:126], v[119:120]
	ds_read2_b64 v[119:122], v118 offset0:85 offset1:86
	ds_read2_b64 v[123:126], v118 offset0:87 offset1:88
	s_waitcnt vmcnt(18) lgkmcnt(1)
	v_fma_f64 v[119:120], v[147:148], v[119:120], v[139:140]
	s_waitcnt vmcnt(17)
	v_fma_f64 v[119:120], v[145:146], v[121:122], v[119:120]
	buffer_load_dword v140, off, s[0:3], 0 offset:308
	buffer_load_dword v141, off, s[0:3], 0 offset:328
	;; [unrolled: 1-line block ×8, first 2 shown]
	s_waitcnt vmcnt(24) lgkmcnt(0)
	v_fma_f64 v[119:120], v[143:144], v[123:124], v[119:120]
	s_waitcnt vmcnt(19)
	v_fma_f64 v[127:128], v[127:128], v[125:126], v[119:120]
	ds_read2_b64 v[119:122], v118 offset0:89 offset1:90
	ds_read2_b64 v[123:126], v118 offset0:91 offset1:92
	s_waitcnt vmcnt(18) lgkmcnt(1)
	v_fma_f64 v[119:120], v[151:152], v[119:120], v[127:128]
	s_waitcnt vmcnt(17)
	v_fma_f64 v[119:120], v[149:150], v[121:122], v[119:120]
	buffer_load_dword v128, off, s[0:3], 0 offset:340
	buffer_load_dword v143, off, s[0:3], 0 offset:360
	;; [unrolled: 1-line block ×7, first 2 shown]
	s_waitcnt vmcnt(23) lgkmcnt(0)
	v_fma_f64 v[119:120], v[129:130], v[123:124], v[119:120]
	s_waitcnt vmcnt(18)
	v_fma_f64 v[129:130], v[131:132], v[125:126], v[119:120]
	ds_read2_b64 v[119:122], v118 offset0:93 offset1:94
	ds_read2_b64 v[123:126], v118 offset0:95 offset1:96
	buffer_load_dword v144, off, s[0:3], 0 offset:364
	s_waitcnt vmcnt(18) lgkmcnt(1)
	v_fma_f64 v[119:120], v[137:138], v[119:120], v[129:130]
	s_waitcnt vmcnt(17)
	v_fma_f64 v[119:120], v[135:136], v[121:122], v[119:120]
	buffer_load_dword v130, off, s[0:3], 0 offset:372
	buffer_load_dword v131, off, s[0:3], 0 offset:392
	;; [unrolled: 1-line block ×7, first 2 shown]
	s_waitcnt vmcnt(23) lgkmcnt(0)
	v_fma_f64 v[119:120], v[133:134], v[123:124], v[119:120]
	s_waitcnt vmcnt(18)
	v_fma_f64 v[132:133], v[139:140], v[125:126], v[119:120]
	ds_read2_b64 v[119:122], v118 offset0:97 offset1:98
	ds_read2_b64 v[123:126], v118 offset0:99 offset1:100
	s_waitcnt vmcnt(17) lgkmcnt(1)
	v_fma_f64 v[119:120], v[147:148], v[119:120], v[132:133]
	buffer_load_dword v132, off, s[0:3], 0 offset:396
	s_waitcnt vmcnt(17)
	v_fma_f64 v[119:120], v[145:146], v[121:122], v[119:120]
	buffer_load_dword v134, off, s[0:3], 0 offset:404
	buffer_load_dword v139, off, s[0:3], 0 offset:424
	buffer_load_dword v145, off, s[0:3], 0 offset:416
	buffer_load_dword v147, off, s[0:3], 0 offset:408
	buffer_load_dword v133, off, s[0:3], 0 offset:400
	buffer_load_dword v148, off, s[0:3], 0 offset:412
	buffer_load_dword v146, off, s[0:3], 0 offset:420
	buffer_load_dword v140, off, s[0:3], 0 offset:428
	s_waitcnt vmcnt(24) lgkmcnt(0)
	v_fma_f64 v[119:120], v[141:142], v[123:124], v[119:120]
	s_waitcnt vmcnt(19)
	v_fma_f64 v[127:128], v[127:128], v[125:126], v[119:120]
	ds_read2_b64 v[119:122], v118 offset0:101 offset1:102
	ds_read2_b64 v[123:126], v118 offset0:103 offset1:104
	s_waitcnt vmcnt(18) lgkmcnt(1)
	v_fma_f64 v[119:120], v[151:152], v[119:120], v[127:128]
	s_waitcnt vmcnt(17)
	v_fma_f64 v[119:120], v[149:150], v[121:122], v[119:120]
	buffer_load_dword v128, off, s[0:3], 0 offset:436
	buffer_load_dword v141, off, s[0:3], 0 offset:456
	;; [unrolled: 1-line block ×8, first 2 shown]
	s_waitcnt vmcnt(24) lgkmcnt(0)
	v_fma_f64 v[119:120], v[143:144], v[123:124], v[119:120]
	s_waitcnt vmcnt(19)
	v_fma_f64 v[129:130], v[129:130], v[125:126], v[119:120]
	ds_read2_b64 v[119:122], v118 offset0:105 offset1:106
	ds_read2_b64 v[123:126], v118 offset0:107 offset1:108
	s_waitcnt vmcnt(18) lgkmcnt(1)
	v_fma_f64 v[119:120], v[137:138], v[119:120], v[129:130]
	buffer_load_dword v129, off, s[0:3], 0 offset:144
	buffer_load_dword v130, off, s[0:3], 0 offset:148
	s_waitcnt vmcnt(19)
	v_fma_f64 v[119:120], v[135:136], v[121:122], v[119:120]
	s_waitcnt vmcnt(18) lgkmcnt(0)
	v_fma_f64 v[119:120], v[131:132], v[123:124], v[119:120]
	s_waitcnt vmcnt(13)
	v_fma_f64 v[131:132], v[133:134], v[125:126], v[119:120]
	ds_read2_b64 v[119:122], v118 offset0:109 offset1:110
	ds_read2_b64 v[123:126], v118 offset0:111 offset1:112
	s_waitcnt vmcnt(12) lgkmcnt(1)
	v_fma_f64 v[119:120], v[147:148], v[119:120], v[131:132]
	s_waitcnt vmcnt(11)
	v_fma_f64 v[119:120], v[145:146], v[121:122], v[119:120]
	s_waitcnt vmcnt(10) lgkmcnt(0)
	v_fma_f64 v[119:120], v[139:140], v[123:124], v[119:120]
	s_waitcnt vmcnt(5)
	v_fma_f64 v[123:124], v[127:128], v[125:126], v[119:120]
	ds_read2_b64 v[119:122], v118 offset0:113 offset1:114
	ds_read_b64 v[125:126], v118 offset:920
	s_waitcnt vmcnt(4) lgkmcnt(1)
	v_fma_f64 v[119:120], v[151:152], v[119:120], v[123:124]
	s_waitcnt vmcnt(3)
	v_fma_f64 v[119:120], v[149:150], v[121:122], v[119:120]
	s_waitcnt vmcnt(2) lgkmcnt(0)
	v_fma_f64 v[119:120], v[141:142], v[125:126], v[119:120]
	s_waitcnt vmcnt(0)
	v_add_f64 v[119:120], v[129:130], -v[119:120]
	buffer_store_dword v120, off, s[0:3], 0 offset:148
	buffer_store_dword v119, off, s[0:3], 0 offset:144
	s_and_saveexec_b64 s[4:5], vcc
	s_cbranch_execz .LBB57_321
; %bb.320:
	buffer_load_dword v119, off, s[0:3], 0 offset:136
	buffer_load_dword v120, off, s[0:3], 0 offset:140
	s_waitcnt vmcnt(0)
	ds_write_b64 v117, v[119:120]
	buffer_store_dword v118, off, s[0:3], 0 offset:136
	buffer_store_dword v118, off, s[0:3], 0 offset:140
.LBB57_321:
	s_or_b64 exec, exec, s[4:5]
	s_waitcnt lgkmcnt(0)
	; wave barrier
	buffer_load_dword v127, off, s[0:3], 0 offset:144
	buffer_load_dword v128, off, s[0:3], 0 offset:148
	buffer_load_dword v129, off, s[0:3], 0 offset:152
	buffer_load_dword v130, off, s[0:3], 0 offset:156
	buffer_load_dword v131, off, s[0:3], 0 offset:160
	buffer_load_dword v132, off, s[0:3], 0 offset:164
	buffer_load_dword v133, off, s[0:3], 0 offset:168
	buffer_load_dword v134, off, s[0:3], 0 offset:172
	buffer_load_dword v135, off, s[0:3], 0 offset:176
	buffer_load_dword v136, off, s[0:3], 0 offset:180
	buffer_load_dword v137, off, s[0:3], 0 offset:184
	buffer_load_dword v138, off, s[0:3], 0 offset:188
	buffer_load_dword v139, off, s[0:3], 0 offset:192
	buffer_load_dword v140, off, s[0:3], 0 offset:196
	buffer_load_dword v142, off, s[0:3], 0 offset:204
	buffer_load_dword v143, off, s[0:3], 0 offset:224
	buffer_load_dword v145, off, s[0:3], 0 offset:216
	buffer_load_dword v147, off, s[0:3], 0 offset:208
	buffer_load_dword v141, off, s[0:3], 0 offset:200
	buffer_load_dword v148, off, s[0:3], 0 offset:212
	buffer_load_dword v146, off, s[0:3], 0 offset:220
	buffer_load_dword v144, off, s[0:3], 0 offset:228
	ds_read_b128 v[119:122], v118 offset:608
	ds_read_b128 v[123:126], v118 offset:624
	v_cmp_lt_u32_e32 vcc, 16, v0
	s_waitcnt vmcnt(20) lgkmcnt(1)
	v_fma_f64 v[119:120], v[127:128], v[119:120], 0
	s_waitcnt vmcnt(18)
	v_fma_f64 v[119:120], v[129:130], v[121:122], v[119:120]
	buffer_load_dword v128, off, s[0:3], 0 offset:236
	buffer_load_dword v129, off, s[0:3], 0 offset:256
	buffer_load_dword v149, off, s[0:3], 0 offset:248
	buffer_load_dword v151, off, s[0:3], 0 offset:240
	buffer_load_dword v127, off, s[0:3], 0 offset:232
	buffer_load_dword v152, off, s[0:3], 0 offset:244
	buffer_load_dword v150, off, s[0:3], 0 offset:252
	s_waitcnt vmcnt(23) lgkmcnt(0)
	v_fma_f64 v[119:120], v[131:132], v[123:124], v[119:120]
	s_waitcnt vmcnt(21)
	v_fma_f64 v[130:131], v[133:134], v[125:126], v[119:120]
	ds_read_b128 v[119:122], v118 offset:640
	ds_read_b128 v[123:126], v118 offset:656
	s_waitcnt vmcnt(19) lgkmcnt(1)
	v_fma_f64 v[119:120], v[135:136], v[119:120], v[130:131]
	buffer_load_dword v130, off, s[0:3], 0 offset:260
	s_waitcnt vmcnt(18)
	v_fma_f64 v[119:120], v[137:138], v[121:122], v[119:120]
	buffer_load_dword v132, off, s[0:3], 0 offset:268
	buffer_load_dword v133, off, s[0:3], 0 offset:288
	;; [unrolled: 1-line block ×8, first 2 shown]
	s_waitcnt vmcnt(24) lgkmcnt(0)
	v_fma_f64 v[119:120], v[139:140], v[123:124], v[119:120]
	s_waitcnt vmcnt(19)
	v_fma_f64 v[139:140], v[141:142], v[125:126], v[119:120]
	ds_read_b128 v[119:122], v118 offset:672
	ds_read_b128 v[123:126], v118 offset:688
	s_waitcnt vmcnt(18) lgkmcnt(1)
	v_fma_f64 v[119:120], v[147:148], v[119:120], v[139:140]
	s_waitcnt vmcnt(17)
	v_fma_f64 v[119:120], v[145:146], v[121:122], v[119:120]
	buffer_load_dword v140, off, s[0:3], 0 offset:300
	buffer_load_dword v141, off, s[0:3], 0 offset:320
	;; [unrolled: 1-line block ×8, first 2 shown]
	s_waitcnt vmcnt(24) lgkmcnt(0)
	v_fma_f64 v[119:120], v[143:144], v[123:124], v[119:120]
	s_waitcnt vmcnt(19)
	v_fma_f64 v[127:128], v[127:128], v[125:126], v[119:120]
	ds_read_b128 v[119:122], v118 offset:704
	ds_read_b128 v[123:126], v118 offset:720
	s_waitcnt vmcnt(18) lgkmcnt(1)
	v_fma_f64 v[119:120], v[151:152], v[119:120], v[127:128]
	s_waitcnt vmcnt(17)
	v_fma_f64 v[119:120], v[149:150], v[121:122], v[119:120]
	buffer_load_dword v128, off, s[0:3], 0 offset:332
	buffer_load_dword v143, off, s[0:3], 0 offset:352
	;; [unrolled: 1-line block ×7, first 2 shown]
	s_waitcnt vmcnt(23) lgkmcnt(0)
	v_fma_f64 v[119:120], v[129:130], v[123:124], v[119:120]
	s_waitcnt vmcnt(18)
	v_fma_f64 v[129:130], v[131:132], v[125:126], v[119:120]
	ds_read_b128 v[119:122], v118 offset:736
	ds_read_b128 v[123:126], v118 offset:752
	buffer_load_dword v144, off, s[0:3], 0 offset:356
	s_waitcnt vmcnt(18) lgkmcnt(1)
	v_fma_f64 v[119:120], v[137:138], v[119:120], v[129:130]
	s_waitcnt vmcnt(17)
	v_fma_f64 v[119:120], v[135:136], v[121:122], v[119:120]
	buffer_load_dword v130, off, s[0:3], 0 offset:364
	buffer_load_dword v131, off, s[0:3], 0 offset:384
	;; [unrolled: 1-line block ×7, first 2 shown]
	s_waitcnt vmcnt(23) lgkmcnt(0)
	v_fma_f64 v[119:120], v[133:134], v[123:124], v[119:120]
	s_waitcnt vmcnt(18)
	v_fma_f64 v[132:133], v[139:140], v[125:126], v[119:120]
	ds_read_b128 v[119:122], v118 offset:768
	ds_read_b128 v[123:126], v118 offset:784
	s_waitcnt vmcnt(17) lgkmcnt(1)
	v_fma_f64 v[119:120], v[147:148], v[119:120], v[132:133]
	buffer_load_dword v132, off, s[0:3], 0 offset:388
	s_waitcnt vmcnt(17)
	v_fma_f64 v[119:120], v[145:146], v[121:122], v[119:120]
	buffer_load_dword v134, off, s[0:3], 0 offset:396
	buffer_load_dword v139, off, s[0:3], 0 offset:416
	;; [unrolled: 1-line block ×8, first 2 shown]
	s_waitcnt vmcnt(24) lgkmcnt(0)
	v_fma_f64 v[119:120], v[141:142], v[123:124], v[119:120]
	s_waitcnt vmcnt(19)
	v_fma_f64 v[127:128], v[127:128], v[125:126], v[119:120]
	ds_read_b128 v[119:122], v118 offset:800
	ds_read_b128 v[123:126], v118 offset:816
	s_waitcnt vmcnt(18) lgkmcnt(1)
	v_fma_f64 v[119:120], v[151:152], v[119:120], v[127:128]
	s_waitcnt vmcnt(17)
	v_fma_f64 v[119:120], v[149:150], v[121:122], v[119:120]
	buffer_load_dword v128, off, s[0:3], 0 offset:428
	buffer_load_dword v141, off, s[0:3], 0 offset:448
	;; [unrolled: 1-line block ×8, first 2 shown]
	s_waitcnt vmcnt(24) lgkmcnt(0)
	v_fma_f64 v[119:120], v[143:144], v[123:124], v[119:120]
	s_waitcnt vmcnt(19)
	v_fma_f64 v[129:130], v[129:130], v[125:126], v[119:120]
	ds_read_b128 v[119:122], v118 offset:832
	ds_read_b128 v[123:126], v118 offset:848
	s_waitcnt vmcnt(18) lgkmcnt(1)
	v_fma_f64 v[119:120], v[137:138], v[119:120], v[129:130]
	buffer_load_dword v130, off, s[0:3], 0 offset:460
	buffer_load_dword v129, off, s[0:3], 0 offset:456
	s_waitcnt vmcnt(19)
	v_fma_f64 v[119:120], v[135:136], v[121:122], v[119:120]
	buffer_load_dword v135, off, s[0:3], 0 offset:136
	buffer_load_dword v136, off, s[0:3], 0 offset:140
	s_waitcnt vmcnt(20) lgkmcnt(0)
	v_fma_f64 v[119:120], v[131:132], v[123:124], v[119:120]
	s_waitcnt vmcnt(15)
	v_fma_f64 v[131:132], v[133:134], v[125:126], v[119:120]
	ds_read_b128 v[119:122], v118 offset:864
	ds_read_b128 v[123:126], v118 offset:880
	s_waitcnt vmcnt(14) lgkmcnt(1)
	v_fma_f64 v[119:120], v[147:148], v[119:120], v[131:132]
	s_waitcnt vmcnt(13)
	v_fma_f64 v[119:120], v[145:146], v[121:122], v[119:120]
	s_waitcnt vmcnt(12) lgkmcnt(0)
	v_fma_f64 v[119:120], v[139:140], v[123:124], v[119:120]
	s_waitcnt vmcnt(7)
	v_fma_f64 v[127:128], v[127:128], v[125:126], v[119:120]
	ds_read_b128 v[119:122], v118 offset:896
	ds_read_b128 v[123:126], v118 offset:912
	s_waitcnt vmcnt(6) lgkmcnt(1)
	v_fma_f64 v[118:119], v[151:152], v[119:120], v[127:128]
	s_waitcnt vmcnt(5)
	v_fma_f64 v[118:119], v[149:150], v[121:122], v[118:119]
	s_waitcnt vmcnt(4) lgkmcnt(0)
	v_fma_f64 v[118:119], v[141:142], v[123:124], v[118:119]
	s_waitcnt vmcnt(2)
	v_fma_f64 v[118:119], v[129:130], v[125:126], v[118:119]
	s_waitcnt vmcnt(0)
	v_add_f64 v[118:119], v[135:136], -v[118:119]
	buffer_store_dword v119, off, s[0:3], 0 offset:140
	buffer_store_dword v118, off, s[0:3], 0 offset:136
	s_and_saveexec_b64 s[4:5], vcc
	s_cbranch_execz .LBB57_323
; %bb.322:
	buffer_load_dword v118, off, s[0:3], 0 offset:128
	buffer_load_dword v119, off, s[0:3], 0 offset:132
	v_mov_b32_e32 v120, 0
	buffer_store_dword v120, off, s[0:3], 0 offset:128
	buffer_store_dword v120, off, s[0:3], 0 offset:132
	s_waitcnt vmcnt(2)
	ds_write_b64 v117, v[118:119]
.LBB57_323:
	s_or_b64 exec, exec, s[4:5]
	s_waitcnt lgkmcnt(0)
	; wave barrier
	buffer_load_dword v127, off, s[0:3], 0 offset:136
	buffer_load_dword v128, off, s[0:3], 0 offset:140
	;; [unrolled: 1-line block ×22, first 2 shown]
	v_mov_b32_e32 v118, 0
	ds_read2_b64 v[119:122], v118 offset0:75 offset1:76
	ds_read2_b64 v[123:126], v118 offset0:77 offset1:78
	v_cmp_lt_u32_e32 vcc, 15, v0
	s_waitcnt vmcnt(20) lgkmcnt(1)
	v_fma_f64 v[119:120], v[127:128], v[119:120], 0
	s_waitcnt vmcnt(18)
	v_fma_f64 v[119:120], v[129:130], v[121:122], v[119:120]
	buffer_load_dword v128, off, s[0:3], 0 offset:228
	buffer_load_dword v129, off, s[0:3], 0 offset:248
	;; [unrolled: 1-line block ×7, first 2 shown]
	s_waitcnt vmcnt(23) lgkmcnt(0)
	v_fma_f64 v[119:120], v[131:132], v[123:124], v[119:120]
	s_waitcnt vmcnt(21)
	v_fma_f64 v[130:131], v[133:134], v[125:126], v[119:120]
	ds_read2_b64 v[119:122], v118 offset0:79 offset1:80
	ds_read2_b64 v[123:126], v118 offset0:81 offset1:82
	s_waitcnt vmcnt(19) lgkmcnt(1)
	v_fma_f64 v[119:120], v[135:136], v[119:120], v[130:131]
	buffer_load_dword v130, off, s[0:3], 0 offset:252
	s_waitcnt vmcnt(18)
	v_fma_f64 v[119:120], v[137:138], v[121:122], v[119:120]
	buffer_load_dword v132, off, s[0:3], 0 offset:260
	buffer_load_dword v133, off, s[0:3], 0 offset:280
	;; [unrolled: 1-line block ×7, first 2 shown]
	s_waitcnt vmcnt(23) lgkmcnt(0)
	v_fma_f64 v[119:120], v[139:140], v[123:124], v[119:120]
	s_waitcnt vmcnt(18)
	v_fma_f64 v[139:140], v[141:142], v[125:126], v[119:120]
	ds_read2_b64 v[119:122], v118 offset0:83 offset1:84
	ds_read2_b64 v[123:126], v118 offset0:85 offset1:86
	buffer_load_dword v134, off, s[0:3], 0 offset:284
	s_waitcnt vmcnt(18) lgkmcnt(1)
	v_fma_f64 v[119:120], v[147:148], v[119:120], v[139:140]
	s_waitcnt vmcnt(17)
	v_fma_f64 v[119:120], v[145:146], v[121:122], v[119:120]
	buffer_load_dword v140, off, s[0:3], 0 offset:292
	buffer_load_dword v141, off, s[0:3], 0 offset:312
	;; [unrolled: 1-line block ×8, first 2 shown]
	s_waitcnt vmcnt(24) lgkmcnt(0)
	v_fma_f64 v[119:120], v[143:144], v[123:124], v[119:120]
	s_waitcnt vmcnt(19)
	v_fma_f64 v[127:128], v[127:128], v[125:126], v[119:120]
	ds_read2_b64 v[119:122], v118 offset0:87 offset1:88
	ds_read2_b64 v[123:126], v118 offset0:89 offset1:90
	s_waitcnt vmcnt(18) lgkmcnt(1)
	v_fma_f64 v[119:120], v[151:152], v[119:120], v[127:128]
	s_waitcnt vmcnt(17)
	v_fma_f64 v[119:120], v[149:150], v[121:122], v[119:120]
	buffer_load_dword v128, off, s[0:3], 0 offset:324
	buffer_load_dword v143, off, s[0:3], 0 offset:344
	;; [unrolled: 1-line block ×7, first 2 shown]
	s_waitcnt vmcnt(23) lgkmcnt(0)
	v_fma_f64 v[119:120], v[129:130], v[123:124], v[119:120]
	s_waitcnt vmcnt(18)
	v_fma_f64 v[129:130], v[131:132], v[125:126], v[119:120]
	ds_read2_b64 v[119:122], v118 offset0:91 offset1:92
	ds_read2_b64 v[123:126], v118 offset0:93 offset1:94
	buffer_load_dword v144, off, s[0:3], 0 offset:348
	s_waitcnt vmcnt(18) lgkmcnt(1)
	v_fma_f64 v[119:120], v[137:138], v[119:120], v[129:130]
	s_waitcnt vmcnt(17)
	v_fma_f64 v[119:120], v[135:136], v[121:122], v[119:120]
	buffer_load_dword v130, off, s[0:3], 0 offset:356
	buffer_load_dword v131, off, s[0:3], 0 offset:376
	;; [unrolled: 1-line block ×7, first 2 shown]
	s_waitcnt vmcnt(23) lgkmcnt(0)
	v_fma_f64 v[119:120], v[133:134], v[123:124], v[119:120]
	s_waitcnt vmcnt(18)
	v_fma_f64 v[132:133], v[139:140], v[125:126], v[119:120]
	ds_read2_b64 v[119:122], v118 offset0:95 offset1:96
	ds_read2_b64 v[123:126], v118 offset0:97 offset1:98
	s_waitcnt vmcnt(17) lgkmcnt(1)
	v_fma_f64 v[119:120], v[147:148], v[119:120], v[132:133]
	buffer_load_dword v132, off, s[0:3], 0 offset:380
	s_waitcnt vmcnt(17)
	v_fma_f64 v[119:120], v[145:146], v[121:122], v[119:120]
	buffer_load_dword v134, off, s[0:3], 0 offset:388
	buffer_load_dword v139, off, s[0:3], 0 offset:408
	;; [unrolled: 1-line block ×8, first 2 shown]
	s_waitcnt vmcnt(24) lgkmcnt(0)
	v_fma_f64 v[119:120], v[141:142], v[123:124], v[119:120]
	s_waitcnt vmcnt(19)
	v_fma_f64 v[127:128], v[127:128], v[125:126], v[119:120]
	ds_read2_b64 v[119:122], v118 offset0:99 offset1:100
	ds_read2_b64 v[123:126], v118 offset0:101 offset1:102
	s_waitcnt vmcnt(18) lgkmcnt(1)
	v_fma_f64 v[119:120], v[151:152], v[119:120], v[127:128]
	s_waitcnt vmcnt(17)
	v_fma_f64 v[119:120], v[149:150], v[121:122], v[119:120]
	buffer_load_dword v128, off, s[0:3], 0 offset:420
	buffer_load_dword v141, off, s[0:3], 0 offset:440
	;; [unrolled: 1-line block ×7, first 2 shown]
	s_waitcnt vmcnt(23) lgkmcnt(0)
	v_fma_f64 v[119:120], v[143:144], v[123:124], v[119:120]
	s_waitcnt vmcnt(18)
	v_fma_f64 v[129:130], v[129:130], v[125:126], v[119:120]
	ds_read2_b64 v[119:122], v118 offset0:103 offset1:104
	ds_read2_b64 v[123:126], v118 offset0:105 offset1:106
	buffer_load_dword v142, off, s[0:3], 0 offset:444
	s_waitcnt vmcnt(18) lgkmcnt(1)
	v_fma_f64 v[119:120], v[137:138], v[119:120], v[129:130]
	s_waitcnt vmcnt(17)
	v_fma_f64 v[119:120], v[135:136], v[121:122], v[119:120]
	buffer_load_dword v130, off, s[0:3], 0 offset:452
	buffer_load_dword v135, off, s[0:3], 0 offset:456
	;; [unrolled: 1-line block ×4, first 2 shown]
	s_waitcnt vmcnt(20) lgkmcnt(0)
	v_fma_f64 v[119:120], v[131:132], v[123:124], v[119:120]
	buffer_load_dword v131, off, s[0:3], 0 offset:128
	buffer_load_dword v132, off, s[0:3], 0 offset:132
	s_waitcnt vmcnt(17)
	v_fma_f64 v[133:134], v[133:134], v[125:126], v[119:120]
	ds_read2_b64 v[119:122], v118 offset0:107 offset1:108
	ds_read2_b64 v[123:126], v118 offset0:109 offset1:110
	s_waitcnt vmcnt(16) lgkmcnt(1)
	v_fma_f64 v[119:120], v[147:148], v[119:120], v[133:134]
	s_waitcnt vmcnt(15)
	v_fma_f64 v[119:120], v[145:146], v[121:122], v[119:120]
	s_waitcnt vmcnt(14) lgkmcnt(0)
	v_fma_f64 v[119:120], v[139:140], v[123:124], v[119:120]
	s_waitcnt vmcnt(9)
	v_fma_f64 v[127:128], v[127:128], v[125:126], v[119:120]
	ds_read2_b64 v[119:122], v118 offset0:111 offset1:112
	ds_read2_b64 v[123:126], v118 offset0:113 offset1:114
	s_waitcnt vmcnt(8) lgkmcnt(1)
	v_fma_f64 v[119:120], v[151:152], v[119:120], v[127:128]
	s_waitcnt vmcnt(7)
	v_fma_f64 v[119:120], v[149:150], v[121:122], v[119:120]
	ds_read_b64 v[121:122], v118 offset:920
	s_waitcnt vmcnt(6) lgkmcnt(1)
	v_fma_f64 v[119:120], v[141:142], v[123:124], v[119:120]
	s_waitcnt vmcnt(3)
	v_fma_f64 v[119:120], v[129:130], v[125:126], v[119:120]
	s_waitcnt vmcnt(2) lgkmcnt(0)
	v_fma_f64 v[119:120], v[135:136], v[121:122], v[119:120]
	s_waitcnt vmcnt(0)
	v_add_f64 v[119:120], v[131:132], -v[119:120]
	buffer_store_dword v120, off, s[0:3], 0 offset:132
	buffer_store_dword v119, off, s[0:3], 0 offset:128
	s_and_saveexec_b64 s[4:5], vcc
	s_cbranch_execz .LBB57_325
; %bb.324:
	buffer_load_dword v119, off, s[0:3], 0 offset:120
	buffer_load_dword v120, off, s[0:3], 0 offset:124
	s_waitcnt vmcnt(0)
	ds_write_b64 v117, v[119:120]
	buffer_store_dword v118, off, s[0:3], 0 offset:120
	buffer_store_dword v118, off, s[0:3], 0 offset:124
.LBB57_325:
	s_or_b64 exec, exec, s[4:5]
	s_waitcnt lgkmcnt(0)
	; wave barrier
	buffer_load_dword v127, off, s[0:3], 0 offset:128
	buffer_load_dword v128, off, s[0:3], 0 offset:132
	;; [unrolled: 1-line block ×22, first 2 shown]
	ds_read_b128 v[119:122], v118 offset:592
	ds_read_b128 v[123:126], v118 offset:608
	v_cmp_lt_u32_e32 vcc, 14, v0
	s_waitcnt vmcnt(20) lgkmcnt(1)
	v_fma_f64 v[119:120], v[127:128], v[119:120], 0
	s_waitcnt vmcnt(18)
	v_fma_f64 v[119:120], v[129:130], v[121:122], v[119:120]
	buffer_load_dword v128, off, s[0:3], 0 offset:220
	buffer_load_dword v129, off, s[0:3], 0 offset:240
	;; [unrolled: 1-line block ×7, first 2 shown]
	s_waitcnt vmcnt(23) lgkmcnt(0)
	v_fma_f64 v[119:120], v[131:132], v[123:124], v[119:120]
	s_waitcnt vmcnt(21)
	v_fma_f64 v[130:131], v[133:134], v[125:126], v[119:120]
	ds_read_b128 v[119:122], v118 offset:624
	ds_read_b128 v[123:126], v118 offset:640
	s_waitcnt vmcnt(19) lgkmcnt(1)
	v_fma_f64 v[119:120], v[135:136], v[119:120], v[130:131]
	buffer_load_dword v130, off, s[0:3], 0 offset:244
	s_waitcnt vmcnt(18)
	v_fma_f64 v[119:120], v[137:138], v[121:122], v[119:120]
	buffer_load_dword v132, off, s[0:3], 0 offset:252
	buffer_load_dword v133, off, s[0:3], 0 offset:272
	;; [unrolled: 1-line block ×7, first 2 shown]
	s_waitcnt vmcnt(23) lgkmcnt(0)
	v_fma_f64 v[119:120], v[139:140], v[123:124], v[119:120]
	s_waitcnt vmcnt(18)
	v_fma_f64 v[139:140], v[141:142], v[125:126], v[119:120]
	ds_read_b128 v[119:122], v118 offset:656
	ds_read_b128 v[123:126], v118 offset:672
	buffer_load_dword v134, off, s[0:3], 0 offset:276
	s_waitcnt vmcnt(18) lgkmcnt(1)
	v_fma_f64 v[119:120], v[147:148], v[119:120], v[139:140]
	s_waitcnt vmcnt(17)
	v_fma_f64 v[119:120], v[145:146], v[121:122], v[119:120]
	buffer_load_dword v140, off, s[0:3], 0 offset:284
	buffer_load_dword v141, off, s[0:3], 0 offset:304
	;; [unrolled: 1-line block ×8, first 2 shown]
	s_waitcnt vmcnt(24) lgkmcnt(0)
	v_fma_f64 v[119:120], v[143:144], v[123:124], v[119:120]
	s_waitcnt vmcnt(19)
	v_fma_f64 v[127:128], v[127:128], v[125:126], v[119:120]
	ds_read_b128 v[119:122], v118 offset:688
	ds_read_b128 v[123:126], v118 offset:704
	s_waitcnt vmcnt(18) lgkmcnt(1)
	v_fma_f64 v[119:120], v[151:152], v[119:120], v[127:128]
	s_waitcnt vmcnt(17)
	v_fma_f64 v[119:120], v[149:150], v[121:122], v[119:120]
	buffer_load_dword v128, off, s[0:3], 0 offset:316
	buffer_load_dword v143, off, s[0:3], 0 offset:336
	;; [unrolled: 1-line block ×8, first 2 shown]
	s_waitcnt vmcnt(24) lgkmcnt(0)
	v_fma_f64 v[119:120], v[129:130], v[123:124], v[119:120]
	s_waitcnt vmcnt(19)
	v_fma_f64 v[129:130], v[131:132], v[125:126], v[119:120]
	ds_read_b128 v[119:122], v118 offset:720
	ds_read_b128 v[123:126], v118 offset:736
	s_waitcnt vmcnt(18) lgkmcnt(1)
	v_fma_f64 v[119:120], v[137:138], v[119:120], v[129:130]
	s_waitcnt vmcnt(17)
	v_fma_f64 v[119:120], v[135:136], v[121:122], v[119:120]
	buffer_load_dword v130, off, s[0:3], 0 offset:348
	buffer_load_dword v131, off, s[0:3], 0 offset:368
	;; [unrolled: 1-line block ×7, first 2 shown]
	s_waitcnt vmcnt(23) lgkmcnt(0)
	v_fma_f64 v[119:120], v[133:134], v[123:124], v[119:120]
	s_waitcnt vmcnt(18)
	v_fma_f64 v[132:133], v[139:140], v[125:126], v[119:120]
	ds_read_b128 v[119:122], v118 offset:752
	ds_read_b128 v[123:126], v118 offset:768
	s_waitcnt vmcnt(17) lgkmcnt(1)
	v_fma_f64 v[119:120], v[147:148], v[119:120], v[132:133]
	buffer_load_dword v132, off, s[0:3], 0 offset:372
	s_waitcnt vmcnt(17)
	v_fma_f64 v[119:120], v[145:146], v[121:122], v[119:120]
	buffer_load_dword v134, off, s[0:3], 0 offset:380
	buffer_load_dword v139, off, s[0:3], 0 offset:400
	;; [unrolled: 1-line block ×8, first 2 shown]
	s_waitcnt vmcnt(24) lgkmcnt(0)
	v_fma_f64 v[119:120], v[141:142], v[123:124], v[119:120]
	s_waitcnt vmcnt(19)
	v_fma_f64 v[127:128], v[127:128], v[125:126], v[119:120]
	ds_read_b128 v[119:122], v118 offset:784
	ds_read_b128 v[123:126], v118 offset:800
	s_waitcnt vmcnt(18) lgkmcnt(1)
	v_fma_f64 v[119:120], v[151:152], v[119:120], v[127:128]
	s_waitcnt vmcnt(17)
	v_fma_f64 v[119:120], v[149:150], v[121:122], v[119:120]
	buffer_load_dword v128, off, s[0:3], 0 offset:412
	buffer_load_dword v141, off, s[0:3], 0 offset:432
	;; [unrolled: 1-line block ×8, first 2 shown]
	s_waitcnt vmcnt(24) lgkmcnt(0)
	v_fma_f64 v[119:120], v[143:144], v[123:124], v[119:120]
	s_waitcnt vmcnt(19)
	v_fma_f64 v[129:130], v[129:130], v[125:126], v[119:120]
	ds_read_b128 v[119:122], v118 offset:816
	ds_read_b128 v[123:126], v118 offset:832
	s_waitcnt vmcnt(18) lgkmcnt(1)
	v_fma_f64 v[119:120], v[137:138], v[119:120], v[129:130]
	s_waitcnt vmcnt(17)
	v_fma_f64 v[119:120], v[135:136], v[121:122], v[119:120]
	buffer_load_dword v130, off, s[0:3], 0 offset:444
	buffer_load_dword v135, off, s[0:3], 0 offset:456
	;; [unrolled: 1-line block ×6, first 2 shown]
	s_waitcnt vmcnt(22) lgkmcnt(0)
	v_fma_f64 v[119:120], v[131:132], v[123:124], v[119:120]
	s_waitcnt vmcnt(17)
	v_fma_f64 v[131:132], v[133:134], v[125:126], v[119:120]
	ds_read_b128 v[119:122], v118 offset:848
	buffer_load_dword v133, off, s[0:3], 0 offset:120
	buffer_load_dword v134, off, s[0:3], 0 offset:124
	ds_read_b128 v[123:126], v118 offset:864
	s_waitcnt vmcnt(18) lgkmcnt(1)
	v_fma_f64 v[119:120], v[147:148], v[119:120], v[131:132]
	s_waitcnt vmcnt(17)
	v_fma_f64 v[119:120], v[145:146], v[121:122], v[119:120]
	s_waitcnt vmcnt(16) lgkmcnt(0)
	v_fma_f64 v[119:120], v[139:140], v[123:124], v[119:120]
	s_waitcnt vmcnt(11)
	v_fma_f64 v[127:128], v[127:128], v[125:126], v[119:120]
	ds_read_b128 v[119:122], v118 offset:880
	ds_read_b128 v[123:126], v118 offset:896
	s_waitcnt vmcnt(10) lgkmcnt(1)
	v_fma_f64 v[119:120], v[151:152], v[119:120], v[127:128]
	s_waitcnt vmcnt(9)
	v_fma_f64 v[119:120], v[149:150], v[121:122], v[119:120]
	s_waitcnt vmcnt(8) lgkmcnt(0)
	v_fma_f64 v[119:120], v[141:142], v[123:124], v[119:120]
	s_waitcnt vmcnt(4)
	v_fma_f64 v[122:123], v[129:130], v[125:126], v[119:120]
	ds_read_b128 v[118:121], v118 offset:912
	s_waitcnt vmcnt(3) lgkmcnt(0)
	v_fma_f64 v[118:119], v[137:138], v[118:119], v[122:123]
	s_waitcnt vmcnt(2)
	v_fma_f64 v[118:119], v[135:136], v[120:121], v[118:119]
	s_waitcnt vmcnt(0)
	v_add_f64 v[118:119], v[133:134], -v[118:119]
	buffer_store_dword v119, off, s[0:3], 0 offset:124
	buffer_store_dword v118, off, s[0:3], 0 offset:120
	s_and_saveexec_b64 s[4:5], vcc
	s_cbranch_execz .LBB57_327
; %bb.326:
	buffer_load_dword v118, off, s[0:3], 0 offset:112
	buffer_load_dword v119, off, s[0:3], 0 offset:116
	v_mov_b32_e32 v120, 0
	buffer_store_dword v120, off, s[0:3], 0 offset:112
	buffer_store_dword v120, off, s[0:3], 0 offset:116
	s_waitcnt vmcnt(2)
	ds_write_b64 v117, v[118:119]
.LBB57_327:
	s_or_b64 exec, exec, s[4:5]
	s_waitcnt lgkmcnt(0)
	; wave barrier
	buffer_load_dword v127, off, s[0:3], 0 offset:120
	buffer_load_dword v128, off, s[0:3], 0 offset:124
	;; [unrolled: 1-line block ×22, first 2 shown]
	v_mov_b32_e32 v118, 0
	ds_read2_b64 v[119:122], v118 offset0:73 offset1:74
	ds_read2_b64 v[123:126], v118 offset0:75 offset1:76
	v_cmp_lt_u32_e32 vcc, 13, v0
	s_waitcnt vmcnt(20) lgkmcnt(1)
	v_fma_f64 v[119:120], v[127:128], v[119:120], 0
	s_waitcnt vmcnt(18)
	v_fma_f64 v[119:120], v[129:130], v[121:122], v[119:120]
	buffer_load_dword v128, off, s[0:3], 0 offset:212
	buffer_load_dword v129, off, s[0:3], 0 offset:232
	;; [unrolled: 1-line block ×7, first 2 shown]
	s_waitcnt vmcnt(23) lgkmcnt(0)
	v_fma_f64 v[119:120], v[131:132], v[123:124], v[119:120]
	s_waitcnt vmcnt(21)
	v_fma_f64 v[130:131], v[133:134], v[125:126], v[119:120]
	ds_read2_b64 v[119:122], v118 offset0:77 offset1:78
	ds_read2_b64 v[123:126], v118 offset0:79 offset1:80
	s_waitcnt vmcnt(19) lgkmcnt(1)
	v_fma_f64 v[119:120], v[135:136], v[119:120], v[130:131]
	buffer_load_dword v130, off, s[0:3], 0 offset:236
	s_waitcnt vmcnt(18)
	v_fma_f64 v[119:120], v[137:138], v[121:122], v[119:120]
	buffer_load_dword v132, off, s[0:3], 0 offset:244
	buffer_load_dword v133, off, s[0:3], 0 offset:264
	;; [unrolled: 1-line block ×7, first 2 shown]
	s_waitcnt vmcnt(23) lgkmcnt(0)
	v_fma_f64 v[119:120], v[139:140], v[123:124], v[119:120]
	s_waitcnt vmcnt(18)
	v_fma_f64 v[139:140], v[141:142], v[125:126], v[119:120]
	ds_read2_b64 v[119:122], v118 offset0:81 offset1:82
	ds_read2_b64 v[123:126], v118 offset0:83 offset1:84
	buffer_load_dword v134, off, s[0:3], 0 offset:268
	s_waitcnt vmcnt(18) lgkmcnt(1)
	v_fma_f64 v[119:120], v[147:148], v[119:120], v[139:140]
	s_waitcnt vmcnt(17)
	v_fma_f64 v[119:120], v[145:146], v[121:122], v[119:120]
	buffer_load_dword v140, off, s[0:3], 0 offset:276
	buffer_load_dword v141, off, s[0:3], 0 offset:296
	;; [unrolled: 1-line block ×8, first 2 shown]
	s_waitcnt vmcnt(24) lgkmcnt(0)
	v_fma_f64 v[119:120], v[143:144], v[123:124], v[119:120]
	s_waitcnt vmcnt(19)
	v_fma_f64 v[127:128], v[127:128], v[125:126], v[119:120]
	ds_read2_b64 v[119:122], v118 offset0:85 offset1:86
	ds_read2_b64 v[123:126], v118 offset0:87 offset1:88
	s_waitcnt vmcnt(18) lgkmcnt(1)
	v_fma_f64 v[119:120], v[151:152], v[119:120], v[127:128]
	s_waitcnt vmcnt(17)
	v_fma_f64 v[119:120], v[149:150], v[121:122], v[119:120]
	buffer_load_dword v128, off, s[0:3], 0 offset:308
	buffer_load_dword v143, off, s[0:3], 0 offset:328
	;; [unrolled: 1-line block ×8, first 2 shown]
	s_waitcnt vmcnt(24) lgkmcnt(0)
	v_fma_f64 v[119:120], v[129:130], v[123:124], v[119:120]
	s_waitcnt vmcnt(19)
	v_fma_f64 v[129:130], v[131:132], v[125:126], v[119:120]
	ds_read2_b64 v[119:122], v118 offset0:89 offset1:90
	ds_read2_b64 v[123:126], v118 offset0:91 offset1:92
	s_waitcnt vmcnt(18) lgkmcnt(1)
	v_fma_f64 v[119:120], v[137:138], v[119:120], v[129:130]
	s_waitcnt vmcnt(17)
	v_fma_f64 v[119:120], v[135:136], v[121:122], v[119:120]
	buffer_load_dword v130, off, s[0:3], 0 offset:340
	buffer_load_dword v131, off, s[0:3], 0 offset:360
	buffer_load_dword v135, off, s[0:3], 0 offset:352
	buffer_load_dword v137, off, s[0:3], 0 offset:344
	buffer_load_dword v129, off, s[0:3], 0 offset:336
	buffer_load_dword v138, off, s[0:3], 0 offset:348
	buffer_load_dword v136, off, s[0:3], 0 offset:356
	s_waitcnt vmcnt(23) lgkmcnt(0)
	v_fma_f64 v[119:120], v[133:134], v[123:124], v[119:120]
	s_waitcnt vmcnt(18)
	v_fma_f64 v[132:133], v[139:140], v[125:126], v[119:120]
	ds_read2_b64 v[119:122], v118 offset0:93 offset1:94
	ds_read2_b64 v[123:126], v118 offset0:95 offset1:96
	s_waitcnt vmcnt(17) lgkmcnt(1)
	v_fma_f64 v[119:120], v[147:148], v[119:120], v[132:133]
	buffer_load_dword v132, off, s[0:3], 0 offset:364
	s_waitcnt vmcnt(17)
	v_fma_f64 v[119:120], v[145:146], v[121:122], v[119:120]
	buffer_load_dword v134, off, s[0:3], 0 offset:372
	buffer_load_dword v139, off, s[0:3], 0 offset:392
	buffer_load_dword v145, off, s[0:3], 0 offset:384
	buffer_load_dword v147, off, s[0:3], 0 offset:376
	buffer_load_dword v133, off, s[0:3], 0 offset:368
	buffer_load_dword v148, off, s[0:3], 0 offset:380
	buffer_load_dword v146, off, s[0:3], 0 offset:388
	buffer_load_dword v140, off, s[0:3], 0 offset:396
	s_waitcnt vmcnt(24) lgkmcnt(0)
	v_fma_f64 v[119:120], v[141:142], v[123:124], v[119:120]
	s_waitcnt vmcnt(19)
	v_fma_f64 v[127:128], v[127:128], v[125:126], v[119:120]
	ds_read2_b64 v[119:122], v118 offset0:97 offset1:98
	ds_read2_b64 v[123:126], v118 offset0:99 offset1:100
	s_waitcnt vmcnt(18) lgkmcnt(1)
	v_fma_f64 v[119:120], v[151:152], v[119:120], v[127:128]
	s_waitcnt vmcnt(17)
	v_fma_f64 v[119:120], v[149:150], v[121:122], v[119:120]
	buffer_load_dword v128, off, s[0:3], 0 offset:404
	buffer_load_dword v141, off, s[0:3], 0 offset:424
	buffer_load_dword v149, off, s[0:3], 0 offset:416
	buffer_load_dword v151, off, s[0:3], 0 offset:408
	buffer_load_dword v127, off, s[0:3], 0 offset:400
	buffer_load_dword v152, off, s[0:3], 0 offset:412
	buffer_load_dword v150, off, s[0:3], 0 offset:420
	buffer_load_dword v142, off, s[0:3], 0 offset:428
	s_waitcnt vmcnt(24) lgkmcnt(0)
	v_fma_f64 v[119:120], v[143:144], v[123:124], v[119:120]
	s_waitcnt vmcnt(19)
	v_fma_f64 v[129:130], v[129:130], v[125:126], v[119:120]
	ds_read2_b64 v[119:122], v118 offset0:101 offset1:102
	ds_read2_b64 v[123:126], v118 offset0:103 offset1:104
	s_waitcnt vmcnt(18) lgkmcnt(1)
	v_fma_f64 v[119:120], v[137:138], v[119:120], v[129:130]
	s_waitcnt vmcnt(17)
	v_fma_f64 v[119:120], v[135:136], v[121:122], v[119:120]
	buffer_load_dword v130, off, s[0:3], 0 offset:436
	buffer_load_dword v135, off, s[0:3], 0 offset:456
	buffer_load_dword v137, off, s[0:3], 0 offset:448
	buffer_load_dword v143, off, s[0:3], 0 offset:440
	buffer_load_dword v129, off, s[0:3], 0 offset:432
	buffer_load_dword v144, off, s[0:3], 0 offset:444
	buffer_load_dword v138, off, s[0:3], 0 offset:452
	buffer_load_dword v136, off, s[0:3], 0 offset:460
	s_waitcnt vmcnt(24) lgkmcnt(0)
	v_fma_f64 v[119:120], v[131:132], v[123:124], v[119:120]
	s_waitcnt vmcnt(19)
	v_fma_f64 v[131:132], v[133:134], v[125:126], v[119:120]
	ds_read2_b64 v[119:122], v118 offset0:105 offset1:106
	ds_read2_b64 v[123:126], v118 offset0:107 offset1:108
	s_waitcnt vmcnt(18) lgkmcnt(1)
	v_fma_f64 v[119:120], v[147:148], v[119:120], v[131:132]
	buffer_load_dword v131, off, s[0:3], 0 offset:112
	buffer_load_dword v132, off, s[0:3], 0 offset:116
	s_waitcnt vmcnt(19)
	v_fma_f64 v[119:120], v[145:146], v[121:122], v[119:120]
	s_waitcnt vmcnt(18) lgkmcnt(0)
	v_fma_f64 v[119:120], v[139:140], v[123:124], v[119:120]
	s_waitcnt vmcnt(13)
	v_fma_f64 v[127:128], v[127:128], v[125:126], v[119:120]
	ds_read2_b64 v[119:122], v118 offset0:109 offset1:110
	ds_read2_b64 v[123:126], v118 offset0:111 offset1:112
	s_waitcnt vmcnt(12) lgkmcnt(1)
	v_fma_f64 v[119:120], v[151:152], v[119:120], v[127:128]
	s_waitcnt vmcnt(11)
	v_fma_f64 v[119:120], v[149:150], v[121:122], v[119:120]
	s_waitcnt vmcnt(10) lgkmcnt(0)
	v_fma_f64 v[119:120], v[141:142], v[123:124], v[119:120]
	s_waitcnt vmcnt(5)
	v_fma_f64 v[123:124], v[129:130], v[125:126], v[119:120]
	ds_read2_b64 v[119:122], v118 offset0:113 offset1:114
	ds_read_b64 v[125:126], v118 offset:920
	s_waitcnt vmcnt(4) lgkmcnt(1)
	v_fma_f64 v[119:120], v[143:144], v[119:120], v[123:124]
	s_waitcnt vmcnt(3)
	v_fma_f64 v[119:120], v[137:138], v[121:122], v[119:120]
	s_waitcnt vmcnt(2) lgkmcnt(0)
	v_fma_f64 v[119:120], v[135:136], v[125:126], v[119:120]
	s_waitcnt vmcnt(0)
	v_add_f64 v[119:120], v[131:132], -v[119:120]
	buffer_store_dword v120, off, s[0:3], 0 offset:116
	buffer_store_dword v119, off, s[0:3], 0 offset:112
	s_and_saveexec_b64 s[4:5], vcc
	s_cbranch_execz .LBB57_329
; %bb.328:
	buffer_load_dword v119, off, s[0:3], 0 offset:104
	buffer_load_dword v120, off, s[0:3], 0 offset:108
	s_waitcnt vmcnt(0)
	ds_write_b64 v117, v[119:120]
	buffer_store_dword v118, off, s[0:3], 0 offset:104
	buffer_store_dword v118, off, s[0:3], 0 offset:108
.LBB57_329:
	s_or_b64 exec, exec, s[4:5]
	s_waitcnt lgkmcnt(0)
	; wave barrier
	buffer_load_dword v127, off, s[0:3], 0 offset:112
	buffer_load_dword v128, off, s[0:3], 0 offset:116
	;; [unrolled: 1-line block ×22, first 2 shown]
	ds_read_b128 v[119:122], v118 offset:576
	ds_read_b128 v[123:126], v118 offset:592
	v_cmp_lt_u32_e32 vcc, 12, v0
	s_waitcnt vmcnt(20) lgkmcnt(1)
	v_fma_f64 v[119:120], v[127:128], v[119:120], 0
	s_waitcnt vmcnt(18)
	v_fma_f64 v[119:120], v[129:130], v[121:122], v[119:120]
	buffer_load_dword v128, off, s[0:3], 0 offset:204
	buffer_load_dword v129, off, s[0:3], 0 offset:224
	;; [unrolled: 1-line block ×7, first 2 shown]
	s_waitcnt vmcnt(23) lgkmcnt(0)
	v_fma_f64 v[119:120], v[131:132], v[123:124], v[119:120]
	s_waitcnt vmcnt(21)
	v_fma_f64 v[130:131], v[133:134], v[125:126], v[119:120]
	ds_read_b128 v[119:122], v118 offset:608
	ds_read_b128 v[123:126], v118 offset:624
	s_waitcnt vmcnt(19) lgkmcnt(1)
	v_fma_f64 v[119:120], v[135:136], v[119:120], v[130:131]
	buffer_load_dword v130, off, s[0:3], 0 offset:228
	s_waitcnt vmcnt(18)
	v_fma_f64 v[119:120], v[137:138], v[121:122], v[119:120]
	buffer_load_dword v132, off, s[0:3], 0 offset:236
	buffer_load_dword v133, off, s[0:3], 0 offset:256
	;; [unrolled: 1-line block ×7, first 2 shown]
	s_waitcnt vmcnt(23) lgkmcnt(0)
	v_fma_f64 v[119:120], v[139:140], v[123:124], v[119:120]
	s_waitcnt vmcnt(18)
	v_fma_f64 v[139:140], v[141:142], v[125:126], v[119:120]
	ds_read_b128 v[119:122], v118 offset:640
	ds_read_b128 v[123:126], v118 offset:656
	buffer_load_dword v134, off, s[0:3], 0 offset:260
	s_waitcnt vmcnt(18) lgkmcnt(1)
	v_fma_f64 v[119:120], v[147:148], v[119:120], v[139:140]
	s_waitcnt vmcnt(17)
	v_fma_f64 v[119:120], v[145:146], v[121:122], v[119:120]
	buffer_load_dword v140, off, s[0:3], 0 offset:268
	buffer_load_dword v141, off, s[0:3], 0 offset:288
	;; [unrolled: 1-line block ×8, first 2 shown]
	s_waitcnt vmcnt(24) lgkmcnt(0)
	v_fma_f64 v[119:120], v[143:144], v[123:124], v[119:120]
	s_waitcnt vmcnt(19)
	v_fma_f64 v[127:128], v[127:128], v[125:126], v[119:120]
	ds_read_b128 v[119:122], v118 offset:672
	ds_read_b128 v[123:126], v118 offset:688
	s_waitcnt vmcnt(18) lgkmcnt(1)
	v_fma_f64 v[119:120], v[151:152], v[119:120], v[127:128]
	s_waitcnt vmcnt(17)
	v_fma_f64 v[119:120], v[149:150], v[121:122], v[119:120]
	buffer_load_dword v128, off, s[0:3], 0 offset:300
	buffer_load_dword v143, off, s[0:3], 0 offset:320
	;; [unrolled: 1-line block ×8, first 2 shown]
	s_waitcnt vmcnt(24) lgkmcnt(0)
	v_fma_f64 v[119:120], v[129:130], v[123:124], v[119:120]
	s_waitcnt vmcnt(19)
	v_fma_f64 v[129:130], v[131:132], v[125:126], v[119:120]
	ds_read_b128 v[119:122], v118 offset:704
	ds_read_b128 v[123:126], v118 offset:720
	s_waitcnt vmcnt(18) lgkmcnt(1)
	v_fma_f64 v[119:120], v[137:138], v[119:120], v[129:130]
	s_waitcnt vmcnt(17)
	v_fma_f64 v[119:120], v[135:136], v[121:122], v[119:120]
	buffer_load_dword v130, off, s[0:3], 0 offset:332
	buffer_load_dword v131, off, s[0:3], 0 offset:352
	;; [unrolled: 1-line block ×7, first 2 shown]
	s_waitcnt vmcnt(23) lgkmcnt(0)
	v_fma_f64 v[119:120], v[133:134], v[123:124], v[119:120]
	s_waitcnt vmcnt(18)
	v_fma_f64 v[132:133], v[139:140], v[125:126], v[119:120]
	ds_read_b128 v[119:122], v118 offset:736
	ds_read_b128 v[123:126], v118 offset:752
	s_waitcnt vmcnt(17) lgkmcnt(1)
	v_fma_f64 v[119:120], v[147:148], v[119:120], v[132:133]
	buffer_load_dword v132, off, s[0:3], 0 offset:356
	s_waitcnt vmcnt(17)
	v_fma_f64 v[119:120], v[145:146], v[121:122], v[119:120]
	buffer_load_dword v134, off, s[0:3], 0 offset:364
	buffer_load_dword v139, off, s[0:3], 0 offset:384
	buffer_load_dword v145, off, s[0:3], 0 offset:376
	buffer_load_dword v147, off, s[0:3], 0 offset:368
	buffer_load_dword v133, off, s[0:3], 0 offset:360
	buffer_load_dword v148, off, s[0:3], 0 offset:372
	buffer_load_dword v146, off, s[0:3], 0 offset:380
	buffer_load_dword v140, off, s[0:3], 0 offset:388
	s_waitcnt vmcnt(24) lgkmcnt(0)
	v_fma_f64 v[119:120], v[141:142], v[123:124], v[119:120]
	s_waitcnt vmcnt(19)
	v_fma_f64 v[127:128], v[127:128], v[125:126], v[119:120]
	ds_read_b128 v[119:122], v118 offset:768
	ds_read_b128 v[123:126], v118 offset:784
	s_waitcnt vmcnt(18) lgkmcnt(1)
	v_fma_f64 v[119:120], v[151:152], v[119:120], v[127:128]
	s_waitcnt vmcnt(17)
	v_fma_f64 v[119:120], v[149:150], v[121:122], v[119:120]
	buffer_load_dword v128, off, s[0:3], 0 offset:396
	buffer_load_dword v141, off, s[0:3], 0 offset:416
	buffer_load_dword v149, off, s[0:3], 0 offset:408
	buffer_load_dword v151, off, s[0:3], 0 offset:400
	buffer_load_dword v127, off, s[0:3], 0 offset:392
	buffer_load_dword v152, off, s[0:3], 0 offset:404
	buffer_load_dword v150, off, s[0:3], 0 offset:412
	buffer_load_dword v142, off, s[0:3], 0 offset:420
	s_waitcnt vmcnt(24) lgkmcnt(0)
	v_fma_f64 v[119:120], v[143:144], v[123:124], v[119:120]
	s_waitcnt vmcnt(19)
	v_fma_f64 v[129:130], v[129:130], v[125:126], v[119:120]
	ds_read_b128 v[119:122], v118 offset:800
	ds_read_b128 v[123:126], v118 offset:816
	s_waitcnt vmcnt(18) lgkmcnt(1)
	v_fma_f64 v[119:120], v[137:138], v[119:120], v[129:130]
	s_waitcnt vmcnt(17)
	v_fma_f64 v[119:120], v[135:136], v[121:122], v[119:120]
	buffer_load_dword v130, off, s[0:3], 0 offset:428
	buffer_load_dword v135, off, s[0:3], 0 offset:448
	buffer_load_dword v137, off, s[0:3], 0 offset:440
	buffer_load_dword v143, off, s[0:3], 0 offset:432
	buffer_load_dword v129, off, s[0:3], 0 offset:424
	buffer_load_dword v144, off, s[0:3], 0 offset:436
	buffer_load_dword v138, off, s[0:3], 0 offset:444
	buffer_load_dword v136, off, s[0:3], 0 offset:452
	s_waitcnt vmcnt(24) lgkmcnt(0)
	v_fma_f64 v[119:120], v[131:132], v[123:124], v[119:120]
	s_waitcnt vmcnt(19)
	v_fma_f64 v[131:132], v[133:134], v[125:126], v[119:120]
	ds_read_b128 v[119:122], v118 offset:832
	ds_read_b128 v[123:126], v118 offset:848
	s_waitcnt vmcnt(18) lgkmcnt(1)
	v_fma_f64 v[119:120], v[147:148], v[119:120], v[131:132]
	buffer_load_dword v132, off, s[0:3], 0 offset:460
	buffer_load_dword v131, off, s[0:3], 0 offset:456
	;; [unrolled: 1-line block ×4, first 2 shown]
	s_waitcnt vmcnt(21)
	v_fma_f64 v[119:120], v[145:146], v[121:122], v[119:120]
	s_waitcnt vmcnt(20) lgkmcnt(0)
	v_fma_f64 v[119:120], v[139:140], v[123:124], v[119:120]
	s_waitcnt vmcnt(15)
	v_fma_f64 v[127:128], v[127:128], v[125:126], v[119:120]
	ds_read_b128 v[119:122], v118 offset:864
	ds_read_b128 v[123:126], v118 offset:880
	s_waitcnt vmcnt(14) lgkmcnt(1)
	v_fma_f64 v[119:120], v[151:152], v[119:120], v[127:128]
	s_waitcnt vmcnt(13)
	v_fma_f64 v[119:120], v[149:150], v[121:122], v[119:120]
	s_waitcnt vmcnt(12) lgkmcnt(0)
	v_fma_f64 v[119:120], v[141:142], v[123:124], v[119:120]
	s_waitcnt vmcnt(7)
	v_fma_f64 v[127:128], v[129:130], v[125:126], v[119:120]
	ds_read_b128 v[119:122], v118 offset:896
	ds_read_b128 v[123:126], v118 offset:912
	s_waitcnt vmcnt(6) lgkmcnt(1)
	v_fma_f64 v[118:119], v[143:144], v[119:120], v[127:128]
	s_waitcnt vmcnt(5)
	v_fma_f64 v[118:119], v[137:138], v[121:122], v[118:119]
	s_waitcnt vmcnt(4) lgkmcnt(0)
	v_fma_f64 v[118:119], v[135:136], v[123:124], v[118:119]
	s_waitcnt vmcnt(2)
	v_fma_f64 v[118:119], v[131:132], v[125:126], v[118:119]
	s_waitcnt vmcnt(0)
	v_add_f64 v[118:119], v[133:134], -v[118:119]
	buffer_store_dword v119, off, s[0:3], 0 offset:108
	buffer_store_dword v118, off, s[0:3], 0 offset:104
	s_and_saveexec_b64 s[4:5], vcc
	s_cbranch_execz .LBB57_331
; %bb.330:
	buffer_load_dword v118, off, s[0:3], 0 offset:96
	buffer_load_dword v119, off, s[0:3], 0 offset:100
	v_mov_b32_e32 v120, 0
	buffer_store_dword v120, off, s[0:3], 0 offset:96
	buffer_store_dword v120, off, s[0:3], 0 offset:100
	s_waitcnt vmcnt(2)
	ds_write_b64 v117, v[118:119]
.LBB57_331:
	s_or_b64 exec, exec, s[4:5]
	s_waitcnt lgkmcnt(0)
	; wave barrier
	buffer_load_dword v127, off, s[0:3], 0 offset:104
	buffer_load_dword v128, off, s[0:3], 0 offset:108
	;; [unrolled: 1-line block ×21, first 2 shown]
	v_mov_b32_e32 v118, 0
	ds_read2_b64 v[119:122], v118 offset0:71 offset1:72
	ds_read2_b64 v[123:126], v118 offset0:73 offset1:74
	buffer_load_dword v144, off, s[0:3], 0 offset:188
	v_cmp_lt_u32_e32 vcc, 11, v0
	s_waitcnt vmcnt(20) lgkmcnt(1)
	v_fma_f64 v[119:120], v[127:128], v[119:120], 0
	s_waitcnt vmcnt(18)
	v_fma_f64 v[119:120], v[129:130], v[121:122], v[119:120]
	buffer_load_dword v128, off, s[0:3], 0 offset:196
	buffer_load_dword v129, off, s[0:3], 0 offset:216
	;; [unrolled: 1-line block ×7, first 2 shown]
	s_waitcnt vmcnt(23) lgkmcnt(0)
	v_fma_f64 v[119:120], v[131:132], v[123:124], v[119:120]
	s_waitcnt vmcnt(21)
	v_fma_f64 v[130:131], v[133:134], v[125:126], v[119:120]
	ds_read2_b64 v[119:122], v118 offset0:75 offset1:76
	ds_read2_b64 v[123:126], v118 offset0:77 offset1:78
	s_waitcnt vmcnt(19) lgkmcnt(1)
	v_fma_f64 v[119:120], v[135:136], v[119:120], v[130:131]
	buffer_load_dword v130, off, s[0:3], 0 offset:220
	s_waitcnt vmcnt(18)
	v_fma_f64 v[119:120], v[137:138], v[121:122], v[119:120]
	buffer_load_dword v132, off, s[0:3], 0 offset:228
	buffer_load_dword v133, off, s[0:3], 0 offset:248
	;; [unrolled: 1-line block ×7, first 2 shown]
	s_waitcnt vmcnt(23) lgkmcnt(0)
	v_fma_f64 v[119:120], v[139:140], v[123:124], v[119:120]
	s_waitcnt vmcnt(18)
	v_fma_f64 v[139:140], v[141:142], v[125:126], v[119:120]
	ds_read2_b64 v[119:122], v118 offset0:79 offset1:80
	ds_read2_b64 v[123:126], v118 offset0:81 offset1:82
	buffer_load_dword v134, off, s[0:3], 0 offset:252
	s_waitcnt vmcnt(18) lgkmcnt(1)
	v_fma_f64 v[119:120], v[147:148], v[119:120], v[139:140]
	s_waitcnt vmcnt(17)
	v_fma_f64 v[119:120], v[145:146], v[121:122], v[119:120]
	buffer_load_dword v140, off, s[0:3], 0 offset:260
	buffer_load_dword v141, off, s[0:3], 0 offset:280
	;; [unrolled: 1-line block ×7, first 2 shown]
	s_waitcnt vmcnt(23) lgkmcnt(0)
	v_fma_f64 v[119:120], v[143:144], v[123:124], v[119:120]
	s_waitcnt vmcnt(18)
	v_fma_f64 v[127:128], v[127:128], v[125:126], v[119:120]
	ds_read2_b64 v[119:122], v118 offset0:83 offset1:84
	ds_read2_b64 v[123:126], v118 offset0:85 offset1:86
	buffer_load_dword v142, off, s[0:3], 0 offset:284
	s_waitcnt vmcnt(18) lgkmcnt(1)
	v_fma_f64 v[119:120], v[151:152], v[119:120], v[127:128]
	s_waitcnt vmcnt(17)
	v_fma_f64 v[119:120], v[149:150], v[121:122], v[119:120]
	buffer_load_dword v128, off, s[0:3], 0 offset:292
	buffer_load_dword v143, off, s[0:3], 0 offset:312
	;; [unrolled: 1-line block ×8, first 2 shown]
	s_waitcnt vmcnt(24) lgkmcnt(0)
	v_fma_f64 v[119:120], v[129:130], v[123:124], v[119:120]
	s_waitcnt vmcnt(19)
	v_fma_f64 v[129:130], v[131:132], v[125:126], v[119:120]
	ds_read2_b64 v[119:122], v118 offset0:87 offset1:88
	ds_read2_b64 v[123:126], v118 offset0:89 offset1:90
	s_waitcnt vmcnt(18) lgkmcnt(1)
	v_fma_f64 v[119:120], v[137:138], v[119:120], v[129:130]
	s_waitcnt vmcnt(17)
	v_fma_f64 v[119:120], v[135:136], v[121:122], v[119:120]
	buffer_load_dword v130, off, s[0:3], 0 offset:324
	buffer_load_dword v131, off, s[0:3], 0 offset:344
	;; [unrolled: 1-line block ×7, first 2 shown]
	s_waitcnt vmcnt(23) lgkmcnt(0)
	v_fma_f64 v[119:120], v[133:134], v[123:124], v[119:120]
	s_waitcnt vmcnt(18)
	v_fma_f64 v[132:133], v[139:140], v[125:126], v[119:120]
	ds_read2_b64 v[119:122], v118 offset0:91 offset1:92
	ds_read2_b64 v[123:126], v118 offset0:93 offset1:94
	s_waitcnt vmcnt(17) lgkmcnt(1)
	v_fma_f64 v[119:120], v[147:148], v[119:120], v[132:133]
	buffer_load_dword v132, off, s[0:3], 0 offset:348
	s_waitcnt vmcnt(17)
	v_fma_f64 v[119:120], v[145:146], v[121:122], v[119:120]
	buffer_load_dword v134, off, s[0:3], 0 offset:356
	buffer_load_dword v139, off, s[0:3], 0 offset:376
	;; [unrolled: 1-line block ×7, first 2 shown]
	s_waitcnt vmcnt(23) lgkmcnt(0)
	v_fma_f64 v[119:120], v[141:142], v[123:124], v[119:120]
	s_waitcnt vmcnt(18)
	v_fma_f64 v[127:128], v[127:128], v[125:126], v[119:120]
	ds_read2_b64 v[119:122], v118 offset0:95 offset1:96
	ds_read2_b64 v[123:126], v118 offset0:97 offset1:98
	buffer_load_dword v140, off, s[0:3], 0 offset:380
	s_waitcnt vmcnt(18) lgkmcnt(1)
	v_fma_f64 v[119:120], v[151:152], v[119:120], v[127:128]
	s_waitcnt vmcnt(17)
	v_fma_f64 v[119:120], v[149:150], v[121:122], v[119:120]
	buffer_load_dword v128, off, s[0:3], 0 offset:388
	buffer_load_dword v141, off, s[0:3], 0 offset:408
	;; [unrolled: 1-line block ×8, first 2 shown]
	s_waitcnt vmcnt(24) lgkmcnt(0)
	v_fma_f64 v[119:120], v[143:144], v[123:124], v[119:120]
	s_waitcnt vmcnt(19)
	v_fma_f64 v[129:130], v[129:130], v[125:126], v[119:120]
	ds_read2_b64 v[119:122], v118 offset0:99 offset1:100
	ds_read2_b64 v[123:126], v118 offset0:101 offset1:102
	s_waitcnt vmcnt(18) lgkmcnt(1)
	v_fma_f64 v[119:120], v[137:138], v[119:120], v[129:130]
	s_waitcnt vmcnt(17)
	v_fma_f64 v[119:120], v[135:136], v[121:122], v[119:120]
	buffer_load_dword v130, off, s[0:3], 0 offset:420
	buffer_load_dword v135, off, s[0:3], 0 offset:440
	;; [unrolled: 1-line block ×7, first 2 shown]
	s_waitcnt vmcnt(23) lgkmcnt(0)
	v_fma_f64 v[119:120], v[131:132], v[123:124], v[119:120]
	s_waitcnt vmcnt(18)
	v_fma_f64 v[131:132], v[133:134], v[125:126], v[119:120]
	ds_read2_b64 v[119:122], v118 offset0:103 offset1:104
	ds_read2_b64 v[123:126], v118 offset0:105 offset1:106
	buffer_load_dword v136, off, s[0:3], 0 offset:444
	s_waitcnt vmcnt(18) lgkmcnt(1)
	v_fma_f64 v[119:120], v[147:148], v[119:120], v[131:132]
	buffer_load_dword v132, off, s[0:3], 0 offset:452
	buffer_load_dword v133, off, s[0:3], 0 offset:456
	;; [unrolled: 1-line block ×4, first 2 shown]
	s_waitcnt vmcnt(21)
	v_fma_f64 v[119:120], v[145:146], v[121:122], v[119:120]
	s_waitcnt vmcnt(20) lgkmcnt(0)
	v_fma_f64 v[119:120], v[139:140], v[123:124], v[119:120]
	buffer_load_dword v139, off, s[0:3], 0 offset:96
	buffer_load_dword v140, off, s[0:3], 0 offset:100
	s_waitcnt vmcnt(17)
	v_fma_f64 v[127:128], v[127:128], v[125:126], v[119:120]
	ds_read2_b64 v[119:122], v118 offset0:107 offset1:108
	ds_read2_b64 v[123:126], v118 offset0:109 offset1:110
	s_waitcnt vmcnt(16) lgkmcnt(1)
	v_fma_f64 v[119:120], v[151:152], v[119:120], v[127:128]
	s_waitcnt vmcnt(15)
	v_fma_f64 v[119:120], v[149:150], v[121:122], v[119:120]
	s_waitcnt vmcnt(14) lgkmcnt(0)
	v_fma_f64 v[119:120], v[141:142], v[123:124], v[119:120]
	s_waitcnt vmcnt(9)
	v_fma_f64 v[127:128], v[129:130], v[125:126], v[119:120]
	ds_read2_b64 v[119:122], v118 offset0:111 offset1:112
	ds_read2_b64 v[123:126], v118 offset0:113 offset1:114
	s_waitcnt vmcnt(8) lgkmcnt(1)
	v_fma_f64 v[119:120], v[143:144], v[119:120], v[127:128]
	s_waitcnt vmcnt(7)
	v_fma_f64 v[119:120], v[137:138], v[121:122], v[119:120]
	ds_read_b64 v[121:122], v118 offset:920
	s_waitcnt vmcnt(6) lgkmcnt(1)
	v_fma_f64 v[119:120], v[135:136], v[123:124], v[119:120]
	s_waitcnt vmcnt(3)
	v_fma_f64 v[119:120], v[131:132], v[125:126], v[119:120]
	s_waitcnt vmcnt(2) lgkmcnt(0)
	v_fma_f64 v[119:120], v[133:134], v[121:122], v[119:120]
	s_waitcnt vmcnt(0)
	v_add_f64 v[119:120], v[139:140], -v[119:120]
	buffer_store_dword v120, off, s[0:3], 0 offset:100
	buffer_store_dword v119, off, s[0:3], 0 offset:96
	s_and_saveexec_b64 s[4:5], vcc
	s_cbranch_execz .LBB57_333
; %bb.332:
	buffer_load_dword v119, off, s[0:3], 0 offset:88
	buffer_load_dword v120, off, s[0:3], 0 offset:92
	s_waitcnt vmcnt(0)
	ds_write_b64 v117, v[119:120]
	buffer_store_dword v118, off, s[0:3], 0 offset:88
	buffer_store_dword v118, off, s[0:3], 0 offset:92
.LBB57_333:
	s_or_b64 exec, exec, s[4:5]
	s_waitcnt lgkmcnt(0)
	; wave barrier
	buffer_load_dword v127, off, s[0:3], 0 offset:96
	buffer_load_dword v128, off, s[0:3], 0 offset:100
	;; [unrolled: 1-line block ×21, first 2 shown]
	ds_read_b128 v[119:122], v118 offset:560
	ds_read_b128 v[123:126], v118 offset:576
	buffer_load_dword v144, off, s[0:3], 0 offset:180
	v_cmp_lt_u32_e32 vcc, 10, v0
	s_waitcnt vmcnt(20) lgkmcnt(1)
	v_fma_f64 v[119:120], v[127:128], v[119:120], 0
	s_waitcnt vmcnt(18)
	v_fma_f64 v[119:120], v[129:130], v[121:122], v[119:120]
	buffer_load_dword v128, off, s[0:3], 0 offset:188
	buffer_load_dword v129, off, s[0:3], 0 offset:208
	;; [unrolled: 1-line block ×7, first 2 shown]
	s_waitcnt vmcnt(23) lgkmcnt(0)
	v_fma_f64 v[119:120], v[131:132], v[123:124], v[119:120]
	s_waitcnt vmcnt(21)
	v_fma_f64 v[130:131], v[133:134], v[125:126], v[119:120]
	ds_read_b128 v[119:122], v118 offset:592
	ds_read_b128 v[123:126], v118 offset:608
	s_waitcnt vmcnt(19) lgkmcnt(1)
	v_fma_f64 v[119:120], v[135:136], v[119:120], v[130:131]
	buffer_load_dword v130, off, s[0:3], 0 offset:212
	s_waitcnt vmcnt(18)
	v_fma_f64 v[119:120], v[137:138], v[121:122], v[119:120]
	buffer_load_dword v132, off, s[0:3], 0 offset:220
	buffer_load_dword v133, off, s[0:3], 0 offset:240
	;; [unrolled: 1-line block ×8, first 2 shown]
	s_waitcnt vmcnt(24) lgkmcnt(0)
	v_fma_f64 v[119:120], v[139:140], v[123:124], v[119:120]
	s_waitcnt vmcnt(19)
	v_fma_f64 v[139:140], v[141:142], v[125:126], v[119:120]
	ds_read_b128 v[119:122], v118 offset:624
	ds_read_b128 v[123:126], v118 offset:640
	s_waitcnt vmcnt(18) lgkmcnt(1)
	v_fma_f64 v[119:120], v[147:148], v[119:120], v[139:140]
	s_waitcnt vmcnt(17)
	v_fma_f64 v[119:120], v[145:146], v[121:122], v[119:120]
	buffer_load_dword v140, off, s[0:3], 0 offset:252
	buffer_load_dword v141, off, s[0:3], 0 offset:272
	;; [unrolled: 1-line block ×7, first 2 shown]
	s_waitcnt vmcnt(23) lgkmcnt(0)
	v_fma_f64 v[119:120], v[143:144], v[123:124], v[119:120]
	s_waitcnt vmcnt(18)
	v_fma_f64 v[127:128], v[127:128], v[125:126], v[119:120]
	ds_read_b128 v[119:122], v118 offset:656
	ds_read_b128 v[123:126], v118 offset:672
	buffer_load_dword v142, off, s[0:3], 0 offset:276
	s_waitcnt vmcnt(18) lgkmcnt(1)
	v_fma_f64 v[119:120], v[151:152], v[119:120], v[127:128]
	s_waitcnt vmcnt(17)
	v_fma_f64 v[119:120], v[149:150], v[121:122], v[119:120]
	buffer_load_dword v128, off, s[0:3], 0 offset:284
	buffer_load_dword v143, off, s[0:3], 0 offset:304
	;; [unrolled: 1-line block ×8, first 2 shown]
	s_waitcnt vmcnt(24) lgkmcnt(0)
	v_fma_f64 v[119:120], v[129:130], v[123:124], v[119:120]
	s_waitcnt vmcnt(19)
	v_fma_f64 v[129:130], v[131:132], v[125:126], v[119:120]
	ds_read_b128 v[119:122], v118 offset:688
	ds_read_b128 v[123:126], v118 offset:704
	s_waitcnt vmcnt(18) lgkmcnt(1)
	v_fma_f64 v[119:120], v[137:138], v[119:120], v[129:130]
	s_waitcnt vmcnt(17)
	v_fma_f64 v[119:120], v[135:136], v[121:122], v[119:120]
	buffer_load_dword v130, off, s[0:3], 0 offset:316
	buffer_load_dword v131, off, s[0:3], 0 offset:336
	;; [unrolled: 1-line block ×7, first 2 shown]
	s_waitcnt vmcnt(23) lgkmcnt(0)
	v_fma_f64 v[119:120], v[133:134], v[123:124], v[119:120]
	s_waitcnt vmcnt(18)
	v_fma_f64 v[132:133], v[139:140], v[125:126], v[119:120]
	ds_read_b128 v[119:122], v118 offset:720
	ds_read_b128 v[123:126], v118 offset:736
	s_waitcnt vmcnt(17) lgkmcnt(1)
	v_fma_f64 v[119:120], v[147:148], v[119:120], v[132:133]
	buffer_load_dword v132, off, s[0:3], 0 offset:340
	s_waitcnt vmcnt(17)
	v_fma_f64 v[119:120], v[145:146], v[121:122], v[119:120]
	buffer_load_dword v134, off, s[0:3], 0 offset:348
	buffer_load_dword v139, off, s[0:3], 0 offset:368
	;; [unrolled: 1-line block ×7, first 2 shown]
	s_waitcnt vmcnt(23) lgkmcnt(0)
	v_fma_f64 v[119:120], v[141:142], v[123:124], v[119:120]
	s_waitcnt vmcnt(18)
	v_fma_f64 v[127:128], v[127:128], v[125:126], v[119:120]
	ds_read_b128 v[119:122], v118 offset:752
	ds_read_b128 v[123:126], v118 offset:768
	buffer_load_dword v140, off, s[0:3], 0 offset:372
	s_waitcnt vmcnt(18) lgkmcnt(1)
	v_fma_f64 v[119:120], v[151:152], v[119:120], v[127:128]
	s_waitcnt vmcnt(17)
	v_fma_f64 v[119:120], v[149:150], v[121:122], v[119:120]
	buffer_load_dword v128, off, s[0:3], 0 offset:380
	buffer_load_dword v141, off, s[0:3], 0 offset:400
	;; [unrolled: 1-line block ×8, first 2 shown]
	s_waitcnt vmcnt(24) lgkmcnt(0)
	v_fma_f64 v[119:120], v[143:144], v[123:124], v[119:120]
	s_waitcnt vmcnt(19)
	v_fma_f64 v[129:130], v[129:130], v[125:126], v[119:120]
	ds_read_b128 v[119:122], v118 offset:784
	ds_read_b128 v[123:126], v118 offset:800
	s_waitcnt vmcnt(18) lgkmcnt(1)
	v_fma_f64 v[119:120], v[137:138], v[119:120], v[129:130]
	s_waitcnt vmcnt(17)
	v_fma_f64 v[119:120], v[135:136], v[121:122], v[119:120]
	buffer_load_dword v130, off, s[0:3], 0 offset:412
	buffer_load_dword v135, off, s[0:3], 0 offset:432
	;; [unrolled: 1-line block ×8, first 2 shown]
	s_waitcnt vmcnt(24) lgkmcnt(0)
	v_fma_f64 v[119:120], v[131:132], v[123:124], v[119:120]
	s_waitcnt vmcnt(19)
	v_fma_f64 v[131:132], v[133:134], v[125:126], v[119:120]
	ds_read_b128 v[119:122], v118 offset:816
	ds_read_b128 v[123:126], v118 offset:832
	s_waitcnt vmcnt(18) lgkmcnt(1)
	v_fma_f64 v[119:120], v[147:148], v[119:120], v[131:132]
	s_waitcnt vmcnt(17)
	v_fma_f64 v[119:120], v[145:146], v[121:122], v[119:120]
	buffer_load_dword v132, off, s[0:3], 0 offset:444
	buffer_load_dword v133, off, s[0:3], 0 offset:456
	;; [unrolled: 1-line block ×6, first 2 shown]
	s_waitcnt vmcnt(22) lgkmcnt(0)
	v_fma_f64 v[119:120], v[139:140], v[123:124], v[119:120]
	s_waitcnt vmcnt(17)
	v_fma_f64 v[127:128], v[127:128], v[125:126], v[119:120]
	ds_read_b128 v[119:122], v118 offset:848
	buffer_load_dword v139, off, s[0:3], 0 offset:88
	buffer_load_dword v140, off, s[0:3], 0 offset:92
	ds_read_b128 v[123:126], v118 offset:864
	s_waitcnt vmcnt(18) lgkmcnt(1)
	v_fma_f64 v[119:120], v[151:152], v[119:120], v[127:128]
	s_waitcnt vmcnt(17)
	v_fma_f64 v[119:120], v[149:150], v[121:122], v[119:120]
	s_waitcnt vmcnt(16) lgkmcnt(0)
	v_fma_f64 v[119:120], v[141:142], v[123:124], v[119:120]
	s_waitcnt vmcnt(11)
	v_fma_f64 v[127:128], v[129:130], v[125:126], v[119:120]
	ds_read_b128 v[119:122], v118 offset:880
	ds_read_b128 v[123:126], v118 offset:896
	s_waitcnt vmcnt(10) lgkmcnt(1)
	v_fma_f64 v[119:120], v[143:144], v[119:120], v[127:128]
	s_waitcnt vmcnt(9)
	v_fma_f64 v[119:120], v[137:138], v[121:122], v[119:120]
	s_waitcnt vmcnt(8) lgkmcnt(0)
	v_fma_f64 v[119:120], v[135:136], v[123:124], v[119:120]
	s_waitcnt vmcnt(4)
	v_fma_f64 v[122:123], v[131:132], v[125:126], v[119:120]
	ds_read_b128 v[118:121], v118 offset:912
	s_waitcnt vmcnt(3) lgkmcnt(0)
	v_fma_f64 v[118:119], v[145:146], v[118:119], v[122:123]
	s_waitcnt vmcnt(2)
	v_fma_f64 v[118:119], v[133:134], v[120:121], v[118:119]
	s_waitcnt vmcnt(0)
	v_add_f64 v[118:119], v[139:140], -v[118:119]
	buffer_store_dword v119, off, s[0:3], 0 offset:92
	buffer_store_dword v118, off, s[0:3], 0 offset:88
	s_and_saveexec_b64 s[4:5], vcc
	s_cbranch_execz .LBB57_335
; %bb.334:
	buffer_load_dword v118, off, s[0:3], 0 offset:80
	buffer_load_dword v119, off, s[0:3], 0 offset:84
	v_mov_b32_e32 v120, 0
	buffer_store_dword v120, off, s[0:3], 0 offset:80
	buffer_store_dword v120, off, s[0:3], 0 offset:84
	s_waitcnt vmcnt(2)
	ds_write_b64 v117, v[118:119]
.LBB57_335:
	s_or_b64 exec, exec, s[4:5]
	s_waitcnt lgkmcnt(0)
	; wave barrier
	buffer_load_dword v127, off, s[0:3], 0 offset:88
	buffer_load_dword v128, off, s[0:3], 0 offset:92
	;; [unrolled: 1-line block ×21, first 2 shown]
	v_mov_b32_e32 v118, 0
	ds_read2_b64 v[119:122], v118 offset0:69 offset1:70
	ds_read2_b64 v[123:126], v118 offset0:71 offset1:72
	buffer_load_dword v144, off, s[0:3], 0 offset:172
	v_cmp_lt_u32_e32 vcc, 9, v0
	s_waitcnt vmcnt(20) lgkmcnt(1)
	v_fma_f64 v[119:120], v[127:128], v[119:120], 0
	s_waitcnt vmcnt(18)
	v_fma_f64 v[119:120], v[129:130], v[121:122], v[119:120]
	buffer_load_dword v128, off, s[0:3], 0 offset:180
	buffer_load_dword v129, off, s[0:3], 0 offset:200
	;; [unrolled: 1-line block ×7, first 2 shown]
	s_waitcnt vmcnt(23) lgkmcnt(0)
	v_fma_f64 v[119:120], v[131:132], v[123:124], v[119:120]
	s_waitcnt vmcnt(21)
	v_fma_f64 v[130:131], v[133:134], v[125:126], v[119:120]
	ds_read2_b64 v[119:122], v118 offset0:73 offset1:74
	ds_read2_b64 v[123:126], v118 offset0:75 offset1:76
	s_waitcnt vmcnt(19) lgkmcnt(1)
	v_fma_f64 v[119:120], v[135:136], v[119:120], v[130:131]
	buffer_load_dword v130, off, s[0:3], 0 offset:204
	s_waitcnt vmcnt(18)
	v_fma_f64 v[119:120], v[137:138], v[121:122], v[119:120]
	buffer_load_dword v132, off, s[0:3], 0 offset:212
	buffer_load_dword v133, off, s[0:3], 0 offset:232
	;; [unrolled: 1-line block ×8, first 2 shown]
	s_waitcnt vmcnt(24) lgkmcnt(0)
	v_fma_f64 v[119:120], v[139:140], v[123:124], v[119:120]
	s_waitcnt vmcnt(19)
	v_fma_f64 v[139:140], v[141:142], v[125:126], v[119:120]
	ds_read2_b64 v[119:122], v118 offset0:77 offset1:78
	ds_read2_b64 v[123:126], v118 offset0:79 offset1:80
	s_waitcnt vmcnt(18) lgkmcnt(1)
	v_fma_f64 v[119:120], v[147:148], v[119:120], v[139:140]
	s_waitcnt vmcnt(17)
	v_fma_f64 v[119:120], v[145:146], v[121:122], v[119:120]
	buffer_load_dword v140, off, s[0:3], 0 offset:244
	buffer_load_dword v141, off, s[0:3], 0 offset:264
	;; [unrolled: 1-line block ×7, first 2 shown]
	s_waitcnt vmcnt(23) lgkmcnt(0)
	v_fma_f64 v[119:120], v[143:144], v[123:124], v[119:120]
	s_waitcnt vmcnt(18)
	v_fma_f64 v[127:128], v[127:128], v[125:126], v[119:120]
	ds_read2_b64 v[119:122], v118 offset0:81 offset1:82
	ds_read2_b64 v[123:126], v118 offset0:83 offset1:84
	buffer_load_dword v142, off, s[0:3], 0 offset:268
	s_waitcnt vmcnt(18) lgkmcnt(1)
	v_fma_f64 v[119:120], v[151:152], v[119:120], v[127:128]
	s_waitcnt vmcnt(17)
	v_fma_f64 v[119:120], v[149:150], v[121:122], v[119:120]
	buffer_load_dword v128, off, s[0:3], 0 offset:276
	buffer_load_dword v143, off, s[0:3], 0 offset:296
	;; [unrolled: 1-line block ×8, first 2 shown]
	s_waitcnt vmcnt(24) lgkmcnt(0)
	v_fma_f64 v[119:120], v[129:130], v[123:124], v[119:120]
	s_waitcnt vmcnt(19)
	v_fma_f64 v[129:130], v[131:132], v[125:126], v[119:120]
	ds_read2_b64 v[119:122], v118 offset0:85 offset1:86
	ds_read2_b64 v[123:126], v118 offset0:87 offset1:88
	s_waitcnt vmcnt(18) lgkmcnt(1)
	v_fma_f64 v[119:120], v[137:138], v[119:120], v[129:130]
	s_waitcnt vmcnt(17)
	v_fma_f64 v[119:120], v[135:136], v[121:122], v[119:120]
	buffer_load_dword v130, off, s[0:3], 0 offset:308
	buffer_load_dword v131, off, s[0:3], 0 offset:328
	;; [unrolled: 1-line block ×7, first 2 shown]
	s_waitcnt vmcnt(23) lgkmcnt(0)
	v_fma_f64 v[119:120], v[133:134], v[123:124], v[119:120]
	s_waitcnt vmcnt(18)
	v_fma_f64 v[132:133], v[139:140], v[125:126], v[119:120]
	ds_read2_b64 v[119:122], v118 offset0:89 offset1:90
	ds_read2_b64 v[123:126], v118 offset0:91 offset1:92
	s_waitcnt vmcnt(17) lgkmcnt(1)
	v_fma_f64 v[119:120], v[147:148], v[119:120], v[132:133]
	buffer_load_dword v132, off, s[0:3], 0 offset:332
	s_waitcnt vmcnt(17)
	v_fma_f64 v[119:120], v[145:146], v[121:122], v[119:120]
	buffer_load_dword v134, off, s[0:3], 0 offset:340
	buffer_load_dword v139, off, s[0:3], 0 offset:360
	;; [unrolled: 1-line block ×7, first 2 shown]
	s_waitcnt vmcnt(23) lgkmcnt(0)
	v_fma_f64 v[119:120], v[141:142], v[123:124], v[119:120]
	s_waitcnt vmcnt(18)
	v_fma_f64 v[127:128], v[127:128], v[125:126], v[119:120]
	ds_read2_b64 v[119:122], v118 offset0:93 offset1:94
	ds_read2_b64 v[123:126], v118 offset0:95 offset1:96
	buffer_load_dword v140, off, s[0:3], 0 offset:364
	s_waitcnt vmcnt(18) lgkmcnt(1)
	v_fma_f64 v[119:120], v[151:152], v[119:120], v[127:128]
	s_waitcnt vmcnt(17)
	v_fma_f64 v[119:120], v[149:150], v[121:122], v[119:120]
	buffer_load_dword v128, off, s[0:3], 0 offset:372
	buffer_load_dword v141, off, s[0:3], 0 offset:392
	buffer_load_dword v149, off, s[0:3], 0 offset:384
	buffer_load_dword v151, off, s[0:3], 0 offset:376
	buffer_load_dword v127, off, s[0:3], 0 offset:368
	buffer_load_dword v152, off, s[0:3], 0 offset:380
	buffer_load_dword v150, off, s[0:3], 0 offset:388
	buffer_load_dword v142, off, s[0:3], 0 offset:396
	s_waitcnt vmcnt(24) lgkmcnt(0)
	v_fma_f64 v[119:120], v[143:144], v[123:124], v[119:120]
	s_waitcnt vmcnt(19)
	v_fma_f64 v[129:130], v[129:130], v[125:126], v[119:120]
	ds_read2_b64 v[119:122], v118 offset0:97 offset1:98
	ds_read2_b64 v[123:126], v118 offset0:99 offset1:100
	s_waitcnt vmcnt(18) lgkmcnt(1)
	v_fma_f64 v[119:120], v[137:138], v[119:120], v[129:130]
	s_waitcnt vmcnt(17)
	v_fma_f64 v[119:120], v[135:136], v[121:122], v[119:120]
	buffer_load_dword v130, off, s[0:3], 0 offset:404
	buffer_load_dword v135, off, s[0:3], 0 offset:424
	buffer_load_dword v137, off, s[0:3], 0 offset:416
	buffer_load_dword v143, off, s[0:3], 0 offset:408
	buffer_load_dword v129, off, s[0:3], 0 offset:400
	buffer_load_dword v144, off, s[0:3], 0 offset:412
	buffer_load_dword v138, off, s[0:3], 0 offset:420
	buffer_load_dword v136, off, s[0:3], 0 offset:428
	s_waitcnt vmcnt(24) lgkmcnt(0)
	v_fma_f64 v[119:120], v[131:132], v[123:124], v[119:120]
	s_waitcnt vmcnt(19)
	v_fma_f64 v[131:132], v[133:134], v[125:126], v[119:120]
	ds_read2_b64 v[119:122], v118 offset0:101 offset1:102
	ds_read2_b64 v[123:126], v118 offset0:103 offset1:104
	;; [unrolled: 18-line block ×3, first 2 shown]
	s_waitcnt vmcnt(18) lgkmcnt(1)
	v_fma_f64 v[119:120], v[151:152], v[119:120], v[127:128]
	buffer_load_dword v127, off, s[0:3], 0 offset:80
	buffer_load_dword v128, off, s[0:3], 0 offset:84
	s_waitcnt vmcnt(19)
	v_fma_f64 v[119:120], v[149:150], v[121:122], v[119:120]
	s_waitcnt vmcnt(18) lgkmcnt(0)
	v_fma_f64 v[119:120], v[141:142], v[123:124], v[119:120]
	s_waitcnt vmcnt(13)
	v_fma_f64 v[129:130], v[129:130], v[125:126], v[119:120]
	ds_read2_b64 v[119:122], v118 offset0:109 offset1:110
	ds_read2_b64 v[123:126], v118 offset0:111 offset1:112
	s_waitcnt vmcnt(12) lgkmcnt(1)
	v_fma_f64 v[119:120], v[143:144], v[119:120], v[129:130]
	s_waitcnt vmcnt(11)
	v_fma_f64 v[119:120], v[137:138], v[121:122], v[119:120]
	s_waitcnt vmcnt(10) lgkmcnt(0)
	v_fma_f64 v[119:120], v[135:136], v[123:124], v[119:120]
	s_waitcnt vmcnt(5)
	v_fma_f64 v[123:124], v[131:132], v[125:126], v[119:120]
	ds_read2_b64 v[119:122], v118 offset0:113 offset1:114
	ds_read_b64 v[125:126], v118 offset:920
	s_waitcnt vmcnt(4) lgkmcnt(1)
	v_fma_f64 v[119:120], v[147:148], v[119:120], v[123:124]
	s_waitcnt vmcnt(3)
	v_fma_f64 v[119:120], v[145:146], v[121:122], v[119:120]
	s_waitcnt vmcnt(2) lgkmcnt(0)
	v_fma_f64 v[119:120], v[133:134], v[125:126], v[119:120]
	s_waitcnt vmcnt(0)
	v_add_f64 v[119:120], v[127:128], -v[119:120]
	buffer_store_dword v120, off, s[0:3], 0 offset:84
	buffer_store_dword v119, off, s[0:3], 0 offset:80
	s_and_saveexec_b64 s[4:5], vcc
	s_cbranch_execz .LBB57_337
; %bb.336:
	buffer_load_dword v119, off, s[0:3], 0 offset:72
	buffer_load_dword v120, off, s[0:3], 0 offset:76
	s_waitcnt vmcnt(0)
	ds_write_b64 v117, v[119:120]
	buffer_store_dword v118, off, s[0:3], 0 offset:72
	buffer_store_dword v118, off, s[0:3], 0 offset:76
.LBB57_337:
	s_or_b64 exec, exec, s[4:5]
	s_waitcnt lgkmcnt(0)
	; wave barrier
	buffer_load_dword v127, off, s[0:3], 0 offset:80
	buffer_load_dword v128, off, s[0:3], 0 offset:84
	;; [unrolled: 1-line block ×21, first 2 shown]
	ds_read_b128 v[119:122], v118 offset:544
	ds_read_b128 v[123:126], v118 offset:560
	buffer_load_dword v144, off, s[0:3], 0 offset:164
	v_cmp_lt_u32_e32 vcc, 8, v0
	s_waitcnt vmcnt(20) lgkmcnt(1)
	v_fma_f64 v[119:120], v[127:128], v[119:120], 0
	s_waitcnt vmcnt(18)
	v_fma_f64 v[119:120], v[129:130], v[121:122], v[119:120]
	buffer_load_dword v128, off, s[0:3], 0 offset:172
	buffer_load_dword v129, off, s[0:3], 0 offset:192
	;; [unrolled: 1-line block ×7, first 2 shown]
	s_waitcnt vmcnt(23) lgkmcnt(0)
	v_fma_f64 v[119:120], v[131:132], v[123:124], v[119:120]
	s_waitcnt vmcnt(21)
	v_fma_f64 v[130:131], v[133:134], v[125:126], v[119:120]
	ds_read_b128 v[119:122], v118 offset:576
	ds_read_b128 v[123:126], v118 offset:592
	s_waitcnt vmcnt(19) lgkmcnt(1)
	v_fma_f64 v[119:120], v[135:136], v[119:120], v[130:131]
	buffer_load_dword v130, off, s[0:3], 0 offset:196
	s_waitcnt vmcnt(18)
	v_fma_f64 v[119:120], v[137:138], v[121:122], v[119:120]
	buffer_load_dword v132, off, s[0:3], 0 offset:204
	buffer_load_dword v133, off, s[0:3], 0 offset:224
	;; [unrolled: 1-line block ×8, first 2 shown]
	s_waitcnt vmcnt(24) lgkmcnt(0)
	v_fma_f64 v[119:120], v[139:140], v[123:124], v[119:120]
	s_waitcnt vmcnt(19)
	v_fma_f64 v[139:140], v[141:142], v[125:126], v[119:120]
	ds_read_b128 v[119:122], v118 offset:608
	ds_read_b128 v[123:126], v118 offset:624
	s_waitcnt vmcnt(18) lgkmcnt(1)
	v_fma_f64 v[119:120], v[147:148], v[119:120], v[139:140]
	s_waitcnt vmcnt(17)
	v_fma_f64 v[119:120], v[145:146], v[121:122], v[119:120]
	buffer_load_dword v140, off, s[0:3], 0 offset:236
	buffer_load_dword v141, off, s[0:3], 0 offset:256
	;; [unrolled: 1-line block ×7, first 2 shown]
	s_waitcnt vmcnt(23) lgkmcnt(0)
	v_fma_f64 v[119:120], v[143:144], v[123:124], v[119:120]
	s_waitcnt vmcnt(18)
	v_fma_f64 v[127:128], v[127:128], v[125:126], v[119:120]
	ds_read_b128 v[119:122], v118 offset:640
	ds_read_b128 v[123:126], v118 offset:656
	buffer_load_dword v142, off, s[0:3], 0 offset:260
	s_waitcnt vmcnt(18) lgkmcnt(1)
	v_fma_f64 v[119:120], v[151:152], v[119:120], v[127:128]
	s_waitcnt vmcnt(17)
	v_fma_f64 v[119:120], v[149:150], v[121:122], v[119:120]
	buffer_load_dword v128, off, s[0:3], 0 offset:268
	buffer_load_dword v143, off, s[0:3], 0 offset:288
	;; [unrolled: 1-line block ×8, first 2 shown]
	s_waitcnt vmcnt(24) lgkmcnt(0)
	v_fma_f64 v[119:120], v[129:130], v[123:124], v[119:120]
	s_waitcnt vmcnt(19)
	v_fma_f64 v[129:130], v[131:132], v[125:126], v[119:120]
	ds_read_b128 v[119:122], v118 offset:672
	ds_read_b128 v[123:126], v118 offset:688
	s_waitcnt vmcnt(18) lgkmcnt(1)
	v_fma_f64 v[119:120], v[137:138], v[119:120], v[129:130]
	s_waitcnt vmcnt(17)
	v_fma_f64 v[119:120], v[135:136], v[121:122], v[119:120]
	buffer_load_dword v130, off, s[0:3], 0 offset:300
	buffer_load_dword v131, off, s[0:3], 0 offset:320
	;; [unrolled: 1-line block ×7, first 2 shown]
	s_waitcnt vmcnt(23) lgkmcnt(0)
	v_fma_f64 v[119:120], v[133:134], v[123:124], v[119:120]
	s_waitcnt vmcnt(18)
	v_fma_f64 v[132:133], v[139:140], v[125:126], v[119:120]
	ds_read_b128 v[119:122], v118 offset:704
	ds_read_b128 v[123:126], v118 offset:720
	s_waitcnt vmcnt(17) lgkmcnt(1)
	v_fma_f64 v[119:120], v[147:148], v[119:120], v[132:133]
	buffer_load_dword v132, off, s[0:3], 0 offset:324
	s_waitcnt vmcnt(17)
	v_fma_f64 v[119:120], v[145:146], v[121:122], v[119:120]
	buffer_load_dword v134, off, s[0:3], 0 offset:332
	buffer_load_dword v139, off, s[0:3], 0 offset:352
	buffer_load_dword v145, off, s[0:3], 0 offset:344
	buffer_load_dword v147, off, s[0:3], 0 offset:336
	buffer_load_dword v133, off, s[0:3], 0 offset:328
	buffer_load_dword v148, off, s[0:3], 0 offset:340
	buffer_load_dword v146, off, s[0:3], 0 offset:348
	s_waitcnt vmcnt(23) lgkmcnt(0)
	v_fma_f64 v[119:120], v[141:142], v[123:124], v[119:120]
	s_waitcnt vmcnt(18)
	v_fma_f64 v[127:128], v[127:128], v[125:126], v[119:120]
	ds_read_b128 v[119:122], v118 offset:736
	ds_read_b128 v[123:126], v118 offset:752
	buffer_load_dword v140, off, s[0:3], 0 offset:356
	s_waitcnt vmcnt(18) lgkmcnt(1)
	v_fma_f64 v[119:120], v[151:152], v[119:120], v[127:128]
	s_waitcnt vmcnt(17)
	v_fma_f64 v[119:120], v[149:150], v[121:122], v[119:120]
	buffer_load_dword v128, off, s[0:3], 0 offset:364
	buffer_load_dword v141, off, s[0:3], 0 offset:384
	buffer_load_dword v149, off, s[0:3], 0 offset:376
	buffer_load_dword v151, off, s[0:3], 0 offset:368
	buffer_load_dword v127, off, s[0:3], 0 offset:360
	buffer_load_dword v152, off, s[0:3], 0 offset:372
	buffer_load_dword v150, off, s[0:3], 0 offset:380
	buffer_load_dword v142, off, s[0:3], 0 offset:388
	s_waitcnt vmcnt(24) lgkmcnt(0)
	v_fma_f64 v[119:120], v[143:144], v[123:124], v[119:120]
	s_waitcnt vmcnt(19)
	v_fma_f64 v[129:130], v[129:130], v[125:126], v[119:120]
	ds_read_b128 v[119:122], v118 offset:768
	ds_read_b128 v[123:126], v118 offset:784
	s_waitcnt vmcnt(18) lgkmcnt(1)
	v_fma_f64 v[119:120], v[137:138], v[119:120], v[129:130]
	s_waitcnt vmcnt(17)
	v_fma_f64 v[119:120], v[135:136], v[121:122], v[119:120]
	buffer_load_dword v130, off, s[0:3], 0 offset:396
	buffer_load_dword v135, off, s[0:3], 0 offset:416
	buffer_load_dword v137, off, s[0:3], 0 offset:408
	buffer_load_dword v143, off, s[0:3], 0 offset:400
	buffer_load_dword v129, off, s[0:3], 0 offset:392
	buffer_load_dword v144, off, s[0:3], 0 offset:404
	buffer_load_dword v138, off, s[0:3], 0 offset:412
	buffer_load_dword v136, off, s[0:3], 0 offset:420
	s_waitcnt vmcnt(24) lgkmcnt(0)
	v_fma_f64 v[119:120], v[131:132], v[123:124], v[119:120]
	s_waitcnt vmcnt(19)
	v_fma_f64 v[131:132], v[133:134], v[125:126], v[119:120]
	ds_read_b128 v[119:122], v118 offset:800
	ds_read_b128 v[123:126], v118 offset:816
	;; [unrolled: 18-line block ×3, first 2 shown]
	s_waitcnt vmcnt(18) lgkmcnt(1)
	v_fma_f64 v[119:120], v[151:152], v[119:120], v[127:128]
	buffer_load_dword v128, off, s[0:3], 0 offset:460
	buffer_load_dword v127, off, s[0:3], 0 offset:456
	;; [unrolled: 1-line block ×4, first 2 shown]
	s_waitcnt vmcnt(21)
	v_fma_f64 v[119:120], v[149:150], v[121:122], v[119:120]
	s_waitcnt vmcnt(20) lgkmcnt(0)
	v_fma_f64 v[119:120], v[141:142], v[123:124], v[119:120]
	s_waitcnt vmcnt(15)
	v_fma_f64 v[129:130], v[129:130], v[125:126], v[119:120]
	ds_read_b128 v[119:122], v118 offset:864
	ds_read_b128 v[123:126], v118 offset:880
	s_waitcnt vmcnt(14) lgkmcnt(1)
	v_fma_f64 v[119:120], v[143:144], v[119:120], v[129:130]
	s_waitcnt vmcnt(13)
	v_fma_f64 v[119:120], v[137:138], v[121:122], v[119:120]
	s_waitcnt vmcnt(12) lgkmcnt(0)
	v_fma_f64 v[119:120], v[135:136], v[123:124], v[119:120]
	s_waitcnt vmcnt(7)
	v_fma_f64 v[129:130], v[131:132], v[125:126], v[119:120]
	ds_read_b128 v[119:122], v118 offset:896
	ds_read_b128 v[123:126], v118 offset:912
	s_waitcnt vmcnt(6) lgkmcnt(1)
	v_fma_f64 v[118:119], v[147:148], v[119:120], v[129:130]
	s_waitcnt vmcnt(5)
	v_fma_f64 v[118:119], v[145:146], v[121:122], v[118:119]
	s_waitcnt vmcnt(4) lgkmcnt(0)
	v_fma_f64 v[118:119], v[133:134], v[123:124], v[118:119]
	s_waitcnt vmcnt(2)
	v_fma_f64 v[118:119], v[127:128], v[125:126], v[118:119]
	s_waitcnt vmcnt(0)
	v_add_f64 v[118:119], v[139:140], -v[118:119]
	buffer_store_dword v119, off, s[0:3], 0 offset:76
	buffer_store_dword v118, off, s[0:3], 0 offset:72
	s_and_saveexec_b64 s[4:5], vcc
	s_cbranch_execz .LBB57_339
; %bb.338:
	buffer_load_dword v118, off, s[0:3], 0 offset:64
	buffer_load_dword v119, off, s[0:3], 0 offset:68
	v_mov_b32_e32 v120, 0
	buffer_store_dword v120, off, s[0:3], 0 offset:64
	buffer_store_dword v120, off, s[0:3], 0 offset:68
	s_waitcnt vmcnt(2)
	ds_write_b64 v117, v[118:119]
.LBB57_339:
	s_or_b64 exec, exec, s[4:5]
	s_waitcnt lgkmcnt(0)
	; wave barrier
	buffer_load_dword v127, off, s[0:3], 0 offset:72
	buffer_load_dword v128, off, s[0:3], 0 offset:76
	;; [unrolled: 1-line block ×21, first 2 shown]
	v_mov_b32_e32 v118, 0
	ds_read2_b64 v[119:122], v118 offset0:67 offset1:68
	ds_read2_b64 v[123:126], v118 offset0:69 offset1:70
	buffer_load_dword v144, off, s[0:3], 0 offset:156
	v_cmp_lt_u32_e32 vcc, 7, v0
	s_waitcnt vmcnt(20) lgkmcnt(1)
	v_fma_f64 v[119:120], v[127:128], v[119:120], 0
	s_waitcnt vmcnt(18)
	v_fma_f64 v[119:120], v[129:130], v[121:122], v[119:120]
	buffer_load_dword v128, off, s[0:3], 0 offset:164
	buffer_load_dword v129, off, s[0:3], 0 offset:184
	;; [unrolled: 1-line block ×7, first 2 shown]
	s_waitcnt vmcnt(23) lgkmcnt(0)
	v_fma_f64 v[119:120], v[131:132], v[123:124], v[119:120]
	s_waitcnt vmcnt(21)
	v_fma_f64 v[130:131], v[133:134], v[125:126], v[119:120]
	ds_read2_b64 v[119:122], v118 offset0:71 offset1:72
	ds_read2_b64 v[123:126], v118 offset0:73 offset1:74
	s_waitcnt vmcnt(19) lgkmcnt(1)
	v_fma_f64 v[119:120], v[135:136], v[119:120], v[130:131]
	buffer_load_dword v130, off, s[0:3], 0 offset:188
	s_waitcnt vmcnt(18)
	v_fma_f64 v[119:120], v[137:138], v[121:122], v[119:120]
	buffer_load_dword v132, off, s[0:3], 0 offset:196
	buffer_load_dword v133, off, s[0:3], 0 offset:216
	;; [unrolled: 1-line block ×8, first 2 shown]
	s_waitcnt vmcnt(24) lgkmcnt(0)
	v_fma_f64 v[119:120], v[139:140], v[123:124], v[119:120]
	s_waitcnt vmcnt(19)
	v_fma_f64 v[139:140], v[141:142], v[125:126], v[119:120]
	ds_read2_b64 v[119:122], v118 offset0:75 offset1:76
	ds_read2_b64 v[123:126], v118 offset0:77 offset1:78
	s_waitcnt vmcnt(18) lgkmcnt(1)
	v_fma_f64 v[119:120], v[147:148], v[119:120], v[139:140]
	s_waitcnt vmcnt(17)
	v_fma_f64 v[119:120], v[145:146], v[121:122], v[119:120]
	buffer_load_dword v140, off, s[0:3], 0 offset:228
	buffer_load_dword v141, off, s[0:3], 0 offset:248
	;; [unrolled: 1-line block ×7, first 2 shown]
	s_waitcnt vmcnt(23) lgkmcnt(0)
	v_fma_f64 v[119:120], v[143:144], v[123:124], v[119:120]
	s_waitcnt vmcnt(18)
	v_fma_f64 v[127:128], v[127:128], v[125:126], v[119:120]
	ds_read2_b64 v[119:122], v118 offset0:79 offset1:80
	ds_read2_b64 v[123:126], v118 offset0:81 offset1:82
	buffer_load_dword v142, off, s[0:3], 0 offset:252
	s_waitcnt vmcnt(18) lgkmcnt(1)
	v_fma_f64 v[119:120], v[151:152], v[119:120], v[127:128]
	s_waitcnt vmcnt(17)
	v_fma_f64 v[119:120], v[149:150], v[121:122], v[119:120]
	buffer_load_dword v128, off, s[0:3], 0 offset:260
	buffer_load_dword v143, off, s[0:3], 0 offset:280
	;; [unrolled: 1-line block ×7, first 2 shown]
	s_waitcnt vmcnt(23) lgkmcnt(0)
	v_fma_f64 v[119:120], v[129:130], v[123:124], v[119:120]
	s_waitcnt vmcnt(18)
	v_fma_f64 v[129:130], v[131:132], v[125:126], v[119:120]
	ds_read2_b64 v[119:122], v118 offset0:83 offset1:84
	ds_read2_b64 v[123:126], v118 offset0:85 offset1:86
	buffer_load_dword v144, off, s[0:3], 0 offset:284
	s_waitcnt vmcnt(18) lgkmcnt(1)
	v_fma_f64 v[119:120], v[137:138], v[119:120], v[129:130]
	s_waitcnt vmcnt(17)
	v_fma_f64 v[119:120], v[135:136], v[121:122], v[119:120]
	buffer_load_dword v130, off, s[0:3], 0 offset:292
	buffer_load_dword v131, off, s[0:3], 0 offset:312
	;; [unrolled: 1-line block ×7, first 2 shown]
	s_waitcnt vmcnt(23) lgkmcnt(0)
	v_fma_f64 v[119:120], v[133:134], v[123:124], v[119:120]
	s_waitcnt vmcnt(18)
	v_fma_f64 v[132:133], v[139:140], v[125:126], v[119:120]
	ds_read2_b64 v[119:122], v118 offset0:87 offset1:88
	ds_read2_b64 v[123:126], v118 offset0:89 offset1:90
	s_waitcnt vmcnt(17) lgkmcnt(1)
	v_fma_f64 v[119:120], v[147:148], v[119:120], v[132:133]
	buffer_load_dword v132, off, s[0:3], 0 offset:316
	s_waitcnt vmcnt(17)
	v_fma_f64 v[119:120], v[145:146], v[121:122], v[119:120]
	buffer_load_dword v134, off, s[0:3], 0 offset:324
	buffer_load_dword v139, off, s[0:3], 0 offset:344
	;; [unrolled: 1-line block ×7, first 2 shown]
	s_waitcnt vmcnt(23) lgkmcnt(0)
	v_fma_f64 v[119:120], v[141:142], v[123:124], v[119:120]
	s_waitcnt vmcnt(18)
	v_fma_f64 v[127:128], v[127:128], v[125:126], v[119:120]
	ds_read2_b64 v[119:122], v118 offset0:91 offset1:92
	ds_read2_b64 v[123:126], v118 offset0:93 offset1:94
	buffer_load_dword v140, off, s[0:3], 0 offset:348
	s_waitcnt vmcnt(18) lgkmcnt(1)
	v_fma_f64 v[119:120], v[151:152], v[119:120], v[127:128]
	s_waitcnt vmcnt(17)
	v_fma_f64 v[119:120], v[149:150], v[121:122], v[119:120]
	buffer_load_dword v128, off, s[0:3], 0 offset:356
	buffer_load_dword v141, off, s[0:3], 0 offset:376
	;; [unrolled: 1-line block ×7, first 2 shown]
	s_waitcnt vmcnt(23) lgkmcnt(0)
	v_fma_f64 v[119:120], v[143:144], v[123:124], v[119:120]
	s_waitcnt vmcnt(18)
	v_fma_f64 v[129:130], v[129:130], v[125:126], v[119:120]
	ds_read2_b64 v[119:122], v118 offset0:95 offset1:96
	ds_read2_b64 v[123:126], v118 offset0:97 offset1:98
	buffer_load_dword v142, off, s[0:3], 0 offset:380
	s_waitcnt vmcnt(18) lgkmcnt(1)
	v_fma_f64 v[119:120], v[137:138], v[119:120], v[129:130]
	s_waitcnt vmcnt(17)
	v_fma_f64 v[119:120], v[135:136], v[121:122], v[119:120]
	buffer_load_dword v130, off, s[0:3], 0 offset:388
	buffer_load_dword v135, off, s[0:3], 0 offset:408
	;; [unrolled: 1-line block ×8, first 2 shown]
	s_waitcnt vmcnt(24) lgkmcnt(0)
	v_fma_f64 v[119:120], v[131:132], v[123:124], v[119:120]
	s_waitcnt vmcnt(19)
	v_fma_f64 v[131:132], v[133:134], v[125:126], v[119:120]
	ds_read2_b64 v[119:122], v118 offset0:99 offset1:100
	ds_read2_b64 v[123:126], v118 offset0:101 offset1:102
	s_waitcnt vmcnt(18) lgkmcnt(1)
	v_fma_f64 v[119:120], v[147:148], v[119:120], v[131:132]
	s_waitcnt vmcnt(17)
	v_fma_f64 v[119:120], v[145:146], v[121:122], v[119:120]
	buffer_load_dword v132, off, s[0:3], 0 offset:420
	buffer_load_dword v133, off, s[0:3], 0 offset:440
	buffer_load_dword v145, off, s[0:3], 0 offset:432
	buffer_load_dword v147, off, s[0:3], 0 offset:424
	buffer_load_dword v131, off, s[0:3], 0 offset:416
	buffer_load_dword v148, off, s[0:3], 0 offset:428
	buffer_load_dword v146, off, s[0:3], 0 offset:436
	s_waitcnt vmcnt(23) lgkmcnt(0)
	v_fma_f64 v[119:120], v[139:140], v[123:124], v[119:120]
	s_waitcnt vmcnt(18)
	v_fma_f64 v[127:128], v[127:128], v[125:126], v[119:120]
	ds_read2_b64 v[119:122], v118 offset0:103 offset1:104
	ds_read2_b64 v[123:126], v118 offset0:105 offset1:106
	buffer_load_dword v134, off, s[0:3], 0 offset:444
	s_waitcnt vmcnt(18) lgkmcnt(1)
	v_fma_f64 v[119:120], v[151:152], v[119:120], v[127:128]
	buffer_load_dword v128, off, s[0:3], 0 offset:452
	buffer_load_dword v139, off, s[0:3], 0 offset:456
	;; [unrolled: 1-line block ×4, first 2 shown]
	s_waitcnt vmcnt(21)
	v_fma_f64 v[119:120], v[149:150], v[121:122], v[119:120]
	s_waitcnt vmcnt(20) lgkmcnt(0)
	v_fma_f64 v[119:120], v[141:142], v[123:124], v[119:120]
	buffer_load_dword v141, off, s[0:3], 0 offset:64
	buffer_load_dword v142, off, s[0:3], 0 offset:68
	s_waitcnt vmcnt(17)
	v_fma_f64 v[129:130], v[129:130], v[125:126], v[119:120]
	ds_read2_b64 v[119:122], v118 offset0:107 offset1:108
	ds_read2_b64 v[123:126], v118 offset0:109 offset1:110
	s_waitcnt vmcnt(16) lgkmcnt(1)
	v_fma_f64 v[119:120], v[143:144], v[119:120], v[129:130]
	s_waitcnt vmcnt(15)
	v_fma_f64 v[119:120], v[137:138], v[121:122], v[119:120]
	s_waitcnt vmcnt(14) lgkmcnt(0)
	v_fma_f64 v[119:120], v[135:136], v[123:124], v[119:120]
	s_waitcnt vmcnt(9)
	v_fma_f64 v[129:130], v[131:132], v[125:126], v[119:120]
	ds_read2_b64 v[119:122], v118 offset0:111 offset1:112
	ds_read2_b64 v[123:126], v118 offset0:113 offset1:114
	s_waitcnt vmcnt(8) lgkmcnt(1)
	v_fma_f64 v[119:120], v[147:148], v[119:120], v[129:130]
	s_waitcnt vmcnt(7)
	v_fma_f64 v[119:120], v[145:146], v[121:122], v[119:120]
	ds_read_b64 v[121:122], v118 offset:920
	s_waitcnt vmcnt(6) lgkmcnt(1)
	v_fma_f64 v[119:120], v[133:134], v[123:124], v[119:120]
	s_waitcnt vmcnt(3)
	v_fma_f64 v[119:120], v[127:128], v[125:126], v[119:120]
	s_waitcnt vmcnt(2) lgkmcnt(0)
	v_fma_f64 v[119:120], v[139:140], v[121:122], v[119:120]
	s_waitcnt vmcnt(0)
	v_add_f64 v[119:120], v[141:142], -v[119:120]
	buffer_store_dword v120, off, s[0:3], 0 offset:68
	buffer_store_dword v119, off, s[0:3], 0 offset:64
	s_and_saveexec_b64 s[4:5], vcc
	s_cbranch_execz .LBB57_341
; %bb.340:
	buffer_load_dword v119, off, s[0:3], 0 offset:56
	buffer_load_dword v120, off, s[0:3], 0 offset:60
	s_waitcnt vmcnt(0)
	ds_write_b64 v117, v[119:120]
	buffer_store_dword v118, off, s[0:3], 0 offset:56
	buffer_store_dword v118, off, s[0:3], 0 offset:60
.LBB57_341:
	s_or_b64 exec, exec, s[4:5]
	s_waitcnt lgkmcnt(0)
	; wave barrier
	buffer_load_dword v127, off, s[0:3], 0 offset:64
	buffer_load_dword v128, off, s[0:3], 0 offset:68
	;; [unrolled: 1-line block ×22, first 2 shown]
	ds_read_b128 v[119:122], v118 offset:528
	ds_read_b128 v[123:126], v118 offset:544
	v_cmp_lt_u32_e32 vcc, 6, v0
	s_waitcnt vmcnt(20) lgkmcnt(1)
	v_fma_f64 v[119:120], v[127:128], v[119:120], 0
	s_waitcnt vmcnt(18)
	v_fma_f64 v[119:120], v[129:130], v[121:122], v[119:120]
	buffer_load_dword v128, off, s[0:3], 0 offset:156
	buffer_load_dword v129, off, s[0:3], 0 offset:176
	;; [unrolled: 1-line block ×7, first 2 shown]
	s_waitcnt vmcnt(23) lgkmcnt(0)
	v_fma_f64 v[119:120], v[131:132], v[123:124], v[119:120]
	s_waitcnt vmcnt(21)
	v_fma_f64 v[130:131], v[133:134], v[125:126], v[119:120]
	ds_read_b128 v[119:122], v118 offset:560
	ds_read_b128 v[123:126], v118 offset:576
	s_waitcnt vmcnt(19) lgkmcnt(1)
	v_fma_f64 v[119:120], v[135:136], v[119:120], v[130:131]
	buffer_load_dword v130, off, s[0:3], 0 offset:180
	s_waitcnt vmcnt(18)
	v_fma_f64 v[119:120], v[137:138], v[121:122], v[119:120]
	buffer_load_dword v132, off, s[0:3], 0 offset:188
	buffer_load_dword v133, off, s[0:3], 0 offset:208
	;; [unrolled: 1-line block ×8, first 2 shown]
	s_waitcnt vmcnt(24) lgkmcnt(0)
	v_fma_f64 v[119:120], v[139:140], v[123:124], v[119:120]
	s_waitcnt vmcnt(19)
	v_fma_f64 v[139:140], v[141:142], v[125:126], v[119:120]
	ds_read_b128 v[119:122], v118 offset:592
	ds_read_b128 v[123:126], v118 offset:608
	s_waitcnt vmcnt(18) lgkmcnt(1)
	v_fma_f64 v[119:120], v[147:148], v[119:120], v[139:140]
	s_waitcnt vmcnt(17)
	v_fma_f64 v[119:120], v[145:146], v[121:122], v[119:120]
	buffer_load_dword v140, off, s[0:3], 0 offset:220
	buffer_load_dword v141, off, s[0:3], 0 offset:240
	;; [unrolled: 1-line block ×8, first 2 shown]
	s_waitcnt vmcnt(24) lgkmcnt(0)
	v_fma_f64 v[119:120], v[143:144], v[123:124], v[119:120]
	s_waitcnt vmcnt(19)
	v_fma_f64 v[127:128], v[127:128], v[125:126], v[119:120]
	ds_read_b128 v[119:122], v118 offset:624
	ds_read_b128 v[123:126], v118 offset:640
	s_waitcnt vmcnt(18) lgkmcnt(1)
	v_fma_f64 v[119:120], v[151:152], v[119:120], v[127:128]
	s_waitcnt vmcnt(17)
	v_fma_f64 v[119:120], v[149:150], v[121:122], v[119:120]
	buffer_load_dword v128, off, s[0:3], 0 offset:252
	buffer_load_dword v143, off, s[0:3], 0 offset:272
	;; [unrolled: 1-line block ×7, first 2 shown]
	s_waitcnt vmcnt(23) lgkmcnt(0)
	v_fma_f64 v[119:120], v[129:130], v[123:124], v[119:120]
	s_waitcnt vmcnt(18)
	v_fma_f64 v[129:130], v[131:132], v[125:126], v[119:120]
	ds_read_b128 v[119:122], v118 offset:656
	ds_read_b128 v[123:126], v118 offset:672
	buffer_load_dword v144, off, s[0:3], 0 offset:276
	s_waitcnt vmcnt(18) lgkmcnt(1)
	v_fma_f64 v[119:120], v[137:138], v[119:120], v[129:130]
	s_waitcnt vmcnt(17)
	v_fma_f64 v[119:120], v[135:136], v[121:122], v[119:120]
	buffer_load_dword v130, off, s[0:3], 0 offset:284
	buffer_load_dword v131, off, s[0:3], 0 offset:304
	buffer_load_dword v135, off, s[0:3], 0 offset:296
	buffer_load_dword v137, off, s[0:3], 0 offset:288
	buffer_load_dword v129, off, s[0:3], 0 offset:280
	buffer_load_dword v138, off, s[0:3], 0 offset:292
	buffer_load_dword v136, off, s[0:3], 0 offset:300
	s_waitcnt vmcnt(23) lgkmcnt(0)
	v_fma_f64 v[119:120], v[133:134], v[123:124], v[119:120]
	s_waitcnt vmcnt(18)
	v_fma_f64 v[132:133], v[139:140], v[125:126], v[119:120]
	ds_read_b128 v[119:122], v118 offset:688
	ds_read_b128 v[123:126], v118 offset:704
	s_waitcnt vmcnt(17) lgkmcnt(1)
	v_fma_f64 v[119:120], v[147:148], v[119:120], v[132:133]
	buffer_load_dword v132, off, s[0:3], 0 offset:308
	s_waitcnt vmcnt(17)
	v_fma_f64 v[119:120], v[145:146], v[121:122], v[119:120]
	buffer_load_dword v134, off, s[0:3], 0 offset:316
	buffer_load_dword v139, off, s[0:3], 0 offset:336
	;; [unrolled: 1-line block ×8, first 2 shown]
	s_waitcnt vmcnt(24) lgkmcnt(0)
	v_fma_f64 v[119:120], v[141:142], v[123:124], v[119:120]
	s_waitcnt vmcnt(19)
	v_fma_f64 v[127:128], v[127:128], v[125:126], v[119:120]
	ds_read_b128 v[119:122], v118 offset:720
	ds_read_b128 v[123:126], v118 offset:736
	s_waitcnt vmcnt(18) lgkmcnt(1)
	v_fma_f64 v[119:120], v[151:152], v[119:120], v[127:128]
	s_waitcnt vmcnt(17)
	v_fma_f64 v[119:120], v[149:150], v[121:122], v[119:120]
	buffer_load_dword v128, off, s[0:3], 0 offset:348
	buffer_load_dword v141, off, s[0:3], 0 offset:368
	;; [unrolled: 1-line block ×7, first 2 shown]
	s_waitcnt vmcnt(23) lgkmcnt(0)
	v_fma_f64 v[119:120], v[143:144], v[123:124], v[119:120]
	s_waitcnt vmcnt(18)
	v_fma_f64 v[129:130], v[129:130], v[125:126], v[119:120]
	ds_read_b128 v[119:122], v118 offset:752
	ds_read_b128 v[123:126], v118 offset:768
	buffer_load_dword v142, off, s[0:3], 0 offset:372
	s_waitcnt vmcnt(18) lgkmcnt(1)
	v_fma_f64 v[119:120], v[137:138], v[119:120], v[129:130]
	s_waitcnt vmcnt(17)
	v_fma_f64 v[119:120], v[135:136], v[121:122], v[119:120]
	buffer_load_dword v130, off, s[0:3], 0 offset:380
	buffer_load_dword v135, off, s[0:3], 0 offset:400
	;; [unrolled: 1-line block ×8, first 2 shown]
	s_waitcnt vmcnt(24) lgkmcnt(0)
	v_fma_f64 v[119:120], v[131:132], v[123:124], v[119:120]
	s_waitcnt vmcnt(19)
	v_fma_f64 v[131:132], v[133:134], v[125:126], v[119:120]
	ds_read_b128 v[119:122], v118 offset:784
	ds_read_b128 v[123:126], v118 offset:800
	s_waitcnt vmcnt(18) lgkmcnt(1)
	v_fma_f64 v[119:120], v[147:148], v[119:120], v[131:132]
	s_waitcnt vmcnt(17)
	v_fma_f64 v[119:120], v[145:146], v[121:122], v[119:120]
	buffer_load_dword v132, off, s[0:3], 0 offset:412
	buffer_load_dword v133, off, s[0:3], 0 offset:432
	;; [unrolled: 1-line block ×8, first 2 shown]
	s_waitcnt vmcnt(24) lgkmcnt(0)
	v_fma_f64 v[119:120], v[139:140], v[123:124], v[119:120]
	s_waitcnt vmcnt(19)
	v_fma_f64 v[127:128], v[127:128], v[125:126], v[119:120]
	ds_read_b128 v[119:122], v118 offset:816
	ds_read_b128 v[123:126], v118 offset:832
	s_waitcnt vmcnt(18) lgkmcnt(1)
	v_fma_f64 v[119:120], v[151:152], v[119:120], v[127:128]
	s_waitcnt vmcnt(17)
	v_fma_f64 v[119:120], v[149:150], v[121:122], v[119:120]
	buffer_load_dword v128, off, s[0:3], 0 offset:444
	buffer_load_dword v139, off, s[0:3], 0 offset:456
	;; [unrolled: 1-line block ×6, first 2 shown]
	s_waitcnt vmcnt(22) lgkmcnt(0)
	v_fma_f64 v[119:120], v[141:142], v[123:124], v[119:120]
	s_waitcnt vmcnt(17)
	v_fma_f64 v[129:130], v[129:130], v[125:126], v[119:120]
	ds_read_b128 v[119:122], v118 offset:848
	buffer_load_dword v141, off, s[0:3], 0 offset:56
	buffer_load_dword v142, off, s[0:3], 0 offset:60
	ds_read_b128 v[123:126], v118 offset:864
	s_waitcnt vmcnt(18) lgkmcnt(1)
	v_fma_f64 v[119:120], v[143:144], v[119:120], v[129:130]
	s_waitcnt vmcnt(17)
	v_fma_f64 v[119:120], v[137:138], v[121:122], v[119:120]
	s_waitcnt vmcnt(16) lgkmcnt(0)
	v_fma_f64 v[119:120], v[135:136], v[123:124], v[119:120]
	s_waitcnt vmcnt(11)
	v_fma_f64 v[129:130], v[131:132], v[125:126], v[119:120]
	ds_read_b128 v[119:122], v118 offset:880
	ds_read_b128 v[123:126], v118 offset:896
	s_waitcnt vmcnt(10) lgkmcnt(1)
	v_fma_f64 v[119:120], v[147:148], v[119:120], v[129:130]
	s_waitcnt vmcnt(9)
	v_fma_f64 v[119:120], v[145:146], v[121:122], v[119:120]
	s_waitcnt vmcnt(8) lgkmcnt(0)
	v_fma_f64 v[119:120], v[133:134], v[123:124], v[119:120]
	s_waitcnt vmcnt(4)
	v_fma_f64 v[122:123], v[127:128], v[125:126], v[119:120]
	ds_read_b128 v[118:121], v118 offset:912
	s_waitcnt vmcnt(3) lgkmcnt(0)
	v_fma_f64 v[118:119], v[149:150], v[118:119], v[122:123]
	s_waitcnt vmcnt(2)
	v_fma_f64 v[118:119], v[139:140], v[120:121], v[118:119]
	s_waitcnt vmcnt(0)
	v_add_f64 v[118:119], v[141:142], -v[118:119]
	buffer_store_dword v119, off, s[0:3], 0 offset:60
	buffer_store_dword v118, off, s[0:3], 0 offset:56
	s_and_saveexec_b64 s[4:5], vcc
	s_cbranch_execz .LBB57_343
; %bb.342:
	buffer_load_dword v118, off, s[0:3], 0 offset:48
	buffer_load_dword v119, off, s[0:3], 0 offset:52
	v_mov_b32_e32 v120, 0
	buffer_store_dword v120, off, s[0:3], 0 offset:48
	buffer_store_dword v120, off, s[0:3], 0 offset:52
	s_waitcnt vmcnt(2)
	ds_write_b64 v117, v[118:119]
.LBB57_343:
	s_or_b64 exec, exec, s[4:5]
	s_waitcnt lgkmcnt(0)
	; wave barrier
	buffer_load_dword v127, off, s[0:3], 0 offset:56
	buffer_load_dword v128, off, s[0:3], 0 offset:60
	;; [unrolled: 1-line block ×22, first 2 shown]
	v_mov_b32_e32 v118, 0
	ds_read2_b64 v[119:122], v118 offset0:65 offset1:66
	ds_read2_b64 v[123:126], v118 offset0:67 offset1:68
	v_cmp_lt_u32_e32 vcc, 5, v0
	s_waitcnt vmcnt(20) lgkmcnt(1)
	v_fma_f64 v[119:120], v[127:128], v[119:120], 0
	s_waitcnt vmcnt(18)
	v_fma_f64 v[119:120], v[129:130], v[121:122], v[119:120]
	buffer_load_dword v128, off, s[0:3], 0 offset:148
	buffer_load_dword v129, off, s[0:3], 0 offset:168
	;; [unrolled: 1-line block ×7, first 2 shown]
	s_waitcnt vmcnt(23) lgkmcnt(0)
	v_fma_f64 v[119:120], v[131:132], v[123:124], v[119:120]
	s_waitcnt vmcnt(21)
	v_fma_f64 v[130:131], v[133:134], v[125:126], v[119:120]
	ds_read2_b64 v[119:122], v118 offset0:69 offset1:70
	ds_read2_b64 v[123:126], v118 offset0:71 offset1:72
	s_waitcnt vmcnt(19) lgkmcnt(1)
	v_fma_f64 v[119:120], v[135:136], v[119:120], v[130:131]
	buffer_load_dword v130, off, s[0:3], 0 offset:172
	s_waitcnt vmcnt(18)
	v_fma_f64 v[119:120], v[137:138], v[121:122], v[119:120]
	buffer_load_dword v132, off, s[0:3], 0 offset:180
	buffer_load_dword v133, off, s[0:3], 0 offset:200
	;; [unrolled: 1-line block ×8, first 2 shown]
	s_waitcnt vmcnt(24) lgkmcnt(0)
	v_fma_f64 v[119:120], v[139:140], v[123:124], v[119:120]
	s_waitcnt vmcnt(19)
	v_fma_f64 v[139:140], v[141:142], v[125:126], v[119:120]
	ds_read2_b64 v[119:122], v118 offset0:73 offset1:74
	ds_read2_b64 v[123:126], v118 offset0:75 offset1:76
	s_waitcnt vmcnt(18) lgkmcnt(1)
	v_fma_f64 v[119:120], v[147:148], v[119:120], v[139:140]
	s_waitcnt vmcnt(17)
	v_fma_f64 v[119:120], v[145:146], v[121:122], v[119:120]
	buffer_load_dword v140, off, s[0:3], 0 offset:212
	buffer_load_dword v141, off, s[0:3], 0 offset:232
	;; [unrolled: 1-line block ×8, first 2 shown]
	s_waitcnt vmcnt(24) lgkmcnt(0)
	v_fma_f64 v[119:120], v[143:144], v[123:124], v[119:120]
	s_waitcnt vmcnt(19)
	v_fma_f64 v[127:128], v[127:128], v[125:126], v[119:120]
	ds_read2_b64 v[119:122], v118 offset0:77 offset1:78
	ds_read2_b64 v[123:126], v118 offset0:79 offset1:80
	s_waitcnt vmcnt(18) lgkmcnt(1)
	v_fma_f64 v[119:120], v[151:152], v[119:120], v[127:128]
	s_waitcnt vmcnt(17)
	v_fma_f64 v[119:120], v[149:150], v[121:122], v[119:120]
	buffer_load_dword v128, off, s[0:3], 0 offset:244
	buffer_load_dword v143, off, s[0:3], 0 offset:264
	;; [unrolled: 1-line block ×7, first 2 shown]
	s_waitcnt vmcnt(23) lgkmcnt(0)
	v_fma_f64 v[119:120], v[129:130], v[123:124], v[119:120]
	s_waitcnt vmcnt(18)
	v_fma_f64 v[129:130], v[131:132], v[125:126], v[119:120]
	ds_read2_b64 v[119:122], v118 offset0:81 offset1:82
	ds_read2_b64 v[123:126], v118 offset0:83 offset1:84
	buffer_load_dword v144, off, s[0:3], 0 offset:268
	s_waitcnt vmcnt(18) lgkmcnt(1)
	v_fma_f64 v[119:120], v[137:138], v[119:120], v[129:130]
	s_waitcnt vmcnt(17)
	v_fma_f64 v[119:120], v[135:136], v[121:122], v[119:120]
	buffer_load_dword v130, off, s[0:3], 0 offset:276
	buffer_load_dword v131, off, s[0:3], 0 offset:296
	buffer_load_dword v135, off, s[0:3], 0 offset:288
	buffer_load_dword v137, off, s[0:3], 0 offset:280
	buffer_load_dword v129, off, s[0:3], 0 offset:272
	buffer_load_dword v138, off, s[0:3], 0 offset:284
	buffer_load_dword v136, off, s[0:3], 0 offset:292
	s_waitcnt vmcnt(23) lgkmcnt(0)
	v_fma_f64 v[119:120], v[133:134], v[123:124], v[119:120]
	s_waitcnt vmcnt(18)
	v_fma_f64 v[132:133], v[139:140], v[125:126], v[119:120]
	ds_read2_b64 v[119:122], v118 offset0:85 offset1:86
	ds_read2_b64 v[123:126], v118 offset0:87 offset1:88
	s_waitcnt vmcnt(17) lgkmcnt(1)
	v_fma_f64 v[119:120], v[147:148], v[119:120], v[132:133]
	buffer_load_dword v132, off, s[0:3], 0 offset:300
	s_waitcnt vmcnt(17)
	v_fma_f64 v[119:120], v[145:146], v[121:122], v[119:120]
	buffer_load_dword v134, off, s[0:3], 0 offset:308
	buffer_load_dword v139, off, s[0:3], 0 offset:328
	;; [unrolled: 1-line block ×8, first 2 shown]
	s_waitcnt vmcnt(24) lgkmcnt(0)
	v_fma_f64 v[119:120], v[141:142], v[123:124], v[119:120]
	s_waitcnt vmcnt(19)
	v_fma_f64 v[127:128], v[127:128], v[125:126], v[119:120]
	ds_read2_b64 v[119:122], v118 offset0:89 offset1:90
	ds_read2_b64 v[123:126], v118 offset0:91 offset1:92
	s_waitcnt vmcnt(18) lgkmcnt(1)
	v_fma_f64 v[119:120], v[151:152], v[119:120], v[127:128]
	s_waitcnt vmcnt(17)
	v_fma_f64 v[119:120], v[149:150], v[121:122], v[119:120]
	buffer_load_dword v128, off, s[0:3], 0 offset:340
	buffer_load_dword v141, off, s[0:3], 0 offset:360
	;; [unrolled: 1-line block ×7, first 2 shown]
	s_waitcnt vmcnt(23) lgkmcnt(0)
	v_fma_f64 v[119:120], v[143:144], v[123:124], v[119:120]
	s_waitcnt vmcnt(18)
	v_fma_f64 v[129:130], v[129:130], v[125:126], v[119:120]
	ds_read2_b64 v[119:122], v118 offset0:93 offset1:94
	ds_read2_b64 v[123:126], v118 offset0:95 offset1:96
	buffer_load_dword v142, off, s[0:3], 0 offset:364
	s_waitcnt vmcnt(18) lgkmcnt(1)
	v_fma_f64 v[119:120], v[137:138], v[119:120], v[129:130]
	s_waitcnt vmcnt(17)
	v_fma_f64 v[119:120], v[135:136], v[121:122], v[119:120]
	buffer_load_dword v130, off, s[0:3], 0 offset:372
	buffer_load_dword v135, off, s[0:3], 0 offset:392
	buffer_load_dword v137, off, s[0:3], 0 offset:384
	buffer_load_dword v143, off, s[0:3], 0 offset:376
	buffer_load_dword v129, off, s[0:3], 0 offset:368
	buffer_load_dword v144, off, s[0:3], 0 offset:380
	buffer_load_dword v138, off, s[0:3], 0 offset:388
	buffer_load_dword v136, off, s[0:3], 0 offset:396
	s_waitcnt vmcnt(24) lgkmcnt(0)
	v_fma_f64 v[119:120], v[131:132], v[123:124], v[119:120]
	s_waitcnt vmcnt(19)
	v_fma_f64 v[131:132], v[133:134], v[125:126], v[119:120]
	ds_read2_b64 v[119:122], v118 offset0:97 offset1:98
	ds_read2_b64 v[123:126], v118 offset0:99 offset1:100
	s_waitcnt vmcnt(18) lgkmcnt(1)
	v_fma_f64 v[119:120], v[147:148], v[119:120], v[131:132]
	s_waitcnt vmcnt(17)
	v_fma_f64 v[119:120], v[145:146], v[121:122], v[119:120]
	buffer_load_dword v132, off, s[0:3], 0 offset:404
	buffer_load_dword v133, off, s[0:3], 0 offset:424
	buffer_load_dword v145, off, s[0:3], 0 offset:416
	buffer_load_dword v147, off, s[0:3], 0 offset:408
	buffer_load_dword v131, off, s[0:3], 0 offset:400
	buffer_load_dword v148, off, s[0:3], 0 offset:412
	buffer_load_dword v146, off, s[0:3], 0 offset:420
	buffer_load_dword v134, off, s[0:3], 0 offset:428
	s_waitcnt vmcnt(24) lgkmcnt(0)
	v_fma_f64 v[119:120], v[139:140], v[123:124], v[119:120]
	s_waitcnt vmcnt(19)
	v_fma_f64 v[127:128], v[127:128], v[125:126], v[119:120]
	ds_read2_b64 v[119:122], v118 offset0:101 offset1:102
	ds_read2_b64 v[123:126], v118 offset0:103 offset1:104
	;; [unrolled: 18-line block ×3, first 2 shown]
	s_waitcnt vmcnt(18) lgkmcnt(1)
	v_fma_f64 v[119:120], v[143:144], v[119:120], v[129:130]
	buffer_load_dword v129, off, s[0:3], 0 offset:48
	buffer_load_dword v130, off, s[0:3], 0 offset:52
	s_waitcnt vmcnt(19)
	v_fma_f64 v[119:120], v[137:138], v[121:122], v[119:120]
	s_waitcnt vmcnt(18) lgkmcnt(0)
	v_fma_f64 v[119:120], v[135:136], v[123:124], v[119:120]
	s_waitcnt vmcnt(13)
	v_fma_f64 v[131:132], v[131:132], v[125:126], v[119:120]
	ds_read2_b64 v[119:122], v118 offset0:109 offset1:110
	ds_read2_b64 v[123:126], v118 offset0:111 offset1:112
	s_waitcnt vmcnt(12) lgkmcnt(1)
	v_fma_f64 v[119:120], v[147:148], v[119:120], v[131:132]
	s_waitcnt vmcnt(11)
	v_fma_f64 v[119:120], v[145:146], v[121:122], v[119:120]
	s_waitcnt vmcnt(10) lgkmcnt(0)
	v_fma_f64 v[119:120], v[133:134], v[123:124], v[119:120]
	s_waitcnt vmcnt(5)
	v_fma_f64 v[123:124], v[127:128], v[125:126], v[119:120]
	ds_read2_b64 v[119:122], v118 offset0:113 offset1:114
	ds_read_b64 v[125:126], v118 offset:920
	s_waitcnt vmcnt(4) lgkmcnt(1)
	v_fma_f64 v[119:120], v[151:152], v[119:120], v[123:124]
	s_waitcnt vmcnt(3)
	v_fma_f64 v[119:120], v[149:150], v[121:122], v[119:120]
	s_waitcnt vmcnt(2) lgkmcnt(0)
	v_fma_f64 v[119:120], v[139:140], v[125:126], v[119:120]
	s_waitcnt vmcnt(0)
	v_add_f64 v[119:120], v[129:130], -v[119:120]
	buffer_store_dword v120, off, s[0:3], 0 offset:52
	buffer_store_dword v119, off, s[0:3], 0 offset:48
	s_and_saveexec_b64 s[4:5], vcc
	s_cbranch_execz .LBB57_345
; %bb.344:
	buffer_load_dword v119, off, s[0:3], 0 offset:40
	buffer_load_dword v120, off, s[0:3], 0 offset:44
	s_waitcnt vmcnt(0)
	ds_write_b64 v117, v[119:120]
	buffer_store_dword v118, off, s[0:3], 0 offset:40
	buffer_store_dword v118, off, s[0:3], 0 offset:44
.LBB57_345:
	s_or_b64 exec, exec, s[4:5]
	s_waitcnt lgkmcnt(0)
	; wave barrier
	buffer_load_dword v127, off, s[0:3], 0 offset:48
	buffer_load_dword v128, off, s[0:3], 0 offset:52
	;; [unrolled: 1-line block ×22, first 2 shown]
	ds_read_b128 v[119:122], v118 offset:512
	ds_read_b128 v[123:126], v118 offset:528
	v_cmp_lt_u32_e32 vcc, 4, v0
	s_waitcnt vmcnt(20) lgkmcnt(1)
	v_fma_f64 v[119:120], v[127:128], v[119:120], 0
	s_waitcnt vmcnt(18)
	v_fma_f64 v[119:120], v[129:130], v[121:122], v[119:120]
	buffer_load_dword v128, off, s[0:3], 0 offset:140
	buffer_load_dword v129, off, s[0:3], 0 offset:160
	;; [unrolled: 1-line block ×7, first 2 shown]
	s_waitcnt vmcnt(23) lgkmcnt(0)
	v_fma_f64 v[119:120], v[131:132], v[123:124], v[119:120]
	s_waitcnt vmcnt(21)
	v_fma_f64 v[130:131], v[133:134], v[125:126], v[119:120]
	ds_read_b128 v[119:122], v118 offset:544
	ds_read_b128 v[123:126], v118 offset:560
	s_waitcnt vmcnt(19) lgkmcnt(1)
	v_fma_f64 v[119:120], v[135:136], v[119:120], v[130:131]
	buffer_load_dword v130, off, s[0:3], 0 offset:164
	s_waitcnt vmcnt(18)
	v_fma_f64 v[119:120], v[137:138], v[121:122], v[119:120]
	buffer_load_dword v132, off, s[0:3], 0 offset:172
	buffer_load_dword v133, off, s[0:3], 0 offset:192
	;; [unrolled: 1-line block ×8, first 2 shown]
	s_waitcnt vmcnt(24) lgkmcnt(0)
	v_fma_f64 v[119:120], v[139:140], v[123:124], v[119:120]
	s_waitcnt vmcnt(19)
	v_fma_f64 v[139:140], v[141:142], v[125:126], v[119:120]
	ds_read_b128 v[119:122], v118 offset:576
	ds_read_b128 v[123:126], v118 offset:592
	s_waitcnt vmcnt(18) lgkmcnt(1)
	v_fma_f64 v[119:120], v[147:148], v[119:120], v[139:140]
	s_waitcnt vmcnt(17)
	v_fma_f64 v[119:120], v[145:146], v[121:122], v[119:120]
	buffer_load_dword v140, off, s[0:3], 0 offset:204
	buffer_load_dword v141, off, s[0:3], 0 offset:224
	;; [unrolled: 1-line block ×8, first 2 shown]
	s_waitcnt vmcnt(24) lgkmcnt(0)
	v_fma_f64 v[119:120], v[143:144], v[123:124], v[119:120]
	s_waitcnt vmcnt(19)
	v_fma_f64 v[127:128], v[127:128], v[125:126], v[119:120]
	ds_read_b128 v[119:122], v118 offset:608
	ds_read_b128 v[123:126], v118 offset:624
	s_waitcnt vmcnt(18) lgkmcnt(1)
	v_fma_f64 v[119:120], v[151:152], v[119:120], v[127:128]
	s_waitcnt vmcnt(17)
	v_fma_f64 v[119:120], v[149:150], v[121:122], v[119:120]
	buffer_load_dword v128, off, s[0:3], 0 offset:236
	buffer_load_dword v143, off, s[0:3], 0 offset:256
	;; [unrolled: 1-line block ×7, first 2 shown]
	s_waitcnt vmcnt(23) lgkmcnt(0)
	v_fma_f64 v[119:120], v[129:130], v[123:124], v[119:120]
	s_waitcnt vmcnt(18)
	v_fma_f64 v[129:130], v[131:132], v[125:126], v[119:120]
	ds_read_b128 v[119:122], v118 offset:640
	ds_read_b128 v[123:126], v118 offset:656
	buffer_load_dword v144, off, s[0:3], 0 offset:260
	s_waitcnt vmcnt(18) lgkmcnt(1)
	v_fma_f64 v[119:120], v[137:138], v[119:120], v[129:130]
	s_waitcnt vmcnt(17)
	v_fma_f64 v[119:120], v[135:136], v[121:122], v[119:120]
	buffer_load_dword v130, off, s[0:3], 0 offset:268
	buffer_load_dword v131, off, s[0:3], 0 offset:288
	;; [unrolled: 1-line block ×7, first 2 shown]
	s_waitcnt vmcnt(23) lgkmcnt(0)
	v_fma_f64 v[119:120], v[133:134], v[123:124], v[119:120]
	s_waitcnt vmcnt(18)
	v_fma_f64 v[132:133], v[139:140], v[125:126], v[119:120]
	ds_read_b128 v[119:122], v118 offset:672
	ds_read_b128 v[123:126], v118 offset:688
	s_waitcnt vmcnt(17) lgkmcnt(1)
	v_fma_f64 v[119:120], v[147:148], v[119:120], v[132:133]
	buffer_load_dword v132, off, s[0:3], 0 offset:292
	s_waitcnt vmcnt(17)
	v_fma_f64 v[119:120], v[145:146], v[121:122], v[119:120]
	buffer_load_dword v134, off, s[0:3], 0 offset:300
	buffer_load_dword v139, off, s[0:3], 0 offset:320
	;; [unrolled: 1-line block ×8, first 2 shown]
	s_waitcnt vmcnt(24) lgkmcnt(0)
	v_fma_f64 v[119:120], v[141:142], v[123:124], v[119:120]
	s_waitcnt vmcnt(19)
	v_fma_f64 v[127:128], v[127:128], v[125:126], v[119:120]
	ds_read_b128 v[119:122], v118 offset:704
	ds_read_b128 v[123:126], v118 offset:720
	s_waitcnt vmcnt(18) lgkmcnt(1)
	v_fma_f64 v[119:120], v[151:152], v[119:120], v[127:128]
	s_waitcnt vmcnt(17)
	v_fma_f64 v[119:120], v[149:150], v[121:122], v[119:120]
	buffer_load_dword v128, off, s[0:3], 0 offset:332
	buffer_load_dword v141, off, s[0:3], 0 offset:352
	buffer_load_dword v149, off, s[0:3], 0 offset:344
	buffer_load_dword v151, off, s[0:3], 0 offset:336
	buffer_load_dword v127, off, s[0:3], 0 offset:328
	buffer_load_dword v152, off, s[0:3], 0 offset:340
	buffer_load_dword v150, off, s[0:3], 0 offset:348
	s_waitcnt vmcnt(23) lgkmcnt(0)
	v_fma_f64 v[119:120], v[143:144], v[123:124], v[119:120]
	s_waitcnt vmcnt(18)
	v_fma_f64 v[129:130], v[129:130], v[125:126], v[119:120]
	ds_read_b128 v[119:122], v118 offset:736
	ds_read_b128 v[123:126], v118 offset:752
	buffer_load_dword v142, off, s[0:3], 0 offset:356
	s_waitcnt vmcnt(18) lgkmcnt(1)
	v_fma_f64 v[119:120], v[137:138], v[119:120], v[129:130]
	s_waitcnt vmcnt(17)
	v_fma_f64 v[119:120], v[135:136], v[121:122], v[119:120]
	buffer_load_dword v130, off, s[0:3], 0 offset:364
	buffer_load_dword v135, off, s[0:3], 0 offset:384
	buffer_load_dword v137, off, s[0:3], 0 offset:376
	buffer_load_dword v143, off, s[0:3], 0 offset:368
	buffer_load_dword v129, off, s[0:3], 0 offset:360
	buffer_load_dword v144, off, s[0:3], 0 offset:372
	buffer_load_dword v138, off, s[0:3], 0 offset:380
	buffer_load_dword v136, off, s[0:3], 0 offset:388
	s_waitcnt vmcnt(24) lgkmcnt(0)
	v_fma_f64 v[119:120], v[131:132], v[123:124], v[119:120]
	s_waitcnt vmcnt(19)
	v_fma_f64 v[131:132], v[133:134], v[125:126], v[119:120]
	ds_read_b128 v[119:122], v118 offset:768
	ds_read_b128 v[123:126], v118 offset:784
	s_waitcnt vmcnt(18) lgkmcnt(1)
	v_fma_f64 v[119:120], v[147:148], v[119:120], v[131:132]
	s_waitcnt vmcnt(17)
	v_fma_f64 v[119:120], v[145:146], v[121:122], v[119:120]
	buffer_load_dword v132, off, s[0:3], 0 offset:396
	buffer_load_dword v133, off, s[0:3], 0 offset:416
	buffer_load_dword v145, off, s[0:3], 0 offset:408
	buffer_load_dword v147, off, s[0:3], 0 offset:400
	buffer_load_dword v131, off, s[0:3], 0 offset:392
	buffer_load_dword v148, off, s[0:3], 0 offset:404
	buffer_load_dword v146, off, s[0:3], 0 offset:412
	buffer_load_dword v134, off, s[0:3], 0 offset:420
	s_waitcnt vmcnt(24) lgkmcnt(0)
	v_fma_f64 v[119:120], v[139:140], v[123:124], v[119:120]
	s_waitcnt vmcnt(19)
	v_fma_f64 v[127:128], v[127:128], v[125:126], v[119:120]
	ds_read_b128 v[119:122], v118 offset:800
	ds_read_b128 v[123:126], v118 offset:816
	;; [unrolled: 18-line block ×3, first 2 shown]
	s_waitcnt vmcnt(18) lgkmcnt(1)
	v_fma_f64 v[119:120], v[143:144], v[119:120], v[129:130]
	buffer_load_dword v130, off, s[0:3], 0 offset:460
	buffer_load_dword v129, off, s[0:3], 0 offset:456
	s_waitcnt vmcnt(19)
	v_fma_f64 v[119:120], v[137:138], v[121:122], v[119:120]
	buffer_load_dword v137, off, s[0:3], 0 offset:40
	buffer_load_dword v138, off, s[0:3], 0 offset:44
	s_waitcnt vmcnt(20) lgkmcnt(0)
	v_fma_f64 v[119:120], v[135:136], v[123:124], v[119:120]
	s_waitcnt vmcnt(15)
	v_fma_f64 v[131:132], v[131:132], v[125:126], v[119:120]
	ds_read_b128 v[119:122], v118 offset:864
	ds_read_b128 v[123:126], v118 offset:880
	s_waitcnt vmcnt(14) lgkmcnt(1)
	v_fma_f64 v[119:120], v[147:148], v[119:120], v[131:132]
	s_waitcnt vmcnt(13)
	v_fma_f64 v[119:120], v[145:146], v[121:122], v[119:120]
	s_waitcnt vmcnt(12) lgkmcnt(0)
	v_fma_f64 v[119:120], v[133:134], v[123:124], v[119:120]
	s_waitcnt vmcnt(7)
	v_fma_f64 v[127:128], v[127:128], v[125:126], v[119:120]
	ds_read_b128 v[119:122], v118 offset:896
	ds_read_b128 v[123:126], v118 offset:912
	s_waitcnt vmcnt(6) lgkmcnt(1)
	v_fma_f64 v[118:119], v[151:152], v[119:120], v[127:128]
	s_waitcnt vmcnt(5)
	v_fma_f64 v[118:119], v[149:150], v[121:122], v[118:119]
	s_waitcnt vmcnt(4) lgkmcnt(0)
	v_fma_f64 v[118:119], v[139:140], v[123:124], v[118:119]
	s_waitcnt vmcnt(2)
	v_fma_f64 v[118:119], v[129:130], v[125:126], v[118:119]
	s_waitcnt vmcnt(0)
	v_add_f64 v[118:119], v[137:138], -v[118:119]
	buffer_store_dword v119, off, s[0:3], 0 offset:44
	buffer_store_dword v118, off, s[0:3], 0 offset:40
	s_and_saveexec_b64 s[4:5], vcc
	s_cbranch_execz .LBB57_347
; %bb.346:
	buffer_load_dword v118, off, s[0:3], 0 offset:32
	buffer_load_dword v119, off, s[0:3], 0 offset:36
	v_mov_b32_e32 v120, 0
	buffer_store_dword v120, off, s[0:3], 0 offset:32
	buffer_store_dword v120, off, s[0:3], 0 offset:36
	s_waitcnt vmcnt(2)
	ds_write_b64 v117, v[118:119]
.LBB57_347:
	s_or_b64 exec, exec, s[4:5]
	s_waitcnt lgkmcnt(0)
	; wave barrier
	buffer_load_dword v127, off, s[0:3], 0 offset:40
	buffer_load_dword v128, off, s[0:3], 0 offset:44
	;; [unrolled: 1-line block ×22, first 2 shown]
	v_mov_b32_e32 v118, 0
	ds_read2_b64 v[119:122], v118 offset0:63 offset1:64
	ds_read2_b64 v[123:126], v118 offset0:65 offset1:66
	v_cmp_lt_u32_e32 vcc, 3, v0
	s_waitcnt vmcnt(20) lgkmcnt(1)
	v_fma_f64 v[119:120], v[127:128], v[119:120], 0
	s_waitcnt vmcnt(18)
	v_fma_f64 v[119:120], v[129:130], v[121:122], v[119:120]
	buffer_load_dword v128, off, s[0:3], 0 offset:132
	buffer_load_dword v129, off, s[0:3], 0 offset:152
	;; [unrolled: 1-line block ×7, first 2 shown]
	s_waitcnt vmcnt(23) lgkmcnt(0)
	v_fma_f64 v[119:120], v[131:132], v[123:124], v[119:120]
	s_waitcnt vmcnt(21)
	v_fma_f64 v[130:131], v[133:134], v[125:126], v[119:120]
	ds_read2_b64 v[119:122], v118 offset0:67 offset1:68
	ds_read2_b64 v[123:126], v118 offset0:69 offset1:70
	s_waitcnt vmcnt(19) lgkmcnt(1)
	v_fma_f64 v[119:120], v[135:136], v[119:120], v[130:131]
	buffer_load_dword v130, off, s[0:3], 0 offset:156
	s_waitcnt vmcnt(18)
	v_fma_f64 v[119:120], v[137:138], v[121:122], v[119:120]
	buffer_load_dword v132, off, s[0:3], 0 offset:164
	buffer_load_dword v133, off, s[0:3], 0 offset:184
	;; [unrolled: 1-line block ×7, first 2 shown]
	s_waitcnt vmcnt(23) lgkmcnt(0)
	v_fma_f64 v[119:120], v[139:140], v[123:124], v[119:120]
	s_waitcnt vmcnt(18)
	v_fma_f64 v[139:140], v[141:142], v[125:126], v[119:120]
	ds_read2_b64 v[119:122], v118 offset0:71 offset1:72
	ds_read2_b64 v[123:126], v118 offset0:73 offset1:74
	buffer_load_dword v134, off, s[0:3], 0 offset:188
	s_waitcnt vmcnt(18) lgkmcnt(1)
	v_fma_f64 v[119:120], v[147:148], v[119:120], v[139:140]
	s_waitcnt vmcnt(17)
	v_fma_f64 v[119:120], v[145:146], v[121:122], v[119:120]
	buffer_load_dword v140, off, s[0:3], 0 offset:196
	buffer_load_dword v141, off, s[0:3], 0 offset:216
	;; [unrolled: 1-line block ×8, first 2 shown]
	s_waitcnt vmcnt(24) lgkmcnt(0)
	v_fma_f64 v[119:120], v[143:144], v[123:124], v[119:120]
	s_waitcnt vmcnt(19)
	v_fma_f64 v[127:128], v[127:128], v[125:126], v[119:120]
	ds_read2_b64 v[119:122], v118 offset0:75 offset1:76
	ds_read2_b64 v[123:126], v118 offset0:77 offset1:78
	s_waitcnt vmcnt(18) lgkmcnt(1)
	v_fma_f64 v[119:120], v[151:152], v[119:120], v[127:128]
	s_waitcnt vmcnt(17)
	v_fma_f64 v[119:120], v[149:150], v[121:122], v[119:120]
	buffer_load_dword v128, off, s[0:3], 0 offset:228
	buffer_load_dword v143, off, s[0:3], 0 offset:248
	;; [unrolled: 1-line block ×7, first 2 shown]
	s_waitcnt vmcnt(23) lgkmcnt(0)
	v_fma_f64 v[119:120], v[129:130], v[123:124], v[119:120]
	s_waitcnt vmcnt(18)
	v_fma_f64 v[129:130], v[131:132], v[125:126], v[119:120]
	ds_read2_b64 v[119:122], v118 offset0:79 offset1:80
	ds_read2_b64 v[123:126], v118 offset0:81 offset1:82
	buffer_load_dword v144, off, s[0:3], 0 offset:252
	s_waitcnt vmcnt(18) lgkmcnt(1)
	v_fma_f64 v[119:120], v[137:138], v[119:120], v[129:130]
	s_waitcnt vmcnt(17)
	v_fma_f64 v[119:120], v[135:136], v[121:122], v[119:120]
	buffer_load_dword v130, off, s[0:3], 0 offset:260
	buffer_load_dword v131, off, s[0:3], 0 offset:280
	;; [unrolled: 1-line block ×7, first 2 shown]
	s_waitcnt vmcnt(23) lgkmcnt(0)
	v_fma_f64 v[119:120], v[133:134], v[123:124], v[119:120]
	s_waitcnt vmcnt(18)
	v_fma_f64 v[132:133], v[139:140], v[125:126], v[119:120]
	ds_read2_b64 v[119:122], v118 offset0:83 offset1:84
	ds_read2_b64 v[123:126], v118 offset0:85 offset1:86
	s_waitcnt vmcnt(17) lgkmcnt(1)
	v_fma_f64 v[119:120], v[147:148], v[119:120], v[132:133]
	buffer_load_dword v132, off, s[0:3], 0 offset:284
	s_waitcnt vmcnt(17)
	v_fma_f64 v[119:120], v[145:146], v[121:122], v[119:120]
	buffer_load_dword v134, off, s[0:3], 0 offset:292
	buffer_load_dword v139, off, s[0:3], 0 offset:312
	buffer_load_dword v145, off, s[0:3], 0 offset:304
	buffer_load_dword v147, off, s[0:3], 0 offset:296
	buffer_load_dword v133, off, s[0:3], 0 offset:288
	buffer_load_dword v148, off, s[0:3], 0 offset:300
	buffer_load_dword v146, off, s[0:3], 0 offset:308
	buffer_load_dword v140, off, s[0:3], 0 offset:316
	s_waitcnt vmcnt(24) lgkmcnt(0)
	v_fma_f64 v[119:120], v[141:142], v[123:124], v[119:120]
	s_waitcnt vmcnt(19)
	v_fma_f64 v[127:128], v[127:128], v[125:126], v[119:120]
	ds_read2_b64 v[119:122], v118 offset0:87 offset1:88
	ds_read2_b64 v[123:126], v118 offset0:89 offset1:90
	s_waitcnt vmcnt(18) lgkmcnt(1)
	v_fma_f64 v[119:120], v[151:152], v[119:120], v[127:128]
	s_waitcnt vmcnt(17)
	v_fma_f64 v[119:120], v[149:150], v[121:122], v[119:120]
	buffer_load_dword v128, off, s[0:3], 0 offset:324
	buffer_load_dword v141, off, s[0:3], 0 offset:344
	;; [unrolled: 1-line block ×7, first 2 shown]
	s_waitcnt vmcnt(23) lgkmcnt(0)
	v_fma_f64 v[119:120], v[143:144], v[123:124], v[119:120]
	s_waitcnt vmcnt(18)
	v_fma_f64 v[129:130], v[129:130], v[125:126], v[119:120]
	ds_read2_b64 v[119:122], v118 offset0:91 offset1:92
	ds_read2_b64 v[123:126], v118 offset0:93 offset1:94
	buffer_load_dword v142, off, s[0:3], 0 offset:348
	s_waitcnt vmcnt(18) lgkmcnt(1)
	v_fma_f64 v[119:120], v[137:138], v[119:120], v[129:130]
	s_waitcnt vmcnt(17)
	v_fma_f64 v[119:120], v[135:136], v[121:122], v[119:120]
	buffer_load_dword v130, off, s[0:3], 0 offset:356
	buffer_load_dword v135, off, s[0:3], 0 offset:376
	;; [unrolled: 1-line block ×7, first 2 shown]
	s_waitcnt vmcnt(23) lgkmcnt(0)
	v_fma_f64 v[119:120], v[131:132], v[123:124], v[119:120]
	s_waitcnt vmcnt(18)
	v_fma_f64 v[131:132], v[133:134], v[125:126], v[119:120]
	ds_read2_b64 v[119:122], v118 offset0:95 offset1:96
	ds_read2_b64 v[123:126], v118 offset0:97 offset1:98
	buffer_load_dword v136, off, s[0:3], 0 offset:380
	s_waitcnt vmcnt(18) lgkmcnt(1)
	v_fma_f64 v[119:120], v[147:148], v[119:120], v[131:132]
	s_waitcnt vmcnt(17)
	v_fma_f64 v[119:120], v[145:146], v[121:122], v[119:120]
	buffer_load_dword v132, off, s[0:3], 0 offset:388
	buffer_load_dword v133, off, s[0:3], 0 offset:408
	;; [unrolled: 1-line block ×8, first 2 shown]
	s_waitcnt vmcnt(24) lgkmcnt(0)
	v_fma_f64 v[119:120], v[139:140], v[123:124], v[119:120]
	s_waitcnt vmcnt(19)
	v_fma_f64 v[127:128], v[127:128], v[125:126], v[119:120]
	ds_read2_b64 v[119:122], v118 offset0:99 offset1:100
	ds_read2_b64 v[123:126], v118 offset0:101 offset1:102
	s_waitcnt vmcnt(18) lgkmcnt(1)
	v_fma_f64 v[119:120], v[151:152], v[119:120], v[127:128]
	s_waitcnt vmcnt(17)
	v_fma_f64 v[119:120], v[149:150], v[121:122], v[119:120]
	buffer_load_dword v128, off, s[0:3], 0 offset:420
	buffer_load_dword v139, off, s[0:3], 0 offset:440
	;; [unrolled: 1-line block ×7, first 2 shown]
	s_waitcnt vmcnt(23) lgkmcnt(0)
	v_fma_f64 v[119:120], v[141:142], v[123:124], v[119:120]
	s_waitcnt vmcnt(18)
	v_fma_f64 v[129:130], v[129:130], v[125:126], v[119:120]
	ds_read2_b64 v[119:122], v118 offset0:103 offset1:104
	ds_read2_b64 v[123:126], v118 offset0:105 offset1:106
	buffer_load_dword v140, off, s[0:3], 0 offset:444
	s_waitcnt vmcnt(18) lgkmcnt(1)
	v_fma_f64 v[119:120], v[143:144], v[119:120], v[129:130]
	s_waitcnt vmcnt(17)
	v_fma_f64 v[119:120], v[137:138], v[121:122], v[119:120]
	buffer_load_dword v130, off, s[0:3], 0 offset:452
	buffer_load_dword v137, off, s[0:3], 0 offset:456
	;; [unrolled: 1-line block ×4, first 2 shown]
	s_waitcnt vmcnt(20) lgkmcnt(0)
	v_fma_f64 v[119:120], v[135:136], v[123:124], v[119:120]
	buffer_load_dword v135, off, s[0:3], 0 offset:32
	buffer_load_dword v136, off, s[0:3], 0 offset:36
	s_waitcnt vmcnt(17)
	v_fma_f64 v[131:132], v[131:132], v[125:126], v[119:120]
	ds_read2_b64 v[119:122], v118 offset0:107 offset1:108
	ds_read2_b64 v[123:126], v118 offset0:109 offset1:110
	s_waitcnt vmcnt(16) lgkmcnt(1)
	v_fma_f64 v[119:120], v[147:148], v[119:120], v[131:132]
	s_waitcnt vmcnt(15)
	v_fma_f64 v[119:120], v[145:146], v[121:122], v[119:120]
	s_waitcnt vmcnt(14) lgkmcnt(0)
	v_fma_f64 v[119:120], v[133:134], v[123:124], v[119:120]
	s_waitcnt vmcnt(9)
	v_fma_f64 v[127:128], v[127:128], v[125:126], v[119:120]
	ds_read2_b64 v[119:122], v118 offset0:111 offset1:112
	ds_read2_b64 v[123:126], v118 offset0:113 offset1:114
	s_waitcnt vmcnt(8) lgkmcnt(1)
	v_fma_f64 v[119:120], v[151:152], v[119:120], v[127:128]
	s_waitcnt vmcnt(7)
	v_fma_f64 v[119:120], v[149:150], v[121:122], v[119:120]
	ds_read_b64 v[121:122], v118 offset:920
	s_waitcnt vmcnt(6) lgkmcnt(1)
	v_fma_f64 v[119:120], v[139:140], v[123:124], v[119:120]
	s_waitcnt vmcnt(3)
	v_fma_f64 v[119:120], v[129:130], v[125:126], v[119:120]
	s_waitcnt vmcnt(2) lgkmcnt(0)
	v_fma_f64 v[119:120], v[137:138], v[121:122], v[119:120]
	s_waitcnt vmcnt(0)
	v_add_f64 v[119:120], v[135:136], -v[119:120]
	buffer_store_dword v120, off, s[0:3], 0 offset:36
	buffer_store_dword v119, off, s[0:3], 0 offset:32
	s_and_saveexec_b64 s[4:5], vcc
	s_cbranch_execz .LBB57_349
; %bb.348:
	buffer_load_dword v119, off, s[0:3], 0 offset:24
	buffer_load_dword v120, off, s[0:3], 0 offset:28
	s_waitcnt vmcnt(0)
	ds_write_b64 v117, v[119:120]
	buffer_store_dword v118, off, s[0:3], 0 offset:24
	buffer_store_dword v118, off, s[0:3], 0 offset:28
.LBB57_349:
	s_or_b64 exec, exec, s[4:5]
	s_waitcnt lgkmcnt(0)
	; wave barrier
	buffer_load_dword v127, off, s[0:3], 0 offset:32
	buffer_load_dword v128, off, s[0:3], 0 offset:36
	;; [unrolled: 1-line block ×22, first 2 shown]
	ds_read_b128 v[119:122], v118 offset:496
	ds_read_b128 v[123:126], v118 offset:512
	v_cmp_lt_u32_e32 vcc, 2, v0
	s_waitcnt vmcnt(20) lgkmcnt(1)
	v_fma_f64 v[119:120], v[127:128], v[119:120], 0
	s_waitcnt vmcnt(18)
	v_fma_f64 v[119:120], v[129:130], v[121:122], v[119:120]
	buffer_load_dword v128, off, s[0:3], 0 offset:124
	buffer_load_dword v129, off, s[0:3], 0 offset:144
	;; [unrolled: 1-line block ×7, first 2 shown]
	s_waitcnt vmcnt(23) lgkmcnt(0)
	v_fma_f64 v[119:120], v[131:132], v[123:124], v[119:120]
	s_waitcnt vmcnt(21)
	v_fma_f64 v[130:131], v[133:134], v[125:126], v[119:120]
	ds_read_b128 v[119:122], v118 offset:528
	ds_read_b128 v[123:126], v118 offset:544
	s_waitcnt vmcnt(19) lgkmcnt(1)
	v_fma_f64 v[119:120], v[135:136], v[119:120], v[130:131]
	buffer_load_dword v130, off, s[0:3], 0 offset:148
	s_waitcnt vmcnt(18)
	v_fma_f64 v[119:120], v[137:138], v[121:122], v[119:120]
	buffer_load_dword v132, off, s[0:3], 0 offset:156
	buffer_load_dword v133, off, s[0:3], 0 offset:176
	;; [unrolled: 1-line block ×7, first 2 shown]
	s_waitcnt vmcnt(23) lgkmcnt(0)
	v_fma_f64 v[119:120], v[139:140], v[123:124], v[119:120]
	s_waitcnt vmcnt(18)
	v_fma_f64 v[139:140], v[141:142], v[125:126], v[119:120]
	ds_read_b128 v[119:122], v118 offset:560
	ds_read_b128 v[123:126], v118 offset:576
	buffer_load_dword v134, off, s[0:3], 0 offset:180
	s_waitcnt vmcnt(18) lgkmcnt(1)
	v_fma_f64 v[119:120], v[147:148], v[119:120], v[139:140]
	s_waitcnt vmcnt(17)
	v_fma_f64 v[119:120], v[145:146], v[121:122], v[119:120]
	buffer_load_dword v140, off, s[0:3], 0 offset:188
	buffer_load_dword v141, off, s[0:3], 0 offset:208
	;; [unrolled: 1-line block ×8, first 2 shown]
	s_waitcnt vmcnt(24) lgkmcnt(0)
	v_fma_f64 v[119:120], v[143:144], v[123:124], v[119:120]
	s_waitcnt vmcnt(19)
	v_fma_f64 v[127:128], v[127:128], v[125:126], v[119:120]
	ds_read_b128 v[119:122], v118 offset:592
	ds_read_b128 v[123:126], v118 offset:608
	s_waitcnt vmcnt(18) lgkmcnt(1)
	v_fma_f64 v[119:120], v[151:152], v[119:120], v[127:128]
	s_waitcnt vmcnt(17)
	v_fma_f64 v[119:120], v[149:150], v[121:122], v[119:120]
	buffer_load_dword v128, off, s[0:3], 0 offset:220
	buffer_load_dword v143, off, s[0:3], 0 offset:240
	;; [unrolled: 1-line block ×8, first 2 shown]
	s_waitcnt vmcnt(24) lgkmcnt(0)
	v_fma_f64 v[119:120], v[129:130], v[123:124], v[119:120]
	s_waitcnt vmcnt(19)
	v_fma_f64 v[129:130], v[131:132], v[125:126], v[119:120]
	ds_read_b128 v[119:122], v118 offset:624
	ds_read_b128 v[123:126], v118 offset:640
	s_waitcnt vmcnt(18) lgkmcnt(1)
	v_fma_f64 v[119:120], v[137:138], v[119:120], v[129:130]
	s_waitcnt vmcnt(17)
	v_fma_f64 v[119:120], v[135:136], v[121:122], v[119:120]
	buffer_load_dword v130, off, s[0:3], 0 offset:252
	buffer_load_dword v131, off, s[0:3], 0 offset:272
	;; [unrolled: 1-line block ×7, first 2 shown]
	s_waitcnt vmcnt(23) lgkmcnt(0)
	v_fma_f64 v[119:120], v[133:134], v[123:124], v[119:120]
	s_waitcnt vmcnt(18)
	v_fma_f64 v[132:133], v[139:140], v[125:126], v[119:120]
	ds_read_b128 v[119:122], v118 offset:656
	ds_read_b128 v[123:126], v118 offset:672
	s_waitcnt vmcnt(17) lgkmcnt(1)
	v_fma_f64 v[119:120], v[147:148], v[119:120], v[132:133]
	buffer_load_dword v132, off, s[0:3], 0 offset:276
	s_waitcnt vmcnt(17)
	v_fma_f64 v[119:120], v[145:146], v[121:122], v[119:120]
	buffer_load_dword v134, off, s[0:3], 0 offset:284
	buffer_load_dword v139, off, s[0:3], 0 offset:304
	buffer_load_dword v145, off, s[0:3], 0 offset:296
	buffer_load_dword v147, off, s[0:3], 0 offset:288
	buffer_load_dword v133, off, s[0:3], 0 offset:280
	buffer_load_dword v148, off, s[0:3], 0 offset:292
	buffer_load_dword v146, off, s[0:3], 0 offset:300
	buffer_load_dword v140, off, s[0:3], 0 offset:308
	s_waitcnt vmcnt(24) lgkmcnt(0)
	v_fma_f64 v[119:120], v[141:142], v[123:124], v[119:120]
	s_waitcnt vmcnt(19)
	v_fma_f64 v[127:128], v[127:128], v[125:126], v[119:120]
	ds_read_b128 v[119:122], v118 offset:688
	ds_read_b128 v[123:126], v118 offset:704
	s_waitcnt vmcnt(18) lgkmcnt(1)
	v_fma_f64 v[119:120], v[151:152], v[119:120], v[127:128]
	s_waitcnt vmcnt(17)
	v_fma_f64 v[119:120], v[149:150], v[121:122], v[119:120]
	buffer_load_dword v128, off, s[0:3], 0 offset:316
	buffer_load_dword v141, off, s[0:3], 0 offset:336
	;; [unrolled: 1-line block ×8, first 2 shown]
	s_waitcnt vmcnt(24) lgkmcnt(0)
	v_fma_f64 v[119:120], v[143:144], v[123:124], v[119:120]
	s_waitcnt vmcnt(19)
	v_fma_f64 v[129:130], v[129:130], v[125:126], v[119:120]
	ds_read_b128 v[119:122], v118 offset:720
	ds_read_b128 v[123:126], v118 offset:736
	s_waitcnt vmcnt(18) lgkmcnt(1)
	v_fma_f64 v[119:120], v[137:138], v[119:120], v[129:130]
	s_waitcnt vmcnt(17)
	v_fma_f64 v[119:120], v[135:136], v[121:122], v[119:120]
	buffer_load_dword v130, off, s[0:3], 0 offset:348
	buffer_load_dword v135, off, s[0:3], 0 offset:368
	buffer_load_dword v137, off, s[0:3], 0 offset:360
	buffer_load_dword v143, off, s[0:3], 0 offset:352
	buffer_load_dword v129, off, s[0:3], 0 offset:344
	buffer_load_dword v144, off, s[0:3], 0 offset:356
	buffer_load_dword v138, off, s[0:3], 0 offset:364
	s_waitcnt vmcnt(23) lgkmcnt(0)
	v_fma_f64 v[119:120], v[131:132], v[123:124], v[119:120]
	s_waitcnt vmcnt(18)
	v_fma_f64 v[131:132], v[133:134], v[125:126], v[119:120]
	ds_read_b128 v[119:122], v118 offset:752
	ds_read_b128 v[123:126], v118 offset:768
	buffer_load_dword v136, off, s[0:3], 0 offset:372
	s_waitcnt vmcnt(18) lgkmcnt(1)
	v_fma_f64 v[119:120], v[147:148], v[119:120], v[131:132]
	s_waitcnt vmcnt(17)
	v_fma_f64 v[119:120], v[145:146], v[121:122], v[119:120]
	buffer_load_dword v132, off, s[0:3], 0 offset:380
	buffer_load_dword v133, off, s[0:3], 0 offset:400
	;; [unrolled: 1-line block ×8, first 2 shown]
	s_waitcnt vmcnt(24) lgkmcnt(0)
	v_fma_f64 v[119:120], v[139:140], v[123:124], v[119:120]
	s_waitcnt vmcnt(19)
	v_fma_f64 v[127:128], v[127:128], v[125:126], v[119:120]
	ds_read_b128 v[119:122], v118 offset:784
	ds_read_b128 v[123:126], v118 offset:800
	s_waitcnt vmcnt(18) lgkmcnt(1)
	v_fma_f64 v[119:120], v[151:152], v[119:120], v[127:128]
	s_waitcnt vmcnt(17)
	v_fma_f64 v[119:120], v[149:150], v[121:122], v[119:120]
	buffer_load_dword v128, off, s[0:3], 0 offset:412
	buffer_load_dword v139, off, s[0:3], 0 offset:432
	;; [unrolled: 1-line block ×8, first 2 shown]
	s_waitcnt vmcnt(24) lgkmcnt(0)
	v_fma_f64 v[119:120], v[141:142], v[123:124], v[119:120]
	s_waitcnt vmcnt(19)
	v_fma_f64 v[129:130], v[129:130], v[125:126], v[119:120]
	ds_read_b128 v[119:122], v118 offset:816
	ds_read_b128 v[123:126], v118 offset:832
	s_waitcnt vmcnt(18) lgkmcnt(1)
	v_fma_f64 v[119:120], v[143:144], v[119:120], v[129:130]
	s_waitcnt vmcnt(17)
	v_fma_f64 v[119:120], v[137:138], v[121:122], v[119:120]
	buffer_load_dword v130, off, s[0:3], 0 offset:444
	buffer_load_dword v137, off, s[0:3], 0 offset:456
	;; [unrolled: 1-line block ×6, first 2 shown]
	s_waitcnt vmcnt(22) lgkmcnt(0)
	v_fma_f64 v[119:120], v[135:136], v[123:124], v[119:120]
	s_waitcnt vmcnt(17)
	v_fma_f64 v[131:132], v[131:132], v[125:126], v[119:120]
	ds_read_b128 v[119:122], v118 offset:848
	buffer_load_dword v135, off, s[0:3], 0 offset:24
	buffer_load_dword v136, off, s[0:3], 0 offset:28
	ds_read_b128 v[123:126], v118 offset:864
	s_waitcnt vmcnt(18) lgkmcnt(1)
	v_fma_f64 v[119:120], v[147:148], v[119:120], v[131:132]
	s_waitcnt vmcnt(17)
	v_fma_f64 v[119:120], v[145:146], v[121:122], v[119:120]
	s_waitcnt vmcnt(16) lgkmcnt(0)
	v_fma_f64 v[119:120], v[133:134], v[123:124], v[119:120]
	s_waitcnt vmcnt(11)
	v_fma_f64 v[127:128], v[127:128], v[125:126], v[119:120]
	ds_read_b128 v[119:122], v118 offset:880
	ds_read_b128 v[123:126], v118 offset:896
	s_waitcnt vmcnt(10) lgkmcnt(1)
	v_fma_f64 v[119:120], v[151:152], v[119:120], v[127:128]
	s_waitcnt vmcnt(9)
	v_fma_f64 v[119:120], v[149:150], v[121:122], v[119:120]
	s_waitcnt vmcnt(8) lgkmcnt(0)
	v_fma_f64 v[119:120], v[139:140], v[123:124], v[119:120]
	s_waitcnt vmcnt(4)
	v_fma_f64 v[122:123], v[129:130], v[125:126], v[119:120]
	ds_read_b128 v[118:121], v118 offset:912
	s_waitcnt vmcnt(3) lgkmcnt(0)
	v_fma_f64 v[118:119], v[141:142], v[118:119], v[122:123]
	s_waitcnt vmcnt(2)
	v_fma_f64 v[118:119], v[137:138], v[120:121], v[118:119]
	s_waitcnt vmcnt(0)
	v_add_f64 v[118:119], v[135:136], -v[118:119]
	buffer_store_dword v119, off, s[0:3], 0 offset:28
	buffer_store_dword v118, off, s[0:3], 0 offset:24
	s_and_saveexec_b64 s[4:5], vcc
	s_cbranch_execz .LBB57_351
; %bb.350:
	buffer_load_dword v118, off, s[0:3], 0 offset:16
	buffer_load_dword v119, off, s[0:3], 0 offset:20
	v_mov_b32_e32 v120, 0
	buffer_store_dword v120, off, s[0:3], 0 offset:16
	buffer_store_dword v120, off, s[0:3], 0 offset:20
	s_waitcnt vmcnt(2)
	ds_write_b64 v117, v[118:119]
.LBB57_351:
	s_or_b64 exec, exec, s[4:5]
	s_waitcnt lgkmcnt(0)
	; wave barrier
	buffer_load_dword v127, off, s[0:3], 0 offset:24
	buffer_load_dword v128, off, s[0:3], 0 offset:28
	;; [unrolled: 1-line block ×22, first 2 shown]
	v_mov_b32_e32 v118, 0
	ds_read2_b64 v[119:122], v118 offset0:61 offset1:62
	ds_read2_b64 v[123:126], v118 offset0:63 offset1:64
	v_cmp_lt_u32_e32 vcc, 1, v0
	s_waitcnt vmcnt(20) lgkmcnt(1)
	v_fma_f64 v[119:120], v[127:128], v[119:120], 0
	s_waitcnt vmcnt(18)
	v_fma_f64 v[119:120], v[129:130], v[121:122], v[119:120]
	buffer_load_dword v128, off, s[0:3], 0 offset:116
	buffer_load_dword v129, off, s[0:3], 0 offset:136
	buffer_load_dword v149, off, s[0:3], 0 offset:128
	buffer_load_dword v151, off, s[0:3], 0 offset:120
	buffer_load_dword v127, off, s[0:3], 0 offset:112
	buffer_load_dword v152, off, s[0:3], 0 offset:124
	buffer_load_dword v150, off, s[0:3], 0 offset:132
	s_waitcnt vmcnt(23) lgkmcnt(0)
	v_fma_f64 v[119:120], v[131:132], v[123:124], v[119:120]
	s_waitcnt vmcnt(21)
	v_fma_f64 v[130:131], v[133:134], v[125:126], v[119:120]
	ds_read2_b64 v[119:122], v118 offset0:65 offset1:66
	ds_read2_b64 v[123:126], v118 offset0:67 offset1:68
	s_waitcnt vmcnt(19) lgkmcnt(1)
	v_fma_f64 v[119:120], v[135:136], v[119:120], v[130:131]
	buffer_load_dword v130, off, s[0:3], 0 offset:140
	s_waitcnt vmcnt(18)
	v_fma_f64 v[119:120], v[137:138], v[121:122], v[119:120]
	buffer_load_dword v132, off, s[0:3], 0 offset:148
	buffer_load_dword v133, off, s[0:3], 0 offset:168
	;; [unrolled: 1-line block ×7, first 2 shown]
	s_waitcnt vmcnt(23) lgkmcnt(0)
	v_fma_f64 v[119:120], v[139:140], v[123:124], v[119:120]
	s_waitcnt vmcnt(18)
	v_fma_f64 v[139:140], v[141:142], v[125:126], v[119:120]
	ds_read2_b64 v[119:122], v118 offset0:69 offset1:70
	ds_read2_b64 v[123:126], v118 offset0:71 offset1:72
	buffer_load_dword v134, off, s[0:3], 0 offset:172
	s_waitcnt vmcnt(18) lgkmcnt(1)
	v_fma_f64 v[119:120], v[147:148], v[119:120], v[139:140]
	s_waitcnt vmcnt(17)
	v_fma_f64 v[119:120], v[145:146], v[121:122], v[119:120]
	buffer_load_dword v140, off, s[0:3], 0 offset:180
	buffer_load_dword v141, off, s[0:3], 0 offset:200
	;; [unrolled: 1-line block ×8, first 2 shown]
	s_waitcnt vmcnt(24) lgkmcnt(0)
	v_fma_f64 v[119:120], v[143:144], v[123:124], v[119:120]
	s_waitcnt vmcnt(19)
	v_fma_f64 v[127:128], v[127:128], v[125:126], v[119:120]
	ds_read2_b64 v[119:122], v118 offset0:73 offset1:74
	ds_read2_b64 v[123:126], v118 offset0:75 offset1:76
	s_waitcnt vmcnt(18) lgkmcnt(1)
	v_fma_f64 v[119:120], v[151:152], v[119:120], v[127:128]
	s_waitcnt vmcnt(17)
	v_fma_f64 v[119:120], v[149:150], v[121:122], v[119:120]
	buffer_load_dword v128, off, s[0:3], 0 offset:212
	buffer_load_dword v143, off, s[0:3], 0 offset:232
	;; [unrolled: 1-line block ×8, first 2 shown]
	s_waitcnt vmcnt(24) lgkmcnt(0)
	v_fma_f64 v[119:120], v[129:130], v[123:124], v[119:120]
	s_waitcnt vmcnt(19)
	v_fma_f64 v[129:130], v[131:132], v[125:126], v[119:120]
	ds_read2_b64 v[119:122], v118 offset0:77 offset1:78
	ds_read2_b64 v[123:126], v118 offset0:79 offset1:80
	s_waitcnt vmcnt(18) lgkmcnt(1)
	v_fma_f64 v[119:120], v[137:138], v[119:120], v[129:130]
	s_waitcnt vmcnt(17)
	v_fma_f64 v[119:120], v[135:136], v[121:122], v[119:120]
	buffer_load_dword v130, off, s[0:3], 0 offset:244
	buffer_load_dword v131, off, s[0:3], 0 offset:264
	;; [unrolled: 1-line block ×7, first 2 shown]
	s_waitcnt vmcnt(23) lgkmcnt(0)
	v_fma_f64 v[119:120], v[133:134], v[123:124], v[119:120]
	s_waitcnt vmcnt(18)
	v_fma_f64 v[132:133], v[139:140], v[125:126], v[119:120]
	ds_read2_b64 v[119:122], v118 offset0:81 offset1:82
	ds_read2_b64 v[123:126], v118 offset0:83 offset1:84
	s_waitcnt vmcnt(17) lgkmcnt(1)
	v_fma_f64 v[119:120], v[147:148], v[119:120], v[132:133]
	buffer_load_dword v132, off, s[0:3], 0 offset:268
	s_waitcnt vmcnt(17)
	v_fma_f64 v[119:120], v[145:146], v[121:122], v[119:120]
	buffer_load_dword v134, off, s[0:3], 0 offset:276
	buffer_load_dword v139, off, s[0:3], 0 offset:296
	buffer_load_dword v145, off, s[0:3], 0 offset:288
	buffer_load_dword v147, off, s[0:3], 0 offset:280
	buffer_load_dword v133, off, s[0:3], 0 offset:272
	buffer_load_dword v148, off, s[0:3], 0 offset:284
	buffer_load_dword v146, off, s[0:3], 0 offset:292
	buffer_load_dword v140, off, s[0:3], 0 offset:300
	s_waitcnt vmcnt(24) lgkmcnt(0)
	v_fma_f64 v[119:120], v[141:142], v[123:124], v[119:120]
	s_waitcnt vmcnt(19)
	v_fma_f64 v[127:128], v[127:128], v[125:126], v[119:120]
	ds_read2_b64 v[119:122], v118 offset0:85 offset1:86
	ds_read2_b64 v[123:126], v118 offset0:87 offset1:88
	s_waitcnt vmcnt(18) lgkmcnt(1)
	v_fma_f64 v[119:120], v[151:152], v[119:120], v[127:128]
	s_waitcnt vmcnt(17)
	v_fma_f64 v[119:120], v[149:150], v[121:122], v[119:120]
	buffer_load_dword v128, off, s[0:3], 0 offset:308
	buffer_load_dword v141, off, s[0:3], 0 offset:328
	;; [unrolled: 1-line block ×8, first 2 shown]
	s_waitcnt vmcnt(24) lgkmcnt(0)
	v_fma_f64 v[119:120], v[143:144], v[123:124], v[119:120]
	s_waitcnt vmcnt(19)
	v_fma_f64 v[129:130], v[129:130], v[125:126], v[119:120]
	ds_read2_b64 v[119:122], v118 offset0:89 offset1:90
	ds_read2_b64 v[123:126], v118 offset0:91 offset1:92
	s_waitcnt vmcnt(18) lgkmcnt(1)
	v_fma_f64 v[119:120], v[137:138], v[119:120], v[129:130]
	s_waitcnt vmcnt(17)
	v_fma_f64 v[119:120], v[135:136], v[121:122], v[119:120]
	buffer_load_dword v130, off, s[0:3], 0 offset:340
	buffer_load_dword v135, off, s[0:3], 0 offset:360
	;; [unrolled: 1-line block ×7, first 2 shown]
	s_waitcnt vmcnt(23) lgkmcnt(0)
	v_fma_f64 v[119:120], v[131:132], v[123:124], v[119:120]
	s_waitcnt vmcnt(18)
	v_fma_f64 v[131:132], v[133:134], v[125:126], v[119:120]
	ds_read2_b64 v[119:122], v118 offset0:93 offset1:94
	ds_read2_b64 v[123:126], v118 offset0:95 offset1:96
	buffer_load_dword v136, off, s[0:3], 0 offset:364
	s_waitcnt vmcnt(18) lgkmcnt(1)
	v_fma_f64 v[119:120], v[147:148], v[119:120], v[131:132]
	s_waitcnt vmcnt(17)
	v_fma_f64 v[119:120], v[145:146], v[121:122], v[119:120]
	buffer_load_dword v132, off, s[0:3], 0 offset:372
	buffer_load_dword v133, off, s[0:3], 0 offset:392
	buffer_load_dword v145, off, s[0:3], 0 offset:384
	buffer_load_dword v147, off, s[0:3], 0 offset:376
	buffer_load_dword v131, off, s[0:3], 0 offset:368
	buffer_load_dword v148, off, s[0:3], 0 offset:380
	buffer_load_dword v146, off, s[0:3], 0 offset:388
	buffer_load_dword v134, off, s[0:3], 0 offset:396
	s_waitcnt vmcnt(24) lgkmcnt(0)
	v_fma_f64 v[119:120], v[139:140], v[123:124], v[119:120]
	s_waitcnt vmcnt(19)
	v_fma_f64 v[127:128], v[127:128], v[125:126], v[119:120]
	ds_read2_b64 v[119:122], v118 offset0:97 offset1:98
	ds_read2_b64 v[123:126], v118 offset0:99 offset1:100
	s_waitcnt vmcnt(18) lgkmcnt(1)
	v_fma_f64 v[119:120], v[151:152], v[119:120], v[127:128]
	s_waitcnt vmcnt(17)
	v_fma_f64 v[119:120], v[149:150], v[121:122], v[119:120]
	buffer_load_dword v128, off, s[0:3], 0 offset:404
	buffer_load_dword v139, off, s[0:3], 0 offset:424
	buffer_load_dword v149, off, s[0:3], 0 offset:416
	buffer_load_dword v151, off, s[0:3], 0 offset:408
	buffer_load_dword v127, off, s[0:3], 0 offset:400
	buffer_load_dword v152, off, s[0:3], 0 offset:412
	buffer_load_dword v150, off, s[0:3], 0 offset:420
	buffer_load_dword v140, off, s[0:3], 0 offset:428
	s_waitcnt vmcnt(24) lgkmcnt(0)
	v_fma_f64 v[119:120], v[141:142], v[123:124], v[119:120]
	s_waitcnt vmcnt(19)
	v_fma_f64 v[129:130], v[129:130], v[125:126], v[119:120]
	ds_read2_b64 v[119:122], v118 offset0:101 offset1:102
	ds_read2_b64 v[123:126], v118 offset0:103 offset1:104
	s_waitcnt vmcnt(18) lgkmcnt(1)
	v_fma_f64 v[119:120], v[143:144], v[119:120], v[129:130]
	s_waitcnt vmcnt(17)
	v_fma_f64 v[119:120], v[137:138], v[121:122], v[119:120]
	buffer_load_dword v130, off, s[0:3], 0 offset:436
	buffer_load_dword v137, off, s[0:3], 0 offset:456
	buffer_load_dword v141, off, s[0:3], 0 offset:448
	buffer_load_dword v143, off, s[0:3], 0 offset:440
	buffer_load_dword v129, off, s[0:3], 0 offset:432
	buffer_load_dword v144, off, s[0:3], 0 offset:444
	buffer_load_dword v142, off, s[0:3], 0 offset:452
	buffer_load_dword v138, off, s[0:3], 0 offset:460
	s_waitcnt vmcnt(24) lgkmcnt(0)
	v_fma_f64 v[119:120], v[135:136], v[123:124], v[119:120]
	s_waitcnt vmcnt(19)
	v_fma_f64 v[131:132], v[131:132], v[125:126], v[119:120]
	ds_read2_b64 v[119:122], v118 offset0:105 offset1:106
	ds_read2_b64 v[123:126], v118 offset0:107 offset1:108
	s_waitcnt vmcnt(18) lgkmcnt(1)
	v_fma_f64 v[119:120], v[147:148], v[119:120], v[131:132]
	buffer_load_dword v131, off, s[0:3], 0 offset:16
	buffer_load_dword v132, off, s[0:3], 0 offset:20
	s_waitcnt vmcnt(19)
	v_fma_f64 v[119:120], v[145:146], v[121:122], v[119:120]
	s_waitcnt vmcnt(18) lgkmcnt(0)
	v_fma_f64 v[119:120], v[133:134], v[123:124], v[119:120]
	s_waitcnt vmcnt(13)
	v_fma_f64 v[127:128], v[127:128], v[125:126], v[119:120]
	ds_read2_b64 v[119:122], v118 offset0:109 offset1:110
	ds_read2_b64 v[123:126], v118 offset0:111 offset1:112
	s_waitcnt vmcnt(12) lgkmcnt(1)
	v_fma_f64 v[119:120], v[151:152], v[119:120], v[127:128]
	s_waitcnt vmcnt(11)
	v_fma_f64 v[119:120], v[149:150], v[121:122], v[119:120]
	s_waitcnt vmcnt(10) lgkmcnt(0)
	v_fma_f64 v[119:120], v[139:140], v[123:124], v[119:120]
	s_waitcnt vmcnt(5)
	v_fma_f64 v[123:124], v[129:130], v[125:126], v[119:120]
	ds_read2_b64 v[119:122], v118 offset0:113 offset1:114
	ds_read_b64 v[125:126], v118 offset:920
	s_waitcnt vmcnt(4) lgkmcnt(1)
	v_fma_f64 v[119:120], v[143:144], v[119:120], v[123:124]
	s_waitcnt vmcnt(3)
	v_fma_f64 v[119:120], v[141:142], v[121:122], v[119:120]
	s_waitcnt vmcnt(2) lgkmcnt(0)
	v_fma_f64 v[119:120], v[137:138], v[125:126], v[119:120]
	s_waitcnt vmcnt(0)
	v_add_f64 v[119:120], v[131:132], -v[119:120]
	buffer_store_dword v120, off, s[0:3], 0 offset:20
	buffer_store_dword v119, off, s[0:3], 0 offset:16
	s_and_saveexec_b64 s[4:5], vcc
	s_cbranch_execz .LBB57_353
; %bb.352:
	buffer_load_dword v119, off, s[0:3], 0 offset:8
	buffer_load_dword v120, off, s[0:3], 0 offset:12
	s_waitcnt vmcnt(0)
	ds_write_b64 v117, v[119:120]
	buffer_store_dword v118, off, s[0:3], 0 offset:8
	buffer_store_dword v118, off, s[0:3], 0 offset:12
.LBB57_353:
	s_or_b64 exec, exec, s[4:5]
	s_waitcnt lgkmcnt(0)
	; wave barrier
	buffer_load_dword v127, off, s[0:3], 0 offset:16
	buffer_load_dword v128, off, s[0:3], 0 offset:20
	;; [unrolled: 1-line block ×22, first 2 shown]
	ds_read_b128 v[119:122], v118 offset:480
	ds_read_b128 v[123:126], v118 offset:496
	v_cmp_ne_u32_e32 vcc, 0, v0
	s_waitcnt vmcnt(20) lgkmcnt(1)
	v_fma_f64 v[119:120], v[127:128], v[119:120], 0
	s_waitcnt vmcnt(18)
	v_fma_f64 v[119:120], v[129:130], v[121:122], v[119:120]
	buffer_load_dword v128, off, s[0:3], 0 offset:108
	buffer_load_dword v129, off, s[0:3], 0 offset:128
	;; [unrolled: 1-line block ×7, first 2 shown]
	s_waitcnt vmcnt(23) lgkmcnt(0)
	v_fma_f64 v[119:120], v[131:132], v[123:124], v[119:120]
	s_waitcnt vmcnt(21)
	v_fma_f64 v[130:131], v[133:134], v[125:126], v[119:120]
	ds_read_b128 v[119:122], v118 offset:512
	ds_read_b128 v[123:126], v118 offset:528
	s_waitcnt vmcnt(19) lgkmcnt(1)
	v_fma_f64 v[119:120], v[135:136], v[119:120], v[130:131]
	buffer_load_dword v130, off, s[0:3], 0 offset:132
	s_waitcnt vmcnt(18)
	v_fma_f64 v[119:120], v[137:138], v[121:122], v[119:120]
	buffer_load_dword v132, off, s[0:3], 0 offset:140
	buffer_load_dword v133, off, s[0:3], 0 offset:160
	;; [unrolled: 1-line block ×7, first 2 shown]
	s_waitcnt vmcnt(23) lgkmcnt(0)
	v_fma_f64 v[119:120], v[139:140], v[123:124], v[119:120]
	s_waitcnt vmcnt(18)
	v_fma_f64 v[139:140], v[141:142], v[125:126], v[119:120]
	ds_read_b128 v[119:122], v118 offset:544
	ds_read_b128 v[123:126], v118 offset:560
	buffer_load_dword v134, off, s[0:3], 0 offset:164
	s_waitcnt vmcnt(18) lgkmcnt(1)
	v_fma_f64 v[119:120], v[147:148], v[119:120], v[139:140]
	s_waitcnt vmcnt(17)
	v_fma_f64 v[119:120], v[145:146], v[121:122], v[119:120]
	buffer_load_dword v140, off, s[0:3], 0 offset:172
	buffer_load_dword v141, off, s[0:3], 0 offset:192
	;; [unrolled: 1-line block ×8, first 2 shown]
	s_waitcnt vmcnt(24) lgkmcnt(0)
	v_fma_f64 v[119:120], v[143:144], v[123:124], v[119:120]
	s_waitcnt vmcnt(19)
	v_fma_f64 v[127:128], v[127:128], v[125:126], v[119:120]
	ds_read_b128 v[119:122], v118 offset:576
	ds_read_b128 v[123:126], v118 offset:592
	s_waitcnt vmcnt(18) lgkmcnt(1)
	v_fma_f64 v[119:120], v[151:152], v[119:120], v[127:128]
	s_waitcnt vmcnt(17)
	v_fma_f64 v[119:120], v[149:150], v[121:122], v[119:120]
	buffer_load_dword v128, off, s[0:3], 0 offset:204
	buffer_load_dword v143, off, s[0:3], 0 offset:224
	;; [unrolled: 1-line block ×8, first 2 shown]
	s_waitcnt vmcnt(24) lgkmcnt(0)
	v_fma_f64 v[119:120], v[129:130], v[123:124], v[119:120]
	s_waitcnt vmcnt(19)
	v_fma_f64 v[129:130], v[131:132], v[125:126], v[119:120]
	ds_read_b128 v[119:122], v118 offset:608
	ds_read_b128 v[123:126], v118 offset:624
	s_waitcnt vmcnt(18) lgkmcnt(1)
	v_fma_f64 v[119:120], v[137:138], v[119:120], v[129:130]
	s_waitcnt vmcnt(17)
	v_fma_f64 v[119:120], v[135:136], v[121:122], v[119:120]
	buffer_load_dword v130, off, s[0:3], 0 offset:236
	buffer_load_dword v131, off, s[0:3], 0 offset:256
	;; [unrolled: 1-line block ×7, first 2 shown]
	s_waitcnt vmcnt(23) lgkmcnt(0)
	v_fma_f64 v[119:120], v[133:134], v[123:124], v[119:120]
	s_waitcnt vmcnt(18)
	v_fma_f64 v[132:133], v[139:140], v[125:126], v[119:120]
	ds_read_b128 v[119:122], v118 offset:640
	ds_read_b128 v[123:126], v118 offset:656
	s_waitcnt vmcnt(17) lgkmcnt(1)
	v_fma_f64 v[119:120], v[147:148], v[119:120], v[132:133]
	buffer_load_dword v132, off, s[0:3], 0 offset:260
	s_waitcnt vmcnt(17)
	v_fma_f64 v[119:120], v[145:146], v[121:122], v[119:120]
	buffer_load_dword v134, off, s[0:3], 0 offset:268
	buffer_load_dword v139, off, s[0:3], 0 offset:288
	;; [unrolled: 1-line block ×8, first 2 shown]
	s_waitcnt vmcnt(24) lgkmcnt(0)
	v_fma_f64 v[119:120], v[141:142], v[123:124], v[119:120]
	s_waitcnt vmcnt(19)
	v_fma_f64 v[127:128], v[127:128], v[125:126], v[119:120]
	ds_read_b128 v[119:122], v118 offset:672
	ds_read_b128 v[123:126], v118 offset:688
	s_waitcnt vmcnt(18) lgkmcnt(1)
	v_fma_f64 v[119:120], v[151:152], v[119:120], v[127:128]
	s_waitcnt vmcnt(17)
	v_fma_f64 v[119:120], v[149:150], v[121:122], v[119:120]
	buffer_load_dword v128, off, s[0:3], 0 offset:300
	buffer_load_dword v141, off, s[0:3], 0 offset:320
	;; [unrolled: 1-line block ×8, first 2 shown]
	s_waitcnt vmcnt(24) lgkmcnt(0)
	v_fma_f64 v[119:120], v[143:144], v[123:124], v[119:120]
	s_waitcnt vmcnt(19)
	v_fma_f64 v[129:130], v[129:130], v[125:126], v[119:120]
	ds_read_b128 v[119:122], v118 offset:704
	ds_read_b128 v[123:126], v118 offset:720
	s_waitcnt vmcnt(18) lgkmcnt(1)
	v_fma_f64 v[119:120], v[137:138], v[119:120], v[129:130]
	s_waitcnt vmcnt(17)
	v_fma_f64 v[119:120], v[135:136], v[121:122], v[119:120]
	buffer_load_dword v130, off, s[0:3], 0 offset:332
	buffer_load_dword v135, off, s[0:3], 0 offset:352
	;; [unrolled: 1-line block ×7, first 2 shown]
	s_waitcnt vmcnt(23) lgkmcnt(0)
	v_fma_f64 v[119:120], v[131:132], v[123:124], v[119:120]
	s_waitcnt vmcnt(18)
	v_fma_f64 v[131:132], v[133:134], v[125:126], v[119:120]
	ds_read_b128 v[119:122], v118 offset:736
	ds_read_b128 v[123:126], v118 offset:752
	buffer_load_dword v136, off, s[0:3], 0 offset:356
	s_waitcnt vmcnt(18) lgkmcnt(1)
	v_fma_f64 v[119:120], v[147:148], v[119:120], v[131:132]
	s_waitcnt vmcnt(17)
	v_fma_f64 v[119:120], v[145:146], v[121:122], v[119:120]
	buffer_load_dword v132, off, s[0:3], 0 offset:364
	buffer_load_dword v133, off, s[0:3], 0 offset:384
	buffer_load_dword v145, off, s[0:3], 0 offset:376
	buffer_load_dword v147, off, s[0:3], 0 offset:368
	buffer_load_dword v131, off, s[0:3], 0 offset:360
	buffer_load_dword v148, off, s[0:3], 0 offset:372
	buffer_load_dword v146, off, s[0:3], 0 offset:380
	buffer_load_dword v134, off, s[0:3], 0 offset:388
	s_waitcnt vmcnt(24) lgkmcnt(0)
	v_fma_f64 v[119:120], v[139:140], v[123:124], v[119:120]
	s_waitcnt vmcnt(19)
	v_fma_f64 v[127:128], v[127:128], v[125:126], v[119:120]
	ds_read_b128 v[119:122], v118 offset:768
	ds_read_b128 v[123:126], v118 offset:784
	s_waitcnt vmcnt(18) lgkmcnt(1)
	v_fma_f64 v[119:120], v[151:152], v[119:120], v[127:128]
	s_waitcnt vmcnt(17)
	v_fma_f64 v[119:120], v[149:150], v[121:122], v[119:120]
	buffer_load_dword v128, off, s[0:3], 0 offset:396
	buffer_load_dword v139, off, s[0:3], 0 offset:416
	buffer_load_dword v149, off, s[0:3], 0 offset:408
	buffer_load_dword v151, off, s[0:3], 0 offset:400
	buffer_load_dword v127, off, s[0:3], 0 offset:392
	buffer_load_dword v152, off, s[0:3], 0 offset:404
	buffer_load_dword v150, off, s[0:3], 0 offset:412
	buffer_load_dword v140, off, s[0:3], 0 offset:420
	s_waitcnt vmcnt(24) lgkmcnt(0)
	v_fma_f64 v[119:120], v[141:142], v[123:124], v[119:120]
	s_waitcnt vmcnt(19)
	v_fma_f64 v[129:130], v[129:130], v[125:126], v[119:120]
	ds_read_b128 v[119:122], v118 offset:800
	ds_read_b128 v[123:126], v118 offset:816
	;; [unrolled: 18-line block ×3, first 2 shown]
	s_waitcnt vmcnt(18) lgkmcnt(1)
	v_fma_f64 v[119:120], v[147:148], v[119:120], v[131:132]
	buffer_load_dword v132, off, s[0:3], 0 offset:460
	buffer_load_dword v131, off, s[0:3], 0 offset:456
	;; [unrolled: 1-line block ×4, first 2 shown]
	s_waitcnt vmcnt(21)
	v_fma_f64 v[119:120], v[145:146], v[121:122], v[119:120]
	s_waitcnt vmcnt(20) lgkmcnt(0)
	v_fma_f64 v[119:120], v[133:134], v[123:124], v[119:120]
	s_waitcnt vmcnt(15)
	v_fma_f64 v[127:128], v[127:128], v[125:126], v[119:120]
	ds_read_b128 v[119:122], v118 offset:864
	ds_read_b128 v[123:126], v118 offset:880
	s_waitcnt vmcnt(14) lgkmcnt(1)
	v_fma_f64 v[119:120], v[151:152], v[119:120], v[127:128]
	s_waitcnt vmcnt(13)
	v_fma_f64 v[119:120], v[149:150], v[121:122], v[119:120]
	s_waitcnt vmcnt(12) lgkmcnt(0)
	v_fma_f64 v[119:120], v[139:140], v[123:124], v[119:120]
	s_waitcnt vmcnt(7)
	v_fma_f64 v[127:128], v[129:130], v[125:126], v[119:120]
	ds_read_b128 v[119:122], v118 offset:896
	ds_read_b128 v[123:126], v118 offset:912
	s_waitcnt vmcnt(6) lgkmcnt(1)
	v_fma_f64 v[118:119], v[143:144], v[119:120], v[127:128]
	s_waitcnt vmcnt(5)
	v_fma_f64 v[118:119], v[141:142], v[121:122], v[118:119]
	s_waitcnt vmcnt(4) lgkmcnt(0)
	v_fma_f64 v[118:119], v[137:138], v[123:124], v[118:119]
	s_waitcnt vmcnt(2)
	v_fma_f64 v[118:119], v[131:132], v[125:126], v[118:119]
	s_waitcnt vmcnt(0)
	v_add_f64 v[118:119], v[135:136], -v[118:119]
	buffer_store_dword v119, off, s[0:3], 0 offset:12
	buffer_store_dword v118, off, s[0:3], 0 offset:8
	s_and_saveexec_b64 s[4:5], vcc
	s_cbranch_execz .LBB57_355
; %bb.354:
	buffer_load_dword v118, off, s[0:3], 0
	buffer_load_dword v119, off, s[0:3], 0 offset:4
	v_mov_b32_e32 v0, 0
	buffer_store_dword v0, off, s[0:3], 0
	buffer_store_dword v0, off, s[0:3], 0 offset:4
	s_waitcnt vmcnt(2)
	ds_write_b64 v117, v[118:119]
.LBB57_355:
	s_or_b64 exec, exec, s[4:5]
	s_waitcnt lgkmcnt(0)
	; wave barrier
	buffer_load_dword v125, off, s[0:3], 0 offset:8
	buffer_load_dword v126, off, s[0:3], 0 offset:12
	;; [unrolled: 1-line block ×21, first 2 shown]
	v_mov_b32_e32 v0, 0
	ds_read2_b64 v[117:120], v0 offset0:59 offset1:60
	ds_read2_b64 v[121:124], v0 offset0:61 offset1:62
	buffer_load_dword v142, off, s[0:3], 0 offset:92
	s_and_b64 vcc, exec, s[22:23]
	s_waitcnt vmcnt(20) lgkmcnt(1)
	v_fma_f64 v[117:118], v[125:126], v[117:118], 0
	s_waitcnt vmcnt(18)
	v_fma_f64 v[117:118], v[127:128], v[119:120], v[117:118]
	buffer_load_dword v126, off, s[0:3], 0 offset:100
	buffer_load_dword v127, off, s[0:3], 0 offset:120
	;; [unrolled: 1-line block ×7, first 2 shown]
	s_waitcnt vmcnt(23) lgkmcnt(0)
	v_fma_f64 v[117:118], v[129:130], v[121:122], v[117:118]
	s_waitcnt vmcnt(21)
	v_fma_f64 v[128:129], v[131:132], v[123:124], v[117:118]
	ds_read2_b64 v[117:120], v0 offset0:63 offset1:64
	ds_read2_b64 v[121:124], v0 offset0:65 offset1:66
	s_waitcnt vmcnt(19) lgkmcnt(1)
	v_fma_f64 v[117:118], v[133:134], v[117:118], v[128:129]
	buffer_load_dword v128, off, s[0:3], 0 offset:124
	s_waitcnt vmcnt(18)
	v_fma_f64 v[117:118], v[135:136], v[119:120], v[117:118]
	buffer_load_dword v130, off, s[0:3], 0 offset:132
	buffer_load_dword v131, off, s[0:3], 0 offset:152
	;; [unrolled: 1-line block ×7, first 2 shown]
	s_waitcnt vmcnt(23) lgkmcnt(0)
	v_fma_f64 v[117:118], v[137:138], v[121:122], v[117:118]
	s_waitcnt vmcnt(18)
	v_fma_f64 v[137:138], v[139:140], v[123:124], v[117:118]
	ds_read2_b64 v[117:120], v0 offset0:67 offset1:68
	ds_read2_b64 v[121:124], v0 offset0:69 offset1:70
	buffer_load_dword v132, off, s[0:3], 0 offset:156
	s_waitcnt vmcnt(18) lgkmcnt(1)
	v_fma_f64 v[117:118], v[145:146], v[117:118], v[137:138]
	s_waitcnt vmcnt(17)
	v_fma_f64 v[117:118], v[143:144], v[119:120], v[117:118]
	buffer_load_dword v138, off, s[0:3], 0 offset:164
	buffer_load_dword v139, off, s[0:3], 0 offset:184
	;; [unrolled: 1-line block ×7, first 2 shown]
	s_waitcnt vmcnt(23) lgkmcnt(0)
	v_fma_f64 v[117:118], v[141:142], v[121:122], v[117:118]
	s_waitcnt vmcnt(18)
	v_fma_f64 v[125:126], v[125:126], v[123:124], v[117:118]
	ds_read2_b64 v[117:120], v0 offset0:71 offset1:72
	ds_read2_b64 v[121:124], v0 offset0:73 offset1:74
	buffer_load_dword v140, off, s[0:3], 0 offset:188
	s_waitcnt vmcnt(18) lgkmcnt(1)
	v_fma_f64 v[117:118], v[149:150], v[117:118], v[125:126]
	s_waitcnt vmcnt(17)
	v_fma_f64 v[117:118], v[147:148], v[119:120], v[117:118]
	buffer_load_dword v126, off, s[0:3], 0 offset:196
	buffer_load_dword v141, off, s[0:3], 0 offset:216
	;; [unrolled: 1-line block ×8, first 2 shown]
	s_waitcnt vmcnt(24) lgkmcnt(0)
	v_fma_f64 v[117:118], v[127:128], v[121:122], v[117:118]
	s_waitcnt vmcnt(19)
	v_fma_f64 v[127:128], v[129:130], v[123:124], v[117:118]
	ds_read2_b64 v[117:120], v0 offset0:75 offset1:76
	ds_read2_b64 v[121:124], v0 offset0:77 offset1:78
	s_waitcnt vmcnt(18) lgkmcnt(1)
	v_fma_f64 v[117:118], v[135:136], v[117:118], v[127:128]
	s_waitcnt vmcnt(17)
	v_fma_f64 v[117:118], v[133:134], v[119:120], v[117:118]
	buffer_load_dword v128, off, s[0:3], 0 offset:228
	buffer_load_dword v129, off, s[0:3], 0 offset:248
	;; [unrolled: 1-line block ×7, first 2 shown]
	s_waitcnt vmcnt(23) lgkmcnt(0)
	v_fma_f64 v[117:118], v[131:132], v[121:122], v[117:118]
	s_waitcnt vmcnt(18)
	v_fma_f64 v[130:131], v[137:138], v[123:124], v[117:118]
	ds_read2_b64 v[117:120], v0 offset0:79 offset1:80
	ds_read2_b64 v[121:124], v0 offset0:81 offset1:82
	s_waitcnt vmcnt(17) lgkmcnt(1)
	v_fma_f64 v[117:118], v[145:146], v[117:118], v[130:131]
	buffer_load_dword v130, off, s[0:3], 0 offset:252
	s_waitcnt vmcnt(17)
	v_fma_f64 v[117:118], v[143:144], v[119:120], v[117:118]
	buffer_load_dword v132, off, s[0:3], 0 offset:260
	buffer_load_dword v137, off, s[0:3], 0 offset:280
	;; [unrolled: 1-line block ×7, first 2 shown]
	s_waitcnt vmcnt(23) lgkmcnt(0)
	v_fma_f64 v[117:118], v[139:140], v[121:122], v[117:118]
	s_waitcnt vmcnt(18)
	v_fma_f64 v[125:126], v[125:126], v[123:124], v[117:118]
	ds_read2_b64 v[117:120], v0 offset0:83 offset1:84
	ds_read2_b64 v[121:124], v0 offset0:85 offset1:86
	buffer_load_dword v138, off, s[0:3], 0 offset:284
	s_waitcnt vmcnt(18) lgkmcnt(1)
	v_fma_f64 v[117:118], v[149:150], v[117:118], v[125:126]
	s_waitcnt vmcnt(17)
	v_fma_f64 v[117:118], v[147:148], v[119:120], v[117:118]
	buffer_load_dword v126, off, s[0:3], 0 offset:292
	buffer_load_dword v139, off, s[0:3], 0 offset:312
	;; [unrolled: 1-line block ×8, first 2 shown]
	s_waitcnt vmcnt(24) lgkmcnt(0)
	v_fma_f64 v[117:118], v[141:142], v[121:122], v[117:118]
	s_waitcnt vmcnt(19)
	v_fma_f64 v[127:128], v[127:128], v[123:124], v[117:118]
	ds_read2_b64 v[117:120], v0 offset0:87 offset1:88
	ds_read2_b64 v[121:124], v0 offset0:89 offset1:90
	s_waitcnt vmcnt(18) lgkmcnt(1)
	v_fma_f64 v[117:118], v[135:136], v[117:118], v[127:128]
	s_waitcnt vmcnt(17)
	v_fma_f64 v[117:118], v[133:134], v[119:120], v[117:118]
	buffer_load_dword v128, off, s[0:3], 0 offset:324
	buffer_load_dword v133, off, s[0:3], 0 offset:344
	;; [unrolled: 1-line block ×7, first 2 shown]
	s_waitcnt vmcnt(23) lgkmcnt(0)
	v_fma_f64 v[117:118], v[129:130], v[121:122], v[117:118]
	s_waitcnt vmcnt(18)
	v_fma_f64 v[129:130], v[131:132], v[123:124], v[117:118]
	ds_read2_b64 v[117:120], v0 offset0:91 offset1:92
	ds_read2_b64 v[121:124], v0 offset0:93 offset1:94
	buffer_load_dword v134, off, s[0:3], 0 offset:348
	s_waitcnt vmcnt(18) lgkmcnt(1)
	v_fma_f64 v[117:118], v[145:146], v[117:118], v[129:130]
	s_waitcnt vmcnt(17)
	v_fma_f64 v[117:118], v[143:144], v[119:120], v[117:118]
	buffer_load_dword v130, off, s[0:3], 0 offset:356
	buffer_load_dword v131, off, s[0:3], 0 offset:376
	;; [unrolled: 1-line block ×7, first 2 shown]
	s_waitcnt vmcnt(23) lgkmcnt(0)
	v_fma_f64 v[117:118], v[137:138], v[121:122], v[117:118]
	s_waitcnt vmcnt(18)
	v_fma_f64 v[125:126], v[125:126], v[123:124], v[117:118]
	ds_read2_b64 v[117:120], v0 offset0:95 offset1:96
	ds_read2_b64 v[121:124], v0 offset0:97 offset1:98
	buffer_load_dword v132, off, s[0:3], 0 offset:380
	s_waitcnt vmcnt(18) lgkmcnt(1)
	v_fma_f64 v[117:118], v[149:150], v[117:118], v[125:126]
	s_waitcnt vmcnt(17)
	v_fma_f64 v[117:118], v[147:148], v[119:120], v[117:118]
	buffer_load_dword v126, off, s[0:3], 0 offset:388
	buffer_load_dword v137, off, s[0:3], 0 offset:408
	;; [unrolled: 1-line block ×8, first 2 shown]
	s_waitcnt vmcnt(24) lgkmcnt(0)
	v_fma_f64 v[117:118], v[139:140], v[121:122], v[117:118]
	s_waitcnt vmcnt(19)
	v_fma_f64 v[127:128], v[127:128], v[123:124], v[117:118]
	ds_read2_b64 v[117:120], v0 offset0:99 offset1:100
	ds_read2_b64 v[121:124], v0 offset0:101 offset1:102
	s_waitcnt vmcnt(18) lgkmcnt(1)
	v_fma_f64 v[117:118], v[141:142], v[117:118], v[127:128]
	s_waitcnt vmcnt(17)
	v_fma_f64 v[117:118], v[135:136], v[119:120], v[117:118]
	buffer_load_dword v136, off, s[0:3], 0 offset:420
	buffer_load_dword v139, off, s[0:3], 0 offset:440
	;; [unrolled: 1-line block ×7, first 2 shown]
	s_waitcnt vmcnt(23) lgkmcnt(0)
	v_fma_f64 v[117:118], v[133:134], v[121:122], v[117:118]
	s_waitcnt vmcnt(18)
	v_fma_f64 v[127:128], v[129:130], v[123:124], v[117:118]
	ds_read2_b64 v[117:120], v0 offset0:103 offset1:104
	ds_read2_b64 v[121:124], v0 offset0:105 offset1:106
	buffer_load_dword v140, off, s[0:3], 0 offset:444
	s_waitcnt vmcnt(18) lgkmcnt(1)
	v_fma_f64 v[117:118], v[145:146], v[117:118], v[127:128]
	s_waitcnt vmcnt(17)
	v_fma_f64 v[117:118], v[143:144], v[119:120], v[117:118]
	buffer_load_dword v120, off, s[0:3], 0 offset:452
	buffer_load_dword v129, off, s[0:3], 0 offset:456
	;; [unrolled: 1-line block ×4, first 2 shown]
	s_waitcnt vmcnt(20) lgkmcnt(0)
	v_fma_f64 v[117:118], v[131:132], v[121:122], v[117:118]
	buffer_load_dword v131, off, s[0:3], 0
	buffer_load_dword v132, off, s[0:3], 0 offset:4
	s_waitcnt vmcnt(17)
	v_fma_f64 v[117:118], v[125:126], v[123:124], v[117:118]
	ds_read2_b64 v[121:124], v0 offset0:107 offset1:108
	ds_read2_b64 v[125:128], v0 offset0:109 offset1:110
	s_waitcnt vmcnt(16) lgkmcnt(1)
	v_fma_f64 v[117:118], v[149:150], v[121:122], v[117:118]
	s_waitcnt vmcnt(15)
	v_fma_f64 v[117:118], v[147:148], v[123:124], v[117:118]
	s_waitcnt vmcnt(14) lgkmcnt(0)
	v_fma_f64 v[117:118], v[137:138], v[125:126], v[117:118]
	s_waitcnt vmcnt(9)
	v_fma_f64 v[117:118], v[135:136], v[127:128], v[117:118]
	ds_read2_b64 v[121:124], v0 offset0:111 offset1:112
	ds_read2_b64 v[125:128], v0 offset0:113 offset1:114
	s_waitcnt vmcnt(8) lgkmcnt(1)
	v_fma_f64 v[117:118], v[151:152], v[121:122], v[117:118]
	ds_read_b64 v[121:122], v0 offset:920
	s_waitcnt vmcnt(7)
	v_fma_f64 v[117:118], v[141:142], v[123:124], v[117:118]
	s_waitcnt vmcnt(6) lgkmcnt(1)
	v_fma_f64 v[117:118], v[139:140], v[125:126], v[117:118]
	s_waitcnt vmcnt(3)
	v_fma_f64 v[117:118], v[119:120], v[127:128], v[117:118]
	s_waitcnt vmcnt(2) lgkmcnt(0)
	v_fma_f64 v[117:118], v[129:130], v[121:122], v[117:118]
	s_waitcnt vmcnt(0)
	v_add_f64 v[117:118], v[131:132], -v[117:118]
	buffer_store_dword v118, off, s[0:3], 0 offset:4
	buffer_store_dword v117, off, s[0:3], 0
	s_cbranch_vccz .LBB57_470
; %bb.356:
	global_load_dword v0, v0, s[20:21] offset:224
	s_waitcnt vmcnt(0)
	v_add_u32_e32 v0, -1, v0
	v_cmp_ne_u32_e32 vcc, 56, v0
	s_cbranch_vccz .LBB57_358
; %bb.357:
	v_lshlrev_b32_e32 v0, 3, v0
	buffer_load_dword v117, v0, s[0:3], 0 offen offset:4
	buffer_load_dword v118, v0, s[0:3], 0 offen
	s_waitcnt vmcnt(1)
	buffer_store_dword v117, off, s[0:3], 0 offset:452
	s_waitcnt vmcnt(1)
	buffer_store_dword v118, off, s[0:3], 0 offset:448
	buffer_store_dword v120, v0, s[0:3], 0 offen offset:4
	buffer_store_dword v119, v0, s[0:3], 0 offen
.LBB57_358:
	v_mov_b32_e32 v0, 0
	global_load_dword v117, v0, s[20:21] offset:220
	s_waitcnt vmcnt(0)
	v_add_u32_e32 v117, -1, v117
	v_cmp_eq_u32_e32 vcc, 55, v117
	s_cbranch_vccnz .LBB57_360
; %bb.359:
	v_lshlrev_b32_e32 v117, 3, v117
	buffer_load_dword v118, v117, s[0:3], 0 offen
	buffer_load_dword v119, v117, s[0:3], 0 offen offset:4
	buffer_load_dword v120, off, s[0:3], 0 offset:440
	buffer_load_dword v121, off, s[0:3], 0 offset:444
	s_waitcnt vmcnt(3)
	buffer_store_dword v118, off, s[0:3], 0 offset:440
	s_waitcnt vmcnt(3)
	buffer_store_dword v119, off, s[0:3], 0 offset:444
	s_waitcnt vmcnt(3)
	buffer_store_dword v120, v117, s[0:3], 0 offen
	s_waitcnt vmcnt(3)
	buffer_store_dword v121, v117, s[0:3], 0 offen offset:4
.LBB57_360:
	global_load_dword v0, v0, s[20:21] offset:216
	s_waitcnt vmcnt(0)
	v_add_u32_e32 v0, -1, v0
	v_cmp_eq_u32_e32 vcc, 54, v0
	s_cbranch_vccnz .LBB57_362
; %bb.361:
	v_lshlrev_b32_e32 v0, 3, v0
	buffer_load_dword v117, v0, s[0:3], 0 offen
	buffer_load_dword v118, v0, s[0:3], 0 offen offset:4
	buffer_load_dword v119, off, s[0:3], 0 offset:436
	buffer_load_dword v120, off, s[0:3], 0 offset:432
	s_waitcnt vmcnt(3)
	buffer_store_dword v117, off, s[0:3], 0 offset:432
	s_waitcnt vmcnt(3)
	buffer_store_dword v118, off, s[0:3], 0 offset:436
	s_waitcnt vmcnt(3)
	buffer_store_dword v119, v0, s[0:3], 0 offen offset:4
	s_waitcnt vmcnt(3)
	buffer_store_dword v120, v0, s[0:3], 0 offen
.LBB57_362:
	v_mov_b32_e32 v0, 0
	global_load_dword v117, v0, s[20:21] offset:212
	s_waitcnt vmcnt(0)
	v_add_u32_e32 v117, -1, v117
	v_cmp_eq_u32_e32 vcc, 53, v117
	s_cbranch_vccnz .LBB57_364
; %bb.363:
	v_lshlrev_b32_e32 v117, 3, v117
	buffer_load_dword v118, v117, s[0:3], 0 offen
	buffer_load_dword v119, v117, s[0:3], 0 offen offset:4
	buffer_load_dword v120, off, s[0:3], 0 offset:424
	buffer_load_dword v121, off, s[0:3], 0 offset:428
	s_waitcnt vmcnt(3)
	buffer_store_dword v118, off, s[0:3], 0 offset:424
	s_waitcnt vmcnt(3)
	buffer_store_dword v119, off, s[0:3], 0 offset:428
	s_waitcnt vmcnt(3)
	buffer_store_dword v120, v117, s[0:3], 0 offen
	s_waitcnt vmcnt(3)
	buffer_store_dword v121, v117, s[0:3], 0 offen offset:4
.LBB57_364:
	global_load_dword v0, v0, s[20:21] offset:208
	s_waitcnt vmcnt(0)
	v_add_u32_e32 v0, -1, v0
	v_cmp_eq_u32_e32 vcc, 52, v0
	s_cbranch_vccnz .LBB57_366
; %bb.365:
	v_lshlrev_b32_e32 v0, 3, v0
	buffer_load_dword v117, v0, s[0:3], 0 offen
	buffer_load_dword v118, v0, s[0:3], 0 offen offset:4
	buffer_load_dword v119, off, s[0:3], 0 offset:420
	buffer_load_dword v120, off, s[0:3], 0 offset:416
	s_waitcnt vmcnt(3)
	buffer_store_dword v117, off, s[0:3], 0 offset:416
	s_waitcnt vmcnt(3)
	buffer_store_dword v118, off, s[0:3], 0 offset:420
	s_waitcnt vmcnt(3)
	buffer_store_dword v119, v0, s[0:3], 0 offen offset:4
	s_waitcnt vmcnt(3)
	buffer_store_dword v120, v0, s[0:3], 0 offen
.LBB57_366:
	;; [unrolled: 41-line block ×27, first 2 shown]
	v_mov_b32_e32 v0, 0
	global_load_dword v117, v0, s[20:21] offset:4
	s_waitcnt vmcnt(0)
	v_add_u32_e32 v117, -1, v117
	v_cmp_eq_u32_e32 vcc, 1, v117
	s_cbranch_vccnz .LBB57_468
; %bb.467:
	v_lshlrev_b32_e32 v117, 3, v117
	buffer_load_dword v118, v117, s[0:3], 0 offen
	buffer_load_dword v119, v117, s[0:3], 0 offen offset:4
	buffer_load_dword v120, off, s[0:3], 0 offset:8
	buffer_load_dword v121, off, s[0:3], 0 offset:12
	s_waitcnt vmcnt(3)
	buffer_store_dword v118, off, s[0:3], 0 offset:8
	s_waitcnt vmcnt(3)
	buffer_store_dword v119, off, s[0:3], 0 offset:12
	s_waitcnt vmcnt(3)
	buffer_store_dword v120, v117, s[0:3], 0 offen
	s_waitcnt vmcnt(3)
	buffer_store_dword v121, v117, s[0:3], 0 offen offset:4
.LBB57_468:
	global_load_dword v0, v0, s[20:21]
	s_nop 0
	buffer_load_dword v117, off, s[0:3], 0
	buffer_load_dword v118, off, s[0:3], 0 offset:4
	s_waitcnt vmcnt(2)
	v_add_u32_e32 v0, -1, v0
	v_cmp_eq_u32_e32 vcc, 0, v0
	s_cbranch_vccnz .LBB57_470
; %bb.469:
	v_lshlrev_b32_e32 v0, 3, v0
	buffer_load_dword v119, v0, s[0:3], 0 offen offset:4
	buffer_load_dword v120, v0, s[0:3], 0 offen
	s_waitcnt vmcnt(1)
	buffer_store_dword v119, off, s[0:3], 0 offset:4
	s_waitcnt vmcnt(1)
	buffer_store_dword v120, off, s[0:3], 0
	buffer_store_dword v118, v0, s[0:3], 0 offen offset:4
	buffer_store_dword v117, v0, s[0:3], 0 offen
	buffer_load_dword v117, off, s[0:3], 0
	s_nop 0
	buffer_load_dword v118, off, s[0:3], 0 offset:4
.LBB57_470:
	buffer_load_dword v119, off, s[0:3], 0 offset:8
	buffer_load_dword v120, off, s[0:3], 0 offset:12
	;; [unrolled: 1-line block ×114, first 2 shown]
	s_waitcnt vmcnt(62)
	global_store_dwordx2 v[105:106], v[117:118], off
	global_store_dwordx2 v[109:110], v[119:120], off
	;; [unrolled: 1-line block ×27, first 2 shown]
	s_waitcnt vmcnt(62)
	global_store_dwordx2 v[51:52], v[171:172], off
	global_store_dwordx2 v[53:54], v[173:174], off
	;; [unrolled: 1-line block ×13, first 2 shown]
	s_waitcnt vmcnt(62)
	global_store_dwordx2 v[77:78], v[197:198], off
	global_store_dwordx2 v[79:80], v[199:200], off
	global_store_dwordx2 v[81:82], v[201:202], off
	global_store_dwordx2 v[83:84], v[203:204], off
	global_store_dwordx2 v[85:86], v[205:206], off
	global_store_dwordx2 v[87:88], v[207:208], off
	global_store_dwordx2 v[89:90], v[209:210], off
	s_waitcnt vmcnt(62)
	global_store_dwordx2 v[91:92], v[211:212], off
	global_store_dwordx2 v[93:94], v[213:214], off
	;; [unrolled: 1-line block ×3, first 2 shown]
	s_waitcnt vmcnt(62)
	global_store_dwordx2 v[97:98], v[217:218], off
	global_store_dwordx2 v[99:100], v[219:220], off
	s_waitcnt vmcnt(62)
	global_store_dwordx2 v[101:102], v[221:222], off
	s_waitcnt vmcnt(61)
	;; [unrolled: 2-line block ×6, first 2 shown]
	global_store_dwordx2 v[115:116], v[231:232], off
	s_endpgm
	.section	.rodata,"a",@progbits
	.p2align	6, 0x0
	.amdhsa_kernel _ZN9rocsolver6v33100L18getri_kernel_smallILi58EdPdEEvT1_iilPiilS4_bb
		.amdhsa_group_segment_fixed_size 936
		.amdhsa_private_segment_fixed_size 480
		.amdhsa_kernarg_size 60
		.amdhsa_user_sgpr_count 6
		.amdhsa_user_sgpr_private_segment_buffer 1
		.amdhsa_user_sgpr_dispatch_ptr 0
		.amdhsa_user_sgpr_queue_ptr 0
		.amdhsa_user_sgpr_kernarg_segment_ptr 1
		.amdhsa_user_sgpr_dispatch_id 0
		.amdhsa_user_sgpr_flat_scratch_init 0
		.amdhsa_user_sgpr_private_segment_size 0
		.amdhsa_uses_dynamic_stack 0
		.amdhsa_system_sgpr_private_segment_wavefront_offset 1
		.amdhsa_system_sgpr_workgroup_id_x 1
		.amdhsa_system_sgpr_workgroup_id_y 0
		.amdhsa_system_sgpr_workgroup_id_z 0
		.amdhsa_system_sgpr_workgroup_info 0
		.amdhsa_system_vgpr_workitem_id 0
		.amdhsa_next_free_vgpr 233
		.amdhsa_next_free_sgpr 24
		.amdhsa_reserve_vcc 1
		.amdhsa_reserve_flat_scratch 0
		.amdhsa_float_round_mode_32 0
		.amdhsa_float_round_mode_16_64 0
		.amdhsa_float_denorm_mode_32 3
		.amdhsa_float_denorm_mode_16_64 3
		.amdhsa_dx10_clamp 1
		.amdhsa_ieee_mode 1
		.amdhsa_fp16_overflow 0
		.amdhsa_exception_fp_ieee_invalid_op 0
		.amdhsa_exception_fp_denorm_src 0
		.amdhsa_exception_fp_ieee_div_zero 0
		.amdhsa_exception_fp_ieee_overflow 0
		.amdhsa_exception_fp_ieee_underflow 0
		.amdhsa_exception_fp_ieee_inexact 0
		.amdhsa_exception_int_div_zero 0
	.end_amdhsa_kernel
	.section	.text._ZN9rocsolver6v33100L18getri_kernel_smallILi58EdPdEEvT1_iilPiilS4_bb,"axG",@progbits,_ZN9rocsolver6v33100L18getri_kernel_smallILi58EdPdEEvT1_iilPiilS4_bb,comdat
.Lfunc_end57:
	.size	_ZN9rocsolver6v33100L18getri_kernel_smallILi58EdPdEEvT1_iilPiilS4_bb, .Lfunc_end57-_ZN9rocsolver6v33100L18getri_kernel_smallILi58EdPdEEvT1_iilPiilS4_bb
                                        ; -- End function
	.set _ZN9rocsolver6v33100L18getri_kernel_smallILi58EdPdEEvT1_iilPiilS4_bb.num_vgpr, 233
	.set _ZN9rocsolver6v33100L18getri_kernel_smallILi58EdPdEEvT1_iilPiilS4_bb.num_agpr, 0
	.set _ZN9rocsolver6v33100L18getri_kernel_smallILi58EdPdEEvT1_iilPiilS4_bb.numbered_sgpr, 24
	.set _ZN9rocsolver6v33100L18getri_kernel_smallILi58EdPdEEvT1_iilPiilS4_bb.num_named_barrier, 0
	.set _ZN9rocsolver6v33100L18getri_kernel_smallILi58EdPdEEvT1_iilPiilS4_bb.private_seg_size, 480
	.set _ZN9rocsolver6v33100L18getri_kernel_smallILi58EdPdEEvT1_iilPiilS4_bb.uses_vcc, 1
	.set _ZN9rocsolver6v33100L18getri_kernel_smallILi58EdPdEEvT1_iilPiilS4_bb.uses_flat_scratch, 0
	.set _ZN9rocsolver6v33100L18getri_kernel_smallILi58EdPdEEvT1_iilPiilS4_bb.has_dyn_sized_stack, 0
	.set _ZN9rocsolver6v33100L18getri_kernel_smallILi58EdPdEEvT1_iilPiilS4_bb.has_recursion, 0
	.set _ZN9rocsolver6v33100L18getri_kernel_smallILi58EdPdEEvT1_iilPiilS4_bb.has_indirect_call, 0
	.section	.AMDGPU.csdata,"",@progbits
; Kernel info:
; codeLenInByte = 81280
; TotalNumSgprs: 28
; NumVgprs: 233
; ScratchSize: 480
; MemoryBound: 1
; FloatMode: 240
; IeeeMode: 1
; LDSByteSize: 936 bytes/workgroup (compile time only)
; SGPRBlocks: 3
; VGPRBlocks: 58
; NumSGPRsForWavesPerEU: 28
; NumVGPRsForWavesPerEU: 233
; Occupancy: 1
; WaveLimiterHint : 1
; COMPUTE_PGM_RSRC2:SCRATCH_EN: 1
; COMPUTE_PGM_RSRC2:USER_SGPR: 6
; COMPUTE_PGM_RSRC2:TRAP_HANDLER: 0
; COMPUTE_PGM_RSRC2:TGID_X_EN: 1
; COMPUTE_PGM_RSRC2:TGID_Y_EN: 0
; COMPUTE_PGM_RSRC2:TGID_Z_EN: 0
; COMPUTE_PGM_RSRC2:TIDIG_COMP_CNT: 0
	.section	.text._ZN9rocsolver6v33100L18getri_kernel_smallILi59EdPdEEvT1_iilPiilS4_bb,"axG",@progbits,_ZN9rocsolver6v33100L18getri_kernel_smallILi59EdPdEEvT1_iilPiilS4_bb,comdat
	.globl	_ZN9rocsolver6v33100L18getri_kernel_smallILi59EdPdEEvT1_iilPiilS4_bb ; -- Begin function _ZN9rocsolver6v33100L18getri_kernel_smallILi59EdPdEEvT1_iilPiilS4_bb
	.p2align	8
	.type	_ZN9rocsolver6v33100L18getri_kernel_smallILi59EdPdEEvT1_iilPiilS4_bb,@function
_ZN9rocsolver6v33100L18getri_kernel_smallILi59EdPdEEvT1_iilPiilS4_bb: ; @_ZN9rocsolver6v33100L18getri_kernel_smallILi59EdPdEEvT1_iilPiilS4_bb
; %bb.0:
	s_add_u32 s0, s0, s7
	s_addc_u32 s1, s1, 0
	v_cmp_gt_u32_e32 vcc, 59, v0
	s_and_saveexec_b64 s[8:9], vcc
	s_cbranch_execz .LBB58_244
; %bb.1:
	s_load_dword s12, s[4:5], 0x38
	s_load_dwordx4 s[16:19], s[4:5], 0x10
	s_load_dwordx4 s[8:11], s[4:5], 0x28
                                        ; implicit-def: $sgpr20_sgpr21
	s_waitcnt lgkmcnt(0)
	s_bitcmp1_b32 s12, 8
	s_cselect_b64 s[22:23], -1, 0
	s_ashr_i32 s7, s6, 31
	s_bfe_u32 s12, s12, 0x10008
	s_cmp_eq_u32 s12, 0
	s_cbranch_scc1 .LBB58_3
; %bb.2:
	s_load_dword s12, s[4:5], 0x20
	s_mul_i32 s13, s8, s7
	s_mul_hi_u32 s14, s8, s6
	s_mul_i32 s9, s9, s6
	s_add_i32 s14, s14, s13
	s_add_i32 s9, s14, s9
	s_mul_i32 s8, s8, s6
	s_waitcnt lgkmcnt(0)
	s_ashr_i32 s13, s12, 31
	s_lshl_b64 s[8:9], s[8:9], 2
	s_add_u32 s14, s18, s8
	s_addc_u32 s15, s19, s9
	s_lshl_b64 s[8:9], s[12:13], 2
	s_add_u32 s20, s14, s8
	s_addc_u32 s21, s15, s9
.LBB58_3:
	s_load_dwordx4 s[12:15], s[4:5], 0x0
	s_load_dword s8, s[4:5], 0x38
	s_mul_i32 s9, s16, s7
	s_mul_hi_u32 s18, s16, s6
	s_add_i32 s9, s18, s9
	s_waitcnt lgkmcnt(0)
	s_ashr_i32 s5, s14, 31
	s_mov_b32 s4, s14
	s_mul_i32 s14, s17, s6
	s_add_i32 s17, s9, s14
	s_mul_i32 s16, s16, s6
	s_lshl_b64 s[16:17], s[16:17], 3
	s_add_u32 s9, s12, s16
	s_addc_u32 s12, s13, s17
	s_lshl_b64 s[4:5], s[4:5], 3
	s_add_u32 s4, s9, s4
	s_addc_u32 s5, s12, s5
	s_add_i32 s9, s15, s15
	v_add_u32_e32 v3, s9, v0
	v_ashrrev_i32_e32 v4, 31, v3
	v_lshlrev_b64 v[1:2], 3, v[3:4]
	v_add_u32_e32 v5, s15, v3
	v_mov_b32_e32 v4, s5
	v_add_co_u32_e32 v1, vcc, s4, v1
	v_ashrrev_i32_e32 v6, 31, v5
	v_addc_co_u32_e32 v2, vcc, v4, v2, vcc
	v_lshlrev_b64 v[3:4], 3, v[5:6]
	v_add_u32_e32 v7, s15, v5
	v_mov_b32_e32 v6, s5
	v_add_co_u32_e32 v3, vcc, s4, v3
	v_ashrrev_i32_e32 v8, 31, v7
	v_addc_co_u32_e32 v4, vcc, v6, v4, vcc
	;; [unrolled: 6-line block ×8, first 2 shown]
	v_lshlrev_b64 v[17:18], 3, v[19:20]
	v_mov_b32_e32 v21, s5
	v_add_co_u32_e32 v17, vcc, s4, v17
	v_addc_co_u32_e32 v18, vcc, v21, v18, vcc
	v_add_u32_e32 v21, s15, v19
	v_ashrrev_i32_e32 v22, 31, v21
	v_lshlrev_b64 v[19:20], 3, v[21:22]
	v_mov_b32_e32 v23, s5
	v_add_co_u32_e32 v19, vcc, s4, v19
	v_addc_co_u32_e32 v20, vcc, v23, v20, vcc
	v_add_u32_e32 v23, s15, v21
	v_ashrrev_i32_e32 v24, 31, v23
	;; [unrolled: 6-line block ×41, first 2 shown]
	v_lshlrev_b64 v[99:100], 3, v[101:102]
	v_mov_b32_e32 v103, s5
	v_add_co_u32_e32 v99, vcc, s4, v99
	v_addc_co_u32_e32 v100, vcc, v103, v100, vcc
	v_lshlrev_b32_e32 v121, 3, v0
	v_add_u32_e32 v103, s15, v101
	global_load_dwordx2 v[119:120], v121, s[4:5]
	v_mov_b32_e32 v101, s5
	v_add_co_u32_e32 v107, vcc, s4, v121
	s_ashr_i32 s13, s15, 31
	s_mov_b32 s12, s15
	v_addc_co_u32_e32 v108, vcc, 0, v101, vcc
	s_lshl_b64 s[12:13], s[12:13], 3
	v_mov_b32_e32 v101, s13
	v_add_co_u32_e32 v111, vcc, s12, v107
	v_addc_co_u32_e32 v112, vcc, v108, v101, vcc
	global_load_dwordx2 v[122:123], v[111:112], off
	global_load_dwordx2 v[124:125], v[1:2], off
	;; [unrolled: 1-line block ×9, first 2 shown]
	v_ashrrev_i32_e32 v104, 31, v103
	v_lshlrev_b64 v[101:102], 3, v[103:104]
	global_load_dwordx2 v[140:141], v[17:18], off
	global_load_dwordx2 v[142:143], v[19:20], off
	v_mov_b32_e32 v105, s5
	v_add_co_u32_e32 v101, vcc, s4, v101
	v_addc_co_u32_e32 v102, vcc, v105, v102, vcc
	v_add_u32_e32 v105, s15, v103
	v_ashrrev_i32_e32 v106, 31, v105
	v_lshlrev_b64 v[103:104], 3, v[105:106]
	v_mov_b32_e32 v109, s5
	v_add_co_u32_e32 v103, vcc, s4, v103
	v_addc_co_u32_e32 v104, vcc, v109, v104, vcc
	v_add_u32_e32 v109, s15, v105
	global_load_dwordx2 v[144:145], v[21:22], off
	global_load_dwordx2 v[146:147], v[23:24], off
	;; [unrolled: 1-line block ×4, first 2 shown]
	v_ashrrev_i32_e32 v110, 31, v109
	v_lshlrev_b64 v[105:106], 3, v[109:110]
	v_mov_b32_e32 v113, s5
	v_add_co_u32_e32 v105, vcc, s4, v105
	v_addc_co_u32_e32 v106, vcc, v113, v106, vcc
	v_add_u32_e32 v113, s15, v109
	v_ashrrev_i32_e32 v114, 31, v113
	v_lshlrev_b64 v[109:110], 3, v[113:114]
	v_mov_b32_e32 v115, s5
	v_add_co_u32_e32 v109, vcc, s4, v109
	v_addc_co_u32_e32 v110, vcc, v115, v110, vcc
	v_add_u32_e32 v115, s15, v113
	;; [unrolled: 6-line block ×3, first 2 shown]
	v_ashrrev_i32_e32 v118, 31, v117
	global_load_dwordx2 v[152:153], v[29:30], off
	v_lshlrev_b64 v[115:116], 3, v[117:118]
	v_mov_b32_e32 v154, s5
	v_add_co_u32_e32 v115, vcc, s4, v115
	v_addc_co_u32_e32 v116, vcc, v154, v116, vcc
	global_load_dwordx2 v[154:155], v[31:32], off
	v_add_u32_e32 v117, s15, v117
	global_load_dwordx2 v[156:157], v[33:34], off
	global_load_dwordx2 v[158:159], v[35:36], off
	;; [unrolled: 1-line block ×3, first 2 shown]
	v_ashrrev_i32_e32 v118, 31, v117
	v_lshlrev_b64 v[117:118], 3, v[117:118]
	v_mov_b32_e32 v162, s5
	v_add_co_u32_e32 v117, vcc, s4, v117
	v_addc_co_u32_e32 v118, vcc, v162, v118, vcc
	global_load_dwordx2 v[162:163], v[39:40], off
	global_load_dwordx2 v[164:165], v[41:42], off
	;; [unrolled: 1-line block ×20, first 2 shown]
	s_bitcmp0_b32 s8, 0
	s_waitcnt vmcnt(40)
	buffer_store_dword v120, off, s[0:3], 0 offset:4
	buffer_store_dword v119, off, s[0:3], 0
	global_load_dwordx2 v[119:120], v[43:44], off
	s_mov_b64 s[8:9], -1
	s_waitcnt vmcnt(42)
	buffer_store_dword v123, off, s[0:3], 0 offset:12
	buffer_store_dword v122, off, s[0:3], 0 offset:8
	global_load_dwordx2 v[122:123], v[47:48], off
	s_waitcnt vmcnt(44)
	buffer_store_dword v125, off, s[0:3], 0 offset:20
	buffer_store_dword v124, off, s[0:3], 0 offset:16
	global_load_dwordx2 v[124:125], v[51:52], off
	;; [unrolled: 4-line block ×12, first 2 shown]
	s_nop 0
	buffer_store_dword v146, off, s[0:3], 0 offset:104
	buffer_store_dword v147, off, s[0:3], 0 offset:108
	global_load_dwordx2 v[146:147], v[95:96], off
	s_nop 0
	buffer_store_dword v149, off, s[0:3], 0 offset:116
	buffer_store_dword v148, off, s[0:3], 0 offset:112
	global_load_dwordx2 v[148:149], v[99:100], off
	s_waitcnt vmcnt(62)
	buffer_store_dword v150, off, s[0:3], 0 offset:120
	buffer_store_dword v151, off, s[0:3], 0 offset:124
	global_load_dwordx2 v[150:151], v[103:104], off
	s_nop 0
	buffer_store_dword v152, off, s[0:3], 0 offset:128
	buffer_store_dword v153, off, s[0:3], 0 offset:132
	global_load_dwordx2 v[152:153], v[109:110], off
	s_nop 0
	;; [unrolled: 4-line block ×3, first 2 shown]
	buffer_store_dword v156, off, s[0:3], 0 offset:144
	buffer_store_dword v157, off, s[0:3], 0 offset:148
	;; [unrolled: 1-line block ×10, first 2 shown]
	s_waitcnt vmcnt(61)
	buffer_store_dword v119, off, s[0:3], 0 offset:184
	buffer_store_dword v120, off, s[0:3], 0 offset:188
	buffer_store_dword v166, off, s[0:3], 0 offset:192
	buffer_store_dword v167, off, s[0:3], 0 offset:196
	s_waitcnt vmcnt(62)
	buffer_store_dword v123, off, s[0:3], 0 offset:204
	buffer_store_dword v122, off, s[0:3], 0 offset:200
	buffer_store_dword v169, off, s[0:3], 0 offset:212
	buffer_store_dword v168, off, s[0:3], 0 offset:208
	;; [unrolled: 5-line block ×5, first 2 shown]
	buffer_store_dword v130, off, s[0:3], 0 offset:264
	buffer_store_dword v131, off, s[0:3], 0 offset:268
	;; [unrolled: 1-line block ×4, first 2 shown]
	s_waitcnt vmcnt(62)
	buffer_store_dword v132, off, s[0:3], 0 offset:280
	buffer_store_dword v133, off, s[0:3], 0 offset:284
	;; [unrolled: 1-line block ×8, first 2 shown]
	s_waitcnt vmcnt(62)
	buffer_store_dword v136, off, s[0:3], 0 offset:312
	buffer_store_dword v137, off, s[0:3], 0 offset:316
	;; [unrolled: 1-line block ×12, first 2 shown]
	s_waitcnt vmcnt(62)
	buffer_store_dword v142, off, s[0:3], 0 offset:360
	buffer_store_dword v143, off, s[0:3], 0 offset:364
	;; [unrolled: 1-line block ×16, first 2 shown]
	s_waitcnt vmcnt(62)
	buffer_store_dword v150, off, s[0:3], 0 offset:424
	buffer_store_dword v151, off, s[0:3], 0 offset:428
	;; [unrolled: 1-line block ×12, first 2 shown]
	s_cbranch_scc1 .LBB58_242
; %bb.4:
	v_cmp_eq_u32_e64 s[4:5], 0, v0
	s_and_saveexec_b64 s[8:9], s[4:5]
; %bb.5:
	v_mov_b32_e32 v119, 0
	ds_write_b32 v119, v119 offset:472
; %bb.6:
	s_or_b64 exec, exec, s[8:9]
	v_mov_b32_e32 v119, 0
	v_lshl_add_u32 v119, v0, 3, v119
	s_waitcnt lgkmcnt(0)
	; wave barrier
	buffer_load_dword v122, v119, s[0:3], 0 offen
	buffer_load_dword v123, v119, s[0:3], 0 offen offset:4
	s_waitcnt vmcnt(0)
	v_cmp_eq_f64_e32 vcc, 0, v[122:123]
	s_and_saveexec_b64 s[12:13], vcc
	s_cbranch_execz .LBB58_10
; %bb.7:
	v_mov_b32_e32 v120, 0
	ds_read_b32 v123, v120 offset:472
	v_add_u32_e32 v122, 1, v0
	s_waitcnt lgkmcnt(0)
	v_readfirstlane_b32 s8, v123
	s_cmp_eq_u32 s8, 0
	s_cselect_b64 s[14:15], -1, 0
	v_cmp_gt_i32_e32 vcc, s8, v122
	s_or_b64 s[14:15], s[14:15], vcc
	s_and_b64 exec, exec, s[14:15]
	s_cbranch_execz .LBB58_10
; %bb.8:
	s_mov_b64 s[14:15], 0
	v_mov_b32_e32 v123, s8
.LBB58_9:                               ; =>This Inner Loop Header: Depth=1
	ds_cmpst_rtn_b32 v123, v120, v123, v122 offset:472
	s_waitcnt lgkmcnt(0)
	v_cmp_ne_u32_e32 vcc, 0, v123
	v_cmp_le_i32_e64 s[8:9], v123, v122
	s_and_b64 s[8:9], vcc, s[8:9]
	s_and_b64 s[8:9], exec, s[8:9]
	s_or_b64 s[14:15], s[8:9], s[14:15]
	s_andn2_b64 exec, exec, s[14:15]
	s_cbranch_execnz .LBB58_9
.LBB58_10:
	s_or_b64 exec, exec, s[12:13]
	v_mov_b32_e32 v122, 0
	; wave barrier
	ds_read_b32 v120, v122 offset:472
	s_and_saveexec_b64 s[8:9], s[4:5]
	s_cbranch_execz .LBB58_12
; %bb.11:
	s_lshl_b64 s[12:13], s[6:7], 2
	s_add_u32 s12, s10, s12
	s_addc_u32 s13, s11, s13
	s_waitcnt lgkmcnt(0)
	global_store_dword v122, v120, s[12:13]
.LBB58_12:
	s_or_b64 exec, exec, s[8:9]
	s_waitcnt lgkmcnt(0)
	v_cmp_ne_u32_e32 vcc, 0, v120
	s_mov_b64 s[8:9], 0
	s_cbranch_vccnz .LBB58_242
; %bb.13:
	buffer_load_dword v122, v119, s[0:3], 0 offen
	buffer_load_dword v123, v119, s[0:3], 0 offen offset:4
	s_waitcnt vmcnt(0)
	v_div_scale_f64 v[124:125], s[8:9], v[122:123], v[122:123], 1.0
	v_rcp_f64_e32 v[126:127], v[124:125]
	v_fma_f64 v[128:129], -v[124:125], v[126:127], 1.0
	v_fma_f64 v[126:127], v[126:127], v[128:129], v[126:127]
	v_div_scale_f64 v[128:129], vcc, 1.0, v[122:123], 1.0
	v_fma_f64 v[130:131], -v[124:125], v[126:127], 1.0
	v_fma_f64 v[126:127], v[126:127], v[130:131], v[126:127]
	v_mul_f64 v[130:131], v[128:129], v[126:127]
	v_fma_f64 v[124:125], -v[124:125], v[130:131], v[128:129]
	v_div_fmas_f64 v[124:125], v[124:125], v[126:127], v[130:131]
	v_div_fixup_f64 v[123:124], v[124:125], v[122:123], 1.0
	v_add_u32_e32 v122, 0x1e0, v121
	buffer_store_dword v124, v119, s[0:3], 0 offen offset:4
	buffer_store_dword v123, v119, s[0:3], 0 offen
	buffer_load_dword v126, off, s[0:3], 0 offset:12
	buffer_load_dword v125, off, s[0:3], 0 offset:8
	v_xor_b32_e32 v124, 0x80000000, v124
	s_waitcnt vmcnt(0)
	ds_write2_b64 v121, v[123:124], v[125:126] offset1:60
	s_waitcnt lgkmcnt(0)
	; wave barrier
	s_and_saveexec_b64 s[8:9], s[4:5]
	s_cbranch_execz .LBB58_15
; %bb.14:
	buffer_load_dword v123, v119, s[0:3], 0 offen
	buffer_load_dword v124, v119, s[0:3], 0 offen offset:4
	ds_read_b64 v[125:126], v122
	v_mov_b32_e32 v120, 0
	ds_read_b64 v[127:128], v120 offset:8
	s_waitcnt vmcnt(0) lgkmcnt(1)
	v_fma_f64 v[123:124], v[123:124], v[125:126], 0
	s_waitcnt lgkmcnt(0)
	v_mul_f64 v[123:124], v[123:124], v[127:128]
	buffer_store_dword v123, off, s[0:3], 0 offset:8
	buffer_store_dword v124, off, s[0:3], 0 offset:12
.LBB58_15:
	s_or_b64 exec, exec, s[8:9]
	; wave barrier
	buffer_load_dword v123, off, s[0:3], 0 offset:16
	buffer_load_dword v124, off, s[0:3], 0 offset:20
	v_cmp_gt_u32_e32 vcc, 2, v0
	s_waitcnt vmcnt(0)
	ds_write_b64 v122, v[123:124]
	s_waitcnt lgkmcnt(0)
	; wave barrier
	s_and_saveexec_b64 s[8:9], vcc
	s_cbranch_execz .LBB58_17
; %bb.16:
	buffer_load_dword v123, v119, s[0:3], 0 offen
	buffer_load_dword v124, v119, s[0:3], 0 offen offset:4
                                        ; kill: killed $vgpr119
	s_nop 0
	buffer_load_dword v119, off, s[0:3], 0 offset:8
	buffer_load_dword v120, off, s[0:3], 0 offset:12
	ds_read_b64 v[125:126], v122
	s_waitcnt vmcnt(2) lgkmcnt(0)
	v_fma_f64 v[127:128], v[123:124], v[125:126], 0
	v_mov_b32_e32 v123, 0
	ds_read2_b64 v[123:126], v123 offset0:2 offset1:61
	s_waitcnt vmcnt(0) lgkmcnt(0)
	v_fma_f64 v[119:120], v[119:120], v[125:126], v[127:128]
	v_cndmask_b32_e64 v120, v128, v120, s[4:5]
	v_cndmask_b32_e64 v119, v127, v119, s[4:5]
	v_mul_f64 v[119:120], v[119:120], v[123:124]
	buffer_store_dword v120, off, s[0:3], 0 offset:20
	buffer_store_dword v119, off, s[0:3], 0 offset:16
.LBB58_17:
	s_or_b64 exec, exec, s[8:9]
	; wave barrier
	buffer_load_dword v119, off, s[0:3], 0 offset:24
	buffer_load_dword v120, off, s[0:3], 0 offset:28
	v_cmp_gt_u32_e32 vcc, 3, v0
	v_add_u32_e32 v123, -1, v0
	s_waitcnt vmcnt(0)
	ds_write_b64 v122, v[119:120]
	s_waitcnt lgkmcnt(0)
	; wave barrier
	s_and_saveexec_b64 s[4:5], vcc
	s_cbranch_execz .LBB58_21
; %bb.18:
	v_mov_b32_e32 v119, 0
	v_add_u32_e32 v124, -1, v0
	v_add_u32_e32 v125, 0x1e0, v121
	v_mov_b32_e32 v126, v121
	v_mov_b32_e32 v120, 0
	s_mov_b64 s[8:9], 0
.LBB58_19:                              ; =>This Inner Loop Header: Depth=1
	buffer_load_dword v127, v126, s[0:3], 0 offen
	buffer_load_dword v128, v126, s[0:3], 0 offen offset:4
	ds_read_b64 v[129:130], v125
	v_add_u32_e32 v124, 1, v124
	v_cmp_lt_u32_e32 vcc, 1, v124
	v_add_u32_e32 v125, 8, v125
	s_or_b64 s[8:9], vcc, s[8:9]
	v_add_u32_e32 v126, 8, v126
	s_waitcnt vmcnt(0) lgkmcnt(0)
	v_fma_f64 v[119:120], v[127:128], v[129:130], v[119:120]
	s_andn2_b64 exec, exec, s[8:9]
	s_cbranch_execnz .LBB58_19
; %bb.20:
	s_or_b64 exec, exec, s[8:9]
	v_mov_b32_e32 v124, 0
	ds_read_b64 v[124:125], v124 offset:24
	s_waitcnt lgkmcnt(0)
	v_mul_f64 v[119:120], v[119:120], v[124:125]
	buffer_store_dword v120, off, s[0:3], 0 offset:28
	buffer_store_dword v119, off, s[0:3], 0 offset:24
.LBB58_21:
	s_or_b64 exec, exec, s[4:5]
	; wave barrier
	buffer_load_dword v119, off, s[0:3], 0 offset:32
	buffer_load_dword v120, off, s[0:3], 0 offset:36
	v_cmp_gt_u32_e32 vcc, 4, v0
	s_waitcnt vmcnt(0)
	ds_write_b64 v122, v[119:120]
	s_waitcnt lgkmcnt(0)
	; wave barrier
	s_and_saveexec_b64 s[4:5], vcc
	s_cbranch_execz .LBB58_25
; %bb.22:
	v_mov_b32_e32 v119, 0
	v_add_u32_e32 v124, -1, v0
	v_add_u32_e32 v125, 0x1e0, v121
	v_mov_b32_e32 v126, v121
	v_mov_b32_e32 v120, 0
	s_mov_b64 s[8:9], 0
.LBB58_23:                              ; =>This Inner Loop Header: Depth=1
	buffer_load_dword v127, v126, s[0:3], 0 offen
	buffer_load_dword v128, v126, s[0:3], 0 offen offset:4
	ds_read_b64 v[129:130], v125
	v_add_u32_e32 v124, 1, v124
	v_cmp_lt_u32_e32 vcc, 2, v124
	v_add_u32_e32 v125, 8, v125
	s_or_b64 s[8:9], vcc, s[8:9]
	v_add_u32_e32 v126, 8, v126
	s_waitcnt vmcnt(0) lgkmcnt(0)
	v_fma_f64 v[119:120], v[127:128], v[129:130], v[119:120]
	s_andn2_b64 exec, exec, s[8:9]
	s_cbranch_execnz .LBB58_23
; %bb.24:
	s_or_b64 exec, exec, s[8:9]
	v_mov_b32_e32 v124, 0
	ds_read_b64 v[124:125], v124 offset:32
	s_waitcnt lgkmcnt(0)
	v_mul_f64 v[119:120], v[119:120], v[124:125]
	buffer_store_dword v120, off, s[0:3], 0 offset:36
	buffer_store_dword v119, off, s[0:3], 0 offset:32
.LBB58_25:
	s_or_b64 exec, exec, s[4:5]
	; wave barrier
	buffer_load_dword v119, off, s[0:3], 0 offset:40
	buffer_load_dword v120, off, s[0:3], 0 offset:44
	v_cmp_gt_u32_e32 vcc, 5, v0
	;; [unrolled: 40-line block ×21, first 2 shown]
	s_waitcnt vmcnt(0)
	ds_write_b64 v122, v[119:120]
	s_waitcnt lgkmcnt(0)
	; wave barrier
	s_and_saveexec_b64 s[4:5], vcc
	s_cbranch_execz .LBB58_105
; %bb.102:
	v_mov_b32_e32 v119, 0
	v_add_u32_e32 v124, -1, v0
	v_add_u32_e32 v125, 0x1e0, v121
	v_mov_b32_e32 v126, v121
	v_mov_b32_e32 v120, 0
	s_mov_b64 s[8:9], 0
.LBB58_103:                             ; =>This Inner Loop Header: Depth=1
	buffer_load_dword v127, v126, s[0:3], 0 offen
	buffer_load_dword v128, v126, s[0:3], 0 offen offset:4
	ds_read_b64 v[129:130], v125
	v_add_u32_e32 v124, 1, v124
	v_cmp_lt_u32_e32 vcc, 22, v124
	v_add_u32_e32 v125, 8, v125
	s_or_b64 s[8:9], vcc, s[8:9]
	v_add_u32_e32 v126, 8, v126
	s_waitcnt vmcnt(0) lgkmcnt(0)
	v_fma_f64 v[119:120], v[127:128], v[129:130], v[119:120]
	s_andn2_b64 exec, exec, s[8:9]
	s_cbranch_execnz .LBB58_103
; %bb.104:
	s_or_b64 exec, exec, s[8:9]
	v_mov_b32_e32 v124, 0
	ds_read_b64 v[124:125], v124 offset:192
	s_waitcnt lgkmcnt(0)
	v_mul_f64 v[119:120], v[119:120], v[124:125]
	buffer_store_dword v120, off, s[0:3], 0 offset:196
	buffer_store_dword v119, off, s[0:3], 0 offset:192
.LBB58_105:
	s_or_b64 exec, exec, s[4:5]
	; wave barrier
	buffer_load_dword v119, off, s[0:3], 0 offset:200
	buffer_load_dword v120, off, s[0:3], 0 offset:204
	v_cmp_gt_u32_e32 vcc, 25, v0
	s_waitcnt vmcnt(0)
	ds_write_b64 v122, v[119:120]
	s_waitcnt lgkmcnt(0)
	; wave barrier
	s_and_saveexec_b64 s[4:5], vcc
	s_cbranch_execz .LBB58_109
; %bb.106:
	v_mov_b32_e32 v119, 0
	v_add_u32_e32 v124, -1, v0
	v_add_u32_e32 v125, 0x1e0, v121
	v_mov_b32_e32 v126, v121
	v_mov_b32_e32 v120, 0
	s_mov_b64 s[8:9], 0
.LBB58_107:                             ; =>This Inner Loop Header: Depth=1
	buffer_load_dword v127, v126, s[0:3], 0 offen
	buffer_load_dword v128, v126, s[0:3], 0 offen offset:4
	ds_read_b64 v[129:130], v125
	v_add_u32_e32 v124, 1, v124
	v_cmp_lt_u32_e32 vcc, 23, v124
	v_add_u32_e32 v125, 8, v125
	s_or_b64 s[8:9], vcc, s[8:9]
	v_add_u32_e32 v126, 8, v126
	s_waitcnt vmcnt(0) lgkmcnt(0)
	v_fma_f64 v[119:120], v[127:128], v[129:130], v[119:120]
	s_andn2_b64 exec, exec, s[8:9]
	s_cbranch_execnz .LBB58_107
; %bb.108:
	s_or_b64 exec, exec, s[8:9]
	v_mov_b32_e32 v124, 0
	ds_read_b64 v[124:125], v124 offset:200
	s_waitcnt lgkmcnt(0)
	v_mul_f64 v[119:120], v[119:120], v[124:125]
	buffer_store_dword v120, off, s[0:3], 0 offset:204
	buffer_store_dword v119, off, s[0:3], 0 offset:200
.LBB58_109:
	s_or_b64 exec, exec, s[4:5]
	; wave barrier
	buffer_load_dword v119, off, s[0:3], 0 offset:208
	buffer_load_dword v120, off, s[0:3], 0 offset:212
	v_cmp_gt_u32_e32 vcc, 26, v0
	;; [unrolled: 40-line block ×33, first 2 shown]
	s_waitcnt vmcnt(0)
	ds_write_b64 v122, v[119:120]
	s_waitcnt lgkmcnt(0)
	; wave barrier
	s_and_saveexec_b64 s[4:5], vcc
	s_cbranch_execz .LBB58_237
; %bb.234:
	v_mov_b32_e32 v119, 0
	v_add_u32_e32 v124, -1, v0
	v_add_u32_e32 v125, 0x1e0, v121
	v_mov_b32_e32 v126, v121
	v_mov_b32_e32 v120, 0
	s_mov_b64 s[8:9], 0
.LBB58_235:                             ; =>This Inner Loop Header: Depth=1
	buffer_load_dword v127, v126, s[0:3], 0 offen
	buffer_load_dword v128, v126, s[0:3], 0 offen offset:4
	ds_read_b64 v[129:130], v125
	v_add_u32_e32 v124, 1, v124
	v_cmp_lt_u32_e32 vcc, 55, v124
	v_add_u32_e32 v125, 8, v125
	s_or_b64 s[8:9], vcc, s[8:9]
	v_add_u32_e32 v126, 8, v126
	s_waitcnt vmcnt(0) lgkmcnt(0)
	v_fma_f64 v[119:120], v[127:128], v[129:130], v[119:120]
	s_andn2_b64 exec, exec, s[8:9]
	s_cbranch_execnz .LBB58_235
; %bb.236:
	s_or_b64 exec, exec, s[8:9]
	v_mov_b32_e32 v124, 0
	ds_read_b64 v[124:125], v124 offset:456
	s_waitcnt lgkmcnt(0)
	v_mul_f64 v[119:120], v[119:120], v[124:125]
	buffer_store_dword v120, off, s[0:3], 0 offset:460
	buffer_store_dword v119, off, s[0:3], 0 offset:456
.LBB58_237:
	s_or_b64 exec, exec, s[4:5]
	; wave barrier
	buffer_load_dword v119, off, s[0:3], 0 offset:464
	buffer_load_dword v120, off, s[0:3], 0 offset:468
	v_cmp_ne_u32_e32 vcc, 58, v0
	s_waitcnt vmcnt(0)
	ds_write_b64 v122, v[119:120]
	s_waitcnt lgkmcnt(0)
	; wave barrier
	s_and_saveexec_b64 s[4:5], vcc
	s_cbranch_execz .LBB58_241
; %bb.238:
	v_mov_b32_e32 v119, 0
	v_add_u32_e32 v122, 0x1e0, v121
	v_mov_b32_e32 v120, 0
	s_mov_b64 s[8:9], 0
.LBB58_239:                             ; =>This Inner Loop Header: Depth=1
	buffer_load_dword v124, v121, s[0:3], 0 offen
	buffer_load_dword v125, v121, s[0:3], 0 offen offset:4
	ds_read_b64 v[126:127], v122
	v_add_u32_e32 v123, 1, v123
	v_cmp_lt_u32_e32 vcc, 56, v123
	v_add_u32_e32 v122, 8, v122
	s_or_b64 s[8:9], vcc, s[8:9]
	v_add_u32_e32 v121, 8, v121
	s_waitcnt vmcnt(0) lgkmcnt(0)
	v_fma_f64 v[119:120], v[124:125], v[126:127], v[119:120]
	s_andn2_b64 exec, exec, s[8:9]
	s_cbranch_execnz .LBB58_239
; %bb.240:
	s_or_b64 exec, exec, s[8:9]
	v_mov_b32_e32 v121, 0
	ds_read_b64 v[121:122], v121 offset:464
	s_waitcnt lgkmcnt(0)
	v_mul_f64 v[119:120], v[119:120], v[121:122]
	buffer_store_dword v120, off, s[0:3], 0 offset:468
	buffer_store_dword v119, off, s[0:3], 0 offset:464
.LBB58_241:
	s_or_b64 exec, exec, s[4:5]
	s_mov_b64 s[8:9], -1
	; wave barrier
.LBB58_242:
	s_and_b64 vcc, exec, s[8:9]
	s_cbranch_vccz .LBB58_244
; %bb.243:
	s_lshl_b64 s[4:5], s[6:7], 2
	s_add_u32 s4, s10, s4
	s_addc_u32 s5, s11, s5
	v_mov_b32_e32 v119, 0
	global_load_dword v119, v119, s[4:5]
	s_waitcnt vmcnt(0)
	v_cmp_ne_u32_e32 vcc, 0, v119
	s_cbranch_vccz .LBB58_245
.LBB58_244:
	s_endpgm
.LBB58_245:
	v_mov_b32_e32 v119, 0x1e0
	v_lshl_add_u32 v119, v0, 3, v119
	v_cmp_eq_u32_e32 vcc, 58, v0
	s_and_saveexec_b64 s[4:5], vcc
	s_cbranch_execz .LBB58_247
; %bb.246:
	buffer_load_dword v120, off, s[0:3], 0 offset:456
	buffer_load_dword v121, off, s[0:3], 0 offset:460
	v_mov_b32_e32 v122, 0
	buffer_store_dword v122, off, s[0:3], 0 offset:456
	buffer_store_dword v122, off, s[0:3], 0 offset:460
	s_waitcnt vmcnt(2)
	ds_write_b64 v119, v[120:121]
.LBB58_247:
	s_or_b64 exec, exec, s[4:5]
	s_waitcnt lgkmcnt(0)
	; wave barrier
	buffer_load_dword v121, off, s[0:3], 0 offset:464
	buffer_load_dword v122, off, s[0:3], 0 offset:468
	;; [unrolled: 1-line block ×4, first 2 shown]
	v_mov_b32_e32 v120, 0
	ds_read_b64 v[125:126], v120 offset:944
	v_cmp_lt_u32_e32 vcc, 56, v0
	s_waitcnt vmcnt(2) lgkmcnt(0)
	v_fma_f64 v[121:122], v[121:122], v[125:126], 0
	s_waitcnt vmcnt(0)
	v_add_f64 v[121:122], v[123:124], -v[121:122]
	buffer_store_dword v121, off, s[0:3], 0 offset:456
	buffer_store_dword v122, off, s[0:3], 0 offset:460
	s_and_saveexec_b64 s[4:5], vcc
	s_cbranch_execz .LBB58_249
; %bb.248:
	buffer_load_dword v121, off, s[0:3], 0 offset:448
	buffer_load_dword v122, off, s[0:3], 0 offset:452
	s_waitcnt vmcnt(0)
	ds_write_b64 v119, v[121:122]
	buffer_store_dword v120, off, s[0:3], 0 offset:448
	buffer_store_dword v120, off, s[0:3], 0 offset:452
.LBB58_249:
	s_or_b64 exec, exec, s[4:5]
	s_waitcnt lgkmcnt(0)
	; wave barrier
	buffer_load_dword v124, off, s[0:3], 0 offset:456
	buffer_load_dword v125, off, s[0:3], 0 offset:460
	buffer_load_dword v126, off, s[0:3], 0 offset:464
	buffer_load_dword v127, off, s[0:3], 0 offset:468
	buffer_load_dword v128, off, s[0:3], 0 offset:448
	buffer_load_dword v129, off, s[0:3], 0 offset:452
	ds_read2_b64 v[120:123], v120 offset0:117 offset1:118
	v_cmp_lt_u32_e32 vcc, 55, v0
	s_waitcnt vmcnt(4) lgkmcnt(0)
	v_fma_f64 v[120:121], v[124:125], v[120:121], 0
	s_waitcnt vmcnt(2)
	v_fma_f64 v[120:121], v[126:127], v[122:123], v[120:121]
	s_waitcnt vmcnt(0)
	v_add_f64 v[120:121], v[128:129], -v[120:121]
	buffer_store_dword v120, off, s[0:3], 0 offset:448
	buffer_store_dword v121, off, s[0:3], 0 offset:452
	s_and_saveexec_b64 s[4:5], vcc
	s_cbranch_execz .LBB58_251
; %bb.250:
	buffer_load_dword v120, off, s[0:3], 0 offset:440
	buffer_load_dword v121, off, s[0:3], 0 offset:444
	v_mov_b32_e32 v122, 0
	buffer_store_dword v122, off, s[0:3], 0 offset:440
	buffer_store_dword v122, off, s[0:3], 0 offset:444
	s_waitcnt vmcnt(2)
	ds_write_b64 v119, v[120:121]
.LBB58_251:
	s_or_b64 exec, exec, s[4:5]
	s_waitcnt lgkmcnt(0)
	; wave barrier
	buffer_load_dword v125, off, s[0:3], 0 offset:448
	buffer_load_dword v126, off, s[0:3], 0 offset:452
	;; [unrolled: 1-line block ×8, first 2 shown]
	v_mov_b32_e32 v120, 0
	ds_read_b128 v[121:124], v120 offset:928
	ds_read_b64 v[133:134], v120 offset:944
	v_cmp_lt_u32_e32 vcc, 54, v0
	s_waitcnt vmcnt(6) lgkmcnt(1)
	v_fma_f64 v[121:122], v[125:126], v[121:122], 0
	s_waitcnt vmcnt(4)
	v_fma_f64 v[121:122], v[127:128], v[123:124], v[121:122]
	s_waitcnt vmcnt(2) lgkmcnt(0)
	v_fma_f64 v[121:122], v[129:130], v[133:134], v[121:122]
	s_waitcnt vmcnt(0)
	v_add_f64 v[121:122], v[131:132], -v[121:122]
	buffer_store_dword v121, off, s[0:3], 0 offset:440
	buffer_store_dword v122, off, s[0:3], 0 offset:444
	s_and_saveexec_b64 s[4:5], vcc
	s_cbranch_execz .LBB58_253
; %bb.252:
	buffer_load_dword v121, off, s[0:3], 0 offset:432
	buffer_load_dword v122, off, s[0:3], 0 offset:436
	s_waitcnt vmcnt(0)
	ds_write_b64 v119, v[121:122]
	buffer_store_dword v120, off, s[0:3], 0 offset:432
	buffer_store_dword v120, off, s[0:3], 0 offset:436
.LBB58_253:
	s_or_b64 exec, exec, s[4:5]
	s_waitcnt lgkmcnt(0)
	; wave barrier
	buffer_load_dword v129, off, s[0:3], 0 offset:440
	buffer_load_dword v130, off, s[0:3], 0 offset:444
	;; [unrolled: 1-line block ×10, first 2 shown]
	ds_read2_b64 v[121:124], v120 offset0:115 offset1:116
	ds_read2_b64 v[125:128], v120 offset0:117 offset1:118
	v_cmp_lt_u32_e32 vcc, 53, v0
	s_waitcnt vmcnt(8) lgkmcnt(1)
	v_fma_f64 v[120:121], v[129:130], v[121:122], 0
	s_waitcnt vmcnt(6)
	v_fma_f64 v[120:121], v[131:132], v[123:124], v[120:121]
	s_waitcnt vmcnt(4) lgkmcnt(0)
	v_fma_f64 v[120:121], v[133:134], v[125:126], v[120:121]
	s_waitcnt vmcnt(2)
	v_fma_f64 v[120:121], v[135:136], v[127:128], v[120:121]
	s_waitcnt vmcnt(0)
	v_add_f64 v[120:121], v[137:138], -v[120:121]
	buffer_store_dword v120, off, s[0:3], 0 offset:432
	buffer_store_dword v121, off, s[0:3], 0 offset:436
	s_and_saveexec_b64 s[4:5], vcc
	s_cbranch_execz .LBB58_255
; %bb.254:
	buffer_load_dword v120, off, s[0:3], 0 offset:424
	buffer_load_dword v121, off, s[0:3], 0 offset:428
	v_mov_b32_e32 v122, 0
	buffer_store_dword v122, off, s[0:3], 0 offset:424
	buffer_store_dword v122, off, s[0:3], 0 offset:428
	s_waitcnt vmcnt(2)
	ds_write_b64 v119, v[120:121]
.LBB58_255:
	s_or_b64 exec, exec, s[4:5]
	s_waitcnt lgkmcnt(0)
	; wave barrier
	buffer_load_dword v129, off, s[0:3], 0 offset:432
	buffer_load_dword v130, off, s[0:3], 0 offset:436
	;; [unrolled: 1-line block ×12, first 2 shown]
	v_mov_b32_e32 v120, 0
	ds_read_b128 v[121:124], v120 offset:912
	ds_read_b128 v[125:128], v120 offset:928
	v_cmp_lt_u32_e32 vcc, 52, v0
	s_waitcnt vmcnt(10) lgkmcnt(1)
	v_fma_f64 v[121:122], v[129:130], v[121:122], 0
	s_waitcnt vmcnt(8)
	v_fma_f64 v[121:122], v[131:132], v[123:124], v[121:122]
	ds_read_b64 v[123:124], v120 offset:944
	s_waitcnt vmcnt(6) lgkmcnt(1)
	v_fma_f64 v[121:122], v[133:134], v[125:126], v[121:122]
	s_waitcnt vmcnt(4)
	v_fma_f64 v[121:122], v[135:136], v[127:128], v[121:122]
	s_waitcnt vmcnt(2) lgkmcnt(0)
	v_fma_f64 v[121:122], v[137:138], v[123:124], v[121:122]
	s_waitcnt vmcnt(0)
	v_add_f64 v[121:122], v[139:140], -v[121:122]
	buffer_store_dword v121, off, s[0:3], 0 offset:424
	buffer_store_dword v122, off, s[0:3], 0 offset:428
	s_and_saveexec_b64 s[4:5], vcc
	s_cbranch_execz .LBB58_257
; %bb.256:
	buffer_load_dword v121, off, s[0:3], 0 offset:416
	buffer_load_dword v122, off, s[0:3], 0 offset:420
	s_waitcnt vmcnt(0)
	ds_write_b64 v119, v[121:122]
	buffer_store_dword v120, off, s[0:3], 0 offset:416
	buffer_store_dword v120, off, s[0:3], 0 offset:420
.LBB58_257:
	s_or_b64 exec, exec, s[4:5]
	s_waitcnt lgkmcnt(0)
	; wave barrier
	buffer_load_dword v129, off, s[0:3], 0 offset:424
	buffer_load_dword v130, off, s[0:3], 0 offset:428
	;; [unrolled: 1-line block ×14, first 2 shown]
	ds_read2_b64 v[121:124], v120 offset0:113 offset1:114
	ds_read2_b64 v[125:128], v120 offset0:115 offset1:116
	v_cmp_lt_u32_e32 vcc, 51, v0
	s_waitcnt vmcnt(12) lgkmcnt(1)
	v_fma_f64 v[121:122], v[129:130], v[121:122], 0
	s_waitcnt vmcnt(10)
	v_fma_f64 v[121:122], v[131:132], v[123:124], v[121:122]
	s_waitcnt vmcnt(8) lgkmcnt(0)
	v_fma_f64 v[121:122], v[133:134], v[125:126], v[121:122]
	s_waitcnt vmcnt(6)
	v_fma_f64 v[124:125], v[135:136], v[127:128], v[121:122]
	ds_read2_b64 v[120:123], v120 offset0:117 offset1:118
	s_waitcnt vmcnt(4) lgkmcnt(0)
	v_fma_f64 v[120:121], v[137:138], v[120:121], v[124:125]
	s_waitcnt vmcnt(2)
	v_fma_f64 v[120:121], v[139:140], v[122:123], v[120:121]
	s_waitcnt vmcnt(0)
	v_add_f64 v[120:121], v[141:142], -v[120:121]
	buffer_store_dword v120, off, s[0:3], 0 offset:416
	buffer_store_dword v121, off, s[0:3], 0 offset:420
	s_and_saveexec_b64 s[4:5], vcc
	s_cbranch_execz .LBB58_259
; %bb.258:
	buffer_load_dword v120, off, s[0:3], 0 offset:408
	buffer_load_dword v121, off, s[0:3], 0 offset:412
	v_mov_b32_e32 v122, 0
	buffer_store_dword v122, off, s[0:3], 0 offset:408
	buffer_store_dword v122, off, s[0:3], 0 offset:412
	s_waitcnt vmcnt(2)
	ds_write_b64 v119, v[120:121]
.LBB58_259:
	s_or_b64 exec, exec, s[4:5]
	s_waitcnt lgkmcnt(0)
	; wave barrier
	buffer_load_dword v129, off, s[0:3], 0 offset:416
	buffer_load_dword v130, off, s[0:3], 0 offset:420
	buffer_load_dword v131, off, s[0:3], 0 offset:424
	buffer_load_dword v132, off, s[0:3], 0 offset:428
	buffer_load_dword v133, off, s[0:3], 0 offset:432
	buffer_load_dword v134, off, s[0:3], 0 offset:436
	buffer_load_dword v135, off, s[0:3], 0 offset:440
	buffer_load_dword v136, off, s[0:3], 0 offset:444
	buffer_load_dword v137, off, s[0:3], 0 offset:448
	buffer_load_dword v138, off, s[0:3], 0 offset:452
	buffer_load_dword v139, off, s[0:3], 0 offset:456
	buffer_load_dword v140, off, s[0:3], 0 offset:460
	buffer_load_dword v141, off, s[0:3], 0 offset:464
	buffer_load_dword v142, off, s[0:3], 0 offset:468
	buffer_load_dword v143, off, s[0:3], 0 offset:408
	buffer_load_dword v144, off, s[0:3], 0 offset:412
	v_mov_b32_e32 v120, 0
	ds_read_b128 v[121:124], v120 offset:896
	ds_read_b128 v[125:128], v120 offset:912
	v_cmp_lt_u32_e32 vcc, 50, v0
	s_waitcnt vmcnt(14) lgkmcnt(1)
	v_fma_f64 v[121:122], v[129:130], v[121:122], 0
	s_waitcnt vmcnt(12)
	v_fma_f64 v[121:122], v[131:132], v[123:124], v[121:122]
	s_waitcnt vmcnt(10) lgkmcnt(0)
	v_fma_f64 v[121:122], v[133:134], v[125:126], v[121:122]
	s_waitcnt vmcnt(8)
	v_fma_f64 v[125:126], v[135:136], v[127:128], v[121:122]
	ds_read_b128 v[121:124], v120 offset:928
	ds_read_b64 v[127:128], v120 offset:944
	s_waitcnt vmcnt(6) lgkmcnt(1)
	v_fma_f64 v[121:122], v[137:138], v[121:122], v[125:126]
	s_waitcnt vmcnt(4)
	v_fma_f64 v[121:122], v[139:140], v[123:124], v[121:122]
	s_waitcnt vmcnt(2) lgkmcnt(0)
	v_fma_f64 v[121:122], v[141:142], v[127:128], v[121:122]
	s_waitcnt vmcnt(0)
	v_add_f64 v[121:122], v[143:144], -v[121:122]
	buffer_store_dword v121, off, s[0:3], 0 offset:408
	buffer_store_dword v122, off, s[0:3], 0 offset:412
	s_and_saveexec_b64 s[4:5], vcc
	s_cbranch_execz .LBB58_261
; %bb.260:
	buffer_load_dword v121, off, s[0:3], 0 offset:400
	buffer_load_dword v122, off, s[0:3], 0 offset:404
	s_waitcnt vmcnt(0)
	ds_write_b64 v119, v[121:122]
	buffer_store_dword v120, off, s[0:3], 0 offset:400
	buffer_store_dword v120, off, s[0:3], 0 offset:404
.LBB58_261:
	s_or_b64 exec, exec, s[4:5]
	s_waitcnt lgkmcnt(0)
	; wave barrier
	buffer_load_dword v129, off, s[0:3], 0 offset:408
	buffer_load_dword v130, off, s[0:3], 0 offset:412
	;; [unrolled: 1-line block ×18, first 2 shown]
	ds_read2_b64 v[121:124], v120 offset0:111 offset1:112
	ds_read2_b64 v[125:128], v120 offset0:113 offset1:114
	v_cmp_lt_u32_e32 vcc, 49, v0
	s_waitcnt vmcnt(16) lgkmcnt(1)
	v_fma_f64 v[121:122], v[129:130], v[121:122], 0
	s_waitcnt vmcnt(14)
	v_fma_f64 v[121:122], v[131:132], v[123:124], v[121:122]
	s_waitcnt vmcnt(12) lgkmcnt(0)
	v_fma_f64 v[121:122], v[133:134], v[125:126], v[121:122]
	s_waitcnt vmcnt(10)
	v_fma_f64 v[129:130], v[135:136], v[127:128], v[121:122]
	ds_read2_b64 v[121:124], v120 offset0:115 offset1:116
	ds_read2_b64 v[125:128], v120 offset0:117 offset1:118
	s_waitcnt vmcnt(8) lgkmcnt(1)
	v_fma_f64 v[120:121], v[137:138], v[121:122], v[129:130]
	s_waitcnt vmcnt(6)
	v_fma_f64 v[120:121], v[139:140], v[123:124], v[120:121]
	s_waitcnt vmcnt(4) lgkmcnt(0)
	v_fma_f64 v[120:121], v[141:142], v[125:126], v[120:121]
	s_waitcnt vmcnt(2)
	v_fma_f64 v[120:121], v[143:144], v[127:128], v[120:121]
	s_waitcnt vmcnt(0)
	v_add_f64 v[120:121], v[145:146], -v[120:121]
	buffer_store_dword v120, off, s[0:3], 0 offset:400
	buffer_store_dword v121, off, s[0:3], 0 offset:404
	s_and_saveexec_b64 s[4:5], vcc
	s_cbranch_execz .LBB58_263
; %bb.262:
	buffer_load_dword v120, off, s[0:3], 0 offset:392
	buffer_load_dword v121, off, s[0:3], 0 offset:396
	v_mov_b32_e32 v122, 0
	buffer_store_dword v122, off, s[0:3], 0 offset:392
	buffer_store_dword v122, off, s[0:3], 0 offset:396
	s_waitcnt vmcnt(2)
	ds_write_b64 v119, v[120:121]
.LBB58_263:
	s_or_b64 exec, exec, s[4:5]
	s_waitcnt lgkmcnt(0)
	; wave barrier
	buffer_load_dword v129, off, s[0:3], 0 offset:400
	buffer_load_dword v130, off, s[0:3], 0 offset:404
	;; [unrolled: 1-line block ×20, first 2 shown]
	v_mov_b32_e32 v120, 0
	ds_read_b128 v[121:124], v120 offset:880
	ds_read_b128 v[125:128], v120 offset:896
	v_cmp_lt_u32_e32 vcc, 48, v0
	s_waitcnt vmcnt(18) lgkmcnt(1)
	v_fma_f64 v[121:122], v[129:130], v[121:122], 0
	s_waitcnt vmcnt(16)
	v_fma_f64 v[121:122], v[131:132], v[123:124], v[121:122]
	s_waitcnt vmcnt(14) lgkmcnt(0)
	v_fma_f64 v[121:122], v[133:134], v[125:126], v[121:122]
	s_waitcnt vmcnt(12)
	v_fma_f64 v[129:130], v[135:136], v[127:128], v[121:122]
	ds_read_b128 v[121:124], v120 offset:912
	ds_read_b128 v[125:128], v120 offset:928
	s_waitcnt vmcnt(10) lgkmcnt(1)
	v_fma_f64 v[121:122], v[137:138], v[121:122], v[129:130]
	s_waitcnt vmcnt(8)
	v_fma_f64 v[121:122], v[139:140], v[123:124], v[121:122]
	ds_read_b64 v[123:124], v120 offset:944
	s_waitcnt vmcnt(6) lgkmcnt(1)
	v_fma_f64 v[121:122], v[141:142], v[125:126], v[121:122]
	s_waitcnt vmcnt(3)
	v_fma_f64 v[121:122], v[143:144], v[127:128], v[121:122]
	s_waitcnt vmcnt(2) lgkmcnt(0)
	v_fma_f64 v[121:122], v[145:146], v[123:124], v[121:122]
	s_waitcnt vmcnt(0)
	v_add_f64 v[121:122], v[147:148], -v[121:122]
	buffer_store_dword v121, off, s[0:3], 0 offset:392
	buffer_store_dword v122, off, s[0:3], 0 offset:396
	s_and_saveexec_b64 s[4:5], vcc
	s_cbranch_execz .LBB58_265
; %bb.264:
	buffer_load_dword v121, off, s[0:3], 0 offset:384
	buffer_load_dword v122, off, s[0:3], 0 offset:388
	s_waitcnt vmcnt(0)
	ds_write_b64 v119, v[121:122]
	buffer_store_dword v120, off, s[0:3], 0 offset:384
	buffer_store_dword v120, off, s[0:3], 0 offset:388
.LBB58_265:
	s_or_b64 exec, exec, s[4:5]
	s_waitcnt lgkmcnt(0)
	; wave barrier
	buffer_load_dword v129, off, s[0:3], 0 offset:392
	buffer_load_dword v130, off, s[0:3], 0 offset:396
	buffer_load_dword v131, off, s[0:3], 0 offset:400
	buffer_load_dword v132, off, s[0:3], 0 offset:404
	buffer_load_dword v133, off, s[0:3], 0 offset:408
	buffer_load_dword v134, off, s[0:3], 0 offset:412
	buffer_load_dword v135, off, s[0:3], 0 offset:416
	buffer_load_dword v136, off, s[0:3], 0 offset:420
	buffer_load_dword v137, off, s[0:3], 0 offset:424
	buffer_load_dword v138, off, s[0:3], 0 offset:428
	buffer_load_dword v139, off, s[0:3], 0 offset:432
	buffer_load_dword v140, off, s[0:3], 0 offset:436
	buffer_load_dword v141, off, s[0:3], 0 offset:440
	buffer_load_dword v142, off, s[0:3], 0 offset:444
	buffer_load_dword v144, off, s[0:3], 0 offset:452
	buffer_load_dword v145, off, s[0:3], 0 offset:464
	buffer_load_dword v147, off, s[0:3], 0 offset:456
	buffer_load_dword v143, off, s[0:3], 0 offset:448
	buffer_load_dword v148, off, s[0:3], 0 offset:460
	buffer_load_dword v146, off, s[0:3], 0 offset:468
	ds_read2_b64 v[121:124], v120 offset0:109 offset1:110
	buffer_load_dword v149, off, s[0:3], 0 offset:384
	buffer_load_dword v150, off, s[0:3], 0 offset:388
	ds_read2_b64 v[125:128], v120 offset0:111 offset1:112
	v_cmp_lt_u32_e32 vcc, 47, v0
	s_waitcnt vmcnt(20) lgkmcnt(1)
	v_fma_f64 v[121:122], v[129:130], v[121:122], 0
	s_waitcnt vmcnt(18)
	v_fma_f64 v[121:122], v[131:132], v[123:124], v[121:122]
	s_waitcnt vmcnt(16) lgkmcnt(0)
	v_fma_f64 v[121:122], v[133:134], v[125:126], v[121:122]
	s_waitcnt vmcnt(14)
	v_fma_f64 v[129:130], v[135:136], v[127:128], v[121:122]
	ds_read2_b64 v[121:124], v120 offset0:113 offset1:114
	ds_read2_b64 v[125:128], v120 offset0:115 offset1:116
	s_waitcnt vmcnt(12) lgkmcnt(1)
	v_fma_f64 v[121:122], v[137:138], v[121:122], v[129:130]
	s_waitcnt vmcnt(10)
	v_fma_f64 v[121:122], v[139:140], v[123:124], v[121:122]
	s_waitcnt vmcnt(8) lgkmcnt(0)
	v_fma_f64 v[121:122], v[141:142], v[125:126], v[121:122]
	s_waitcnt vmcnt(4)
	v_fma_f64 v[124:125], v[143:144], v[127:128], v[121:122]
	ds_read2_b64 v[120:123], v120 offset0:117 offset1:118
	s_waitcnt vmcnt(3) lgkmcnt(0)
	v_fma_f64 v[120:121], v[147:148], v[120:121], v[124:125]
	s_waitcnt vmcnt(2)
	v_fma_f64 v[120:121], v[145:146], v[122:123], v[120:121]
	s_waitcnt vmcnt(0)
	v_add_f64 v[120:121], v[149:150], -v[120:121]
	buffer_store_dword v120, off, s[0:3], 0 offset:384
	buffer_store_dword v121, off, s[0:3], 0 offset:388
	s_and_saveexec_b64 s[4:5], vcc
	s_cbranch_execz .LBB58_267
; %bb.266:
	buffer_load_dword v120, off, s[0:3], 0 offset:376
	buffer_load_dword v121, off, s[0:3], 0 offset:380
	v_mov_b32_e32 v122, 0
	buffer_store_dword v122, off, s[0:3], 0 offset:376
	buffer_store_dword v122, off, s[0:3], 0 offset:380
	s_waitcnt vmcnt(2)
	ds_write_b64 v119, v[120:121]
.LBB58_267:
	s_or_b64 exec, exec, s[4:5]
	s_waitcnt lgkmcnt(0)
	; wave barrier
	buffer_load_dword v129, off, s[0:3], 0 offset:384
	buffer_load_dword v130, off, s[0:3], 0 offset:388
	;; [unrolled: 1-line block ×21, first 2 shown]
	v_mov_b32_e32 v120, 0
	ds_read_b128 v[121:124], v120 offset:864
	ds_read_b128 v[125:128], v120 offset:880
	buffer_load_dword v146, off, s[0:3], 0 offset:468
	v_cmp_lt_u32_e32 vcc, 46, v0
	s_waitcnt vmcnt(20) lgkmcnt(1)
	v_fma_f64 v[121:122], v[129:130], v[121:122], 0
	buffer_load_dword v129, off, s[0:3], 0 offset:376
	buffer_load_dword v130, off, s[0:3], 0 offset:380
	s_waitcnt vmcnt(20)
	v_fma_f64 v[121:122], v[131:132], v[123:124], v[121:122]
	s_waitcnt vmcnt(18) lgkmcnt(0)
	v_fma_f64 v[121:122], v[133:134], v[125:126], v[121:122]
	s_waitcnt vmcnt(16)
	v_fma_f64 v[131:132], v[135:136], v[127:128], v[121:122]
	ds_read_b128 v[121:124], v120 offset:896
	ds_read_b128 v[125:128], v120 offset:912
	s_waitcnt vmcnt(14) lgkmcnt(1)
	v_fma_f64 v[121:122], v[137:138], v[121:122], v[131:132]
	s_waitcnt vmcnt(12)
	v_fma_f64 v[121:122], v[139:140], v[123:124], v[121:122]
	s_waitcnt vmcnt(10) lgkmcnt(0)
	v_fma_f64 v[121:122], v[141:142], v[125:126], v[121:122]
	s_waitcnt vmcnt(5)
	v_fma_f64 v[125:126], v[143:144], v[127:128], v[121:122]
	ds_read_b128 v[121:124], v120 offset:928
	ds_read_b64 v[127:128], v120 offset:944
	s_waitcnt vmcnt(4) lgkmcnt(1)
	v_fma_f64 v[121:122], v[149:150], v[121:122], v[125:126]
	s_waitcnt vmcnt(3)
	v_fma_f64 v[121:122], v[147:148], v[123:124], v[121:122]
	s_waitcnt vmcnt(2) lgkmcnt(0)
	v_fma_f64 v[121:122], v[145:146], v[127:128], v[121:122]
	s_waitcnt vmcnt(0)
	v_add_f64 v[121:122], v[129:130], -v[121:122]
	buffer_store_dword v122, off, s[0:3], 0 offset:380
	buffer_store_dword v121, off, s[0:3], 0 offset:376
	s_and_saveexec_b64 s[4:5], vcc
	s_cbranch_execz .LBB58_269
; %bb.268:
	buffer_load_dword v121, off, s[0:3], 0 offset:368
	buffer_load_dword v122, off, s[0:3], 0 offset:372
	s_waitcnt vmcnt(0)
	ds_write_b64 v119, v[121:122]
	buffer_store_dword v120, off, s[0:3], 0 offset:368
	buffer_store_dword v120, off, s[0:3], 0 offset:372
.LBB58_269:
	s_or_b64 exec, exec, s[4:5]
	s_waitcnt lgkmcnt(0)
	; wave barrier
	buffer_load_dword v129, off, s[0:3], 0 offset:376
	buffer_load_dword v130, off, s[0:3], 0 offset:380
	;; [unrolled: 1-line block ×21, first 2 shown]
	ds_read2_b64 v[121:124], v120 offset0:107 offset1:108
	ds_read2_b64 v[125:128], v120 offset0:109 offset1:110
	buffer_load_dword v146, off, s[0:3], 0 offset:460
	v_cmp_lt_u32_e32 vcc, 45, v0
	s_waitcnt vmcnt(20) lgkmcnt(1)
	v_fma_f64 v[121:122], v[129:130], v[121:122], 0
	buffer_load_dword v130, off, s[0:3], 0 offset:468
	buffer_load_dword v129, off, s[0:3], 0 offset:464
	s_waitcnt vmcnt(20)
	v_fma_f64 v[121:122], v[131:132], v[123:124], v[121:122]
	buffer_load_dword v131, off, s[0:3], 0 offset:368
	buffer_load_dword v132, off, s[0:3], 0 offset:372
	s_waitcnt vmcnt(20) lgkmcnt(0)
	v_fma_f64 v[121:122], v[133:134], v[125:126], v[121:122]
	s_waitcnt vmcnt(18)
	v_fma_f64 v[133:134], v[135:136], v[127:128], v[121:122]
	ds_read2_b64 v[121:124], v120 offset0:111 offset1:112
	ds_read2_b64 v[125:128], v120 offset0:113 offset1:114
	s_waitcnt vmcnt(16) lgkmcnt(1)
	v_fma_f64 v[121:122], v[137:138], v[121:122], v[133:134]
	s_waitcnt vmcnt(14)
	v_fma_f64 v[121:122], v[139:140], v[123:124], v[121:122]
	s_waitcnt vmcnt(12) lgkmcnt(0)
	v_fma_f64 v[121:122], v[141:142], v[125:126], v[121:122]
	s_waitcnt vmcnt(7)
	v_fma_f64 v[133:134], v[143:144], v[127:128], v[121:122]
	ds_read2_b64 v[121:124], v120 offset0:115 offset1:116
	ds_read2_b64 v[125:128], v120 offset0:117 offset1:118
	s_waitcnt vmcnt(6) lgkmcnt(1)
	v_fma_f64 v[120:121], v[149:150], v[121:122], v[133:134]
	s_waitcnt vmcnt(5)
	v_fma_f64 v[120:121], v[147:148], v[123:124], v[120:121]
	s_waitcnt vmcnt(4) lgkmcnt(0)
	v_fma_f64 v[120:121], v[145:146], v[125:126], v[120:121]
	s_waitcnt vmcnt(2)
	v_fma_f64 v[120:121], v[129:130], v[127:128], v[120:121]
	s_waitcnt vmcnt(0)
	v_add_f64 v[120:121], v[131:132], -v[120:121]
	buffer_store_dword v121, off, s[0:3], 0 offset:372
	buffer_store_dword v120, off, s[0:3], 0 offset:368
	s_and_saveexec_b64 s[4:5], vcc
	s_cbranch_execz .LBB58_271
; %bb.270:
	buffer_load_dword v120, off, s[0:3], 0 offset:360
	buffer_load_dword v121, off, s[0:3], 0 offset:364
	v_mov_b32_e32 v122, 0
	buffer_store_dword v122, off, s[0:3], 0 offset:360
	buffer_store_dword v122, off, s[0:3], 0 offset:364
	s_waitcnt vmcnt(2)
	ds_write_b64 v119, v[120:121]
.LBB58_271:
	s_or_b64 exec, exec, s[4:5]
	s_waitcnt lgkmcnt(0)
	; wave barrier
	buffer_load_dword v129, off, s[0:3], 0 offset:368
	buffer_load_dword v130, off, s[0:3], 0 offset:372
	buffer_load_dword v131, off, s[0:3], 0 offset:376
	buffer_load_dword v132, off, s[0:3], 0 offset:380
	buffer_load_dword v133, off, s[0:3], 0 offset:384
	buffer_load_dword v134, off, s[0:3], 0 offset:388
	buffer_load_dword v135, off, s[0:3], 0 offset:392
	buffer_load_dword v136, off, s[0:3], 0 offset:396
	buffer_load_dword v137, off, s[0:3], 0 offset:400
	buffer_load_dword v138, off, s[0:3], 0 offset:404
	buffer_load_dword v139, off, s[0:3], 0 offset:408
	buffer_load_dword v140, off, s[0:3], 0 offset:412
	buffer_load_dword v141, off, s[0:3], 0 offset:416
	buffer_load_dword v142, off, s[0:3], 0 offset:420
	buffer_load_dword v144, off, s[0:3], 0 offset:428
	buffer_load_dword v145, off, s[0:3], 0 offset:448
	buffer_load_dword v147, off, s[0:3], 0 offset:440
	buffer_load_dword v149, off, s[0:3], 0 offset:432
	buffer_load_dword v143, off, s[0:3], 0 offset:424
	buffer_load_dword v150, off, s[0:3], 0 offset:436
	buffer_load_dword v148, off, s[0:3], 0 offset:444
	v_mov_b32_e32 v120, 0
	ds_read_b128 v[121:124], v120 offset:848
	ds_read_b128 v[125:128], v120 offset:864
	buffer_load_dword v146, off, s[0:3], 0 offset:452
	v_cmp_lt_u32_e32 vcc, 44, v0
	s_waitcnt vmcnt(20) lgkmcnt(1)
	v_fma_f64 v[121:122], v[129:130], v[121:122], 0
	s_waitcnt vmcnt(18)
	v_fma_f64 v[121:122], v[131:132], v[123:124], v[121:122]
	buffer_load_dword v130, off, s[0:3], 0 offset:460
	buffer_load_dword v131, off, s[0:3], 0 offset:464
	;; [unrolled: 1-line block ×4, first 2 shown]
	s_waitcnt vmcnt(20) lgkmcnt(0)
	v_fma_f64 v[121:122], v[133:134], v[125:126], v[121:122]
	buffer_load_dword v133, off, s[0:3], 0 offset:360
	buffer_load_dword v134, off, s[0:3], 0 offset:364
	s_waitcnt vmcnt(20)
	v_fma_f64 v[135:136], v[135:136], v[127:128], v[121:122]
	ds_read_b128 v[121:124], v120 offset:880
	ds_read_b128 v[125:128], v120 offset:896
	s_waitcnt vmcnt(18) lgkmcnt(1)
	v_fma_f64 v[121:122], v[137:138], v[121:122], v[135:136]
	s_waitcnt vmcnt(16)
	v_fma_f64 v[121:122], v[139:140], v[123:124], v[121:122]
	s_waitcnt vmcnt(14) lgkmcnt(0)
	v_fma_f64 v[121:122], v[141:142], v[125:126], v[121:122]
	s_waitcnt vmcnt(9)
	v_fma_f64 v[135:136], v[143:144], v[127:128], v[121:122]
	ds_read_b128 v[121:124], v120 offset:912
	ds_read_b128 v[125:128], v120 offset:928
	s_waitcnt vmcnt(8) lgkmcnt(1)
	v_fma_f64 v[121:122], v[149:150], v[121:122], v[135:136]
	s_waitcnt vmcnt(7)
	v_fma_f64 v[121:122], v[147:148], v[123:124], v[121:122]
	ds_read_b64 v[123:124], v120 offset:944
	s_waitcnt vmcnt(6) lgkmcnt(1)
	v_fma_f64 v[121:122], v[145:146], v[125:126], v[121:122]
	s_waitcnt vmcnt(3)
	v_fma_f64 v[121:122], v[129:130], v[127:128], v[121:122]
	s_waitcnt vmcnt(2) lgkmcnt(0)
	v_fma_f64 v[121:122], v[131:132], v[123:124], v[121:122]
	s_waitcnt vmcnt(0)
	v_add_f64 v[121:122], v[133:134], -v[121:122]
	buffer_store_dword v122, off, s[0:3], 0 offset:364
	buffer_store_dword v121, off, s[0:3], 0 offset:360
	s_and_saveexec_b64 s[4:5], vcc
	s_cbranch_execz .LBB58_273
; %bb.272:
	buffer_load_dword v121, off, s[0:3], 0 offset:352
	buffer_load_dword v122, off, s[0:3], 0 offset:356
	s_waitcnt vmcnt(0)
	ds_write_b64 v119, v[121:122]
	buffer_store_dword v120, off, s[0:3], 0 offset:352
	buffer_store_dword v120, off, s[0:3], 0 offset:356
.LBB58_273:
	s_or_b64 exec, exec, s[4:5]
	s_waitcnt lgkmcnt(0)
	; wave barrier
	buffer_load_dword v129, off, s[0:3], 0 offset:360
	buffer_load_dword v130, off, s[0:3], 0 offset:364
	;; [unrolled: 1-line block ×22, first 2 shown]
	ds_read2_b64 v[121:124], v120 offset0:105 offset1:106
	ds_read2_b64 v[125:128], v120 offset0:107 offset1:108
	v_cmp_lt_u32_e32 vcc, 43, v0
	s_waitcnt vmcnt(20) lgkmcnt(1)
	v_fma_f64 v[121:122], v[129:130], v[121:122], 0
	s_waitcnt vmcnt(18)
	v_fma_f64 v[121:122], v[131:132], v[123:124], v[121:122]
	buffer_load_dword v130, off, s[0:3], 0 offset:452
	buffer_load_dword v131, off, s[0:3], 0 offset:464
	;; [unrolled: 1-line block ×6, first 2 shown]
	s_waitcnt vmcnt(22) lgkmcnt(0)
	v_fma_f64 v[121:122], v[133:134], v[125:126], v[121:122]
	s_waitcnt vmcnt(20)
	v_fma_f64 v[133:134], v[135:136], v[127:128], v[121:122]
	ds_read2_b64 v[121:124], v120 offset0:109 offset1:110
	buffer_load_dword v135, off, s[0:3], 0 offset:352
	buffer_load_dword v136, off, s[0:3], 0 offset:356
	ds_read2_b64 v[125:128], v120 offset0:111 offset1:112
	s_waitcnt vmcnt(20) lgkmcnt(1)
	v_fma_f64 v[121:122], v[137:138], v[121:122], v[133:134]
	s_waitcnt vmcnt(18)
	v_fma_f64 v[121:122], v[139:140], v[123:124], v[121:122]
	s_waitcnt vmcnt(16) lgkmcnt(0)
	v_fma_f64 v[121:122], v[141:142], v[125:126], v[121:122]
	s_waitcnt vmcnt(11)
	v_fma_f64 v[133:134], v[143:144], v[127:128], v[121:122]
	ds_read2_b64 v[121:124], v120 offset0:113 offset1:114
	ds_read2_b64 v[125:128], v120 offset0:115 offset1:116
	s_waitcnt vmcnt(10) lgkmcnt(1)
	v_fma_f64 v[121:122], v[149:150], v[121:122], v[133:134]
	s_waitcnt vmcnt(9)
	v_fma_f64 v[121:122], v[147:148], v[123:124], v[121:122]
	s_waitcnt vmcnt(8) lgkmcnt(0)
	v_fma_f64 v[121:122], v[145:146], v[125:126], v[121:122]
	s_waitcnt vmcnt(4)
	v_fma_f64 v[124:125], v[129:130], v[127:128], v[121:122]
	ds_read2_b64 v[120:123], v120 offset0:117 offset1:118
	s_waitcnt vmcnt(3) lgkmcnt(0)
	v_fma_f64 v[120:121], v[151:152], v[120:121], v[124:125]
	s_waitcnt vmcnt(2)
	v_fma_f64 v[120:121], v[131:132], v[122:123], v[120:121]
	s_waitcnt vmcnt(0)
	v_add_f64 v[120:121], v[135:136], -v[120:121]
	buffer_store_dword v121, off, s[0:3], 0 offset:356
	buffer_store_dword v120, off, s[0:3], 0 offset:352
	s_and_saveexec_b64 s[4:5], vcc
	s_cbranch_execz .LBB58_275
; %bb.274:
	buffer_load_dword v120, off, s[0:3], 0 offset:344
	buffer_load_dword v121, off, s[0:3], 0 offset:348
	v_mov_b32_e32 v122, 0
	buffer_store_dword v122, off, s[0:3], 0 offset:344
	buffer_store_dword v122, off, s[0:3], 0 offset:348
	s_waitcnt vmcnt(2)
	ds_write_b64 v119, v[120:121]
.LBB58_275:
	s_or_b64 exec, exec, s[4:5]
	s_waitcnt lgkmcnt(0)
	; wave barrier
	buffer_load_dword v129, off, s[0:3], 0 offset:352
	buffer_load_dword v130, off, s[0:3], 0 offset:356
	;; [unrolled: 1-line block ×22, first 2 shown]
	v_mov_b32_e32 v120, 0
	ds_read_b128 v[121:124], v120 offset:832
	ds_read_b128 v[125:128], v120 offset:848
	v_cmp_lt_u32_e32 vcc, 42, v0
	s_waitcnt vmcnt(20) lgkmcnt(1)
	v_fma_f64 v[121:122], v[129:130], v[121:122], 0
	s_waitcnt vmcnt(18)
	v_fma_f64 v[121:122], v[131:132], v[123:124], v[121:122]
	buffer_load_dword v130, off, s[0:3], 0 offset:444
	buffer_load_dword v131, off, s[0:3], 0 offset:464
	;; [unrolled: 1-line block ×8, first 2 shown]
	s_waitcnt vmcnt(24) lgkmcnt(0)
	v_fma_f64 v[121:122], v[133:134], v[125:126], v[121:122]
	s_waitcnt vmcnt(22)
	v_fma_f64 v[133:134], v[135:136], v[127:128], v[121:122]
	ds_read_b128 v[121:124], v120 offset:864
	ds_read_b128 v[125:128], v120 offset:880
	s_waitcnt vmcnt(20) lgkmcnt(1)
	v_fma_f64 v[121:122], v[137:138], v[121:122], v[133:134]
	buffer_load_dword v133, off, s[0:3], 0 offset:344
	buffer_load_dword v134, off, s[0:3], 0 offset:348
	s_waitcnt vmcnt(20)
	v_fma_f64 v[121:122], v[139:140], v[123:124], v[121:122]
	s_waitcnt vmcnt(18) lgkmcnt(0)
	v_fma_f64 v[121:122], v[141:142], v[125:126], v[121:122]
	s_waitcnt vmcnt(13)
	v_fma_f64 v[135:136], v[143:144], v[127:128], v[121:122]
	ds_read_b128 v[121:124], v120 offset:896
	ds_read_b128 v[125:128], v120 offset:912
	s_waitcnt vmcnt(12) lgkmcnt(1)
	v_fma_f64 v[121:122], v[149:150], v[121:122], v[135:136]
	s_waitcnt vmcnt(11)
	v_fma_f64 v[121:122], v[147:148], v[123:124], v[121:122]
	s_waitcnt vmcnt(10) lgkmcnt(0)
	v_fma_f64 v[121:122], v[145:146], v[125:126], v[121:122]
	s_waitcnt vmcnt(5)
	v_fma_f64 v[125:126], v[129:130], v[127:128], v[121:122]
	ds_read_b128 v[121:124], v120 offset:928
	ds_read_b64 v[127:128], v120 offset:944
	s_waitcnt vmcnt(4) lgkmcnt(1)
	v_fma_f64 v[121:122], v[153:154], v[121:122], v[125:126]
	s_waitcnt vmcnt(3)
	v_fma_f64 v[121:122], v[151:152], v[123:124], v[121:122]
	s_waitcnt vmcnt(2) lgkmcnt(0)
	v_fma_f64 v[121:122], v[131:132], v[127:128], v[121:122]
	s_waitcnt vmcnt(0)
	v_add_f64 v[121:122], v[133:134], -v[121:122]
	buffer_store_dword v122, off, s[0:3], 0 offset:348
	buffer_store_dword v121, off, s[0:3], 0 offset:344
	s_and_saveexec_b64 s[4:5], vcc
	s_cbranch_execz .LBB58_277
; %bb.276:
	buffer_load_dword v121, off, s[0:3], 0 offset:336
	buffer_load_dword v122, off, s[0:3], 0 offset:340
	s_waitcnt vmcnt(0)
	ds_write_b64 v119, v[121:122]
	buffer_store_dword v120, off, s[0:3], 0 offset:336
	buffer_store_dword v120, off, s[0:3], 0 offset:340
.LBB58_277:
	s_or_b64 exec, exec, s[4:5]
	s_waitcnt lgkmcnt(0)
	; wave barrier
	buffer_load_dword v129, off, s[0:3], 0 offset:344
	buffer_load_dword v130, off, s[0:3], 0 offset:348
	;; [unrolled: 1-line block ×22, first 2 shown]
	ds_read2_b64 v[121:124], v120 offset0:103 offset1:104
	ds_read2_b64 v[125:128], v120 offset0:105 offset1:106
	v_cmp_lt_u32_e32 vcc, 41, v0
	s_waitcnt vmcnt(20) lgkmcnt(1)
	v_fma_f64 v[121:122], v[129:130], v[121:122], 0
	s_waitcnt vmcnt(18)
	v_fma_f64 v[121:122], v[131:132], v[123:124], v[121:122]
	buffer_load_dword v130, off, s[0:3], 0 offset:436
	buffer_load_dword v131, off, s[0:3], 0 offset:456
	;; [unrolled: 1-line block ×8, first 2 shown]
	s_waitcnt vmcnt(24) lgkmcnt(0)
	v_fma_f64 v[121:122], v[133:134], v[125:126], v[121:122]
	s_waitcnt vmcnt(22)
	v_fma_f64 v[133:134], v[135:136], v[127:128], v[121:122]
	ds_read2_b64 v[121:124], v120 offset0:107 offset1:108
	ds_read2_b64 v[125:128], v120 offset0:109 offset1:110
	s_waitcnt vmcnt(20) lgkmcnt(1)
	v_fma_f64 v[121:122], v[137:138], v[121:122], v[133:134]
	buffer_load_dword v134, off, s[0:3], 0 offset:468
	buffer_load_dword v133, off, s[0:3], 0 offset:464
	;; [unrolled: 1-line block ×4, first 2 shown]
	s_waitcnt vmcnt(22)
	v_fma_f64 v[121:122], v[139:140], v[123:124], v[121:122]
	s_waitcnt vmcnt(20) lgkmcnt(0)
	v_fma_f64 v[121:122], v[141:142], v[125:126], v[121:122]
	s_waitcnt vmcnt(15)
	v_fma_f64 v[137:138], v[143:144], v[127:128], v[121:122]
	ds_read2_b64 v[121:124], v120 offset0:111 offset1:112
	ds_read2_b64 v[125:128], v120 offset0:113 offset1:114
	s_waitcnt vmcnt(14) lgkmcnt(1)
	v_fma_f64 v[121:122], v[149:150], v[121:122], v[137:138]
	s_waitcnt vmcnt(13)
	v_fma_f64 v[121:122], v[147:148], v[123:124], v[121:122]
	s_waitcnt vmcnt(12) lgkmcnt(0)
	v_fma_f64 v[121:122], v[145:146], v[125:126], v[121:122]
	s_waitcnt vmcnt(7)
	v_fma_f64 v[129:130], v[129:130], v[127:128], v[121:122]
	ds_read2_b64 v[121:124], v120 offset0:115 offset1:116
	ds_read2_b64 v[125:128], v120 offset0:117 offset1:118
	s_waitcnt vmcnt(6) lgkmcnt(1)
	v_fma_f64 v[120:121], v[153:154], v[121:122], v[129:130]
	s_waitcnt vmcnt(5)
	v_fma_f64 v[120:121], v[151:152], v[123:124], v[120:121]
	s_waitcnt vmcnt(4) lgkmcnt(0)
	v_fma_f64 v[120:121], v[131:132], v[125:126], v[120:121]
	s_waitcnt vmcnt(2)
	v_fma_f64 v[120:121], v[133:134], v[127:128], v[120:121]
	s_waitcnt vmcnt(0)
	v_add_f64 v[120:121], v[135:136], -v[120:121]
	buffer_store_dword v121, off, s[0:3], 0 offset:340
	buffer_store_dword v120, off, s[0:3], 0 offset:336
	s_and_saveexec_b64 s[4:5], vcc
	s_cbranch_execz .LBB58_279
; %bb.278:
	buffer_load_dword v120, off, s[0:3], 0 offset:328
	buffer_load_dword v121, off, s[0:3], 0 offset:332
	v_mov_b32_e32 v122, 0
	buffer_store_dword v122, off, s[0:3], 0 offset:328
	buffer_store_dword v122, off, s[0:3], 0 offset:332
	s_waitcnt vmcnt(2)
	ds_write_b64 v119, v[120:121]
.LBB58_279:
	s_or_b64 exec, exec, s[4:5]
	s_waitcnt lgkmcnt(0)
	; wave barrier
	buffer_load_dword v129, off, s[0:3], 0 offset:336
	buffer_load_dword v130, off, s[0:3], 0 offset:340
	;; [unrolled: 1-line block ×22, first 2 shown]
	v_mov_b32_e32 v120, 0
	ds_read_b128 v[121:124], v120 offset:816
	ds_read_b128 v[125:128], v120 offset:832
	v_cmp_lt_u32_e32 vcc, 40, v0
	s_waitcnt vmcnt(20) lgkmcnt(1)
	v_fma_f64 v[121:122], v[129:130], v[121:122], 0
	s_waitcnt vmcnt(18)
	v_fma_f64 v[121:122], v[131:132], v[123:124], v[121:122]
	buffer_load_dword v130, off, s[0:3], 0 offset:428
	buffer_load_dword v131, off, s[0:3], 0 offset:448
	;; [unrolled: 1-line block ×7, first 2 shown]
	s_waitcnt vmcnt(23) lgkmcnt(0)
	v_fma_f64 v[121:122], v[133:134], v[125:126], v[121:122]
	s_waitcnt vmcnt(21)
	v_fma_f64 v[132:133], v[135:136], v[127:128], v[121:122]
	ds_read_b128 v[121:124], v120 offset:848
	ds_read_b128 v[125:128], v120 offset:864
	s_waitcnt vmcnt(19) lgkmcnt(1)
	v_fma_f64 v[121:122], v[137:138], v[121:122], v[132:133]
	buffer_load_dword v132, off, s[0:3], 0 offset:452
	buffer_load_dword v134, off, s[0:3], 0 offset:460
	;; [unrolled: 1-line block ×7, first 2 shown]
	s_waitcnt vmcnt(24)
	v_fma_f64 v[121:122], v[139:140], v[123:124], v[121:122]
	s_waitcnt vmcnt(22) lgkmcnt(0)
	v_fma_f64 v[121:122], v[141:142], v[125:126], v[121:122]
	s_waitcnt vmcnt(17)
	v_fma_f64 v[139:140], v[143:144], v[127:128], v[121:122]
	ds_read_b128 v[121:124], v120 offset:880
	ds_read_b128 v[125:128], v120 offset:896
	s_waitcnt vmcnt(16) lgkmcnt(1)
	v_fma_f64 v[121:122], v[149:150], v[121:122], v[139:140]
	s_waitcnt vmcnt(15)
	v_fma_f64 v[121:122], v[147:148], v[123:124], v[121:122]
	s_waitcnt vmcnt(14) lgkmcnt(0)
	v_fma_f64 v[121:122], v[145:146], v[125:126], v[121:122]
	s_waitcnt vmcnt(9)
	v_fma_f64 v[129:130], v[129:130], v[127:128], v[121:122]
	ds_read_b128 v[121:124], v120 offset:912
	ds_read_b128 v[125:128], v120 offset:928
	s_waitcnt vmcnt(8) lgkmcnt(1)
	v_fma_f64 v[121:122], v[153:154], v[121:122], v[129:130]
	s_waitcnt vmcnt(7)
	v_fma_f64 v[121:122], v[151:152], v[123:124], v[121:122]
	ds_read_b64 v[123:124], v120 offset:944
	s_waitcnt vmcnt(6) lgkmcnt(1)
	v_fma_f64 v[121:122], v[131:132], v[125:126], v[121:122]
	s_waitcnt vmcnt(3)
	v_fma_f64 v[121:122], v[133:134], v[127:128], v[121:122]
	s_waitcnt vmcnt(2) lgkmcnt(0)
	v_fma_f64 v[121:122], v[135:136], v[123:124], v[121:122]
	s_waitcnt vmcnt(0)
	v_add_f64 v[121:122], v[137:138], -v[121:122]
	buffer_store_dword v122, off, s[0:3], 0 offset:332
	buffer_store_dword v121, off, s[0:3], 0 offset:328
	s_and_saveexec_b64 s[4:5], vcc
	s_cbranch_execz .LBB58_281
; %bb.280:
	buffer_load_dword v121, off, s[0:3], 0 offset:320
	buffer_load_dword v122, off, s[0:3], 0 offset:324
	s_waitcnt vmcnt(0)
	ds_write_b64 v119, v[121:122]
	buffer_store_dword v120, off, s[0:3], 0 offset:320
	buffer_store_dword v120, off, s[0:3], 0 offset:324
.LBB58_281:
	s_or_b64 exec, exec, s[4:5]
	s_waitcnt lgkmcnt(0)
	; wave barrier
	buffer_load_dword v129, off, s[0:3], 0 offset:328
	buffer_load_dword v130, off, s[0:3], 0 offset:332
	buffer_load_dword v131, off, s[0:3], 0 offset:336
	buffer_load_dword v132, off, s[0:3], 0 offset:340
	buffer_load_dword v133, off, s[0:3], 0 offset:344
	buffer_load_dword v134, off, s[0:3], 0 offset:348
	buffer_load_dword v135, off, s[0:3], 0 offset:352
	buffer_load_dword v136, off, s[0:3], 0 offset:356
	buffer_load_dword v137, off, s[0:3], 0 offset:360
	buffer_load_dword v138, off, s[0:3], 0 offset:364
	buffer_load_dword v139, off, s[0:3], 0 offset:368
	buffer_load_dword v140, off, s[0:3], 0 offset:372
	buffer_load_dword v141, off, s[0:3], 0 offset:376
	buffer_load_dword v142, off, s[0:3], 0 offset:380
	buffer_load_dword v144, off, s[0:3], 0 offset:388
	buffer_load_dword v145, off, s[0:3], 0 offset:408
	buffer_load_dword v147, off, s[0:3], 0 offset:400
	buffer_load_dword v149, off, s[0:3], 0 offset:392
	buffer_load_dword v143, off, s[0:3], 0 offset:384
	buffer_load_dword v150, off, s[0:3], 0 offset:396
	buffer_load_dword v148, off, s[0:3], 0 offset:404
	buffer_load_dword v146, off, s[0:3], 0 offset:412
	ds_read2_b64 v[121:124], v120 offset0:101 offset1:102
	ds_read2_b64 v[125:128], v120 offset0:103 offset1:104
	v_cmp_lt_u32_e32 vcc, 39, v0
	s_waitcnt vmcnt(20) lgkmcnt(1)
	v_fma_f64 v[121:122], v[129:130], v[121:122], 0
	s_waitcnt vmcnt(18)
	v_fma_f64 v[121:122], v[131:132], v[123:124], v[121:122]
	buffer_load_dword v130, off, s[0:3], 0 offset:420
	buffer_load_dword v131, off, s[0:3], 0 offset:440
	;; [unrolled: 1-line block ×7, first 2 shown]
	s_waitcnt vmcnt(23) lgkmcnt(0)
	v_fma_f64 v[121:122], v[133:134], v[125:126], v[121:122]
	s_waitcnt vmcnt(21)
	v_fma_f64 v[132:133], v[135:136], v[127:128], v[121:122]
	ds_read2_b64 v[121:124], v120 offset0:105 offset1:106
	ds_read2_b64 v[125:128], v120 offset0:107 offset1:108
	s_waitcnt vmcnt(19) lgkmcnt(1)
	v_fma_f64 v[121:122], v[137:138], v[121:122], v[132:133]
	buffer_load_dword v132, off, s[0:3], 0 offset:444
	buffer_load_dword v134, off, s[0:3], 0 offset:452
	;; [unrolled: 1-line block ×7, first 2 shown]
	s_waitcnt vmcnt(24)
	v_fma_f64 v[121:122], v[139:140], v[123:124], v[121:122]
	s_waitcnt vmcnt(22) lgkmcnt(0)
	v_fma_f64 v[121:122], v[141:142], v[125:126], v[121:122]
	s_waitcnt vmcnt(17)
	v_fma_f64 v[139:140], v[143:144], v[127:128], v[121:122]
	ds_read2_b64 v[121:124], v120 offset0:109 offset1:110
	buffer_load_dword v141, off, s[0:3], 0 offset:320
	buffer_load_dword v142, off, s[0:3], 0 offset:324
	ds_read2_b64 v[125:128], v120 offset0:111 offset1:112
	s_waitcnt vmcnt(18) lgkmcnt(1)
	v_fma_f64 v[121:122], v[149:150], v[121:122], v[139:140]
	s_waitcnt vmcnt(17)
	v_fma_f64 v[121:122], v[147:148], v[123:124], v[121:122]
	s_waitcnt vmcnt(16) lgkmcnt(0)
	v_fma_f64 v[121:122], v[145:146], v[125:126], v[121:122]
	s_waitcnt vmcnt(11)
	v_fma_f64 v[129:130], v[129:130], v[127:128], v[121:122]
	ds_read2_b64 v[121:124], v120 offset0:113 offset1:114
	ds_read2_b64 v[125:128], v120 offset0:115 offset1:116
	s_waitcnt vmcnt(10) lgkmcnt(1)
	v_fma_f64 v[121:122], v[153:154], v[121:122], v[129:130]
	s_waitcnt vmcnt(9)
	v_fma_f64 v[121:122], v[151:152], v[123:124], v[121:122]
	s_waitcnt vmcnt(8) lgkmcnt(0)
	v_fma_f64 v[121:122], v[131:132], v[125:126], v[121:122]
	s_waitcnt vmcnt(4)
	v_fma_f64 v[124:125], v[133:134], v[127:128], v[121:122]
	ds_read2_b64 v[120:123], v120 offset0:117 offset1:118
	s_waitcnt vmcnt(3) lgkmcnt(0)
	v_fma_f64 v[120:121], v[137:138], v[120:121], v[124:125]
	s_waitcnt vmcnt(2)
	v_fma_f64 v[120:121], v[135:136], v[122:123], v[120:121]
	s_waitcnt vmcnt(0)
	v_add_f64 v[120:121], v[141:142], -v[120:121]
	buffer_store_dword v121, off, s[0:3], 0 offset:324
	buffer_store_dword v120, off, s[0:3], 0 offset:320
	s_and_saveexec_b64 s[4:5], vcc
	s_cbranch_execz .LBB58_283
; %bb.282:
	buffer_load_dword v120, off, s[0:3], 0 offset:312
	buffer_load_dword v121, off, s[0:3], 0 offset:316
	v_mov_b32_e32 v122, 0
	buffer_store_dword v122, off, s[0:3], 0 offset:312
	buffer_store_dword v122, off, s[0:3], 0 offset:316
	s_waitcnt vmcnt(2)
	ds_write_b64 v119, v[120:121]
.LBB58_283:
	s_or_b64 exec, exec, s[4:5]
	s_waitcnt lgkmcnt(0)
	; wave barrier
	buffer_load_dword v129, off, s[0:3], 0 offset:320
	buffer_load_dword v130, off, s[0:3], 0 offset:324
	;; [unrolled: 1-line block ×22, first 2 shown]
	v_mov_b32_e32 v120, 0
	ds_read_b128 v[121:124], v120 offset:800
	ds_read_b128 v[125:128], v120 offset:816
	v_cmp_lt_u32_e32 vcc, 38, v0
	s_waitcnt vmcnt(20) lgkmcnt(1)
	v_fma_f64 v[121:122], v[129:130], v[121:122], 0
	s_waitcnt vmcnt(18)
	v_fma_f64 v[121:122], v[131:132], v[123:124], v[121:122]
	buffer_load_dword v130, off, s[0:3], 0 offset:412
	buffer_load_dword v131, off, s[0:3], 0 offset:432
	;; [unrolled: 1-line block ×7, first 2 shown]
	s_waitcnt vmcnt(23) lgkmcnt(0)
	v_fma_f64 v[121:122], v[133:134], v[125:126], v[121:122]
	s_waitcnt vmcnt(21)
	v_fma_f64 v[132:133], v[135:136], v[127:128], v[121:122]
	ds_read_b128 v[121:124], v120 offset:832
	ds_read_b128 v[125:128], v120 offset:848
	s_waitcnt vmcnt(19) lgkmcnt(1)
	v_fma_f64 v[121:122], v[137:138], v[121:122], v[132:133]
	buffer_load_dword v132, off, s[0:3], 0 offset:436
	s_waitcnt vmcnt(18)
	v_fma_f64 v[121:122], v[139:140], v[123:124], v[121:122]
	buffer_load_dword v134, off, s[0:3], 0 offset:444
	buffer_load_dword v135, off, s[0:3], 0 offset:464
	;; [unrolled: 1-line block ×8, first 2 shown]
	s_waitcnt vmcnt(24) lgkmcnt(0)
	v_fma_f64 v[121:122], v[141:142], v[125:126], v[121:122]
	s_waitcnt vmcnt(19)
	v_fma_f64 v[141:142], v[143:144], v[127:128], v[121:122]
	ds_read_b128 v[121:124], v120 offset:864
	ds_read_b128 v[125:128], v120 offset:880
	s_waitcnt vmcnt(18) lgkmcnt(1)
	v_fma_f64 v[121:122], v[149:150], v[121:122], v[141:142]
	buffer_load_dword v141, off, s[0:3], 0 offset:312
	buffer_load_dword v142, off, s[0:3], 0 offset:316
	s_waitcnt vmcnt(19)
	v_fma_f64 v[121:122], v[147:148], v[123:124], v[121:122]
	s_waitcnt vmcnt(18) lgkmcnt(0)
	v_fma_f64 v[121:122], v[145:146], v[125:126], v[121:122]
	s_waitcnt vmcnt(13)
	v_fma_f64 v[129:130], v[129:130], v[127:128], v[121:122]
	ds_read_b128 v[121:124], v120 offset:896
	ds_read_b128 v[125:128], v120 offset:912
	s_waitcnt vmcnt(12) lgkmcnt(1)
	v_fma_f64 v[121:122], v[153:154], v[121:122], v[129:130]
	s_waitcnt vmcnt(11)
	v_fma_f64 v[121:122], v[151:152], v[123:124], v[121:122]
	s_waitcnt vmcnt(10) lgkmcnt(0)
	v_fma_f64 v[121:122], v[131:132], v[125:126], v[121:122]
	s_waitcnt vmcnt(5)
	v_fma_f64 v[125:126], v[133:134], v[127:128], v[121:122]
	ds_read_b128 v[121:124], v120 offset:928
	ds_read_b64 v[127:128], v120 offset:944
	s_waitcnt vmcnt(4) lgkmcnt(1)
	v_fma_f64 v[121:122], v[139:140], v[121:122], v[125:126]
	s_waitcnt vmcnt(3)
	v_fma_f64 v[121:122], v[137:138], v[123:124], v[121:122]
	s_waitcnt vmcnt(2) lgkmcnt(0)
	v_fma_f64 v[121:122], v[135:136], v[127:128], v[121:122]
	s_waitcnt vmcnt(0)
	v_add_f64 v[121:122], v[141:142], -v[121:122]
	buffer_store_dword v122, off, s[0:3], 0 offset:316
	buffer_store_dword v121, off, s[0:3], 0 offset:312
	s_and_saveexec_b64 s[4:5], vcc
	s_cbranch_execz .LBB58_285
; %bb.284:
	buffer_load_dword v121, off, s[0:3], 0 offset:304
	buffer_load_dword v122, off, s[0:3], 0 offset:308
	s_waitcnt vmcnt(0)
	ds_write_b64 v119, v[121:122]
	buffer_store_dword v120, off, s[0:3], 0 offset:304
	buffer_store_dword v120, off, s[0:3], 0 offset:308
.LBB58_285:
	s_or_b64 exec, exec, s[4:5]
	s_waitcnt lgkmcnt(0)
	; wave barrier
	buffer_load_dword v129, off, s[0:3], 0 offset:312
	buffer_load_dword v130, off, s[0:3], 0 offset:316
	buffer_load_dword v131, off, s[0:3], 0 offset:320
	buffer_load_dword v132, off, s[0:3], 0 offset:324
	buffer_load_dword v133, off, s[0:3], 0 offset:328
	buffer_load_dword v134, off, s[0:3], 0 offset:332
	buffer_load_dword v135, off, s[0:3], 0 offset:336
	buffer_load_dword v136, off, s[0:3], 0 offset:340
	buffer_load_dword v137, off, s[0:3], 0 offset:344
	buffer_load_dword v138, off, s[0:3], 0 offset:348
	buffer_load_dword v139, off, s[0:3], 0 offset:352
	buffer_load_dword v140, off, s[0:3], 0 offset:356
	buffer_load_dword v141, off, s[0:3], 0 offset:360
	buffer_load_dword v142, off, s[0:3], 0 offset:364
	buffer_load_dword v144, off, s[0:3], 0 offset:372
	buffer_load_dword v145, off, s[0:3], 0 offset:392
	buffer_load_dword v147, off, s[0:3], 0 offset:384
	buffer_load_dword v149, off, s[0:3], 0 offset:376
	buffer_load_dword v143, off, s[0:3], 0 offset:368
	buffer_load_dword v150, off, s[0:3], 0 offset:380
	buffer_load_dword v148, off, s[0:3], 0 offset:388
	buffer_load_dword v146, off, s[0:3], 0 offset:396
	ds_read2_b64 v[121:124], v120 offset0:99 offset1:100
	ds_read2_b64 v[125:128], v120 offset0:101 offset1:102
	v_cmp_lt_u32_e32 vcc, 37, v0
	s_waitcnt vmcnt(20) lgkmcnt(1)
	v_fma_f64 v[121:122], v[129:130], v[121:122], 0
	s_waitcnt vmcnt(18)
	v_fma_f64 v[121:122], v[131:132], v[123:124], v[121:122]
	buffer_load_dword v130, off, s[0:3], 0 offset:404
	buffer_load_dword v131, off, s[0:3], 0 offset:424
	;; [unrolled: 1-line block ×7, first 2 shown]
	s_waitcnt vmcnt(23) lgkmcnt(0)
	v_fma_f64 v[121:122], v[133:134], v[125:126], v[121:122]
	s_waitcnt vmcnt(21)
	v_fma_f64 v[132:133], v[135:136], v[127:128], v[121:122]
	ds_read2_b64 v[121:124], v120 offset0:103 offset1:104
	ds_read2_b64 v[125:128], v120 offset0:105 offset1:106
	s_waitcnt vmcnt(19) lgkmcnt(1)
	v_fma_f64 v[121:122], v[137:138], v[121:122], v[132:133]
	buffer_load_dword v132, off, s[0:3], 0 offset:428
	s_waitcnt vmcnt(18)
	v_fma_f64 v[121:122], v[139:140], v[123:124], v[121:122]
	buffer_load_dword v134, off, s[0:3], 0 offset:436
	buffer_load_dword v135, off, s[0:3], 0 offset:456
	;; [unrolled: 1-line block ×8, first 2 shown]
	s_waitcnt vmcnt(24) lgkmcnt(0)
	v_fma_f64 v[121:122], v[141:142], v[125:126], v[121:122]
	s_waitcnt vmcnt(19)
	v_fma_f64 v[141:142], v[143:144], v[127:128], v[121:122]
	ds_read2_b64 v[121:124], v120 offset0:107 offset1:108
	ds_read2_b64 v[125:128], v120 offset0:109 offset1:110
	s_waitcnt vmcnt(18) lgkmcnt(1)
	v_fma_f64 v[121:122], v[149:150], v[121:122], v[141:142]
	buffer_load_dword v142, off, s[0:3], 0 offset:468
	buffer_load_dword v141, off, s[0:3], 0 offset:464
	buffer_load_dword v143, off, s[0:3], 0 offset:304
	buffer_load_dword v144, off, s[0:3], 0 offset:308
	s_waitcnt vmcnt(21)
	v_fma_f64 v[121:122], v[147:148], v[123:124], v[121:122]
	s_waitcnt vmcnt(20) lgkmcnt(0)
	v_fma_f64 v[121:122], v[145:146], v[125:126], v[121:122]
	s_waitcnt vmcnt(15)
	v_fma_f64 v[129:130], v[129:130], v[127:128], v[121:122]
	ds_read2_b64 v[121:124], v120 offset0:111 offset1:112
	ds_read2_b64 v[125:128], v120 offset0:113 offset1:114
	s_waitcnt vmcnt(14) lgkmcnt(1)
	v_fma_f64 v[121:122], v[153:154], v[121:122], v[129:130]
	s_waitcnt vmcnt(13)
	v_fma_f64 v[121:122], v[151:152], v[123:124], v[121:122]
	s_waitcnt vmcnt(12) lgkmcnt(0)
	v_fma_f64 v[121:122], v[131:132], v[125:126], v[121:122]
	s_waitcnt vmcnt(7)
	v_fma_f64 v[129:130], v[133:134], v[127:128], v[121:122]
	ds_read2_b64 v[121:124], v120 offset0:115 offset1:116
	ds_read2_b64 v[125:128], v120 offset0:117 offset1:118
	s_waitcnt vmcnt(6) lgkmcnt(1)
	v_fma_f64 v[120:121], v[139:140], v[121:122], v[129:130]
	s_waitcnt vmcnt(5)
	v_fma_f64 v[120:121], v[137:138], v[123:124], v[120:121]
	s_waitcnt vmcnt(4) lgkmcnt(0)
	v_fma_f64 v[120:121], v[135:136], v[125:126], v[120:121]
	s_waitcnt vmcnt(2)
	v_fma_f64 v[120:121], v[141:142], v[127:128], v[120:121]
	s_waitcnt vmcnt(0)
	v_add_f64 v[120:121], v[143:144], -v[120:121]
	buffer_store_dword v121, off, s[0:3], 0 offset:308
	buffer_store_dword v120, off, s[0:3], 0 offset:304
	s_and_saveexec_b64 s[4:5], vcc
	s_cbranch_execz .LBB58_287
; %bb.286:
	buffer_load_dword v120, off, s[0:3], 0 offset:296
	buffer_load_dword v121, off, s[0:3], 0 offset:300
	v_mov_b32_e32 v122, 0
	buffer_store_dword v122, off, s[0:3], 0 offset:296
	buffer_store_dword v122, off, s[0:3], 0 offset:300
	s_waitcnt vmcnt(2)
	ds_write_b64 v119, v[120:121]
.LBB58_287:
	s_or_b64 exec, exec, s[4:5]
	s_waitcnt lgkmcnt(0)
	; wave barrier
	buffer_load_dword v129, off, s[0:3], 0 offset:304
	buffer_load_dword v130, off, s[0:3], 0 offset:308
	;; [unrolled: 1-line block ×21, first 2 shown]
	v_mov_b32_e32 v120, 0
	ds_read_b128 v[121:124], v120 offset:784
	ds_read_b128 v[125:128], v120 offset:800
	buffer_load_dword v146, off, s[0:3], 0 offset:388
	v_cmp_lt_u32_e32 vcc, 36, v0
	s_waitcnt vmcnt(20) lgkmcnt(1)
	v_fma_f64 v[121:122], v[129:130], v[121:122], 0
	s_waitcnt vmcnt(18)
	v_fma_f64 v[121:122], v[131:132], v[123:124], v[121:122]
	buffer_load_dword v130, off, s[0:3], 0 offset:396
	buffer_load_dword v131, off, s[0:3], 0 offset:416
	;; [unrolled: 1-line block ×7, first 2 shown]
	s_waitcnt vmcnt(23) lgkmcnt(0)
	v_fma_f64 v[121:122], v[133:134], v[125:126], v[121:122]
	s_waitcnt vmcnt(21)
	v_fma_f64 v[132:133], v[135:136], v[127:128], v[121:122]
	ds_read_b128 v[121:124], v120 offset:816
	ds_read_b128 v[125:128], v120 offset:832
	s_waitcnt vmcnt(19) lgkmcnt(1)
	v_fma_f64 v[121:122], v[137:138], v[121:122], v[132:133]
	buffer_load_dword v132, off, s[0:3], 0 offset:420
	s_waitcnt vmcnt(18)
	v_fma_f64 v[121:122], v[139:140], v[123:124], v[121:122]
	buffer_load_dword v134, off, s[0:3], 0 offset:428
	buffer_load_dword v135, off, s[0:3], 0 offset:448
	;; [unrolled: 1-line block ×7, first 2 shown]
	s_waitcnt vmcnt(23) lgkmcnt(0)
	v_fma_f64 v[121:122], v[141:142], v[125:126], v[121:122]
	s_waitcnt vmcnt(18)
	v_fma_f64 v[141:142], v[143:144], v[127:128], v[121:122]
	ds_read_b128 v[121:124], v120 offset:848
	ds_read_b128 v[125:128], v120 offset:864
	buffer_load_dword v136, off, s[0:3], 0 offset:452
	s_waitcnt vmcnt(18) lgkmcnt(1)
	v_fma_f64 v[121:122], v[149:150], v[121:122], v[141:142]
	buffer_load_dword v142, off, s[0:3], 0 offset:460
	buffer_load_dword v143, off, s[0:3], 0 offset:464
	;; [unrolled: 1-line block ×4, first 2 shown]
	s_waitcnt vmcnt(21)
	v_fma_f64 v[121:122], v[147:148], v[123:124], v[121:122]
	s_waitcnt vmcnt(20) lgkmcnt(0)
	v_fma_f64 v[121:122], v[145:146], v[125:126], v[121:122]
	buffer_load_dword v145, off, s[0:3], 0 offset:296
	buffer_load_dword v146, off, s[0:3], 0 offset:300
	s_waitcnt vmcnt(17)
	v_fma_f64 v[129:130], v[129:130], v[127:128], v[121:122]
	ds_read_b128 v[121:124], v120 offset:880
	ds_read_b128 v[125:128], v120 offset:896
	s_waitcnt vmcnt(16) lgkmcnt(1)
	v_fma_f64 v[121:122], v[153:154], v[121:122], v[129:130]
	s_waitcnt vmcnt(15)
	v_fma_f64 v[121:122], v[151:152], v[123:124], v[121:122]
	s_waitcnt vmcnt(14) lgkmcnt(0)
	v_fma_f64 v[121:122], v[131:132], v[125:126], v[121:122]
	s_waitcnt vmcnt(9)
	v_fma_f64 v[129:130], v[133:134], v[127:128], v[121:122]
	ds_read_b128 v[121:124], v120 offset:912
	ds_read_b128 v[125:128], v120 offset:928
	s_waitcnt vmcnt(8) lgkmcnt(1)
	v_fma_f64 v[121:122], v[139:140], v[121:122], v[129:130]
	s_waitcnt vmcnt(7)
	v_fma_f64 v[121:122], v[137:138], v[123:124], v[121:122]
	ds_read_b64 v[123:124], v120 offset:944
	s_waitcnt vmcnt(6) lgkmcnt(1)
	v_fma_f64 v[121:122], v[135:136], v[125:126], v[121:122]
	s_waitcnt vmcnt(3)
	v_fma_f64 v[121:122], v[141:142], v[127:128], v[121:122]
	s_waitcnt vmcnt(2) lgkmcnt(0)
	v_fma_f64 v[121:122], v[143:144], v[123:124], v[121:122]
	s_waitcnt vmcnt(0)
	v_add_f64 v[121:122], v[145:146], -v[121:122]
	buffer_store_dword v122, off, s[0:3], 0 offset:300
	buffer_store_dword v121, off, s[0:3], 0 offset:296
	s_and_saveexec_b64 s[4:5], vcc
	s_cbranch_execz .LBB58_289
; %bb.288:
	buffer_load_dword v121, off, s[0:3], 0 offset:288
	buffer_load_dword v122, off, s[0:3], 0 offset:292
	s_waitcnt vmcnt(0)
	ds_write_b64 v119, v[121:122]
	buffer_store_dword v120, off, s[0:3], 0 offset:288
	buffer_store_dword v120, off, s[0:3], 0 offset:292
.LBB58_289:
	s_or_b64 exec, exec, s[4:5]
	s_waitcnt lgkmcnt(0)
	; wave barrier
	buffer_load_dword v129, off, s[0:3], 0 offset:296
	buffer_load_dword v130, off, s[0:3], 0 offset:300
	;; [unrolled: 1-line block ×21, first 2 shown]
	ds_read2_b64 v[121:124], v120 offset0:97 offset1:98
	ds_read2_b64 v[125:128], v120 offset0:99 offset1:100
	buffer_load_dword v146, off, s[0:3], 0 offset:380
	v_cmp_lt_u32_e32 vcc, 35, v0
	s_waitcnt vmcnt(20) lgkmcnt(1)
	v_fma_f64 v[121:122], v[129:130], v[121:122], 0
	s_waitcnt vmcnt(18)
	v_fma_f64 v[121:122], v[131:132], v[123:124], v[121:122]
	buffer_load_dword v130, off, s[0:3], 0 offset:388
	buffer_load_dword v131, off, s[0:3], 0 offset:408
	;; [unrolled: 1-line block ×7, first 2 shown]
	s_waitcnt vmcnt(23) lgkmcnt(0)
	v_fma_f64 v[121:122], v[133:134], v[125:126], v[121:122]
	s_waitcnt vmcnt(21)
	v_fma_f64 v[132:133], v[135:136], v[127:128], v[121:122]
	ds_read2_b64 v[121:124], v120 offset0:101 offset1:102
	ds_read2_b64 v[125:128], v120 offset0:103 offset1:104
	s_waitcnt vmcnt(19) lgkmcnt(1)
	v_fma_f64 v[121:122], v[137:138], v[121:122], v[132:133]
	buffer_load_dword v132, off, s[0:3], 0 offset:412
	s_waitcnt vmcnt(18)
	v_fma_f64 v[121:122], v[139:140], v[123:124], v[121:122]
	buffer_load_dword v134, off, s[0:3], 0 offset:420
	buffer_load_dword v135, off, s[0:3], 0 offset:440
	buffer_load_dword v137, off, s[0:3], 0 offset:432
	buffer_load_dword v139, off, s[0:3], 0 offset:424
	buffer_load_dword v133, off, s[0:3], 0 offset:416
	buffer_load_dword v140, off, s[0:3], 0 offset:428
	buffer_load_dword v138, off, s[0:3], 0 offset:436
	buffer_load_dword v136, off, s[0:3], 0 offset:444
	s_waitcnt vmcnt(24) lgkmcnt(0)
	v_fma_f64 v[121:122], v[141:142], v[125:126], v[121:122]
	s_waitcnt vmcnt(19)
	v_fma_f64 v[141:142], v[143:144], v[127:128], v[121:122]
	ds_read2_b64 v[121:124], v120 offset0:105 offset1:106
	ds_read2_b64 v[125:128], v120 offset0:107 offset1:108
	s_waitcnt vmcnt(18) lgkmcnt(1)
	v_fma_f64 v[121:122], v[149:150], v[121:122], v[141:142]
	s_waitcnt vmcnt(17)
	v_fma_f64 v[121:122], v[147:148], v[123:124], v[121:122]
	buffer_load_dword v142, off, s[0:3], 0 offset:452
	buffer_load_dword v143, off, s[0:3], 0 offset:464
	;; [unrolled: 1-line block ×6, first 2 shown]
	s_waitcnt vmcnt(22) lgkmcnt(0)
	v_fma_f64 v[121:122], v[145:146], v[125:126], v[121:122]
	s_waitcnt vmcnt(17)
	v_fma_f64 v[129:130], v[129:130], v[127:128], v[121:122]
	ds_read2_b64 v[121:124], v120 offset0:109 offset1:110
	buffer_load_dword v145, off, s[0:3], 0 offset:288
	buffer_load_dword v146, off, s[0:3], 0 offset:292
	ds_read2_b64 v[125:128], v120 offset0:111 offset1:112
	s_waitcnt vmcnt(18) lgkmcnt(1)
	v_fma_f64 v[121:122], v[153:154], v[121:122], v[129:130]
	s_waitcnt vmcnt(17)
	v_fma_f64 v[121:122], v[151:152], v[123:124], v[121:122]
	s_waitcnt vmcnt(16) lgkmcnt(0)
	v_fma_f64 v[121:122], v[131:132], v[125:126], v[121:122]
	s_waitcnt vmcnt(11)
	v_fma_f64 v[129:130], v[133:134], v[127:128], v[121:122]
	ds_read2_b64 v[121:124], v120 offset0:113 offset1:114
	ds_read2_b64 v[125:128], v120 offset0:115 offset1:116
	s_waitcnt vmcnt(10) lgkmcnt(1)
	v_fma_f64 v[121:122], v[139:140], v[121:122], v[129:130]
	s_waitcnt vmcnt(9)
	v_fma_f64 v[121:122], v[137:138], v[123:124], v[121:122]
	s_waitcnt vmcnt(8) lgkmcnt(0)
	v_fma_f64 v[121:122], v[135:136], v[125:126], v[121:122]
	s_waitcnt vmcnt(4)
	v_fma_f64 v[124:125], v[141:142], v[127:128], v[121:122]
	ds_read2_b64 v[120:123], v120 offset0:117 offset1:118
	s_waitcnt vmcnt(3) lgkmcnt(0)
	v_fma_f64 v[120:121], v[147:148], v[120:121], v[124:125]
	s_waitcnt vmcnt(2)
	v_fma_f64 v[120:121], v[143:144], v[122:123], v[120:121]
	s_waitcnt vmcnt(0)
	v_add_f64 v[120:121], v[145:146], -v[120:121]
	buffer_store_dword v121, off, s[0:3], 0 offset:292
	buffer_store_dword v120, off, s[0:3], 0 offset:288
	s_and_saveexec_b64 s[4:5], vcc
	s_cbranch_execz .LBB58_291
; %bb.290:
	buffer_load_dword v120, off, s[0:3], 0 offset:280
	buffer_load_dword v121, off, s[0:3], 0 offset:284
	v_mov_b32_e32 v122, 0
	buffer_store_dword v122, off, s[0:3], 0 offset:280
	buffer_store_dword v122, off, s[0:3], 0 offset:284
	s_waitcnt vmcnt(2)
	ds_write_b64 v119, v[120:121]
.LBB58_291:
	s_or_b64 exec, exec, s[4:5]
	s_waitcnt lgkmcnt(0)
	; wave barrier
	buffer_load_dword v129, off, s[0:3], 0 offset:288
	buffer_load_dword v130, off, s[0:3], 0 offset:292
	;; [unrolled: 1-line block ×21, first 2 shown]
	v_mov_b32_e32 v120, 0
	ds_read_b128 v[121:124], v120 offset:768
	ds_read_b128 v[125:128], v120 offset:784
	buffer_load_dword v146, off, s[0:3], 0 offset:372
	v_cmp_lt_u32_e32 vcc, 34, v0
	s_waitcnt vmcnt(20) lgkmcnt(1)
	v_fma_f64 v[121:122], v[129:130], v[121:122], 0
	s_waitcnt vmcnt(18)
	v_fma_f64 v[121:122], v[131:132], v[123:124], v[121:122]
	buffer_load_dword v130, off, s[0:3], 0 offset:380
	buffer_load_dword v131, off, s[0:3], 0 offset:400
	;; [unrolled: 1-line block ×7, first 2 shown]
	s_waitcnt vmcnt(23) lgkmcnt(0)
	v_fma_f64 v[121:122], v[133:134], v[125:126], v[121:122]
	s_waitcnt vmcnt(21)
	v_fma_f64 v[132:133], v[135:136], v[127:128], v[121:122]
	ds_read_b128 v[121:124], v120 offset:800
	ds_read_b128 v[125:128], v120 offset:816
	s_waitcnt vmcnt(19) lgkmcnt(1)
	v_fma_f64 v[121:122], v[137:138], v[121:122], v[132:133]
	buffer_load_dword v132, off, s[0:3], 0 offset:404
	s_waitcnt vmcnt(18)
	v_fma_f64 v[121:122], v[139:140], v[123:124], v[121:122]
	buffer_load_dword v134, off, s[0:3], 0 offset:412
	buffer_load_dword v135, off, s[0:3], 0 offset:432
	buffer_load_dword v137, off, s[0:3], 0 offset:424
	buffer_load_dword v139, off, s[0:3], 0 offset:416
	buffer_load_dword v133, off, s[0:3], 0 offset:408
	buffer_load_dword v140, off, s[0:3], 0 offset:420
	buffer_load_dword v138, off, s[0:3], 0 offset:428
	buffer_load_dword v136, off, s[0:3], 0 offset:436
	s_waitcnt vmcnt(24) lgkmcnt(0)
	v_fma_f64 v[121:122], v[141:142], v[125:126], v[121:122]
	s_waitcnt vmcnt(19)
	v_fma_f64 v[141:142], v[143:144], v[127:128], v[121:122]
	ds_read_b128 v[121:124], v120 offset:832
	ds_read_b128 v[125:128], v120 offset:848
	s_waitcnt vmcnt(18) lgkmcnt(1)
	v_fma_f64 v[121:122], v[149:150], v[121:122], v[141:142]
	s_waitcnt vmcnt(17)
	v_fma_f64 v[121:122], v[147:148], v[123:124], v[121:122]
	buffer_load_dword v142, off, s[0:3], 0 offset:444
	buffer_load_dword v143, off, s[0:3], 0 offset:464
	;; [unrolled: 1-line block ×8, first 2 shown]
	s_waitcnt vmcnt(24) lgkmcnt(0)
	v_fma_f64 v[121:122], v[145:146], v[125:126], v[121:122]
	s_waitcnt vmcnt(19)
	v_fma_f64 v[129:130], v[129:130], v[127:128], v[121:122]
	ds_read_b128 v[121:124], v120 offset:864
	ds_read_b128 v[125:128], v120 offset:880
	s_waitcnt vmcnt(18) lgkmcnt(1)
	v_fma_f64 v[121:122], v[153:154], v[121:122], v[129:130]
	buffer_load_dword v129, off, s[0:3], 0 offset:280
	buffer_load_dword v130, off, s[0:3], 0 offset:284
	s_waitcnt vmcnt(19)
	v_fma_f64 v[121:122], v[151:152], v[123:124], v[121:122]
	s_waitcnt vmcnt(18) lgkmcnt(0)
	v_fma_f64 v[121:122], v[131:132], v[125:126], v[121:122]
	s_waitcnt vmcnt(13)
	v_fma_f64 v[131:132], v[133:134], v[127:128], v[121:122]
	ds_read_b128 v[121:124], v120 offset:896
	ds_read_b128 v[125:128], v120 offset:912
	s_waitcnt vmcnt(12) lgkmcnt(1)
	v_fma_f64 v[121:122], v[139:140], v[121:122], v[131:132]
	s_waitcnt vmcnt(11)
	v_fma_f64 v[121:122], v[137:138], v[123:124], v[121:122]
	s_waitcnt vmcnt(10) lgkmcnt(0)
	v_fma_f64 v[121:122], v[135:136], v[125:126], v[121:122]
	s_waitcnt vmcnt(5)
	v_fma_f64 v[125:126], v[141:142], v[127:128], v[121:122]
	ds_read_b128 v[121:124], v120 offset:928
	ds_read_b64 v[127:128], v120 offset:944
	s_waitcnt vmcnt(4) lgkmcnt(1)
	v_fma_f64 v[121:122], v[149:150], v[121:122], v[125:126]
	s_waitcnt vmcnt(3)
	v_fma_f64 v[121:122], v[147:148], v[123:124], v[121:122]
	s_waitcnt vmcnt(2) lgkmcnt(0)
	v_fma_f64 v[121:122], v[143:144], v[127:128], v[121:122]
	s_waitcnt vmcnt(0)
	v_add_f64 v[121:122], v[129:130], -v[121:122]
	buffer_store_dword v122, off, s[0:3], 0 offset:284
	buffer_store_dword v121, off, s[0:3], 0 offset:280
	s_and_saveexec_b64 s[4:5], vcc
	s_cbranch_execz .LBB58_293
; %bb.292:
	buffer_load_dword v121, off, s[0:3], 0 offset:272
	buffer_load_dword v122, off, s[0:3], 0 offset:276
	s_waitcnt vmcnt(0)
	ds_write_b64 v119, v[121:122]
	buffer_store_dword v120, off, s[0:3], 0 offset:272
	buffer_store_dword v120, off, s[0:3], 0 offset:276
.LBB58_293:
	s_or_b64 exec, exec, s[4:5]
	s_waitcnt lgkmcnt(0)
	; wave barrier
	buffer_load_dword v129, off, s[0:3], 0 offset:280
	buffer_load_dword v130, off, s[0:3], 0 offset:284
	;; [unrolled: 1-line block ×21, first 2 shown]
	ds_read2_b64 v[121:124], v120 offset0:95 offset1:96
	ds_read2_b64 v[125:128], v120 offset0:97 offset1:98
	buffer_load_dword v146, off, s[0:3], 0 offset:364
	v_cmp_lt_u32_e32 vcc, 33, v0
	s_waitcnt vmcnt(20) lgkmcnt(1)
	v_fma_f64 v[121:122], v[129:130], v[121:122], 0
	s_waitcnt vmcnt(18)
	v_fma_f64 v[121:122], v[131:132], v[123:124], v[121:122]
	buffer_load_dword v130, off, s[0:3], 0 offset:372
	buffer_load_dword v131, off, s[0:3], 0 offset:392
	;; [unrolled: 1-line block ×7, first 2 shown]
	s_waitcnt vmcnt(23) lgkmcnt(0)
	v_fma_f64 v[121:122], v[133:134], v[125:126], v[121:122]
	s_waitcnt vmcnt(21)
	v_fma_f64 v[132:133], v[135:136], v[127:128], v[121:122]
	ds_read2_b64 v[121:124], v120 offset0:99 offset1:100
	ds_read2_b64 v[125:128], v120 offset0:101 offset1:102
	s_waitcnt vmcnt(19) lgkmcnt(1)
	v_fma_f64 v[121:122], v[137:138], v[121:122], v[132:133]
	buffer_load_dword v132, off, s[0:3], 0 offset:396
	s_waitcnt vmcnt(18)
	v_fma_f64 v[121:122], v[139:140], v[123:124], v[121:122]
	buffer_load_dword v134, off, s[0:3], 0 offset:404
	buffer_load_dword v135, off, s[0:3], 0 offset:424
	;; [unrolled: 1-line block ×8, first 2 shown]
	s_waitcnt vmcnt(24) lgkmcnt(0)
	v_fma_f64 v[121:122], v[141:142], v[125:126], v[121:122]
	s_waitcnt vmcnt(19)
	v_fma_f64 v[141:142], v[143:144], v[127:128], v[121:122]
	ds_read2_b64 v[121:124], v120 offset0:103 offset1:104
	ds_read2_b64 v[125:128], v120 offset0:105 offset1:106
	s_waitcnt vmcnt(18) lgkmcnt(1)
	v_fma_f64 v[121:122], v[149:150], v[121:122], v[141:142]
	s_waitcnt vmcnt(17)
	v_fma_f64 v[121:122], v[147:148], v[123:124], v[121:122]
	buffer_load_dword v142, off, s[0:3], 0 offset:436
	buffer_load_dword v143, off, s[0:3], 0 offset:456
	;; [unrolled: 1-line block ×8, first 2 shown]
	s_waitcnt vmcnt(24) lgkmcnt(0)
	v_fma_f64 v[121:122], v[145:146], v[125:126], v[121:122]
	s_waitcnt vmcnt(19)
	v_fma_f64 v[129:130], v[129:130], v[127:128], v[121:122]
	ds_read2_b64 v[121:124], v120 offset0:107 offset1:108
	ds_read2_b64 v[125:128], v120 offset0:109 offset1:110
	s_waitcnt vmcnt(18) lgkmcnt(1)
	v_fma_f64 v[121:122], v[153:154], v[121:122], v[129:130]
	buffer_load_dword v130, off, s[0:3], 0 offset:468
	buffer_load_dword v129, off, s[0:3], 0 offset:464
	;; [unrolled: 1-line block ×4, first 2 shown]
	s_waitcnt vmcnt(21)
	v_fma_f64 v[121:122], v[151:152], v[123:124], v[121:122]
	s_waitcnt vmcnt(20) lgkmcnt(0)
	v_fma_f64 v[121:122], v[131:132], v[125:126], v[121:122]
	s_waitcnt vmcnt(15)
	v_fma_f64 v[131:132], v[133:134], v[127:128], v[121:122]
	ds_read2_b64 v[121:124], v120 offset0:111 offset1:112
	ds_read2_b64 v[125:128], v120 offset0:113 offset1:114
	s_waitcnt vmcnt(14) lgkmcnt(1)
	v_fma_f64 v[121:122], v[139:140], v[121:122], v[131:132]
	s_waitcnt vmcnt(13)
	v_fma_f64 v[121:122], v[137:138], v[123:124], v[121:122]
	s_waitcnt vmcnt(12) lgkmcnt(0)
	v_fma_f64 v[121:122], v[135:136], v[125:126], v[121:122]
	s_waitcnt vmcnt(7)
	v_fma_f64 v[131:132], v[141:142], v[127:128], v[121:122]
	ds_read2_b64 v[121:124], v120 offset0:115 offset1:116
	ds_read2_b64 v[125:128], v120 offset0:117 offset1:118
	s_waitcnt vmcnt(6) lgkmcnt(1)
	v_fma_f64 v[120:121], v[149:150], v[121:122], v[131:132]
	s_waitcnt vmcnt(5)
	v_fma_f64 v[120:121], v[147:148], v[123:124], v[120:121]
	s_waitcnt vmcnt(4) lgkmcnt(0)
	v_fma_f64 v[120:121], v[143:144], v[125:126], v[120:121]
	s_waitcnt vmcnt(2)
	v_fma_f64 v[120:121], v[129:130], v[127:128], v[120:121]
	s_waitcnt vmcnt(0)
	v_add_f64 v[120:121], v[145:146], -v[120:121]
	buffer_store_dword v121, off, s[0:3], 0 offset:276
	buffer_store_dword v120, off, s[0:3], 0 offset:272
	s_and_saveexec_b64 s[4:5], vcc
	s_cbranch_execz .LBB58_295
; %bb.294:
	buffer_load_dword v120, off, s[0:3], 0 offset:264
	buffer_load_dword v121, off, s[0:3], 0 offset:268
	v_mov_b32_e32 v122, 0
	buffer_store_dword v122, off, s[0:3], 0 offset:264
	buffer_store_dword v122, off, s[0:3], 0 offset:268
	s_waitcnt vmcnt(2)
	ds_write_b64 v119, v[120:121]
.LBB58_295:
	s_or_b64 exec, exec, s[4:5]
	s_waitcnt lgkmcnt(0)
	; wave barrier
	buffer_load_dword v129, off, s[0:3], 0 offset:272
	buffer_load_dword v130, off, s[0:3], 0 offset:276
	;; [unrolled: 1-line block ×21, first 2 shown]
	v_mov_b32_e32 v120, 0
	ds_read_b128 v[121:124], v120 offset:752
	ds_read_b128 v[125:128], v120 offset:768
	buffer_load_dword v146, off, s[0:3], 0 offset:356
	v_cmp_lt_u32_e32 vcc, 32, v0
	s_waitcnt vmcnt(20) lgkmcnt(1)
	v_fma_f64 v[121:122], v[129:130], v[121:122], 0
	s_waitcnt vmcnt(18)
	v_fma_f64 v[121:122], v[131:132], v[123:124], v[121:122]
	buffer_load_dword v130, off, s[0:3], 0 offset:364
	buffer_load_dword v131, off, s[0:3], 0 offset:384
	;; [unrolled: 1-line block ×7, first 2 shown]
	s_waitcnt vmcnt(23) lgkmcnt(0)
	v_fma_f64 v[121:122], v[133:134], v[125:126], v[121:122]
	s_waitcnt vmcnt(21)
	v_fma_f64 v[132:133], v[135:136], v[127:128], v[121:122]
	ds_read_b128 v[121:124], v120 offset:784
	ds_read_b128 v[125:128], v120 offset:800
	s_waitcnt vmcnt(19) lgkmcnt(1)
	v_fma_f64 v[121:122], v[137:138], v[121:122], v[132:133]
	buffer_load_dword v132, off, s[0:3], 0 offset:388
	s_waitcnt vmcnt(18)
	v_fma_f64 v[121:122], v[139:140], v[123:124], v[121:122]
	buffer_load_dword v134, off, s[0:3], 0 offset:396
	buffer_load_dword v135, off, s[0:3], 0 offset:416
	;; [unrolled: 1-line block ×8, first 2 shown]
	s_waitcnt vmcnt(24) lgkmcnt(0)
	v_fma_f64 v[121:122], v[141:142], v[125:126], v[121:122]
	s_waitcnt vmcnt(19)
	v_fma_f64 v[141:142], v[143:144], v[127:128], v[121:122]
	ds_read_b128 v[121:124], v120 offset:816
	ds_read_b128 v[125:128], v120 offset:832
	s_waitcnt vmcnt(18) lgkmcnt(1)
	v_fma_f64 v[121:122], v[149:150], v[121:122], v[141:142]
	s_waitcnt vmcnt(17)
	v_fma_f64 v[121:122], v[147:148], v[123:124], v[121:122]
	buffer_load_dword v142, off, s[0:3], 0 offset:428
	buffer_load_dword v143, off, s[0:3], 0 offset:448
	;; [unrolled: 1-line block ×7, first 2 shown]
	s_waitcnt vmcnt(23) lgkmcnt(0)
	v_fma_f64 v[121:122], v[145:146], v[125:126], v[121:122]
	s_waitcnt vmcnt(18)
	v_fma_f64 v[129:130], v[129:130], v[127:128], v[121:122]
	ds_read_b128 v[121:124], v120 offset:848
	ds_read_b128 v[125:128], v120 offset:864
	buffer_load_dword v144, off, s[0:3], 0 offset:452
	s_waitcnt vmcnt(18) lgkmcnt(1)
	v_fma_f64 v[121:122], v[153:154], v[121:122], v[129:130]
	buffer_load_dword v130, off, s[0:3], 0 offset:460
	buffer_load_dword v145, off, s[0:3], 0 offset:464
	;; [unrolled: 1-line block ×4, first 2 shown]
	s_waitcnt vmcnt(21)
	v_fma_f64 v[121:122], v[151:152], v[123:124], v[121:122]
	s_waitcnt vmcnt(20) lgkmcnt(0)
	v_fma_f64 v[121:122], v[131:132], v[125:126], v[121:122]
	buffer_load_dword v131, off, s[0:3], 0 offset:264
	buffer_load_dword v132, off, s[0:3], 0 offset:268
	s_waitcnt vmcnt(17)
	v_fma_f64 v[133:134], v[133:134], v[127:128], v[121:122]
	ds_read_b128 v[121:124], v120 offset:880
	ds_read_b128 v[125:128], v120 offset:896
	s_waitcnt vmcnt(16) lgkmcnt(1)
	v_fma_f64 v[121:122], v[139:140], v[121:122], v[133:134]
	s_waitcnt vmcnt(15)
	v_fma_f64 v[121:122], v[137:138], v[123:124], v[121:122]
	s_waitcnt vmcnt(14) lgkmcnt(0)
	v_fma_f64 v[121:122], v[135:136], v[125:126], v[121:122]
	s_waitcnt vmcnt(9)
	v_fma_f64 v[133:134], v[141:142], v[127:128], v[121:122]
	ds_read_b128 v[121:124], v120 offset:912
	ds_read_b128 v[125:128], v120 offset:928
	s_waitcnt vmcnt(8) lgkmcnt(1)
	v_fma_f64 v[121:122], v[149:150], v[121:122], v[133:134]
	s_waitcnt vmcnt(7)
	v_fma_f64 v[121:122], v[147:148], v[123:124], v[121:122]
	ds_read_b64 v[123:124], v120 offset:944
	s_waitcnt vmcnt(6) lgkmcnt(1)
	v_fma_f64 v[121:122], v[143:144], v[125:126], v[121:122]
	s_waitcnt vmcnt(3)
	v_fma_f64 v[121:122], v[129:130], v[127:128], v[121:122]
	s_waitcnt vmcnt(2) lgkmcnt(0)
	v_fma_f64 v[121:122], v[145:146], v[123:124], v[121:122]
	s_waitcnt vmcnt(0)
	v_add_f64 v[121:122], v[131:132], -v[121:122]
	buffer_store_dword v122, off, s[0:3], 0 offset:268
	buffer_store_dword v121, off, s[0:3], 0 offset:264
	s_and_saveexec_b64 s[4:5], vcc
	s_cbranch_execz .LBB58_297
; %bb.296:
	buffer_load_dword v121, off, s[0:3], 0 offset:256
	buffer_load_dword v122, off, s[0:3], 0 offset:260
	s_waitcnt vmcnt(0)
	ds_write_b64 v119, v[121:122]
	buffer_store_dword v120, off, s[0:3], 0 offset:256
	buffer_store_dword v120, off, s[0:3], 0 offset:260
.LBB58_297:
	s_or_b64 exec, exec, s[4:5]
	s_waitcnt lgkmcnt(0)
	; wave barrier
	buffer_load_dword v129, off, s[0:3], 0 offset:264
	buffer_load_dword v130, off, s[0:3], 0 offset:268
	buffer_load_dword v131, off, s[0:3], 0 offset:272
	buffer_load_dword v132, off, s[0:3], 0 offset:276
	buffer_load_dword v133, off, s[0:3], 0 offset:280
	buffer_load_dword v134, off, s[0:3], 0 offset:284
	buffer_load_dword v135, off, s[0:3], 0 offset:288
	buffer_load_dword v136, off, s[0:3], 0 offset:292
	buffer_load_dword v137, off, s[0:3], 0 offset:296
	buffer_load_dword v138, off, s[0:3], 0 offset:300
	buffer_load_dword v139, off, s[0:3], 0 offset:304
	buffer_load_dword v140, off, s[0:3], 0 offset:308
	buffer_load_dword v141, off, s[0:3], 0 offset:312
	buffer_load_dword v142, off, s[0:3], 0 offset:316
	buffer_load_dword v144, off, s[0:3], 0 offset:324
	buffer_load_dword v145, off, s[0:3], 0 offset:344
	buffer_load_dword v147, off, s[0:3], 0 offset:336
	buffer_load_dword v149, off, s[0:3], 0 offset:328
	buffer_load_dword v143, off, s[0:3], 0 offset:320
	buffer_load_dword v150, off, s[0:3], 0 offset:332
	buffer_load_dword v148, off, s[0:3], 0 offset:340
	buffer_load_dword v146, off, s[0:3], 0 offset:348
	ds_read2_b64 v[121:124], v120 offset0:93 offset1:94
	ds_read2_b64 v[125:128], v120 offset0:95 offset1:96
	v_cmp_lt_u32_e32 vcc, 31, v0
	s_waitcnt vmcnt(20) lgkmcnt(1)
	v_fma_f64 v[121:122], v[129:130], v[121:122], 0
	s_waitcnt vmcnt(18)
	v_fma_f64 v[121:122], v[131:132], v[123:124], v[121:122]
	buffer_load_dword v130, off, s[0:3], 0 offset:356
	buffer_load_dword v131, off, s[0:3], 0 offset:376
	;; [unrolled: 1-line block ×7, first 2 shown]
	s_waitcnt vmcnt(23) lgkmcnt(0)
	v_fma_f64 v[121:122], v[133:134], v[125:126], v[121:122]
	s_waitcnt vmcnt(21)
	v_fma_f64 v[132:133], v[135:136], v[127:128], v[121:122]
	ds_read2_b64 v[121:124], v120 offset0:97 offset1:98
	ds_read2_b64 v[125:128], v120 offset0:99 offset1:100
	s_waitcnt vmcnt(19) lgkmcnt(1)
	v_fma_f64 v[121:122], v[137:138], v[121:122], v[132:133]
	buffer_load_dword v132, off, s[0:3], 0 offset:380
	s_waitcnt vmcnt(18)
	v_fma_f64 v[121:122], v[139:140], v[123:124], v[121:122]
	buffer_load_dword v134, off, s[0:3], 0 offset:388
	buffer_load_dword v135, off, s[0:3], 0 offset:408
	;; [unrolled: 1-line block ×8, first 2 shown]
	s_waitcnt vmcnt(24) lgkmcnt(0)
	v_fma_f64 v[121:122], v[141:142], v[125:126], v[121:122]
	s_waitcnt vmcnt(19)
	v_fma_f64 v[141:142], v[143:144], v[127:128], v[121:122]
	ds_read2_b64 v[121:124], v120 offset0:101 offset1:102
	ds_read2_b64 v[125:128], v120 offset0:103 offset1:104
	s_waitcnt vmcnt(18) lgkmcnt(1)
	v_fma_f64 v[121:122], v[149:150], v[121:122], v[141:142]
	s_waitcnt vmcnt(17)
	v_fma_f64 v[121:122], v[147:148], v[123:124], v[121:122]
	buffer_load_dword v142, off, s[0:3], 0 offset:420
	buffer_load_dword v143, off, s[0:3], 0 offset:440
	buffer_load_dword v147, off, s[0:3], 0 offset:432
	buffer_load_dword v149, off, s[0:3], 0 offset:424
	buffer_load_dword v141, off, s[0:3], 0 offset:416
	buffer_load_dword v150, off, s[0:3], 0 offset:428
	buffer_load_dword v148, off, s[0:3], 0 offset:436
	buffer_load_dword v144, off, s[0:3], 0 offset:444
	s_waitcnt vmcnt(24) lgkmcnt(0)
	v_fma_f64 v[121:122], v[145:146], v[125:126], v[121:122]
	s_waitcnt vmcnt(19)
	v_fma_f64 v[129:130], v[129:130], v[127:128], v[121:122]
	ds_read2_b64 v[121:124], v120 offset0:105 offset1:106
	ds_read2_b64 v[125:128], v120 offset0:107 offset1:108
	s_waitcnt vmcnt(18) lgkmcnt(1)
	v_fma_f64 v[121:122], v[153:154], v[121:122], v[129:130]
	s_waitcnt vmcnt(17)
	v_fma_f64 v[121:122], v[151:152], v[123:124], v[121:122]
	buffer_load_dword v130, off, s[0:3], 0 offset:452
	buffer_load_dword v145, off, s[0:3], 0 offset:464
	;; [unrolled: 1-line block ×6, first 2 shown]
	s_waitcnt vmcnt(22) lgkmcnt(0)
	v_fma_f64 v[121:122], v[131:132], v[125:126], v[121:122]
	s_waitcnt vmcnt(17)
	v_fma_f64 v[131:132], v[133:134], v[127:128], v[121:122]
	ds_read2_b64 v[121:124], v120 offset0:109 offset1:110
	buffer_load_dword v133, off, s[0:3], 0 offset:256
	buffer_load_dword v134, off, s[0:3], 0 offset:260
	ds_read2_b64 v[125:128], v120 offset0:111 offset1:112
	s_waitcnt vmcnt(18) lgkmcnt(1)
	v_fma_f64 v[121:122], v[139:140], v[121:122], v[131:132]
	s_waitcnt vmcnt(17)
	v_fma_f64 v[121:122], v[137:138], v[123:124], v[121:122]
	s_waitcnt vmcnt(16) lgkmcnt(0)
	v_fma_f64 v[121:122], v[135:136], v[125:126], v[121:122]
	s_waitcnt vmcnt(11)
	v_fma_f64 v[131:132], v[141:142], v[127:128], v[121:122]
	ds_read2_b64 v[121:124], v120 offset0:113 offset1:114
	ds_read2_b64 v[125:128], v120 offset0:115 offset1:116
	s_waitcnt vmcnt(10) lgkmcnt(1)
	v_fma_f64 v[121:122], v[149:150], v[121:122], v[131:132]
	s_waitcnt vmcnt(9)
	v_fma_f64 v[121:122], v[147:148], v[123:124], v[121:122]
	s_waitcnt vmcnt(8) lgkmcnt(0)
	v_fma_f64 v[121:122], v[143:144], v[125:126], v[121:122]
	s_waitcnt vmcnt(4)
	v_fma_f64 v[124:125], v[129:130], v[127:128], v[121:122]
	ds_read2_b64 v[120:123], v120 offset0:117 offset1:118
	s_waitcnt vmcnt(3) lgkmcnt(0)
	v_fma_f64 v[120:121], v[151:152], v[120:121], v[124:125]
	s_waitcnt vmcnt(2)
	v_fma_f64 v[120:121], v[145:146], v[122:123], v[120:121]
	s_waitcnt vmcnt(0)
	v_add_f64 v[120:121], v[133:134], -v[120:121]
	buffer_store_dword v121, off, s[0:3], 0 offset:260
	buffer_store_dword v120, off, s[0:3], 0 offset:256
	s_and_saveexec_b64 s[4:5], vcc
	s_cbranch_execz .LBB58_299
; %bb.298:
	buffer_load_dword v120, off, s[0:3], 0 offset:248
	buffer_load_dword v121, off, s[0:3], 0 offset:252
	v_mov_b32_e32 v122, 0
	buffer_store_dword v122, off, s[0:3], 0 offset:248
	buffer_store_dword v122, off, s[0:3], 0 offset:252
	s_waitcnt vmcnt(2)
	ds_write_b64 v119, v[120:121]
.LBB58_299:
	s_or_b64 exec, exec, s[4:5]
	s_waitcnt lgkmcnt(0)
	; wave barrier
	buffer_load_dword v129, off, s[0:3], 0 offset:256
	buffer_load_dword v130, off, s[0:3], 0 offset:260
	;; [unrolled: 1-line block ×22, first 2 shown]
	v_mov_b32_e32 v120, 0
	ds_read_b128 v[121:124], v120 offset:736
	ds_read_b128 v[125:128], v120 offset:752
	v_cmp_lt_u32_e32 vcc, 30, v0
	s_waitcnt vmcnt(20) lgkmcnt(1)
	v_fma_f64 v[121:122], v[129:130], v[121:122], 0
	s_waitcnt vmcnt(18)
	v_fma_f64 v[121:122], v[131:132], v[123:124], v[121:122]
	buffer_load_dword v130, off, s[0:3], 0 offset:348
	buffer_load_dword v131, off, s[0:3], 0 offset:368
	buffer_load_dword v151, off, s[0:3], 0 offset:360
	buffer_load_dword v153, off, s[0:3], 0 offset:352
	buffer_load_dword v129, off, s[0:3], 0 offset:344
	buffer_load_dword v154, off, s[0:3], 0 offset:356
	buffer_load_dword v152, off, s[0:3], 0 offset:364
	s_waitcnt vmcnt(23) lgkmcnt(0)
	v_fma_f64 v[121:122], v[133:134], v[125:126], v[121:122]
	s_waitcnt vmcnt(21)
	v_fma_f64 v[132:133], v[135:136], v[127:128], v[121:122]
	ds_read_b128 v[121:124], v120 offset:768
	ds_read_b128 v[125:128], v120 offset:784
	s_waitcnt vmcnt(19) lgkmcnt(1)
	v_fma_f64 v[121:122], v[137:138], v[121:122], v[132:133]
	buffer_load_dword v132, off, s[0:3], 0 offset:372
	s_waitcnt vmcnt(18)
	v_fma_f64 v[121:122], v[139:140], v[123:124], v[121:122]
	buffer_load_dword v134, off, s[0:3], 0 offset:380
	buffer_load_dword v135, off, s[0:3], 0 offset:400
	buffer_load_dword v137, off, s[0:3], 0 offset:392
	buffer_load_dword v139, off, s[0:3], 0 offset:384
	buffer_load_dword v133, off, s[0:3], 0 offset:376
	buffer_load_dword v140, off, s[0:3], 0 offset:388
	buffer_load_dword v138, off, s[0:3], 0 offset:396
	buffer_load_dword v136, off, s[0:3], 0 offset:404
	s_waitcnt vmcnt(24) lgkmcnt(0)
	v_fma_f64 v[121:122], v[141:142], v[125:126], v[121:122]
	s_waitcnt vmcnt(19)
	v_fma_f64 v[141:142], v[143:144], v[127:128], v[121:122]
	ds_read_b128 v[121:124], v120 offset:800
	ds_read_b128 v[125:128], v120 offset:816
	s_waitcnt vmcnt(18) lgkmcnt(1)
	v_fma_f64 v[121:122], v[149:150], v[121:122], v[141:142]
	s_waitcnt vmcnt(17)
	v_fma_f64 v[121:122], v[147:148], v[123:124], v[121:122]
	buffer_load_dword v142, off, s[0:3], 0 offset:412
	buffer_load_dword v143, off, s[0:3], 0 offset:432
	buffer_load_dword v147, off, s[0:3], 0 offset:424
	buffer_load_dword v149, off, s[0:3], 0 offset:416
	buffer_load_dword v141, off, s[0:3], 0 offset:408
	buffer_load_dword v150, off, s[0:3], 0 offset:420
	buffer_load_dword v148, off, s[0:3], 0 offset:428
	buffer_load_dword v144, off, s[0:3], 0 offset:436
	s_waitcnt vmcnt(24) lgkmcnt(0)
	v_fma_f64 v[121:122], v[145:146], v[125:126], v[121:122]
	s_waitcnt vmcnt(19)
	v_fma_f64 v[129:130], v[129:130], v[127:128], v[121:122]
	ds_read_b128 v[121:124], v120 offset:832
	ds_read_b128 v[125:128], v120 offset:848
	s_waitcnt vmcnt(18) lgkmcnt(1)
	v_fma_f64 v[121:122], v[153:154], v[121:122], v[129:130]
	;; [unrolled: 18-line block ×3, first 2 shown]
	buffer_load_dword v131, off, s[0:3], 0 offset:248
	buffer_load_dword v132, off, s[0:3], 0 offset:252
	s_waitcnt vmcnt(19)
	v_fma_f64 v[121:122], v[137:138], v[123:124], v[121:122]
	s_waitcnt vmcnt(18) lgkmcnt(0)
	v_fma_f64 v[121:122], v[135:136], v[125:126], v[121:122]
	s_waitcnt vmcnt(13)
	v_fma_f64 v[133:134], v[141:142], v[127:128], v[121:122]
	ds_read_b128 v[121:124], v120 offset:896
	ds_read_b128 v[125:128], v120 offset:912
	s_waitcnt vmcnt(12) lgkmcnt(1)
	v_fma_f64 v[121:122], v[149:150], v[121:122], v[133:134]
	s_waitcnt vmcnt(11)
	v_fma_f64 v[121:122], v[147:148], v[123:124], v[121:122]
	s_waitcnt vmcnt(10) lgkmcnt(0)
	v_fma_f64 v[121:122], v[143:144], v[125:126], v[121:122]
	s_waitcnt vmcnt(5)
	v_fma_f64 v[125:126], v[129:130], v[127:128], v[121:122]
	ds_read_b128 v[121:124], v120 offset:928
	ds_read_b64 v[127:128], v120 offset:944
	s_waitcnt vmcnt(4) lgkmcnt(1)
	v_fma_f64 v[121:122], v[153:154], v[121:122], v[125:126]
	s_waitcnt vmcnt(3)
	v_fma_f64 v[121:122], v[151:152], v[123:124], v[121:122]
	s_waitcnt vmcnt(2) lgkmcnt(0)
	v_fma_f64 v[121:122], v[145:146], v[127:128], v[121:122]
	s_waitcnt vmcnt(0)
	v_add_f64 v[121:122], v[131:132], -v[121:122]
	buffer_store_dword v122, off, s[0:3], 0 offset:252
	buffer_store_dword v121, off, s[0:3], 0 offset:248
	s_and_saveexec_b64 s[4:5], vcc
	s_cbranch_execz .LBB58_301
; %bb.300:
	buffer_load_dword v121, off, s[0:3], 0 offset:240
	buffer_load_dword v122, off, s[0:3], 0 offset:244
	s_waitcnt vmcnt(0)
	ds_write_b64 v119, v[121:122]
	buffer_store_dword v120, off, s[0:3], 0 offset:240
	buffer_store_dword v120, off, s[0:3], 0 offset:244
.LBB58_301:
	s_or_b64 exec, exec, s[4:5]
	s_waitcnt lgkmcnt(0)
	; wave barrier
	buffer_load_dword v129, off, s[0:3], 0 offset:248
	buffer_load_dword v130, off, s[0:3], 0 offset:252
	;; [unrolled: 1-line block ×22, first 2 shown]
	ds_read2_b64 v[121:124], v120 offset0:91 offset1:92
	ds_read2_b64 v[125:128], v120 offset0:93 offset1:94
	v_cmp_lt_u32_e32 vcc, 29, v0
	s_waitcnt vmcnt(20) lgkmcnt(1)
	v_fma_f64 v[121:122], v[129:130], v[121:122], 0
	s_waitcnt vmcnt(18)
	v_fma_f64 v[121:122], v[131:132], v[123:124], v[121:122]
	buffer_load_dword v130, off, s[0:3], 0 offset:340
	buffer_load_dword v131, off, s[0:3], 0 offset:360
	;; [unrolled: 1-line block ×7, first 2 shown]
	s_waitcnt vmcnt(23) lgkmcnt(0)
	v_fma_f64 v[121:122], v[133:134], v[125:126], v[121:122]
	s_waitcnt vmcnt(21)
	v_fma_f64 v[132:133], v[135:136], v[127:128], v[121:122]
	ds_read2_b64 v[121:124], v120 offset0:95 offset1:96
	ds_read2_b64 v[125:128], v120 offset0:97 offset1:98
	s_waitcnt vmcnt(19) lgkmcnt(1)
	v_fma_f64 v[121:122], v[137:138], v[121:122], v[132:133]
	buffer_load_dword v132, off, s[0:3], 0 offset:364
	s_waitcnt vmcnt(18)
	v_fma_f64 v[121:122], v[139:140], v[123:124], v[121:122]
	buffer_load_dword v134, off, s[0:3], 0 offset:372
	buffer_load_dword v135, off, s[0:3], 0 offset:392
	buffer_load_dword v137, off, s[0:3], 0 offset:384
	buffer_load_dword v139, off, s[0:3], 0 offset:376
	buffer_load_dword v133, off, s[0:3], 0 offset:368
	buffer_load_dword v140, off, s[0:3], 0 offset:380
	buffer_load_dword v138, off, s[0:3], 0 offset:388
	buffer_load_dword v136, off, s[0:3], 0 offset:396
	s_waitcnt vmcnt(24) lgkmcnt(0)
	v_fma_f64 v[121:122], v[141:142], v[125:126], v[121:122]
	s_waitcnt vmcnt(19)
	v_fma_f64 v[141:142], v[143:144], v[127:128], v[121:122]
	ds_read2_b64 v[121:124], v120 offset0:99 offset1:100
	ds_read2_b64 v[125:128], v120 offset0:101 offset1:102
	s_waitcnt vmcnt(18) lgkmcnt(1)
	v_fma_f64 v[121:122], v[149:150], v[121:122], v[141:142]
	s_waitcnt vmcnt(17)
	v_fma_f64 v[121:122], v[147:148], v[123:124], v[121:122]
	buffer_load_dword v142, off, s[0:3], 0 offset:404
	buffer_load_dword v143, off, s[0:3], 0 offset:424
	buffer_load_dword v147, off, s[0:3], 0 offset:416
	buffer_load_dword v149, off, s[0:3], 0 offset:408
	buffer_load_dword v141, off, s[0:3], 0 offset:400
	buffer_load_dword v150, off, s[0:3], 0 offset:412
	buffer_load_dword v148, off, s[0:3], 0 offset:420
	buffer_load_dword v144, off, s[0:3], 0 offset:428
	s_waitcnt vmcnt(24) lgkmcnt(0)
	v_fma_f64 v[121:122], v[145:146], v[125:126], v[121:122]
	s_waitcnt vmcnt(19)
	v_fma_f64 v[129:130], v[129:130], v[127:128], v[121:122]
	ds_read2_b64 v[121:124], v120 offset0:103 offset1:104
	ds_read2_b64 v[125:128], v120 offset0:105 offset1:106
	s_waitcnt vmcnt(18) lgkmcnt(1)
	v_fma_f64 v[121:122], v[153:154], v[121:122], v[129:130]
	;; [unrolled: 18-line block ×3, first 2 shown]
	buffer_load_dword v132, off, s[0:3], 0 offset:468
	buffer_load_dword v131, off, s[0:3], 0 offset:464
	;; [unrolled: 1-line block ×4, first 2 shown]
	s_waitcnt vmcnt(21)
	v_fma_f64 v[121:122], v[137:138], v[123:124], v[121:122]
	s_waitcnt vmcnt(20) lgkmcnt(0)
	v_fma_f64 v[121:122], v[135:136], v[125:126], v[121:122]
	s_waitcnt vmcnt(15)
	v_fma_f64 v[135:136], v[141:142], v[127:128], v[121:122]
	ds_read2_b64 v[121:124], v120 offset0:111 offset1:112
	ds_read2_b64 v[125:128], v120 offset0:113 offset1:114
	s_waitcnt vmcnt(14) lgkmcnt(1)
	v_fma_f64 v[121:122], v[149:150], v[121:122], v[135:136]
	s_waitcnt vmcnt(13)
	v_fma_f64 v[121:122], v[147:148], v[123:124], v[121:122]
	s_waitcnt vmcnt(12) lgkmcnt(0)
	v_fma_f64 v[121:122], v[143:144], v[125:126], v[121:122]
	s_waitcnt vmcnt(7)
	v_fma_f64 v[129:130], v[129:130], v[127:128], v[121:122]
	ds_read2_b64 v[121:124], v120 offset0:115 offset1:116
	ds_read2_b64 v[125:128], v120 offset0:117 offset1:118
	s_waitcnt vmcnt(6) lgkmcnt(1)
	v_fma_f64 v[120:121], v[153:154], v[121:122], v[129:130]
	s_waitcnt vmcnt(5)
	v_fma_f64 v[120:121], v[151:152], v[123:124], v[120:121]
	s_waitcnt vmcnt(4) lgkmcnt(0)
	v_fma_f64 v[120:121], v[145:146], v[125:126], v[120:121]
	s_waitcnt vmcnt(2)
	v_fma_f64 v[120:121], v[131:132], v[127:128], v[120:121]
	s_waitcnt vmcnt(0)
	v_add_f64 v[120:121], v[133:134], -v[120:121]
	buffer_store_dword v121, off, s[0:3], 0 offset:244
	buffer_store_dword v120, off, s[0:3], 0 offset:240
	s_and_saveexec_b64 s[4:5], vcc
	s_cbranch_execz .LBB58_303
; %bb.302:
	buffer_load_dword v120, off, s[0:3], 0 offset:232
	buffer_load_dword v121, off, s[0:3], 0 offset:236
	v_mov_b32_e32 v122, 0
	buffer_store_dword v122, off, s[0:3], 0 offset:232
	buffer_store_dword v122, off, s[0:3], 0 offset:236
	s_waitcnt vmcnt(2)
	ds_write_b64 v119, v[120:121]
.LBB58_303:
	s_or_b64 exec, exec, s[4:5]
	s_waitcnt lgkmcnt(0)
	; wave barrier
	buffer_load_dword v129, off, s[0:3], 0 offset:240
	buffer_load_dword v130, off, s[0:3], 0 offset:244
	;; [unrolled: 1-line block ×22, first 2 shown]
	v_mov_b32_e32 v120, 0
	ds_read_b128 v[121:124], v120 offset:720
	ds_read_b128 v[125:128], v120 offset:736
	v_cmp_lt_u32_e32 vcc, 28, v0
	s_waitcnt vmcnt(20) lgkmcnt(1)
	v_fma_f64 v[121:122], v[129:130], v[121:122], 0
	s_waitcnt vmcnt(18)
	v_fma_f64 v[121:122], v[131:132], v[123:124], v[121:122]
	buffer_load_dword v130, off, s[0:3], 0 offset:332
	buffer_load_dword v131, off, s[0:3], 0 offset:352
	;; [unrolled: 1-line block ×7, first 2 shown]
	s_waitcnt vmcnt(23) lgkmcnt(0)
	v_fma_f64 v[121:122], v[133:134], v[125:126], v[121:122]
	s_waitcnt vmcnt(21)
	v_fma_f64 v[132:133], v[135:136], v[127:128], v[121:122]
	ds_read_b128 v[121:124], v120 offset:752
	ds_read_b128 v[125:128], v120 offset:768
	s_waitcnt vmcnt(19) lgkmcnt(1)
	v_fma_f64 v[121:122], v[137:138], v[121:122], v[132:133]
	buffer_load_dword v132, off, s[0:3], 0 offset:356
	s_waitcnt vmcnt(18)
	v_fma_f64 v[121:122], v[139:140], v[123:124], v[121:122]
	buffer_load_dword v134, off, s[0:3], 0 offset:364
	buffer_load_dword v135, off, s[0:3], 0 offset:384
	buffer_load_dword v137, off, s[0:3], 0 offset:376
	buffer_load_dword v139, off, s[0:3], 0 offset:368
	buffer_load_dword v133, off, s[0:3], 0 offset:360
	buffer_load_dword v140, off, s[0:3], 0 offset:372
	buffer_load_dword v138, off, s[0:3], 0 offset:380
	s_waitcnt vmcnt(23) lgkmcnt(0)
	v_fma_f64 v[121:122], v[141:142], v[125:126], v[121:122]
	s_waitcnt vmcnt(18)
	v_fma_f64 v[141:142], v[143:144], v[127:128], v[121:122]
	ds_read_b128 v[121:124], v120 offset:784
	ds_read_b128 v[125:128], v120 offset:800
	buffer_load_dword v136, off, s[0:3], 0 offset:388
	s_waitcnt vmcnt(18) lgkmcnt(1)
	v_fma_f64 v[121:122], v[149:150], v[121:122], v[141:142]
	s_waitcnt vmcnt(17)
	v_fma_f64 v[121:122], v[147:148], v[123:124], v[121:122]
	buffer_load_dword v142, off, s[0:3], 0 offset:396
	buffer_load_dword v143, off, s[0:3], 0 offset:416
	;; [unrolled: 1-line block ×8, first 2 shown]
	s_waitcnt vmcnt(24) lgkmcnt(0)
	v_fma_f64 v[121:122], v[145:146], v[125:126], v[121:122]
	s_waitcnt vmcnt(19)
	v_fma_f64 v[129:130], v[129:130], v[127:128], v[121:122]
	ds_read_b128 v[121:124], v120 offset:816
	ds_read_b128 v[125:128], v120 offset:832
	s_waitcnt vmcnt(18) lgkmcnt(1)
	v_fma_f64 v[121:122], v[153:154], v[121:122], v[129:130]
	s_waitcnt vmcnt(17)
	v_fma_f64 v[121:122], v[151:152], v[123:124], v[121:122]
	buffer_load_dword v130, off, s[0:3], 0 offset:428
	buffer_load_dword v145, off, s[0:3], 0 offset:448
	;; [unrolled: 1-line block ×7, first 2 shown]
	s_waitcnt vmcnt(23) lgkmcnt(0)
	v_fma_f64 v[121:122], v[131:132], v[125:126], v[121:122]
	s_waitcnt vmcnt(18)
	v_fma_f64 v[131:132], v[133:134], v[127:128], v[121:122]
	ds_read_b128 v[121:124], v120 offset:848
	ds_read_b128 v[125:128], v120 offset:864
	buffer_load_dword v146, off, s[0:3], 0 offset:452
	s_waitcnt vmcnt(18) lgkmcnt(1)
	v_fma_f64 v[121:122], v[139:140], v[121:122], v[131:132]
	buffer_load_dword v132, off, s[0:3], 0 offset:460
	buffer_load_dword v133, off, s[0:3], 0 offset:464
	;; [unrolled: 1-line block ×4, first 2 shown]
	s_waitcnt vmcnt(21)
	v_fma_f64 v[121:122], v[137:138], v[123:124], v[121:122]
	s_waitcnt vmcnt(20) lgkmcnt(0)
	v_fma_f64 v[121:122], v[135:136], v[125:126], v[121:122]
	buffer_load_dword v135, off, s[0:3], 0 offset:232
	buffer_load_dword v136, off, s[0:3], 0 offset:236
	s_waitcnt vmcnt(17)
	v_fma_f64 v[137:138], v[141:142], v[127:128], v[121:122]
	ds_read_b128 v[121:124], v120 offset:880
	ds_read_b128 v[125:128], v120 offset:896
	s_waitcnt vmcnt(16) lgkmcnt(1)
	v_fma_f64 v[121:122], v[149:150], v[121:122], v[137:138]
	s_waitcnt vmcnt(15)
	v_fma_f64 v[121:122], v[147:148], v[123:124], v[121:122]
	s_waitcnt vmcnt(14) lgkmcnt(0)
	v_fma_f64 v[121:122], v[143:144], v[125:126], v[121:122]
	s_waitcnt vmcnt(9)
	v_fma_f64 v[129:130], v[129:130], v[127:128], v[121:122]
	ds_read_b128 v[121:124], v120 offset:912
	ds_read_b128 v[125:128], v120 offset:928
	s_waitcnt vmcnt(8) lgkmcnt(1)
	v_fma_f64 v[121:122], v[153:154], v[121:122], v[129:130]
	s_waitcnt vmcnt(7)
	v_fma_f64 v[121:122], v[151:152], v[123:124], v[121:122]
	ds_read_b64 v[123:124], v120 offset:944
	s_waitcnt vmcnt(6) lgkmcnt(1)
	v_fma_f64 v[121:122], v[145:146], v[125:126], v[121:122]
	s_waitcnt vmcnt(3)
	v_fma_f64 v[121:122], v[131:132], v[127:128], v[121:122]
	s_waitcnt vmcnt(2) lgkmcnt(0)
	v_fma_f64 v[121:122], v[133:134], v[123:124], v[121:122]
	s_waitcnt vmcnt(0)
	v_add_f64 v[121:122], v[135:136], -v[121:122]
	buffer_store_dword v122, off, s[0:3], 0 offset:236
	buffer_store_dword v121, off, s[0:3], 0 offset:232
	s_and_saveexec_b64 s[4:5], vcc
	s_cbranch_execz .LBB58_305
; %bb.304:
	buffer_load_dword v121, off, s[0:3], 0 offset:224
	buffer_load_dword v122, off, s[0:3], 0 offset:228
	s_waitcnt vmcnt(0)
	ds_write_b64 v119, v[121:122]
	buffer_store_dword v120, off, s[0:3], 0 offset:224
	buffer_store_dword v120, off, s[0:3], 0 offset:228
.LBB58_305:
	s_or_b64 exec, exec, s[4:5]
	s_waitcnt lgkmcnt(0)
	; wave barrier
	buffer_load_dword v129, off, s[0:3], 0 offset:232
	buffer_load_dword v130, off, s[0:3], 0 offset:236
	;; [unrolled: 1-line block ×22, first 2 shown]
	ds_read2_b64 v[121:124], v120 offset0:89 offset1:90
	ds_read2_b64 v[125:128], v120 offset0:91 offset1:92
	v_cmp_lt_u32_e32 vcc, 27, v0
	s_waitcnt vmcnt(20) lgkmcnt(1)
	v_fma_f64 v[121:122], v[129:130], v[121:122], 0
	s_waitcnt vmcnt(18)
	v_fma_f64 v[121:122], v[131:132], v[123:124], v[121:122]
	buffer_load_dword v130, off, s[0:3], 0 offset:324
	buffer_load_dword v131, off, s[0:3], 0 offset:344
	;; [unrolled: 1-line block ×7, first 2 shown]
	s_waitcnt vmcnt(23) lgkmcnt(0)
	v_fma_f64 v[121:122], v[133:134], v[125:126], v[121:122]
	s_waitcnt vmcnt(21)
	v_fma_f64 v[132:133], v[135:136], v[127:128], v[121:122]
	ds_read2_b64 v[121:124], v120 offset0:93 offset1:94
	ds_read2_b64 v[125:128], v120 offset0:95 offset1:96
	s_waitcnt vmcnt(19) lgkmcnt(1)
	v_fma_f64 v[121:122], v[137:138], v[121:122], v[132:133]
	buffer_load_dword v132, off, s[0:3], 0 offset:348
	s_waitcnt vmcnt(18)
	v_fma_f64 v[121:122], v[139:140], v[123:124], v[121:122]
	buffer_load_dword v134, off, s[0:3], 0 offset:356
	buffer_load_dword v135, off, s[0:3], 0 offset:376
	;; [unrolled: 1-line block ×7, first 2 shown]
	s_waitcnt vmcnt(23) lgkmcnt(0)
	v_fma_f64 v[121:122], v[141:142], v[125:126], v[121:122]
	s_waitcnt vmcnt(18)
	v_fma_f64 v[141:142], v[143:144], v[127:128], v[121:122]
	ds_read2_b64 v[121:124], v120 offset0:97 offset1:98
	ds_read2_b64 v[125:128], v120 offset0:99 offset1:100
	buffer_load_dword v136, off, s[0:3], 0 offset:380
	s_waitcnt vmcnt(18) lgkmcnt(1)
	v_fma_f64 v[121:122], v[149:150], v[121:122], v[141:142]
	s_waitcnt vmcnt(17)
	v_fma_f64 v[121:122], v[147:148], v[123:124], v[121:122]
	buffer_load_dword v142, off, s[0:3], 0 offset:388
	buffer_load_dword v143, off, s[0:3], 0 offset:408
	;; [unrolled: 1-line block ×8, first 2 shown]
	s_waitcnt vmcnt(24) lgkmcnt(0)
	v_fma_f64 v[121:122], v[145:146], v[125:126], v[121:122]
	s_waitcnt vmcnt(19)
	v_fma_f64 v[129:130], v[129:130], v[127:128], v[121:122]
	ds_read2_b64 v[121:124], v120 offset0:101 offset1:102
	ds_read2_b64 v[125:128], v120 offset0:103 offset1:104
	s_waitcnt vmcnt(18) lgkmcnt(1)
	v_fma_f64 v[121:122], v[153:154], v[121:122], v[129:130]
	s_waitcnt vmcnt(17)
	v_fma_f64 v[121:122], v[151:152], v[123:124], v[121:122]
	buffer_load_dword v130, off, s[0:3], 0 offset:420
	buffer_load_dword v145, off, s[0:3], 0 offset:440
	buffer_load_dword v151, off, s[0:3], 0 offset:432
	buffer_load_dword v153, off, s[0:3], 0 offset:424
	buffer_load_dword v129, off, s[0:3], 0 offset:416
	buffer_load_dword v154, off, s[0:3], 0 offset:428
	buffer_load_dword v152, off, s[0:3], 0 offset:436
	buffer_load_dword v146, off, s[0:3], 0 offset:444
	s_waitcnt vmcnt(24) lgkmcnt(0)
	v_fma_f64 v[121:122], v[131:132], v[125:126], v[121:122]
	s_waitcnt vmcnt(19)
	v_fma_f64 v[131:132], v[133:134], v[127:128], v[121:122]
	ds_read2_b64 v[121:124], v120 offset0:105 offset1:106
	ds_read2_b64 v[125:128], v120 offset0:107 offset1:108
	s_waitcnt vmcnt(18) lgkmcnt(1)
	v_fma_f64 v[121:122], v[139:140], v[121:122], v[131:132]
	s_waitcnt vmcnt(17)
	v_fma_f64 v[121:122], v[137:138], v[123:124], v[121:122]
	buffer_load_dword v132, off, s[0:3], 0 offset:452
	buffer_load_dword v133, off, s[0:3], 0 offset:464
	buffer_load_dword v137, off, s[0:3], 0 offset:456
	buffer_load_dword v131, off, s[0:3], 0 offset:448
	buffer_load_dword v138, off, s[0:3], 0 offset:460
	buffer_load_dword v134, off, s[0:3], 0 offset:468
	s_waitcnt vmcnt(22) lgkmcnt(0)
	v_fma_f64 v[121:122], v[135:136], v[125:126], v[121:122]
	s_waitcnt vmcnt(17)
	v_fma_f64 v[135:136], v[141:142], v[127:128], v[121:122]
	ds_read2_b64 v[121:124], v120 offset0:109 offset1:110
	buffer_load_dword v139, off, s[0:3], 0 offset:224
	buffer_load_dword v140, off, s[0:3], 0 offset:228
	ds_read2_b64 v[125:128], v120 offset0:111 offset1:112
	s_waitcnt vmcnt(18) lgkmcnt(1)
	v_fma_f64 v[121:122], v[149:150], v[121:122], v[135:136]
	s_waitcnt vmcnt(17)
	v_fma_f64 v[121:122], v[147:148], v[123:124], v[121:122]
	s_waitcnt vmcnt(16) lgkmcnt(0)
	v_fma_f64 v[121:122], v[143:144], v[125:126], v[121:122]
	s_waitcnt vmcnt(11)
	v_fma_f64 v[129:130], v[129:130], v[127:128], v[121:122]
	ds_read2_b64 v[121:124], v120 offset0:113 offset1:114
	ds_read2_b64 v[125:128], v120 offset0:115 offset1:116
	s_waitcnt vmcnt(10) lgkmcnt(1)
	v_fma_f64 v[121:122], v[153:154], v[121:122], v[129:130]
	s_waitcnt vmcnt(9)
	v_fma_f64 v[121:122], v[151:152], v[123:124], v[121:122]
	s_waitcnt vmcnt(8) lgkmcnt(0)
	v_fma_f64 v[121:122], v[145:146], v[125:126], v[121:122]
	s_waitcnt vmcnt(4)
	v_fma_f64 v[124:125], v[131:132], v[127:128], v[121:122]
	ds_read2_b64 v[120:123], v120 offset0:117 offset1:118
	s_waitcnt vmcnt(3) lgkmcnt(0)
	v_fma_f64 v[120:121], v[137:138], v[120:121], v[124:125]
	s_waitcnt vmcnt(2)
	v_fma_f64 v[120:121], v[133:134], v[122:123], v[120:121]
	s_waitcnt vmcnt(0)
	v_add_f64 v[120:121], v[139:140], -v[120:121]
	buffer_store_dword v121, off, s[0:3], 0 offset:228
	buffer_store_dword v120, off, s[0:3], 0 offset:224
	s_and_saveexec_b64 s[4:5], vcc
	s_cbranch_execz .LBB58_307
; %bb.306:
	buffer_load_dword v120, off, s[0:3], 0 offset:216
	buffer_load_dword v121, off, s[0:3], 0 offset:220
	v_mov_b32_e32 v122, 0
	buffer_store_dword v122, off, s[0:3], 0 offset:216
	buffer_store_dword v122, off, s[0:3], 0 offset:220
	s_waitcnt vmcnt(2)
	ds_write_b64 v119, v[120:121]
.LBB58_307:
	s_or_b64 exec, exec, s[4:5]
	s_waitcnt lgkmcnt(0)
	; wave barrier
	buffer_load_dword v129, off, s[0:3], 0 offset:224
	buffer_load_dword v130, off, s[0:3], 0 offset:228
	;; [unrolled: 1-line block ×22, first 2 shown]
	v_mov_b32_e32 v120, 0
	ds_read_b128 v[121:124], v120 offset:704
	ds_read_b128 v[125:128], v120 offset:720
	v_cmp_lt_u32_e32 vcc, 26, v0
	s_waitcnt vmcnt(20) lgkmcnt(1)
	v_fma_f64 v[121:122], v[129:130], v[121:122], 0
	s_waitcnt vmcnt(18)
	v_fma_f64 v[121:122], v[131:132], v[123:124], v[121:122]
	buffer_load_dword v130, off, s[0:3], 0 offset:316
	buffer_load_dword v131, off, s[0:3], 0 offset:336
	;; [unrolled: 1-line block ×7, first 2 shown]
	s_waitcnt vmcnt(23) lgkmcnt(0)
	v_fma_f64 v[121:122], v[133:134], v[125:126], v[121:122]
	s_waitcnt vmcnt(21)
	v_fma_f64 v[132:133], v[135:136], v[127:128], v[121:122]
	ds_read_b128 v[121:124], v120 offset:736
	ds_read_b128 v[125:128], v120 offset:752
	s_waitcnt vmcnt(19) lgkmcnt(1)
	v_fma_f64 v[121:122], v[137:138], v[121:122], v[132:133]
	buffer_load_dword v132, off, s[0:3], 0 offset:340
	s_waitcnt vmcnt(18)
	v_fma_f64 v[121:122], v[139:140], v[123:124], v[121:122]
	buffer_load_dword v134, off, s[0:3], 0 offset:348
	buffer_load_dword v135, off, s[0:3], 0 offset:368
	;; [unrolled: 1-line block ×7, first 2 shown]
	s_waitcnt vmcnt(23) lgkmcnt(0)
	v_fma_f64 v[121:122], v[141:142], v[125:126], v[121:122]
	s_waitcnt vmcnt(18)
	v_fma_f64 v[141:142], v[143:144], v[127:128], v[121:122]
	ds_read_b128 v[121:124], v120 offset:768
	ds_read_b128 v[125:128], v120 offset:784
	buffer_load_dword v136, off, s[0:3], 0 offset:372
	s_waitcnt vmcnt(18) lgkmcnt(1)
	v_fma_f64 v[121:122], v[149:150], v[121:122], v[141:142]
	s_waitcnt vmcnt(17)
	v_fma_f64 v[121:122], v[147:148], v[123:124], v[121:122]
	buffer_load_dword v142, off, s[0:3], 0 offset:380
	buffer_load_dword v143, off, s[0:3], 0 offset:400
	buffer_load_dword v147, off, s[0:3], 0 offset:392
	buffer_load_dword v149, off, s[0:3], 0 offset:384
	buffer_load_dword v141, off, s[0:3], 0 offset:376
	buffer_load_dword v150, off, s[0:3], 0 offset:388
	buffer_load_dword v148, off, s[0:3], 0 offset:396
	buffer_load_dword v144, off, s[0:3], 0 offset:404
	s_waitcnt vmcnt(24) lgkmcnt(0)
	v_fma_f64 v[121:122], v[145:146], v[125:126], v[121:122]
	s_waitcnt vmcnt(19)
	v_fma_f64 v[129:130], v[129:130], v[127:128], v[121:122]
	ds_read_b128 v[121:124], v120 offset:800
	ds_read_b128 v[125:128], v120 offset:816
	s_waitcnt vmcnt(18) lgkmcnt(1)
	v_fma_f64 v[121:122], v[153:154], v[121:122], v[129:130]
	s_waitcnt vmcnt(17)
	v_fma_f64 v[121:122], v[151:152], v[123:124], v[121:122]
	buffer_load_dword v130, off, s[0:3], 0 offset:412
	buffer_load_dword v145, off, s[0:3], 0 offset:432
	buffer_load_dword v151, off, s[0:3], 0 offset:424
	buffer_load_dword v153, off, s[0:3], 0 offset:416
	buffer_load_dword v129, off, s[0:3], 0 offset:408
	buffer_load_dword v154, off, s[0:3], 0 offset:420
	buffer_load_dword v152, off, s[0:3], 0 offset:428
	buffer_load_dword v146, off, s[0:3], 0 offset:436
	s_waitcnt vmcnt(24) lgkmcnt(0)
	v_fma_f64 v[121:122], v[131:132], v[125:126], v[121:122]
	s_waitcnt vmcnt(19)
	v_fma_f64 v[131:132], v[133:134], v[127:128], v[121:122]
	ds_read_b128 v[121:124], v120 offset:832
	ds_read_b128 v[125:128], v120 offset:848
	;; [unrolled: 18-line block ×3, first 2 shown]
	s_waitcnt vmcnt(18) lgkmcnt(1)
	v_fma_f64 v[121:122], v[149:150], v[121:122], v[135:136]
	buffer_load_dword v135, off, s[0:3], 0 offset:216
	buffer_load_dword v136, off, s[0:3], 0 offset:220
	s_waitcnt vmcnt(19)
	v_fma_f64 v[121:122], v[147:148], v[123:124], v[121:122]
	s_waitcnt vmcnt(18) lgkmcnt(0)
	v_fma_f64 v[121:122], v[143:144], v[125:126], v[121:122]
	s_waitcnt vmcnt(13)
	v_fma_f64 v[129:130], v[129:130], v[127:128], v[121:122]
	ds_read_b128 v[121:124], v120 offset:896
	ds_read_b128 v[125:128], v120 offset:912
	s_waitcnt vmcnt(12) lgkmcnt(1)
	v_fma_f64 v[121:122], v[153:154], v[121:122], v[129:130]
	s_waitcnt vmcnt(11)
	v_fma_f64 v[121:122], v[151:152], v[123:124], v[121:122]
	s_waitcnt vmcnt(10) lgkmcnt(0)
	v_fma_f64 v[121:122], v[145:146], v[125:126], v[121:122]
	s_waitcnt vmcnt(5)
	v_fma_f64 v[125:126], v[131:132], v[127:128], v[121:122]
	ds_read_b128 v[121:124], v120 offset:928
	ds_read_b64 v[127:128], v120 offset:944
	s_waitcnt vmcnt(4) lgkmcnt(1)
	v_fma_f64 v[121:122], v[139:140], v[121:122], v[125:126]
	s_waitcnt vmcnt(3)
	v_fma_f64 v[121:122], v[137:138], v[123:124], v[121:122]
	s_waitcnt vmcnt(2) lgkmcnt(0)
	v_fma_f64 v[121:122], v[133:134], v[127:128], v[121:122]
	s_waitcnt vmcnt(0)
	v_add_f64 v[121:122], v[135:136], -v[121:122]
	buffer_store_dword v122, off, s[0:3], 0 offset:220
	buffer_store_dword v121, off, s[0:3], 0 offset:216
	s_and_saveexec_b64 s[4:5], vcc
	s_cbranch_execz .LBB58_309
; %bb.308:
	buffer_load_dword v121, off, s[0:3], 0 offset:208
	buffer_load_dword v122, off, s[0:3], 0 offset:212
	s_waitcnt vmcnt(0)
	ds_write_b64 v119, v[121:122]
	buffer_store_dword v120, off, s[0:3], 0 offset:208
	buffer_store_dword v120, off, s[0:3], 0 offset:212
.LBB58_309:
	s_or_b64 exec, exec, s[4:5]
	s_waitcnt lgkmcnt(0)
	; wave barrier
	buffer_load_dword v129, off, s[0:3], 0 offset:216
	buffer_load_dword v130, off, s[0:3], 0 offset:220
	;; [unrolled: 1-line block ×22, first 2 shown]
	ds_read2_b64 v[121:124], v120 offset0:87 offset1:88
	ds_read2_b64 v[125:128], v120 offset0:89 offset1:90
	v_cmp_lt_u32_e32 vcc, 25, v0
	s_waitcnt vmcnt(20) lgkmcnt(1)
	v_fma_f64 v[121:122], v[129:130], v[121:122], 0
	s_waitcnt vmcnt(18)
	v_fma_f64 v[121:122], v[131:132], v[123:124], v[121:122]
	buffer_load_dword v130, off, s[0:3], 0 offset:308
	buffer_load_dword v131, off, s[0:3], 0 offset:328
	;; [unrolled: 1-line block ×7, first 2 shown]
	s_waitcnt vmcnt(23) lgkmcnt(0)
	v_fma_f64 v[121:122], v[133:134], v[125:126], v[121:122]
	s_waitcnt vmcnt(21)
	v_fma_f64 v[132:133], v[135:136], v[127:128], v[121:122]
	ds_read2_b64 v[121:124], v120 offset0:91 offset1:92
	ds_read2_b64 v[125:128], v120 offset0:93 offset1:94
	s_waitcnt vmcnt(19) lgkmcnt(1)
	v_fma_f64 v[121:122], v[137:138], v[121:122], v[132:133]
	buffer_load_dword v132, off, s[0:3], 0 offset:332
	s_waitcnt vmcnt(18)
	v_fma_f64 v[121:122], v[139:140], v[123:124], v[121:122]
	buffer_load_dword v134, off, s[0:3], 0 offset:340
	buffer_load_dword v135, off, s[0:3], 0 offset:360
	;; [unrolled: 1-line block ×7, first 2 shown]
	s_waitcnt vmcnt(23) lgkmcnt(0)
	v_fma_f64 v[121:122], v[141:142], v[125:126], v[121:122]
	s_waitcnt vmcnt(18)
	v_fma_f64 v[141:142], v[143:144], v[127:128], v[121:122]
	ds_read2_b64 v[121:124], v120 offset0:95 offset1:96
	ds_read2_b64 v[125:128], v120 offset0:97 offset1:98
	buffer_load_dword v136, off, s[0:3], 0 offset:364
	s_waitcnt vmcnt(18) lgkmcnt(1)
	v_fma_f64 v[121:122], v[149:150], v[121:122], v[141:142]
	s_waitcnt vmcnt(17)
	v_fma_f64 v[121:122], v[147:148], v[123:124], v[121:122]
	buffer_load_dword v142, off, s[0:3], 0 offset:372
	buffer_load_dword v143, off, s[0:3], 0 offset:392
	buffer_load_dword v147, off, s[0:3], 0 offset:384
	buffer_load_dword v149, off, s[0:3], 0 offset:376
	buffer_load_dword v141, off, s[0:3], 0 offset:368
	buffer_load_dword v150, off, s[0:3], 0 offset:380
	buffer_load_dword v148, off, s[0:3], 0 offset:388
	buffer_load_dword v144, off, s[0:3], 0 offset:396
	s_waitcnt vmcnt(24) lgkmcnt(0)
	v_fma_f64 v[121:122], v[145:146], v[125:126], v[121:122]
	s_waitcnt vmcnt(19)
	v_fma_f64 v[129:130], v[129:130], v[127:128], v[121:122]
	ds_read2_b64 v[121:124], v120 offset0:99 offset1:100
	ds_read2_b64 v[125:128], v120 offset0:101 offset1:102
	s_waitcnt vmcnt(18) lgkmcnt(1)
	v_fma_f64 v[121:122], v[153:154], v[121:122], v[129:130]
	s_waitcnt vmcnt(17)
	v_fma_f64 v[121:122], v[151:152], v[123:124], v[121:122]
	buffer_load_dword v130, off, s[0:3], 0 offset:404
	buffer_load_dword v145, off, s[0:3], 0 offset:424
	buffer_load_dword v151, off, s[0:3], 0 offset:416
	buffer_load_dword v153, off, s[0:3], 0 offset:408
	buffer_load_dword v129, off, s[0:3], 0 offset:400
	buffer_load_dword v154, off, s[0:3], 0 offset:412
	buffer_load_dword v152, off, s[0:3], 0 offset:420
	buffer_load_dword v146, off, s[0:3], 0 offset:428
	s_waitcnt vmcnt(24) lgkmcnt(0)
	v_fma_f64 v[121:122], v[131:132], v[125:126], v[121:122]
	s_waitcnt vmcnt(19)
	v_fma_f64 v[131:132], v[133:134], v[127:128], v[121:122]
	ds_read2_b64 v[121:124], v120 offset0:103 offset1:104
	ds_read2_b64 v[125:128], v120 offset0:105 offset1:106
	;; [unrolled: 18-line block ×3, first 2 shown]
	s_waitcnt vmcnt(18) lgkmcnt(1)
	v_fma_f64 v[121:122], v[149:150], v[121:122], v[135:136]
	buffer_load_dword v136, off, s[0:3], 0 offset:468
	buffer_load_dword v135, off, s[0:3], 0 offset:464
	;; [unrolled: 1-line block ×4, first 2 shown]
	s_waitcnt vmcnt(21)
	v_fma_f64 v[121:122], v[147:148], v[123:124], v[121:122]
	s_waitcnt vmcnt(20) lgkmcnt(0)
	v_fma_f64 v[121:122], v[143:144], v[125:126], v[121:122]
	s_waitcnt vmcnt(15)
	v_fma_f64 v[129:130], v[129:130], v[127:128], v[121:122]
	ds_read2_b64 v[121:124], v120 offset0:111 offset1:112
	ds_read2_b64 v[125:128], v120 offset0:113 offset1:114
	s_waitcnt vmcnt(14) lgkmcnt(1)
	v_fma_f64 v[121:122], v[153:154], v[121:122], v[129:130]
	s_waitcnt vmcnt(13)
	v_fma_f64 v[121:122], v[151:152], v[123:124], v[121:122]
	s_waitcnt vmcnt(12) lgkmcnt(0)
	v_fma_f64 v[121:122], v[145:146], v[125:126], v[121:122]
	s_waitcnt vmcnt(7)
	v_fma_f64 v[129:130], v[131:132], v[127:128], v[121:122]
	ds_read2_b64 v[121:124], v120 offset0:115 offset1:116
	ds_read2_b64 v[125:128], v120 offset0:117 offset1:118
	s_waitcnt vmcnt(6) lgkmcnt(1)
	v_fma_f64 v[120:121], v[139:140], v[121:122], v[129:130]
	s_waitcnt vmcnt(5)
	v_fma_f64 v[120:121], v[137:138], v[123:124], v[120:121]
	s_waitcnt vmcnt(4) lgkmcnt(0)
	v_fma_f64 v[120:121], v[133:134], v[125:126], v[120:121]
	s_waitcnt vmcnt(2)
	v_fma_f64 v[120:121], v[135:136], v[127:128], v[120:121]
	s_waitcnt vmcnt(0)
	v_add_f64 v[120:121], v[141:142], -v[120:121]
	buffer_store_dword v121, off, s[0:3], 0 offset:212
	buffer_store_dword v120, off, s[0:3], 0 offset:208
	s_and_saveexec_b64 s[4:5], vcc
	s_cbranch_execz .LBB58_311
; %bb.310:
	buffer_load_dword v120, off, s[0:3], 0 offset:200
	buffer_load_dword v121, off, s[0:3], 0 offset:204
	v_mov_b32_e32 v122, 0
	buffer_store_dword v122, off, s[0:3], 0 offset:200
	buffer_store_dword v122, off, s[0:3], 0 offset:204
	s_waitcnt vmcnt(2)
	ds_write_b64 v119, v[120:121]
.LBB58_311:
	s_or_b64 exec, exec, s[4:5]
	s_waitcnt lgkmcnt(0)
	; wave barrier
	buffer_load_dword v129, off, s[0:3], 0 offset:208
	buffer_load_dword v130, off, s[0:3], 0 offset:212
	;; [unrolled: 1-line block ×21, first 2 shown]
	v_mov_b32_e32 v120, 0
	ds_read_b128 v[121:124], v120 offset:688
	ds_read_b128 v[125:128], v120 offset:704
	buffer_load_dword v146, off, s[0:3], 0 offset:292
	v_cmp_lt_u32_e32 vcc, 24, v0
	s_waitcnt vmcnt(20) lgkmcnt(1)
	v_fma_f64 v[121:122], v[129:130], v[121:122], 0
	s_waitcnt vmcnt(18)
	v_fma_f64 v[121:122], v[131:132], v[123:124], v[121:122]
	buffer_load_dword v130, off, s[0:3], 0 offset:300
	buffer_load_dword v131, off, s[0:3], 0 offset:320
	;; [unrolled: 1-line block ×7, first 2 shown]
	s_waitcnt vmcnt(23) lgkmcnt(0)
	v_fma_f64 v[121:122], v[133:134], v[125:126], v[121:122]
	s_waitcnt vmcnt(21)
	v_fma_f64 v[132:133], v[135:136], v[127:128], v[121:122]
	ds_read_b128 v[121:124], v120 offset:720
	ds_read_b128 v[125:128], v120 offset:736
	s_waitcnt vmcnt(19) lgkmcnt(1)
	v_fma_f64 v[121:122], v[137:138], v[121:122], v[132:133]
	buffer_load_dword v132, off, s[0:3], 0 offset:324
	s_waitcnt vmcnt(18)
	v_fma_f64 v[121:122], v[139:140], v[123:124], v[121:122]
	buffer_load_dword v134, off, s[0:3], 0 offset:332
	buffer_load_dword v135, off, s[0:3], 0 offset:352
	;; [unrolled: 1-line block ×7, first 2 shown]
	s_waitcnt vmcnt(23) lgkmcnt(0)
	v_fma_f64 v[121:122], v[141:142], v[125:126], v[121:122]
	s_waitcnt vmcnt(18)
	v_fma_f64 v[141:142], v[143:144], v[127:128], v[121:122]
	ds_read_b128 v[121:124], v120 offset:752
	ds_read_b128 v[125:128], v120 offset:768
	buffer_load_dword v136, off, s[0:3], 0 offset:356
	s_waitcnt vmcnt(18) lgkmcnt(1)
	v_fma_f64 v[121:122], v[149:150], v[121:122], v[141:142]
	s_waitcnt vmcnt(17)
	v_fma_f64 v[121:122], v[147:148], v[123:124], v[121:122]
	buffer_load_dword v142, off, s[0:3], 0 offset:364
	buffer_load_dword v143, off, s[0:3], 0 offset:384
	;; [unrolled: 1-line block ×7, first 2 shown]
	s_waitcnt vmcnt(23) lgkmcnt(0)
	v_fma_f64 v[121:122], v[145:146], v[125:126], v[121:122]
	s_waitcnt vmcnt(18)
	v_fma_f64 v[129:130], v[129:130], v[127:128], v[121:122]
	ds_read_b128 v[121:124], v120 offset:784
	ds_read_b128 v[125:128], v120 offset:800
	buffer_load_dword v144, off, s[0:3], 0 offset:388
	s_waitcnt vmcnt(18) lgkmcnt(1)
	v_fma_f64 v[121:122], v[153:154], v[121:122], v[129:130]
	s_waitcnt vmcnt(17)
	v_fma_f64 v[121:122], v[151:152], v[123:124], v[121:122]
	buffer_load_dword v130, off, s[0:3], 0 offset:396
	buffer_load_dword v145, off, s[0:3], 0 offset:416
	;; [unrolled: 1-line block ×8, first 2 shown]
	s_waitcnt vmcnt(24) lgkmcnt(0)
	v_fma_f64 v[121:122], v[131:132], v[125:126], v[121:122]
	s_waitcnt vmcnt(19)
	v_fma_f64 v[131:132], v[133:134], v[127:128], v[121:122]
	ds_read_b128 v[121:124], v120 offset:816
	ds_read_b128 v[125:128], v120 offset:832
	s_waitcnt vmcnt(18) lgkmcnt(1)
	v_fma_f64 v[121:122], v[139:140], v[121:122], v[131:132]
	s_waitcnt vmcnt(17)
	v_fma_f64 v[121:122], v[137:138], v[123:124], v[121:122]
	buffer_load_dword v132, off, s[0:3], 0 offset:428
	buffer_load_dword v133, off, s[0:3], 0 offset:448
	;; [unrolled: 1-line block ×7, first 2 shown]
	s_waitcnt vmcnt(23) lgkmcnt(0)
	v_fma_f64 v[121:122], v[135:136], v[125:126], v[121:122]
	s_waitcnt vmcnt(18)
	v_fma_f64 v[134:135], v[141:142], v[127:128], v[121:122]
	ds_read_b128 v[121:124], v120 offset:848
	ds_read_b128 v[125:128], v120 offset:864
	s_waitcnt vmcnt(17) lgkmcnt(1)
	v_fma_f64 v[121:122], v[149:150], v[121:122], v[134:135]
	buffer_load_dword v134, off, s[0:3], 0 offset:452
	buffer_load_dword v136, off, s[0:3], 0 offset:460
	;; [unrolled: 1-line block ×5, first 2 shown]
	s_waitcnt vmcnt(21)
	v_fma_f64 v[121:122], v[147:148], v[123:124], v[121:122]
	s_waitcnt vmcnt(20) lgkmcnt(0)
	v_fma_f64 v[121:122], v[143:144], v[125:126], v[121:122]
	buffer_load_dword v143, off, s[0:3], 0 offset:200
	buffer_load_dword v144, off, s[0:3], 0 offset:204
	s_waitcnt vmcnt(17)
	v_fma_f64 v[129:130], v[129:130], v[127:128], v[121:122]
	ds_read_b128 v[121:124], v120 offset:880
	ds_read_b128 v[125:128], v120 offset:896
	s_waitcnt vmcnt(16) lgkmcnt(1)
	v_fma_f64 v[121:122], v[153:154], v[121:122], v[129:130]
	s_waitcnt vmcnt(15)
	v_fma_f64 v[121:122], v[151:152], v[123:124], v[121:122]
	s_waitcnt vmcnt(14) lgkmcnt(0)
	v_fma_f64 v[121:122], v[145:146], v[125:126], v[121:122]
	s_waitcnt vmcnt(9)
	v_fma_f64 v[129:130], v[131:132], v[127:128], v[121:122]
	ds_read_b128 v[121:124], v120 offset:912
	ds_read_b128 v[125:128], v120 offset:928
	s_waitcnt vmcnt(8) lgkmcnt(1)
	v_fma_f64 v[121:122], v[139:140], v[121:122], v[129:130]
	s_waitcnt vmcnt(7)
	v_fma_f64 v[121:122], v[137:138], v[123:124], v[121:122]
	ds_read_b64 v[123:124], v120 offset:944
	s_waitcnt vmcnt(6) lgkmcnt(1)
	v_fma_f64 v[121:122], v[133:134], v[125:126], v[121:122]
	s_waitcnt vmcnt(3)
	v_fma_f64 v[121:122], v[135:136], v[127:128], v[121:122]
	s_waitcnt vmcnt(2) lgkmcnt(0)
	v_fma_f64 v[121:122], v[141:142], v[123:124], v[121:122]
	s_waitcnt vmcnt(0)
	v_add_f64 v[121:122], v[143:144], -v[121:122]
	buffer_store_dword v122, off, s[0:3], 0 offset:204
	buffer_store_dword v121, off, s[0:3], 0 offset:200
	s_and_saveexec_b64 s[4:5], vcc
	s_cbranch_execz .LBB58_313
; %bb.312:
	buffer_load_dword v121, off, s[0:3], 0 offset:192
	buffer_load_dword v122, off, s[0:3], 0 offset:196
	s_waitcnt vmcnt(0)
	ds_write_b64 v119, v[121:122]
	buffer_store_dword v120, off, s[0:3], 0 offset:192
	buffer_store_dword v120, off, s[0:3], 0 offset:196
.LBB58_313:
	s_or_b64 exec, exec, s[4:5]
	s_waitcnt lgkmcnt(0)
	; wave barrier
	buffer_load_dword v129, off, s[0:3], 0 offset:200
	buffer_load_dword v130, off, s[0:3], 0 offset:204
	;; [unrolled: 1-line block ×21, first 2 shown]
	ds_read2_b64 v[121:124], v120 offset0:85 offset1:86
	ds_read2_b64 v[125:128], v120 offset0:87 offset1:88
	buffer_load_dword v146, off, s[0:3], 0 offset:284
	v_cmp_lt_u32_e32 vcc, 23, v0
	s_waitcnt vmcnt(20) lgkmcnt(1)
	v_fma_f64 v[121:122], v[129:130], v[121:122], 0
	s_waitcnt vmcnt(18)
	v_fma_f64 v[121:122], v[131:132], v[123:124], v[121:122]
	buffer_load_dword v130, off, s[0:3], 0 offset:292
	buffer_load_dword v131, off, s[0:3], 0 offset:312
	;; [unrolled: 1-line block ×7, first 2 shown]
	s_waitcnt vmcnt(23) lgkmcnt(0)
	v_fma_f64 v[121:122], v[133:134], v[125:126], v[121:122]
	s_waitcnt vmcnt(21)
	v_fma_f64 v[132:133], v[135:136], v[127:128], v[121:122]
	ds_read2_b64 v[121:124], v120 offset0:89 offset1:90
	ds_read2_b64 v[125:128], v120 offset0:91 offset1:92
	s_waitcnt vmcnt(19) lgkmcnt(1)
	v_fma_f64 v[121:122], v[137:138], v[121:122], v[132:133]
	buffer_load_dword v132, off, s[0:3], 0 offset:316
	s_waitcnt vmcnt(18)
	v_fma_f64 v[121:122], v[139:140], v[123:124], v[121:122]
	buffer_load_dword v134, off, s[0:3], 0 offset:324
	buffer_load_dword v135, off, s[0:3], 0 offset:344
	;; [unrolled: 1-line block ×8, first 2 shown]
	s_waitcnt vmcnt(24) lgkmcnt(0)
	v_fma_f64 v[121:122], v[141:142], v[125:126], v[121:122]
	s_waitcnt vmcnt(19)
	v_fma_f64 v[141:142], v[143:144], v[127:128], v[121:122]
	ds_read2_b64 v[121:124], v120 offset0:93 offset1:94
	ds_read2_b64 v[125:128], v120 offset0:95 offset1:96
	s_waitcnt vmcnt(18) lgkmcnt(1)
	v_fma_f64 v[121:122], v[149:150], v[121:122], v[141:142]
	s_waitcnt vmcnt(17)
	v_fma_f64 v[121:122], v[147:148], v[123:124], v[121:122]
	buffer_load_dword v142, off, s[0:3], 0 offset:356
	buffer_load_dword v143, off, s[0:3], 0 offset:376
	;; [unrolled: 1-line block ×7, first 2 shown]
	s_waitcnt vmcnt(23) lgkmcnt(0)
	v_fma_f64 v[121:122], v[145:146], v[125:126], v[121:122]
	s_waitcnt vmcnt(18)
	v_fma_f64 v[129:130], v[129:130], v[127:128], v[121:122]
	ds_read2_b64 v[121:124], v120 offset0:97 offset1:98
	ds_read2_b64 v[125:128], v120 offset0:99 offset1:100
	buffer_load_dword v144, off, s[0:3], 0 offset:380
	s_waitcnt vmcnt(18) lgkmcnt(1)
	v_fma_f64 v[121:122], v[153:154], v[121:122], v[129:130]
	s_waitcnt vmcnt(17)
	v_fma_f64 v[121:122], v[151:152], v[123:124], v[121:122]
	buffer_load_dword v130, off, s[0:3], 0 offset:388
	buffer_load_dword v145, off, s[0:3], 0 offset:408
	;; [unrolled: 1-line block ×8, first 2 shown]
	s_waitcnt vmcnt(24) lgkmcnt(0)
	v_fma_f64 v[121:122], v[131:132], v[125:126], v[121:122]
	s_waitcnt vmcnt(19)
	v_fma_f64 v[131:132], v[133:134], v[127:128], v[121:122]
	ds_read2_b64 v[121:124], v120 offset0:101 offset1:102
	ds_read2_b64 v[125:128], v120 offset0:103 offset1:104
	s_waitcnt vmcnt(18) lgkmcnt(1)
	v_fma_f64 v[121:122], v[139:140], v[121:122], v[131:132]
	s_waitcnt vmcnt(17)
	v_fma_f64 v[121:122], v[137:138], v[123:124], v[121:122]
	buffer_load_dword v132, off, s[0:3], 0 offset:420
	buffer_load_dword v133, off, s[0:3], 0 offset:440
	;; [unrolled: 1-line block ×7, first 2 shown]
	s_waitcnt vmcnt(23) lgkmcnt(0)
	v_fma_f64 v[121:122], v[135:136], v[125:126], v[121:122]
	s_waitcnt vmcnt(18)
	v_fma_f64 v[134:135], v[141:142], v[127:128], v[121:122]
	ds_read2_b64 v[121:124], v120 offset0:105 offset1:106
	ds_read2_b64 v[125:128], v120 offset0:107 offset1:108
	s_waitcnt vmcnt(17) lgkmcnt(1)
	v_fma_f64 v[121:122], v[149:150], v[121:122], v[134:135]
	buffer_load_dword v134, off, s[0:3], 0 offset:444
	s_waitcnt vmcnt(17)
	v_fma_f64 v[121:122], v[147:148], v[123:124], v[121:122]
	buffer_load_dword v136, off, s[0:3], 0 offset:452
	buffer_load_dword v141, off, s[0:3], 0 offset:464
	;; [unrolled: 1-line block ×6, first 2 shown]
	s_waitcnt vmcnt(22) lgkmcnt(0)
	v_fma_f64 v[121:122], v[143:144], v[125:126], v[121:122]
	s_waitcnt vmcnt(17)
	v_fma_f64 v[129:130], v[129:130], v[127:128], v[121:122]
	ds_read2_b64 v[121:124], v120 offset0:109 offset1:110
	buffer_load_dword v143, off, s[0:3], 0 offset:192
	buffer_load_dword v144, off, s[0:3], 0 offset:196
	ds_read2_b64 v[125:128], v120 offset0:111 offset1:112
	s_waitcnt vmcnt(18) lgkmcnt(1)
	v_fma_f64 v[121:122], v[153:154], v[121:122], v[129:130]
	s_waitcnt vmcnt(17)
	v_fma_f64 v[121:122], v[151:152], v[123:124], v[121:122]
	s_waitcnt vmcnt(16) lgkmcnt(0)
	v_fma_f64 v[121:122], v[145:146], v[125:126], v[121:122]
	s_waitcnt vmcnt(11)
	v_fma_f64 v[129:130], v[131:132], v[127:128], v[121:122]
	ds_read2_b64 v[121:124], v120 offset0:113 offset1:114
	ds_read2_b64 v[125:128], v120 offset0:115 offset1:116
	s_waitcnt vmcnt(10) lgkmcnt(1)
	v_fma_f64 v[121:122], v[139:140], v[121:122], v[129:130]
	s_waitcnt vmcnt(9)
	v_fma_f64 v[121:122], v[137:138], v[123:124], v[121:122]
	s_waitcnt vmcnt(8) lgkmcnt(0)
	v_fma_f64 v[121:122], v[133:134], v[125:126], v[121:122]
	s_waitcnt vmcnt(4)
	v_fma_f64 v[124:125], v[135:136], v[127:128], v[121:122]
	ds_read2_b64 v[120:123], v120 offset0:117 offset1:118
	s_waitcnt vmcnt(3) lgkmcnt(0)
	v_fma_f64 v[120:121], v[147:148], v[120:121], v[124:125]
	s_waitcnt vmcnt(2)
	v_fma_f64 v[120:121], v[141:142], v[122:123], v[120:121]
	s_waitcnt vmcnt(0)
	v_add_f64 v[120:121], v[143:144], -v[120:121]
	buffer_store_dword v121, off, s[0:3], 0 offset:196
	buffer_store_dword v120, off, s[0:3], 0 offset:192
	s_and_saveexec_b64 s[4:5], vcc
	s_cbranch_execz .LBB58_315
; %bb.314:
	buffer_load_dword v120, off, s[0:3], 0 offset:184
	buffer_load_dword v121, off, s[0:3], 0 offset:188
	v_mov_b32_e32 v122, 0
	buffer_store_dword v122, off, s[0:3], 0 offset:184
	buffer_store_dword v122, off, s[0:3], 0 offset:188
	s_waitcnt vmcnt(2)
	ds_write_b64 v119, v[120:121]
.LBB58_315:
	s_or_b64 exec, exec, s[4:5]
	s_waitcnt lgkmcnt(0)
	; wave barrier
	buffer_load_dword v129, off, s[0:3], 0 offset:192
	buffer_load_dword v130, off, s[0:3], 0 offset:196
	;; [unrolled: 1-line block ×21, first 2 shown]
	v_mov_b32_e32 v120, 0
	ds_read_b128 v[121:124], v120 offset:672
	ds_read_b128 v[125:128], v120 offset:688
	buffer_load_dword v146, off, s[0:3], 0 offset:276
	v_cmp_lt_u32_e32 vcc, 22, v0
	s_waitcnt vmcnt(20) lgkmcnt(1)
	v_fma_f64 v[121:122], v[129:130], v[121:122], 0
	s_waitcnt vmcnt(18)
	v_fma_f64 v[121:122], v[131:132], v[123:124], v[121:122]
	buffer_load_dword v130, off, s[0:3], 0 offset:284
	buffer_load_dword v131, off, s[0:3], 0 offset:304
	;; [unrolled: 1-line block ×7, first 2 shown]
	s_waitcnt vmcnt(23) lgkmcnt(0)
	v_fma_f64 v[121:122], v[133:134], v[125:126], v[121:122]
	s_waitcnt vmcnt(21)
	v_fma_f64 v[132:133], v[135:136], v[127:128], v[121:122]
	ds_read_b128 v[121:124], v120 offset:704
	ds_read_b128 v[125:128], v120 offset:720
	s_waitcnt vmcnt(19) lgkmcnt(1)
	v_fma_f64 v[121:122], v[137:138], v[121:122], v[132:133]
	buffer_load_dword v132, off, s[0:3], 0 offset:308
	s_waitcnt vmcnt(18)
	v_fma_f64 v[121:122], v[139:140], v[123:124], v[121:122]
	buffer_load_dword v134, off, s[0:3], 0 offset:316
	buffer_load_dword v135, off, s[0:3], 0 offset:336
	;; [unrolled: 1-line block ×8, first 2 shown]
	s_waitcnt vmcnt(24) lgkmcnt(0)
	v_fma_f64 v[121:122], v[141:142], v[125:126], v[121:122]
	s_waitcnt vmcnt(19)
	v_fma_f64 v[141:142], v[143:144], v[127:128], v[121:122]
	ds_read_b128 v[121:124], v120 offset:736
	ds_read_b128 v[125:128], v120 offset:752
	s_waitcnt vmcnt(18) lgkmcnt(1)
	v_fma_f64 v[121:122], v[149:150], v[121:122], v[141:142]
	s_waitcnt vmcnt(17)
	v_fma_f64 v[121:122], v[147:148], v[123:124], v[121:122]
	buffer_load_dword v142, off, s[0:3], 0 offset:348
	buffer_load_dword v143, off, s[0:3], 0 offset:368
	;; [unrolled: 1-line block ×7, first 2 shown]
	s_waitcnt vmcnt(23) lgkmcnt(0)
	v_fma_f64 v[121:122], v[145:146], v[125:126], v[121:122]
	s_waitcnt vmcnt(18)
	v_fma_f64 v[129:130], v[129:130], v[127:128], v[121:122]
	ds_read_b128 v[121:124], v120 offset:768
	ds_read_b128 v[125:128], v120 offset:784
	buffer_load_dword v144, off, s[0:3], 0 offset:372
	s_waitcnt vmcnt(18) lgkmcnt(1)
	v_fma_f64 v[121:122], v[153:154], v[121:122], v[129:130]
	s_waitcnt vmcnt(17)
	v_fma_f64 v[121:122], v[151:152], v[123:124], v[121:122]
	buffer_load_dword v130, off, s[0:3], 0 offset:380
	buffer_load_dword v145, off, s[0:3], 0 offset:400
	;; [unrolled: 1-line block ×8, first 2 shown]
	s_waitcnt vmcnt(24) lgkmcnt(0)
	v_fma_f64 v[121:122], v[131:132], v[125:126], v[121:122]
	s_waitcnt vmcnt(19)
	v_fma_f64 v[131:132], v[133:134], v[127:128], v[121:122]
	ds_read_b128 v[121:124], v120 offset:800
	ds_read_b128 v[125:128], v120 offset:816
	s_waitcnt vmcnt(18) lgkmcnt(1)
	v_fma_f64 v[121:122], v[139:140], v[121:122], v[131:132]
	s_waitcnt vmcnt(17)
	v_fma_f64 v[121:122], v[137:138], v[123:124], v[121:122]
	buffer_load_dword v132, off, s[0:3], 0 offset:412
	buffer_load_dword v133, off, s[0:3], 0 offset:432
	;; [unrolled: 1-line block ×7, first 2 shown]
	s_waitcnt vmcnt(23) lgkmcnt(0)
	v_fma_f64 v[121:122], v[135:136], v[125:126], v[121:122]
	s_waitcnt vmcnt(18)
	v_fma_f64 v[134:135], v[141:142], v[127:128], v[121:122]
	ds_read_b128 v[121:124], v120 offset:832
	ds_read_b128 v[125:128], v120 offset:848
	s_waitcnt vmcnt(17) lgkmcnt(1)
	v_fma_f64 v[121:122], v[149:150], v[121:122], v[134:135]
	buffer_load_dword v134, off, s[0:3], 0 offset:436
	s_waitcnt vmcnt(17)
	v_fma_f64 v[121:122], v[147:148], v[123:124], v[121:122]
	buffer_load_dword v136, off, s[0:3], 0 offset:444
	buffer_load_dword v141, off, s[0:3], 0 offset:464
	;; [unrolled: 1-line block ×8, first 2 shown]
	s_waitcnt vmcnt(24) lgkmcnt(0)
	v_fma_f64 v[121:122], v[143:144], v[125:126], v[121:122]
	s_waitcnt vmcnt(19)
	v_fma_f64 v[129:130], v[129:130], v[127:128], v[121:122]
	ds_read_b128 v[121:124], v120 offset:864
	ds_read_b128 v[125:128], v120 offset:880
	s_waitcnt vmcnt(18) lgkmcnt(1)
	v_fma_f64 v[121:122], v[153:154], v[121:122], v[129:130]
	buffer_load_dword v129, off, s[0:3], 0 offset:184
	buffer_load_dword v130, off, s[0:3], 0 offset:188
	s_waitcnt vmcnt(19)
	v_fma_f64 v[121:122], v[151:152], v[123:124], v[121:122]
	s_waitcnt vmcnt(18) lgkmcnt(0)
	v_fma_f64 v[121:122], v[145:146], v[125:126], v[121:122]
	s_waitcnt vmcnt(13)
	v_fma_f64 v[131:132], v[131:132], v[127:128], v[121:122]
	ds_read_b128 v[121:124], v120 offset:896
	ds_read_b128 v[125:128], v120 offset:912
	s_waitcnt vmcnt(12) lgkmcnt(1)
	v_fma_f64 v[121:122], v[139:140], v[121:122], v[131:132]
	s_waitcnt vmcnt(11)
	v_fma_f64 v[121:122], v[137:138], v[123:124], v[121:122]
	s_waitcnt vmcnt(10) lgkmcnt(0)
	v_fma_f64 v[121:122], v[133:134], v[125:126], v[121:122]
	s_waitcnt vmcnt(5)
	v_fma_f64 v[125:126], v[135:136], v[127:128], v[121:122]
	ds_read_b128 v[121:124], v120 offset:928
	ds_read_b64 v[127:128], v120 offset:944
	s_waitcnt vmcnt(4) lgkmcnt(1)
	v_fma_f64 v[121:122], v[149:150], v[121:122], v[125:126]
	s_waitcnt vmcnt(3)
	v_fma_f64 v[121:122], v[147:148], v[123:124], v[121:122]
	s_waitcnt vmcnt(2) lgkmcnt(0)
	v_fma_f64 v[121:122], v[141:142], v[127:128], v[121:122]
	s_waitcnt vmcnt(0)
	v_add_f64 v[121:122], v[129:130], -v[121:122]
	buffer_store_dword v122, off, s[0:3], 0 offset:188
	buffer_store_dword v121, off, s[0:3], 0 offset:184
	s_and_saveexec_b64 s[4:5], vcc
	s_cbranch_execz .LBB58_317
; %bb.316:
	buffer_load_dword v121, off, s[0:3], 0 offset:176
	buffer_load_dword v122, off, s[0:3], 0 offset:180
	s_waitcnt vmcnt(0)
	ds_write_b64 v119, v[121:122]
	buffer_store_dword v120, off, s[0:3], 0 offset:176
	buffer_store_dword v120, off, s[0:3], 0 offset:180
.LBB58_317:
	s_or_b64 exec, exec, s[4:5]
	s_waitcnt lgkmcnt(0)
	; wave barrier
	buffer_load_dword v129, off, s[0:3], 0 offset:184
	buffer_load_dword v130, off, s[0:3], 0 offset:188
	;; [unrolled: 1-line block ×21, first 2 shown]
	ds_read2_b64 v[121:124], v120 offset0:83 offset1:84
	ds_read2_b64 v[125:128], v120 offset0:85 offset1:86
	buffer_load_dword v146, off, s[0:3], 0 offset:268
	v_cmp_lt_u32_e32 vcc, 21, v0
	s_waitcnt vmcnt(20) lgkmcnt(1)
	v_fma_f64 v[121:122], v[129:130], v[121:122], 0
	s_waitcnt vmcnt(18)
	v_fma_f64 v[121:122], v[131:132], v[123:124], v[121:122]
	buffer_load_dword v130, off, s[0:3], 0 offset:276
	buffer_load_dword v131, off, s[0:3], 0 offset:296
	;; [unrolled: 1-line block ×7, first 2 shown]
	s_waitcnt vmcnt(23) lgkmcnt(0)
	v_fma_f64 v[121:122], v[133:134], v[125:126], v[121:122]
	s_waitcnt vmcnt(21)
	v_fma_f64 v[132:133], v[135:136], v[127:128], v[121:122]
	ds_read2_b64 v[121:124], v120 offset0:87 offset1:88
	ds_read2_b64 v[125:128], v120 offset0:89 offset1:90
	s_waitcnt vmcnt(19) lgkmcnt(1)
	v_fma_f64 v[121:122], v[137:138], v[121:122], v[132:133]
	buffer_load_dword v132, off, s[0:3], 0 offset:300
	s_waitcnt vmcnt(18)
	v_fma_f64 v[121:122], v[139:140], v[123:124], v[121:122]
	buffer_load_dword v134, off, s[0:3], 0 offset:308
	buffer_load_dword v135, off, s[0:3], 0 offset:328
	;; [unrolled: 1-line block ×8, first 2 shown]
	s_waitcnt vmcnt(24) lgkmcnt(0)
	v_fma_f64 v[121:122], v[141:142], v[125:126], v[121:122]
	s_waitcnt vmcnt(19)
	v_fma_f64 v[141:142], v[143:144], v[127:128], v[121:122]
	ds_read2_b64 v[121:124], v120 offset0:91 offset1:92
	ds_read2_b64 v[125:128], v120 offset0:93 offset1:94
	s_waitcnt vmcnt(18) lgkmcnt(1)
	v_fma_f64 v[121:122], v[149:150], v[121:122], v[141:142]
	s_waitcnt vmcnt(17)
	v_fma_f64 v[121:122], v[147:148], v[123:124], v[121:122]
	buffer_load_dword v142, off, s[0:3], 0 offset:340
	buffer_load_dword v143, off, s[0:3], 0 offset:360
	;; [unrolled: 1-line block ×7, first 2 shown]
	s_waitcnt vmcnt(23) lgkmcnt(0)
	v_fma_f64 v[121:122], v[145:146], v[125:126], v[121:122]
	s_waitcnt vmcnt(18)
	v_fma_f64 v[129:130], v[129:130], v[127:128], v[121:122]
	ds_read2_b64 v[121:124], v120 offset0:95 offset1:96
	ds_read2_b64 v[125:128], v120 offset0:97 offset1:98
	buffer_load_dword v144, off, s[0:3], 0 offset:364
	s_waitcnt vmcnt(18) lgkmcnt(1)
	v_fma_f64 v[121:122], v[153:154], v[121:122], v[129:130]
	s_waitcnt vmcnt(17)
	v_fma_f64 v[121:122], v[151:152], v[123:124], v[121:122]
	buffer_load_dword v130, off, s[0:3], 0 offset:372
	buffer_load_dword v145, off, s[0:3], 0 offset:392
	buffer_load_dword v151, off, s[0:3], 0 offset:384
	buffer_load_dword v153, off, s[0:3], 0 offset:376
	buffer_load_dword v129, off, s[0:3], 0 offset:368
	buffer_load_dword v154, off, s[0:3], 0 offset:380
	buffer_load_dword v152, off, s[0:3], 0 offset:388
	buffer_load_dword v146, off, s[0:3], 0 offset:396
	s_waitcnt vmcnt(24) lgkmcnt(0)
	v_fma_f64 v[121:122], v[131:132], v[125:126], v[121:122]
	s_waitcnt vmcnt(19)
	v_fma_f64 v[131:132], v[133:134], v[127:128], v[121:122]
	ds_read2_b64 v[121:124], v120 offset0:99 offset1:100
	ds_read2_b64 v[125:128], v120 offset0:101 offset1:102
	s_waitcnt vmcnt(18) lgkmcnt(1)
	v_fma_f64 v[121:122], v[139:140], v[121:122], v[131:132]
	s_waitcnt vmcnt(17)
	v_fma_f64 v[121:122], v[137:138], v[123:124], v[121:122]
	buffer_load_dword v132, off, s[0:3], 0 offset:404
	buffer_load_dword v133, off, s[0:3], 0 offset:424
	;; [unrolled: 1-line block ×7, first 2 shown]
	s_waitcnt vmcnt(23) lgkmcnt(0)
	v_fma_f64 v[121:122], v[135:136], v[125:126], v[121:122]
	s_waitcnt vmcnt(18)
	v_fma_f64 v[134:135], v[141:142], v[127:128], v[121:122]
	ds_read2_b64 v[121:124], v120 offset0:103 offset1:104
	ds_read2_b64 v[125:128], v120 offset0:105 offset1:106
	s_waitcnt vmcnt(17) lgkmcnt(1)
	v_fma_f64 v[121:122], v[149:150], v[121:122], v[134:135]
	buffer_load_dword v134, off, s[0:3], 0 offset:428
	s_waitcnt vmcnt(17)
	v_fma_f64 v[121:122], v[147:148], v[123:124], v[121:122]
	buffer_load_dword v136, off, s[0:3], 0 offset:436
	buffer_load_dword v141, off, s[0:3], 0 offset:456
	;; [unrolled: 1-line block ×8, first 2 shown]
	s_waitcnt vmcnt(24) lgkmcnt(0)
	v_fma_f64 v[121:122], v[143:144], v[125:126], v[121:122]
	s_waitcnt vmcnt(19)
	v_fma_f64 v[129:130], v[129:130], v[127:128], v[121:122]
	ds_read2_b64 v[121:124], v120 offset0:107 offset1:108
	ds_read2_b64 v[125:128], v120 offset0:109 offset1:110
	s_waitcnt vmcnt(18) lgkmcnt(1)
	v_fma_f64 v[121:122], v[153:154], v[121:122], v[129:130]
	buffer_load_dword v130, off, s[0:3], 0 offset:468
	buffer_load_dword v129, off, s[0:3], 0 offset:464
	;; [unrolled: 1-line block ×4, first 2 shown]
	s_waitcnt vmcnt(21)
	v_fma_f64 v[121:122], v[151:152], v[123:124], v[121:122]
	s_waitcnt vmcnt(20) lgkmcnt(0)
	v_fma_f64 v[121:122], v[145:146], v[125:126], v[121:122]
	s_waitcnt vmcnt(15)
	v_fma_f64 v[131:132], v[131:132], v[127:128], v[121:122]
	ds_read2_b64 v[121:124], v120 offset0:111 offset1:112
	ds_read2_b64 v[125:128], v120 offset0:113 offset1:114
	s_waitcnt vmcnt(14) lgkmcnt(1)
	v_fma_f64 v[121:122], v[139:140], v[121:122], v[131:132]
	s_waitcnt vmcnt(13)
	v_fma_f64 v[121:122], v[137:138], v[123:124], v[121:122]
	s_waitcnt vmcnt(12) lgkmcnt(0)
	v_fma_f64 v[121:122], v[133:134], v[125:126], v[121:122]
	s_waitcnt vmcnt(7)
	v_fma_f64 v[131:132], v[135:136], v[127:128], v[121:122]
	ds_read2_b64 v[121:124], v120 offset0:115 offset1:116
	ds_read2_b64 v[125:128], v120 offset0:117 offset1:118
	s_waitcnt vmcnt(6) lgkmcnt(1)
	v_fma_f64 v[120:121], v[149:150], v[121:122], v[131:132]
	s_waitcnt vmcnt(5)
	v_fma_f64 v[120:121], v[147:148], v[123:124], v[120:121]
	s_waitcnt vmcnt(4) lgkmcnt(0)
	v_fma_f64 v[120:121], v[141:142], v[125:126], v[120:121]
	s_waitcnt vmcnt(2)
	v_fma_f64 v[120:121], v[129:130], v[127:128], v[120:121]
	s_waitcnt vmcnt(0)
	v_add_f64 v[120:121], v[143:144], -v[120:121]
	buffer_store_dword v121, off, s[0:3], 0 offset:180
	buffer_store_dword v120, off, s[0:3], 0 offset:176
	s_and_saveexec_b64 s[4:5], vcc
	s_cbranch_execz .LBB58_319
; %bb.318:
	buffer_load_dword v120, off, s[0:3], 0 offset:168
	buffer_load_dword v121, off, s[0:3], 0 offset:172
	v_mov_b32_e32 v122, 0
	buffer_store_dword v122, off, s[0:3], 0 offset:168
	buffer_store_dword v122, off, s[0:3], 0 offset:172
	s_waitcnt vmcnt(2)
	ds_write_b64 v119, v[120:121]
.LBB58_319:
	s_or_b64 exec, exec, s[4:5]
	s_waitcnt lgkmcnt(0)
	; wave barrier
	buffer_load_dword v129, off, s[0:3], 0 offset:176
	buffer_load_dword v130, off, s[0:3], 0 offset:180
	;; [unrolled: 1-line block ×21, first 2 shown]
	v_mov_b32_e32 v120, 0
	ds_read_b128 v[121:124], v120 offset:656
	ds_read_b128 v[125:128], v120 offset:672
	buffer_load_dword v146, off, s[0:3], 0 offset:260
	v_cmp_lt_u32_e32 vcc, 20, v0
	s_waitcnt vmcnt(20) lgkmcnt(1)
	v_fma_f64 v[121:122], v[129:130], v[121:122], 0
	s_waitcnt vmcnt(18)
	v_fma_f64 v[121:122], v[131:132], v[123:124], v[121:122]
	buffer_load_dword v130, off, s[0:3], 0 offset:268
	buffer_load_dword v131, off, s[0:3], 0 offset:288
	;; [unrolled: 1-line block ×7, first 2 shown]
	s_waitcnt vmcnt(23) lgkmcnt(0)
	v_fma_f64 v[121:122], v[133:134], v[125:126], v[121:122]
	s_waitcnt vmcnt(21)
	v_fma_f64 v[132:133], v[135:136], v[127:128], v[121:122]
	ds_read_b128 v[121:124], v120 offset:688
	ds_read_b128 v[125:128], v120 offset:704
	s_waitcnt vmcnt(19) lgkmcnt(1)
	v_fma_f64 v[121:122], v[137:138], v[121:122], v[132:133]
	buffer_load_dword v132, off, s[0:3], 0 offset:292
	s_waitcnt vmcnt(18)
	v_fma_f64 v[121:122], v[139:140], v[123:124], v[121:122]
	buffer_load_dword v134, off, s[0:3], 0 offset:300
	buffer_load_dword v135, off, s[0:3], 0 offset:320
	;; [unrolled: 1-line block ×8, first 2 shown]
	s_waitcnt vmcnt(24) lgkmcnt(0)
	v_fma_f64 v[121:122], v[141:142], v[125:126], v[121:122]
	s_waitcnt vmcnt(19)
	v_fma_f64 v[141:142], v[143:144], v[127:128], v[121:122]
	ds_read_b128 v[121:124], v120 offset:720
	ds_read_b128 v[125:128], v120 offset:736
	s_waitcnt vmcnt(18) lgkmcnt(1)
	v_fma_f64 v[121:122], v[149:150], v[121:122], v[141:142]
	s_waitcnt vmcnt(17)
	v_fma_f64 v[121:122], v[147:148], v[123:124], v[121:122]
	buffer_load_dword v142, off, s[0:3], 0 offset:332
	buffer_load_dword v143, off, s[0:3], 0 offset:352
	;; [unrolled: 1-line block ×7, first 2 shown]
	s_waitcnt vmcnt(23) lgkmcnt(0)
	v_fma_f64 v[121:122], v[145:146], v[125:126], v[121:122]
	s_waitcnt vmcnt(18)
	v_fma_f64 v[129:130], v[129:130], v[127:128], v[121:122]
	ds_read_b128 v[121:124], v120 offset:752
	ds_read_b128 v[125:128], v120 offset:768
	buffer_load_dword v144, off, s[0:3], 0 offset:356
	s_waitcnt vmcnt(18) lgkmcnt(1)
	v_fma_f64 v[121:122], v[153:154], v[121:122], v[129:130]
	s_waitcnt vmcnt(17)
	v_fma_f64 v[121:122], v[151:152], v[123:124], v[121:122]
	buffer_load_dword v130, off, s[0:3], 0 offset:364
	buffer_load_dword v145, off, s[0:3], 0 offset:384
	;; [unrolled: 1-line block ×7, first 2 shown]
	s_waitcnt vmcnt(23) lgkmcnt(0)
	v_fma_f64 v[121:122], v[131:132], v[125:126], v[121:122]
	s_waitcnt vmcnt(18)
	v_fma_f64 v[131:132], v[133:134], v[127:128], v[121:122]
	ds_read_b128 v[121:124], v120 offset:784
	ds_read_b128 v[125:128], v120 offset:800
	buffer_load_dword v146, off, s[0:3], 0 offset:388
	s_waitcnt vmcnt(18) lgkmcnt(1)
	v_fma_f64 v[121:122], v[139:140], v[121:122], v[131:132]
	s_waitcnt vmcnt(17)
	v_fma_f64 v[121:122], v[137:138], v[123:124], v[121:122]
	buffer_load_dword v132, off, s[0:3], 0 offset:396
	buffer_load_dword v133, off, s[0:3], 0 offset:416
	;; [unrolled: 1-line block ×7, first 2 shown]
	s_waitcnt vmcnt(23) lgkmcnt(0)
	v_fma_f64 v[121:122], v[135:136], v[125:126], v[121:122]
	s_waitcnt vmcnt(18)
	v_fma_f64 v[134:135], v[141:142], v[127:128], v[121:122]
	ds_read_b128 v[121:124], v120 offset:816
	ds_read_b128 v[125:128], v120 offset:832
	s_waitcnt vmcnt(17) lgkmcnt(1)
	v_fma_f64 v[121:122], v[149:150], v[121:122], v[134:135]
	buffer_load_dword v134, off, s[0:3], 0 offset:420
	s_waitcnt vmcnt(17)
	v_fma_f64 v[121:122], v[147:148], v[123:124], v[121:122]
	buffer_load_dword v136, off, s[0:3], 0 offset:428
	buffer_load_dword v141, off, s[0:3], 0 offset:448
	;; [unrolled: 1-line block ×7, first 2 shown]
	s_waitcnt vmcnt(23) lgkmcnt(0)
	v_fma_f64 v[121:122], v[143:144], v[125:126], v[121:122]
	s_waitcnt vmcnt(18)
	v_fma_f64 v[129:130], v[129:130], v[127:128], v[121:122]
	ds_read_b128 v[121:124], v120 offset:848
	ds_read_b128 v[125:128], v120 offset:864
	buffer_load_dword v142, off, s[0:3], 0 offset:452
	s_waitcnt vmcnt(18) lgkmcnt(1)
	v_fma_f64 v[121:122], v[153:154], v[121:122], v[129:130]
	buffer_load_dword v130, off, s[0:3], 0 offset:460
	buffer_load_dword v143, off, s[0:3], 0 offset:464
	;; [unrolled: 1-line block ×4, first 2 shown]
	s_waitcnt vmcnt(21)
	v_fma_f64 v[121:122], v[151:152], v[123:124], v[121:122]
	s_waitcnt vmcnt(20) lgkmcnt(0)
	v_fma_f64 v[121:122], v[145:146], v[125:126], v[121:122]
	buffer_load_dword v145, off, s[0:3], 0 offset:168
	buffer_load_dword v146, off, s[0:3], 0 offset:172
	s_waitcnt vmcnt(17)
	v_fma_f64 v[131:132], v[131:132], v[127:128], v[121:122]
	ds_read_b128 v[121:124], v120 offset:880
	ds_read_b128 v[125:128], v120 offset:896
	s_waitcnt vmcnt(16) lgkmcnt(1)
	v_fma_f64 v[121:122], v[139:140], v[121:122], v[131:132]
	s_waitcnt vmcnt(15)
	v_fma_f64 v[121:122], v[137:138], v[123:124], v[121:122]
	s_waitcnt vmcnt(14) lgkmcnt(0)
	v_fma_f64 v[121:122], v[133:134], v[125:126], v[121:122]
	s_waitcnt vmcnt(9)
	v_fma_f64 v[131:132], v[135:136], v[127:128], v[121:122]
	ds_read_b128 v[121:124], v120 offset:912
	ds_read_b128 v[125:128], v120 offset:928
	s_waitcnt vmcnt(8) lgkmcnt(1)
	v_fma_f64 v[121:122], v[149:150], v[121:122], v[131:132]
	s_waitcnt vmcnt(7)
	v_fma_f64 v[121:122], v[147:148], v[123:124], v[121:122]
	ds_read_b64 v[123:124], v120 offset:944
	s_waitcnt vmcnt(6) lgkmcnt(1)
	v_fma_f64 v[121:122], v[141:142], v[125:126], v[121:122]
	s_waitcnt vmcnt(3)
	v_fma_f64 v[121:122], v[129:130], v[127:128], v[121:122]
	s_waitcnt vmcnt(2) lgkmcnt(0)
	v_fma_f64 v[121:122], v[143:144], v[123:124], v[121:122]
	s_waitcnt vmcnt(0)
	v_add_f64 v[121:122], v[145:146], -v[121:122]
	buffer_store_dword v122, off, s[0:3], 0 offset:172
	buffer_store_dword v121, off, s[0:3], 0 offset:168
	s_and_saveexec_b64 s[4:5], vcc
	s_cbranch_execz .LBB58_321
; %bb.320:
	buffer_load_dword v121, off, s[0:3], 0 offset:160
	buffer_load_dword v122, off, s[0:3], 0 offset:164
	s_waitcnt vmcnt(0)
	ds_write_b64 v119, v[121:122]
	buffer_store_dword v120, off, s[0:3], 0 offset:160
	buffer_store_dword v120, off, s[0:3], 0 offset:164
.LBB58_321:
	s_or_b64 exec, exec, s[4:5]
	s_waitcnt lgkmcnt(0)
	; wave barrier
	buffer_load_dword v129, off, s[0:3], 0 offset:168
	buffer_load_dword v130, off, s[0:3], 0 offset:172
	;; [unrolled: 1-line block ×22, first 2 shown]
	ds_read2_b64 v[121:124], v120 offset0:81 offset1:82
	ds_read2_b64 v[125:128], v120 offset0:83 offset1:84
	v_cmp_lt_u32_e32 vcc, 19, v0
	s_waitcnt vmcnt(20) lgkmcnt(1)
	v_fma_f64 v[121:122], v[129:130], v[121:122], 0
	s_waitcnt vmcnt(18)
	v_fma_f64 v[121:122], v[131:132], v[123:124], v[121:122]
	buffer_load_dword v130, off, s[0:3], 0 offset:260
	buffer_load_dword v131, off, s[0:3], 0 offset:280
	buffer_load_dword v151, off, s[0:3], 0 offset:272
	buffer_load_dword v153, off, s[0:3], 0 offset:264
	buffer_load_dword v129, off, s[0:3], 0 offset:256
	buffer_load_dword v154, off, s[0:3], 0 offset:268
	buffer_load_dword v152, off, s[0:3], 0 offset:276
	s_waitcnt vmcnt(23) lgkmcnt(0)
	v_fma_f64 v[121:122], v[133:134], v[125:126], v[121:122]
	s_waitcnt vmcnt(21)
	v_fma_f64 v[132:133], v[135:136], v[127:128], v[121:122]
	ds_read2_b64 v[121:124], v120 offset0:85 offset1:86
	ds_read2_b64 v[125:128], v120 offset0:87 offset1:88
	s_waitcnt vmcnt(19) lgkmcnt(1)
	v_fma_f64 v[121:122], v[137:138], v[121:122], v[132:133]
	buffer_load_dword v132, off, s[0:3], 0 offset:284
	s_waitcnt vmcnt(18)
	v_fma_f64 v[121:122], v[139:140], v[123:124], v[121:122]
	buffer_load_dword v134, off, s[0:3], 0 offset:292
	buffer_load_dword v135, off, s[0:3], 0 offset:312
	;; [unrolled: 1-line block ×8, first 2 shown]
	s_waitcnt vmcnt(24) lgkmcnt(0)
	v_fma_f64 v[121:122], v[141:142], v[125:126], v[121:122]
	s_waitcnt vmcnt(19)
	v_fma_f64 v[141:142], v[143:144], v[127:128], v[121:122]
	ds_read2_b64 v[121:124], v120 offset0:89 offset1:90
	ds_read2_b64 v[125:128], v120 offset0:91 offset1:92
	s_waitcnt vmcnt(18) lgkmcnt(1)
	v_fma_f64 v[121:122], v[149:150], v[121:122], v[141:142]
	s_waitcnt vmcnt(17)
	v_fma_f64 v[121:122], v[147:148], v[123:124], v[121:122]
	buffer_load_dword v142, off, s[0:3], 0 offset:324
	buffer_load_dword v143, off, s[0:3], 0 offset:344
	;; [unrolled: 1-line block ×8, first 2 shown]
	s_waitcnt vmcnt(24) lgkmcnt(0)
	v_fma_f64 v[121:122], v[145:146], v[125:126], v[121:122]
	s_waitcnt vmcnt(19)
	v_fma_f64 v[129:130], v[129:130], v[127:128], v[121:122]
	ds_read2_b64 v[121:124], v120 offset0:93 offset1:94
	ds_read2_b64 v[125:128], v120 offset0:95 offset1:96
	s_waitcnt vmcnt(18) lgkmcnt(1)
	v_fma_f64 v[121:122], v[153:154], v[121:122], v[129:130]
	s_waitcnt vmcnt(17)
	v_fma_f64 v[121:122], v[151:152], v[123:124], v[121:122]
	buffer_load_dword v130, off, s[0:3], 0 offset:356
	buffer_load_dword v145, off, s[0:3], 0 offset:376
	buffer_load_dword v151, off, s[0:3], 0 offset:368
	buffer_load_dword v153, off, s[0:3], 0 offset:360
	buffer_load_dword v129, off, s[0:3], 0 offset:352
	buffer_load_dword v154, off, s[0:3], 0 offset:364
	buffer_load_dword v152, off, s[0:3], 0 offset:372
	s_waitcnt vmcnt(23) lgkmcnt(0)
	v_fma_f64 v[121:122], v[131:132], v[125:126], v[121:122]
	s_waitcnt vmcnt(18)
	v_fma_f64 v[131:132], v[133:134], v[127:128], v[121:122]
	ds_read2_b64 v[121:124], v120 offset0:97 offset1:98
	ds_read2_b64 v[125:128], v120 offset0:99 offset1:100
	buffer_load_dword v146, off, s[0:3], 0 offset:380
	s_waitcnt vmcnt(18) lgkmcnt(1)
	v_fma_f64 v[121:122], v[139:140], v[121:122], v[131:132]
	s_waitcnt vmcnt(17)
	v_fma_f64 v[121:122], v[137:138], v[123:124], v[121:122]
	buffer_load_dword v132, off, s[0:3], 0 offset:388
	buffer_load_dword v133, off, s[0:3], 0 offset:408
	;; [unrolled: 1-line block ×7, first 2 shown]
	s_waitcnt vmcnt(23) lgkmcnt(0)
	v_fma_f64 v[121:122], v[135:136], v[125:126], v[121:122]
	s_waitcnt vmcnt(18)
	v_fma_f64 v[134:135], v[141:142], v[127:128], v[121:122]
	ds_read2_b64 v[121:124], v120 offset0:101 offset1:102
	ds_read2_b64 v[125:128], v120 offset0:103 offset1:104
	s_waitcnt vmcnt(17) lgkmcnt(1)
	v_fma_f64 v[121:122], v[149:150], v[121:122], v[134:135]
	buffer_load_dword v134, off, s[0:3], 0 offset:412
	s_waitcnt vmcnt(17)
	v_fma_f64 v[121:122], v[147:148], v[123:124], v[121:122]
	buffer_load_dword v136, off, s[0:3], 0 offset:420
	buffer_load_dword v141, off, s[0:3], 0 offset:440
	;; [unrolled: 1-line block ×8, first 2 shown]
	s_waitcnt vmcnt(24) lgkmcnt(0)
	v_fma_f64 v[121:122], v[143:144], v[125:126], v[121:122]
	s_waitcnt vmcnt(19)
	v_fma_f64 v[129:130], v[129:130], v[127:128], v[121:122]
	ds_read2_b64 v[121:124], v120 offset0:105 offset1:106
	ds_read2_b64 v[125:128], v120 offset0:107 offset1:108
	s_waitcnt vmcnt(18) lgkmcnt(1)
	v_fma_f64 v[121:122], v[153:154], v[121:122], v[129:130]
	s_waitcnt vmcnt(17)
	v_fma_f64 v[121:122], v[151:152], v[123:124], v[121:122]
	buffer_load_dword v130, off, s[0:3], 0 offset:452
	buffer_load_dword v143, off, s[0:3], 0 offset:464
	;; [unrolled: 1-line block ×6, first 2 shown]
	s_waitcnt vmcnt(22) lgkmcnt(0)
	v_fma_f64 v[121:122], v[145:146], v[125:126], v[121:122]
	s_waitcnt vmcnt(17)
	v_fma_f64 v[131:132], v[131:132], v[127:128], v[121:122]
	ds_read2_b64 v[121:124], v120 offset0:109 offset1:110
	buffer_load_dword v145, off, s[0:3], 0 offset:160
	buffer_load_dword v146, off, s[0:3], 0 offset:164
	ds_read2_b64 v[125:128], v120 offset0:111 offset1:112
	s_waitcnt vmcnt(18) lgkmcnt(1)
	v_fma_f64 v[121:122], v[139:140], v[121:122], v[131:132]
	s_waitcnt vmcnt(17)
	v_fma_f64 v[121:122], v[137:138], v[123:124], v[121:122]
	s_waitcnt vmcnt(16) lgkmcnt(0)
	v_fma_f64 v[121:122], v[133:134], v[125:126], v[121:122]
	s_waitcnt vmcnt(11)
	v_fma_f64 v[131:132], v[135:136], v[127:128], v[121:122]
	ds_read2_b64 v[121:124], v120 offset0:113 offset1:114
	ds_read2_b64 v[125:128], v120 offset0:115 offset1:116
	s_waitcnt vmcnt(10) lgkmcnt(1)
	v_fma_f64 v[121:122], v[149:150], v[121:122], v[131:132]
	s_waitcnt vmcnt(9)
	v_fma_f64 v[121:122], v[147:148], v[123:124], v[121:122]
	s_waitcnt vmcnt(8) lgkmcnt(0)
	v_fma_f64 v[121:122], v[141:142], v[125:126], v[121:122]
	s_waitcnt vmcnt(4)
	v_fma_f64 v[124:125], v[129:130], v[127:128], v[121:122]
	ds_read2_b64 v[120:123], v120 offset0:117 offset1:118
	s_waitcnt vmcnt(3) lgkmcnt(0)
	v_fma_f64 v[120:121], v[151:152], v[120:121], v[124:125]
	s_waitcnt vmcnt(2)
	v_fma_f64 v[120:121], v[143:144], v[122:123], v[120:121]
	s_waitcnt vmcnt(0)
	v_add_f64 v[120:121], v[145:146], -v[120:121]
	buffer_store_dword v121, off, s[0:3], 0 offset:164
	buffer_store_dword v120, off, s[0:3], 0 offset:160
	s_and_saveexec_b64 s[4:5], vcc
	s_cbranch_execz .LBB58_323
; %bb.322:
	buffer_load_dword v120, off, s[0:3], 0 offset:152
	buffer_load_dword v121, off, s[0:3], 0 offset:156
	v_mov_b32_e32 v122, 0
	buffer_store_dword v122, off, s[0:3], 0 offset:152
	buffer_store_dword v122, off, s[0:3], 0 offset:156
	s_waitcnt vmcnt(2)
	ds_write_b64 v119, v[120:121]
.LBB58_323:
	s_or_b64 exec, exec, s[4:5]
	s_waitcnt lgkmcnt(0)
	; wave barrier
	buffer_load_dword v129, off, s[0:3], 0 offset:160
	buffer_load_dword v130, off, s[0:3], 0 offset:164
	buffer_load_dword v131, off, s[0:3], 0 offset:168
	buffer_load_dword v132, off, s[0:3], 0 offset:172
	buffer_load_dword v133, off, s[0:3], 0 offset:176
	buffer_load_dword v134, off, s[0:3], 0 offset:180
	buffer_load_dword v135, off, s[0:3], 0 offset:184
	buffer_load_dword v136, off, s[0:3], 0 offset:188
	buffer_load_dword v137, off, s[0:3], 0 offset:192
	buffer_load_dword v138, off, s[0:3], 0 offset:196
	buffer_load_dword v139, off, s[0:3], 0 offset:200
	buffer_load_dword v140, off, s[0:3], 0 offset:204
	buffer_load_dword v141, off, s[0:3], 0 offset:208
	buffer_load_dword v142, off, s[0:3], 0 offset:212
	buffer_load_dword v144, off, s[0:3], 0 offset:220
	buffer_load_dword v145, off, s[0:3], 0 offset:240
	buffer_load_dword v147, off, s[0:3], 0 offset:232
	buffer_load_dword v149, off, s[0:3], 0 offset:224
	buffer_load_dword v143, off, s[0:3], 0 offset:216
	buffer_load_dword v150, off, s[0:3], 0 offset:228
	buffer_load_dword v148, off, s[0:3], 0 offset:236
	buffer_load_dword v146, off, s[0:3], 0 offset:244
	v_mov_b32_e32 v120, 0
	ds_read_b128 v[121:124], v120 offset:640
	ds_read_b128 v[125:128], v120 offset:656
	v_cmp_lt_u32_e32 vcc, 18, v0
	s_waitcnt vmcnt(20) lgkmcnt(1)
	v_fma_f64 v[121:122], v[129:130], v[121:122], 0
	s_waitcnt vmcnt(18)
	v_fma_f64 v[121:122], v[131:132], v[123:124], v[121:122]
	buffer_load_dword v130, off, s[0:3], 0 offset:252
	buffer_load_dword v131, off, s[0:3], 0 offset:272
	;; [unrolled: 1-line block ×7, first 2 shown]
	s_waitcnt vmcnt(23) lgkmcnt(0)
	v_fma_f64 v[121:122], v[133:134], v[125:126], v[121:122]
	s_waitcnt vmcnt(21)
	v_fma_f64 v[132:133], v[135:136], v[127:128], v[121:122]
	ds_read_b128 v[121:124], v120 offset:672
	ds_read_b128 v[125:128], v120 offset:688
	s_waitcnt vmcnt(19) lgkmcnt(1)
	v_fma_f64 v[121:122], v[137:138], v[121:122], v[132:133]
	buffer_load_dword v132, off, s[0:3], 0 offset:276
	s_waitcnt vmcnt(18)
	v_fma_f64 v[121:122], v[139:140], v[123:124], v[121:122]
	buffer_load_dword v134, off, s[0:3], 0 offset:284
	buffer_load_dword v135, off, s[0:3], 0 offset:304
	;; [unrolled: 1-line block ×8, first 2 shown]
	s_waitcnt vmcnt(24) lgkmcnt(0)
	v_fma_f64 v[121:122], v[141:142], v[125:126], v[121:122]
	s_waitcnt vmcnt(19)
	v_fma_f64 v[141:142], v[143:144], v[127:128], v[121:122]
	ds_read_b128 v[121:124], v120 offset:704
	ds_read_b128 v[125:128], v120 offset:720
	s_waitcnt vmcnt(18) lgkmcnt(1)
	v_fma_f64 v[121:122], v[149:150], v[121:122], v[141:142]
	s_waitcnt vmcnt(17)
	v_fma_f64 v[121:122], v[147:148], v[123:124], v[121:122]
	buffer_load_dword v142, off, s[0:3], 0 offset:316
	buffer_load_dword v143, off, s[0:3], 0 offset:336
	;; [unrolled: 1-line block ×8, first 2 shown]
	s_waitcnt vmcnt(24) lgkmcnt(0)
	v_fma_f64 v[121:122], v[145:146], v[125:126], v[121:122]
	s_waitcnt vmcnt(19)
	v_fma_f64 v[129:130], v[129:130], v[127:128], v[121:122]
	ds_read_b128 v[121:124], v120 offset:736
	ds_read_b128 v[125:128], v120 offset:752
	s_waitcnt vmcnt(18) lgkmcnt(1)
	v_fma_f64 v[121:122], v[153:154], v[121:122], v[129:130]
	s_waitcnt vmcnt(17)
	v_fma_f64 v[121:122], v[151:152], v[123:124], v[121:122]
	buffer_load_dword v130, off, s[0:3], 0 offset:348
	buffer_load_dword v145, off, s[0:3], 0 offset:368
	buffer_load_dword v151, off, s[0:3], 0 offset:360
	buffer_load_dword v153, off, s[0:3], 0 offset:352
	buffer_load_dword v129, off, s[0:3], 0 offset:344
	buffer_load_dword v154, off, s[0:3], 0 offset:356
	buffer_load_dword v152, off, s[0:3], 0 offset:364
	s_waitcnt vmcnt(23) lgkmcnt(0)
	v_fma_f64 v[121:122], v[131:132], v[125:126], v[121:122]
	s_waitcnt vmcnt(18)
	v_fma_f64 v[131:132], v[133:134], v[127:128], v[121:122]
	ds_read_b128 v[121:124], v120 offset:768
	ds_read_b128 v[125:128], v120 offset:784
	buffer_load_dword v146, off, s[0:3], 0 offset:372
	s_waitcnt vmcnt(18) lgkmcnt(1)
	v_fma_f64 v[121:122], v[139:140], v[121:122], v[131:132]
	s_waitcnt vmcnt(17)
	v_fma_f64 v[121:122], v[137:138], v[123:124], v[121:122]
	buffer_load_dword v132, off, s[0:3], 0 offset:380
	buffer_load_dword v133, off, s[0:3], 0 offset:400
	;; [unrolled: 1-line block ×7, first 2 shown]
	s_waitcnt vmcnt(23) lgkmcnt(0)
	v_fma_f64 v[121:122], v[135:136], v[125:126], v[121:122]
	s_waitcnt vmcnt(18)
	v_fma_f64 v[134:135], v[141:142], v[127:128], v[121:122]
	ds_read_b128 v[121:124], v120 offset:800
	ds_read_b128 v[125:128], v120 offset:816
	s_waitcnt vmcnt(17) lgkmcnt(1)
	v_fma_f64 v[121:122], v[149:150], v[121:122], v[134:135]
	buffer_load_dword v134, off, s[0:3], 0 offset:404
	s_waitcnt vmcnt(17)
	v_fma_f64 v[121:122], v[147:148], v[123:124], v[121:122]
	buffer_load_dword v136, off, s[0:3], 0 offset:412
	buffer_load_dword v141, off, s[0:3], 0 offset:432
	;; [unrolled: 1-line block ×8, first 2 shown]
	s_waitcnt vmcnt(24) lgkmcnt(0)
	v_fma_f64 v[121:122], v[143:144], v[125:126], v[121:122]
	s_waitcnt vmcnt(19)
	v_fma_f64 v[129:130], v[129:130], v[127:128], v[121:122]
	ds_read_b128 v[121:124], v120 offset:832
	ds_read_b128 v[125:128], v120 offset:848
	s_waitcnt vmcnt(18) lgkmcnt(1)
	v_fma_f64 v[121:122], v[153:154], v[121:122], v[129:130]
	s_waitcnt vmcnt(17)
	v_fma_f64 v[121:122], v[151:152], v[123:124], v[121:122]
	buffer_load_dword v130, off, s[0:3], 0 offset:444
	buffer_load_dword v143, off, s[0:3], 0 offset:464
	;; [unrolled: 1-line block ×8, first 2 shown]
	s_waitcnt vmcnt(24) lgkmcnt(0)
	v_fma_f64 v[121:122], v[145:146], v[125:126], v[121:122]
	s_waitcnt vmcnt(19)
	v_fma_f64 v[131:132], v[131:132], v[127:128], v[121:122]
	ds_read_b128 v[121:124], v120 offset:864
	ds_read_b128 v[125:128], v120 offset:880
	s_waitcnt vmcnt(18) lgkmcnt(1)
	v_fma_f64 v[121:122], v[139:140], v[121:122], v[131:132]
	buffer_load_dword v131, off, s[0:3], 0 offset:152
	buffer_load_dword v132, off, s[0:3], 0 offset:156
	s_waitcnt vmcnt(19)
	v_fma_f64 v[121:122], v[137:138], v[123:124], v[121:122]
	s_waitcnt vmcnt(18) lgkmcnt(0)
	v_fma_f64 v[121:122], v[133:134], v[125:126], v[121:122]
	s_waitcnt vmcnt(13)
	v_fma_f64 v[133:134], v[135:136], v[127:128], v[121:122]
	ds_read_b128 v[121:124], v120 offset:896
	ds_read_b128 v[125:128], v120 offset:912
	s_waitcnt vmcnt(12) lgkmcnt(1)
	v_fma_f64 v[121:122], v[149:150], v[121:122], v[133:134]
	s_waitcnt vmcnt(11)
	v_fma_f64 v[121:122], v[147:148], v[123:124], v[121:122]
	s_waitcnt vmcnt(10) lgkmcnt(0)
	v_fma_f64 v[121:122], v[141:142], v[125:126], v[121:122]
	s_waitcnt vmcnt(5)
	v_fma_f64 v[125:126], v[129:130], v[127:128], v[121:122]
	ds_read_b128 v[121:124], v120 offset:928
	ds_read_b64 v[127:128], v120 offset:944
	s_waitcnt vmcnt(4) lgkmcnt(1)
	v_fma_f64 v[121:122], v[153:154], v[121:122], v[125:126]
	s_waitcnt vmcnt(3)
	v_fma_f64 v[121:122], v[151:152], v[123:124], v[121:122]
	s_waitcnt vmcnt(2) lgkmcnt(0)
	v_fma_f64 v[121:122], v[143:144], v[127:128], v[121:122]
	s_waitcnt vmcnt(0)
	v_add_f64 v[121:122], v[131:132], -v[121:122]
	buffer_store_dword v122, off, s[0:3], 0 offset:156
	buffer_store_dword v121, off, s[0:3], 0 offset:152
	s_and_saveexec_b64 s[4:5], vcc
	s_cbranch_execz .LBB58_325
; %bb.324:
	buffer_load_dword v121, off, s[0:3], 0 offset:144
	buffer_load_dword v122, off, s[0:3], 0 offset:148
	s_waitcnt vmcnt(0)
	ds_write_b64 v119, v[121:122]
	buffer_store_dword v120, off, s[0:3], 0 offset:144
	buffer_store_dword v120, off, s[0:3], 0 offset:148
.LBB58_325:
	s_or_b64 exec, exec, s[4:5]
	s_waitcnt lgkmcnt(0)
	; wave barrier
	buffer_load_dword v129, off, s[0:3], 0 offset:152
	buffer_load_dword v130, off, s[0:3], 0 offset:156
	;; [unrolled: 1-line block ×22, first 2 shown]
	ds_read2_b64 v[121:124], v120 offset0:79 offset1:80
	ds_read2_b64 v[125:128], v120 offset0:81 offset1:82
	v_cmp_lt_u32_e32 vcc, 17, v0
	s_waitcnt vmcnt(20) lgkmcnt(1)
	v_fma_f64 v[121:122], v[129:130], v[121:122], 0
	s_waitcnt vmcnt(18)
	v_fma_f64 v[121:122], v[131:132], v[123:124], v[121:122]
	buffer_load_dword v130, off, s[0:3], 0 offset:244
	buffer_load_dword v131, off, s[0:3], 0 offset:264
	;; [unrolled: 1-line block ×7, first 2 shown]
	s_waitcnt vmcnt(23) lgkmcnt(0)
	v_fma_f64 v[121:122], v[133:134], v[125:126], v[121:122]
	s_waitcnt vmcnt(21)
	v_fma_f64 v[132:133], v[135:136], v[127:128], v[121:122]
	ds_read2_b64 v[121:124], v120 offset0:83 offset1:84
	ds_read2_b64 v[125:128], v120 offset0:85 offset1:86
	s_waitcnt vmcnt(19) lgkmcnt(1)
	v_fma_f64 v[121:122], v[137:138], v[121:122], v[132:133]
	buffer_load_dword v132, off, s[0:3], 0 offset:268
	s_waitcnt vmcnt(18)
	v_fma_f64 v[121:122], v[139:140], v[123:124], v[121:122]
	buffer_load_dword v134, off, s[0:3], 0 offset:276
	buffer_load_dword v135, off, s[0:3], 0 offset:296
	;; [unrolled: 1-line block ×8, first 2 shown]
	s_waitcnt vmcnt(24) lgkmcnt(0)
	v_fma_f64 v[121:122], v[141:142], v[125:126], v[121:122]
	s_waitcnt vmcnt(19)
	v_fma_f64 v[141:142], v[143:144], v[127:128], v[121:122]
	ds_read2_b64 v[121:124], v120 offset0:87 offset1:88
	ds_read2_b64 v[125:128], v120 offset0:89 offset1:90
	s_waitcnt vmcnt(18) lgkmcnt(1)
	v_fma_f64 v[121:122], v[149:150], v[121:122], v[141:142]
	s_waitcnt vmcnt(17)
	v_fma_f64 v[121:122], v[147:148], v[123:124], v[121:122]
	buffer_load_dword v142, off, s[0:3], 0 offset:308
	buffer_load_dword v143, off, s[0:3], 0 offset:328
	;; [unrolled: 1-line block ×8, first 2 shown]
	s_waitcnt vmcnt(24) lgkmcnt(0)
	v_fma_f64 v[121:122], v[145:146], v[125:126], v[121:122]
	s_waitcnt vmcnt(19)
	v_fma_f64 v[129:130], v[129:130], v[127:128], v[121:122]
	ds_read2_b64 v[121:124], v120 offset0:91 offset1:92
	ds_read2_b64 v[125:128], v120 offset0:93 offset1:94
	s_waitcnt vmcnt(18) lgkmcnt(1)
	v_fma_f64 v[121:122], v[153:154], v[121:122], v[129:130]
	s_waitcnt vmcnt(17)
	v_fma_f64 v[121:122], v[151:152], v[123:124], v[121:122]
	buffer_load_dword v130, off, s[0:3], 0 offset:340
	buffer_load_dword v145, off, s[0:3], 0 offset:360
	;; [unrolled: 1-line block ×7, first 2 shown]
	s_waitcnt vmcnt(23) lgkmcnt(0)
	v_fma_f64 v[121:122], v[131:132], v[125:126], v[121:122]
	s_waitcnt vmcnt(18)
	v_fma_f64 v[131:132], v[133:134], v[127:128], v[121:122]
	ds_read2_b64 v[121:124], v120 offset0:95 offset1:96
	ds_read2_b64 v[125:128], v120 offset0:97 offset1:98
	buffer_load_dword v146, off, s[0:3], 0 offset:364
	s_waitcnt vmcnt(18) lgkmcnt(1)
	v_fma_f64 v[121:122], v[139:140], v[121:122], v[131:132]
	s_waitcnt vmcnt(17)
	v_fma_f64 v[121:122], v[137:138], v[123:124], v[121:122]
	buffer_load_dword v132, off, s[0:3], 0 offset:372
	buffer_load_dword v133, off, s[0:3], 0 offset:392
	;; [unrolled: 1-line block ×7, first 2 shown]
	s_waitcnt vmcnt(23) lgkmcnt(0)
	v_fma_f64 v[121:122], v[135:136], v[125:126], v[121:122]
	s_waitcnt vmcnt(18)
	v_fma_f64 v[134:135], v[141:142], v[127:128], v[121:122]
	ds_read2_b64 v[121:124], v120 offset0:99 offset1:100
	ds_read2_b64 v[125:128], v120 offset0:101 offset1:102
	s_waitcnt vmcnt(17) lgkmcnt(1)
	v_fma_f64 v[121:122], v[149:150], v[121:122], v[134:135]
	buffer_load_dword v134, off, s[0:3], 0 offset:396
	s_waitcnt vmcnt(17)
	v_fma_f64 v[121:122], v[147:148], v[123:124], v[121:122]
	buffer_load_dword v136, off, s[0:3], 0 offset:404
	buffer_load_dword v141, off, s[0:3], 0 offset:424
	;; [unrolled: 1-line block ×8, first 2 shown]
	s_waitcnt vmcnt(24) lgkmcnt(0)
	v_fma_f64 v[121:122], v[143:144], v[125:126], v[121:122]
	s_waitcnt vmcnt(19)
	v_fma_f64 v[129:130], v[129:130], v[127:128], v[121:122]
	ds_read2_b64 v[121:124], v120 offset0:103 offset1:104
	ds_read2_b64 v[125:128], v120 offset0:105 offset1:106
	s_waitcnt vmcnt(18) lgkmcnt(1)
	v_fma_f64 v[121:122], v[153:154], v[121:122], v[129:130]
	s_waitcnt vmcnt(17)
	v_fma_f64 v[121:122], v[151:152], v[123:124], v[121:122]
	buffer_load_dword v130, off, s[0:3], 0 offset:436
	buffer_load_dword v143, off, s[0:3], 0 offset:456
	;; [unrolled: 1-line block ×8, first 2 shown]
	s_waitcnt vmcnt(24) lgkmcnt(0)
	v_fma_f64 v[121:122], v[145:146], v[125:126], v[121:122]
	s_waitcnt vmcnt(19)
	v_fma_f64 v[131:132], v[131:132], v[127:128], v[121:122]
	ds_read2_b64 v[121:124], v120 offset0:107 offset1:108
	ds_read2_b64 v[125:128], v120 offset0:109 offset1:110
	s_waitcnt vmcnt(18) lgkmcnt(1)
	v_fma_f64 v[121:122], v[139:140], v[121:122], v[131:132]
	buffer_load_dword v132, off, s[0:3], 0 offset:468
	buffer_load_dword v131, off, s[0:3], 0 offset:464
	s_waitcnt vmcnt(19)
	v_fma_f64 v[121:122], v[137:138], v[123:124], v[121:122]
	buffer_load_dword v137, off, s[0:3], 0 offset:144
	buffer_load_dword v138, off, s[0:3], 0 offset:148
	s_waitcnt vmcnt(20) lgkmcnt(0)
	v_fma_f64 v[121:122], v[133:134], v[125:126], v[121:122]
	s_waitcnt vmcnt(15)
	v_fma_f64 v[133:134], v[135:136], v[127:128], v[121:122]
	ds_read2_b64 v[121:124], v120 offset0:111 offset1:112
	ds_read2_b64 v[125:128], v120 offset0:113 offset1:114
	s_waitcnt vmcnt(14) lgkmcnt(1)
	v_fma_f64 v[121:122], v[149:150], v[121:122], v[133:134]
	s_waitcnt vmcnt(13)
	v_fma_f64 v[121:122], v[147:148], v[123:124], v[121:122]
	s_waitcnt vmcnt(12) lgkmcnt(0)
	v_fma_f64 v[121:122], v[141:142], v[125:126], v[121:122]
	s_waitcnt vmcnt(7)
	v_fma_f64 v[129:130], v[129:130], v[127:128], v[121:122]
	ds_read2_b64 v[121:124], v120 offset0:115 offset1:116
	ds_read2_b64 v[125:128], v120 offset0:117 offset1:118
	s_waitcnt vmcnt(6) lgkmcnt(1)
	v_fma_f64 v[120:121], v[153:154], v[121:122], v[129:130]
	s_waitcnt vmcnt(5)
	v_fma_f64 v[120:121], v[151:152], v[123:124], v[120:121]
	s_waitcnt vmcnt(4) lgkmcnt(0)
	v_fma_f64 v[120:121], v[143:144], v[125:126], v[120:121]
	s_waitcnt vmcnt(2)
	v_fma_f64 v[120:121], v[131:132], v[127:128], v[120:121]
	s_waitcnt vmcnt(0)
	v_add_f64 v[120:121], v[137:138], -v[120:121]
	buffer_store_dword v121, off, s[0:3], 0 offset:148
	buffer_store_dword v120, off, s[0:3], 0 offset:144
	s_and_saveexec_b64 s[4:5], vcc
	s_cbranch_execz .LBB58_327
; %bb.326:
	buffer_load_dword v120, off, s[0:3], 0 offset:136
	buffer_load_dword v121, off, s[0:3], 0 offset:140
	v_mov_b32_e32 v122, 0
	buffer_store_dword v122, off, s[0:3], 0 offset:136
	buffer_store_dword v122, off, s[0:3], 0 offset:140
	s_waitcnt vmcnt(2)
	ds_write_b64 v119, v[120:121]
.LBB58_327:
	s_or_b64 exec, exec, s[4:5]
	s_waitcnt lgkmcnt(0)
	; wave barrier
	buffer_load_dword v129, off, s[0:3], 0 offset:144
	buffer_load_dword v130, off, s[0:3], 0 offset:148
	;; [unrolled: 1-line block ×22, first 2 shown]
	v_mov_b32_e32 v120, 0
	ds_read_b128 v[121:124], v120 offset:624
	ds_read_b128 v[125:128], v120 offset:640
	v_cmp_lt_u32_e32 vcc, 16, v0
	s_waitcnt vmcnt(20) lgkmcnt(1)
	v_fma_f64 v[121:122], v[129:130], v[121:122], 0
	s_waitcnt vmcnt(18)
	v_fma_f64 v[121:122], v[131:132], v[123:124], v[121:122]
	buffer_load_dword v130, off, s[0:3], 0 offset:236
	buffer_load_dword v131, off, s[0:3], 0 offset:256
	;; [unrolled: 1-line block ×7, first 2 shown]
	s_waitcnt vmcnt(23) lgkmcnt(0)
	v_fma_f64 v[121:122], v[133:134], v[125:126], v[121:122]
	s_waitcnt vmcnt(21)
	v_fma_f64 v[132:133], v[135:136], v[127:128], v[121:122]
	ds_read_b128 v[121:124], v120 offset:656
	ds_read_b128 v[125:128], v120 offset:672
	s_waitcnt vmcnt(19) lgkmcnt(1)
	v_fma_f64 v[121:122], v[137:138], v[121:122], v[132:133]
	buffer_load_dword v132, off, s[0:3], 0 offset:260
	s_waitcnt vmcnt(18)
	v_fma_f64 v[121:122], v[139:140], v[123:124], v[121:122]
	buffer_load_dword v134, off, s[0:3], 0 offset:268
	buffer_load_dword v135, off, s[0:3], 0 offset:288
	;; [unrolled: 1-line block ×7, first 2 shown]
	s_waitcnt vmcnt(23) lgkmcnt(0)
	v_fma_f64 v[121:122], v[141:142], v[125:126], v[121:122]
	s_waitcnt vmcnt(18)
	v_fma_f64 v[141:142], v[143:144], v[127:128], v[121:122]
	ds_read_b128 v[121:124], v120 offset:688
	ds_read_b128 v[125:128], v120 offset:704
	buffer_load_dword v136, off, s[0:3], 0 offset:292
	s_waitcnt vmcnt(18) lgkmcnt(1)
	v_fma_f64 v[121:122], v[149:150], v[121:122], v[141:142]
	s_waitcnt vmcnt(17)
	v_fma_f64 v[121:122], v[147:148], v[123:124], v[121:122]
	buffer_load_dword v142, off, s[0:3], 0 offset:300
	buffer_load_dword v143, off, s[0:3], 0 offset:320
	;; [unrolled: 1-line block ×8, first 2 shown]
	s_waitcnt vmcnt(24) lgkmcnt(0)
	v_fma_f64 v[121:122], v[145:146], v[125:126], v[121:122]
	s_waitcnt vmcnt(19)
	v_fma_f64 v[129:130], v[129:130], v[127:128], v[121:122]
	ds_read_b128 v[121:124], v120 offset:720
	ds_read_b128 v[125:128], v120 offset:736
	s_waitcnt vmcnt(18) lgkmcnt(1)
	v_fma_f64 v[121:122], v[153:154], v[121:122], v[129:130]
	s_waitcnt vmcnt(17)
	v_fma_f64 v[121:122], v[151:152], v[123:124], v[121:122]
	buffer_load_dword v130, off, s[0:3], 0 offset:332
	buffer_load_dword v145, off, s[0:3], 0 offset:352
	;; [unrolled: 1-line block ×7, first 2 shown]
	s_waitcnt vmcnt(23) lgkmcnt(0)
	v_fma_f64 v[121:122], v[131:132], v[125:126], v[121:122]
	s_waitcnt vmcnt(18)
	v_fma_f64 v[131:132], v[133:134], v[127:128], v[121:122]
	ds_read_b128 v[121:124], v120 offset:752
	ds_read_b128 v[125:128], v120 offset:768
	buffer_load_dword v146, off, s[0:3], 0 offset:356
	s_waitcnt vmcnt(18) lgkmcnt(1)
	v_fma_f64 v[121:122], v[139:140], v[121:122], v[131:132]
	s_waitcnt vmcnt(17)
	v_fma_f64 v[121:122], v[137:138], v[123:124], v[121:122]
	buffer_load_dword v132, off, s[0:3], 0 offset:364
	buffer_load_dword v133, off, s[0:3], 0 offset:384
	buffer_load_dword v137, off, s[0:3], 0 offset:376
	buffer_load_dword v139, off, s[0:3], 0 offset:368
	buffer_load_dword v131, off, s[0:3], 0 offset:360
	buffer_load_dword v140, off, s[0:3], 0 offset:372
	buffer_load_dword v138, off, s[0:3], 0 offset:380
	s_waitcnt vmcnt(23) lgkmcnt(0)
	v_fma_f64 v[121:122], v[135:136], v[125:126], v[121:122]
	s_waitcnt vmcnt(18)
	v_fma_f64 v[134:135], v[141:142], v[127:128], v[121:122]
	ds_read_b128 v[121:124], v120 offset:784
	ds_read_b128 v[125:128], v120 offset:800
	s_waitcnt vmcnt(17) lgkmcnt(1)
	v_fma_f64 v[121:122], v[149:150], v[121:122], v[134:135]
	buffer_load_dword v134, off, s[0:3], 0 offset:388
	s_waitcnt vmcnt(17)
	v_fma_f64 v[121:122], v[147:148], v[123:124], v[121:122]
	buffer_load_dword v136, off, s[0:3], 0 offset:396
	buffer_load_dword v141, off, s[0:3], 0 offset:416
	;; [unrolled: 1-line block ×8, first 2 shown]
	s_waitcnt vmcnt(24) lgkmcnt(0)
	v_fma_f64 v[121:122], v[143:144], v[125:126], v[121:122]
	s_waitcnt vmcnt(19)
	v_fma_f64 v[129:130], v[129:130], v[127:128], v[121:122]
	ds_read_b128 v[121:124], v120 offset:816
	ds_read_b128 v[125:128], v120 offset:832
	s_waitcnt vmcnt(18) lgkmcnt(1)
	v_fma_f64 v[121:122], v[153:154], v[121:122], v[129:130]
	s_waitcnt vmcnt(17)
	v_fma_f64 v[121:122], v[151:152], v[123:124], v[121:122]
	buffer_load_dword v130, off, s[0:3], 0 offset:428
	buffer_load_dword v143, off, s[0:3], 0 offset:448
	;; [unrolled: 1-line block ×7, first 2 shown]
	s_waitcnt vmcnt(23) lgkmcnt(0)
	v_fma_f64 v[121:122], v[145:146], v[125:126], v[121:122]
	s_waitcnt vmcnt(18)
	v_fma_f64 v[131:132], v[131:132], v[127:128], v[121:122]
	ds_read_b128 v[121:124], v120 offset:848
	ds_read_b128 v[125:128], v120 offset:864
	buffer_load_dword v144, off, s[0:3], 0 offset:452
	s_waitcnt vmcnt(18) lgkmcnt(1)
	v_fma_f64 v[121:122], v[139:140], v[121:122], v[131:132]
	s_waitcnt vmcnt(17)
	v_fma_f64 v[121:122], v[137:138], v[123:124], v[121:122]
	buffer_load_dword v132, off, s[0:3], 0 offset:460
	buffer_load_dword v137, off, s[0:3], 0 offset:464
	;; [unrolled: 1-line block ×4, first 2 shown]
	s_waitcnt vmcnt(20) lgkmcnt(0)
	v_fma_f64 v[121:122], v[133:134], v[125:126], v[121:122]
	buffer_load_dword v133, off, s[0:3], 0 offset:136
	buffer_load_dword v134, off, s[0:3], 0 offset:140
	s_waitcnt vmcnt(17)
	v_fma_f64 v[135:136], v[135:136], v[127:128], v[121:122]
	ds_read_b128 v[121:124], v120 offset:880
	ds_read_b128 v[125:128], v120 offset:896
	s_waitcnt vmcnt(16) lgkmcnt(1)
	v_fma_f64 v[121:122], v[149:150], v[121:122], v[135:136]
	s_waitcnt vmcnt(15)
	v_fma_f64 v[121:122], v[147:148], v[123:124], v[121:122]
	s_waitcnt vmcnt(14) lgkmcnt(0)
	v_fma_f64 v[121:122], v[141:142], v[125:126], v[121:122]
	s_waitcnt vmcnt(9)
	v_fma_f64 v[129:130], v[129:130], v[127:128], v[121:122]
	ds_read_b128 v[121:124], v120 offset:912
	ds_read_b128 v[125:128], v120 offset:928
	s_waitcnt vmcnt(8) lgkmcnt(1)
	v_fma_f64 v[121:122], v[153:154], v[121:122], v[129:130]
	s_waitcnt vmcnt(7)
	v_fma_f64 v[121:122], v[151:152], v[123:124], v[121:122]
	ds_read_b64 v[123:124], v120 offset:944
	s_waitcnt vmcnt(6) lgkmcnt(1)
	v_fma_f64 v[121:122], v[143:144], v[125:126], v[121:122]
	s_waitcnt vmcnt(3)
	v_fma_f64 v[121:122], v[131:132], v[127:128], v[121:122]
	s_waitcnt vmcnt(2) lgkmcnt(0)
	v_fma_f64 v[121:122], v[137:138], v[123:124], v[121:122]
	s_waitcnt vmcnt(0)
	v_add_f64 v[121:122], v[133:134], -v[121:122]
	buffer_store_dword v122, off, s[0:3], 0 offset:140
	buffer_store_dword v121, off, s[0:3], 0 offset:136
	s_and_saveexec_b64 s[4:5], vcc
	s_cbranch_execz .LBB58_329
; %bb.328:
	buffer_load_dword v121, off, s[0:3], 0 offset:128
	buffer_load_dword v122, off, s[0:3], 0 offset:132
	s_waitcnt vmcnt(0)
	ds_write_b64 v119, v[121:122]
	buffer_store_dword v120, off, s[0:3], 0 offset:128
	buffer_store_dword v120, off, s[0:3], 0 offset:132
.LBB58_329:
	s_or_b64 exec, exec, s[4:5]
	s_waitcnt lgkmcnt(0)
	; wave barrier
	buffer_load_dword v129, off, s[0:3], 0 offset:136
	buffer_load_dword v130, off, s[0:3], 0 offset:140
	;; [unrolled: 1-line block ×22, first 2 shown]
	ds_read2_b64 v[121:124], v120 offset0:77 offset1:78
	ds_read2_b64 v[125:128], v120 offset0:79 offset1:80
	v_cmp_lt_u32_e32 vcc, 15, v0
	s_waitcnt vmcnt(20) lgkmcnt(1)
	v_fma_f64 v[121:122], v[129:130], v[121:122], 0
	s_waitcnt vmcnt(18)
	v_fma_f64 v[121:122], v[131:132], v[123:124], v[121:122]
	buffer_load_dword v130, off, s[0:3], 0 offset:228
	buffer_load_dword v131, off, s[0:3], 0 offset:248
	;; [unrolled: 1-line block ×7, first 2 shown]
	s_waitcnt vmcnt(23) lgkmcnt(0)
	v_fma_f64 v[121:122], v[133:134], v[125:126], v[121:122]
	s_waitcnt vmcnt(21)
	v_fma_f64 v[132:133], v[135:136], v[127:128], v[121:122]
	ds_read2_b64 v[121:124], v120 offset0:81 offset1:82
	ds_read2_b64 v[125:128], v120 offset0:83 offset1:84
	s_waitcnt vmcnt(19) lgkmcnt(1)
	v_fma_f64 v[121:122], v[137:138], v[121:122], v[132:133]
	buffer_load_dword v132, off, s[0:3], 0 offset:252
	s_waitcnt vmcnt(18)
	v_fma_f64 v[121:122], v[139:140], v[123:124], v[121:122]
	buffer_load_dword v134, off, s[0:3], 0 offset:260
	buffer_load_dword v135, off, s[0:3], 0 offset:280
	;; [unrolled: 1-line block ×7, first 2 shown]
	s_waitcnt vmcnt(23) lgkmcnt(0)
	v_fma_f64 v[121:122], v[141:142], v[125:126], v[121:122]
	s_waitcnt vmcnt(18)
	v_fma_f64 v[141:142], v[143:144], v[127:128], v[121:122]
	ds_read2_b64 v[121:124], v120 offset0:85 offset1:86
	ds_read2_b64 v[125:128], v120 offset0:87 offset1:88
	buffer_load_dword v136, off, s[0:3], 0 offset:284
	s_waitcnt vmcnt(18) lgkmcnt(1)
	v_fma_f64 v[121:122], v[149:150], v[121:122], v[141:142]
	s_waitcnt vmcnt(17)
	v_fma_f64 v[121:122], v[147:148], v[123:124], v[121:122]
	buffer_load_dword v142, off, s[0:3], 0 offset:292
	buffer_load_dword v143, off, s[0:3], 0 offset:312
	;; [unrolled: 1-line block ×8, first 2 shown]
	s_waitcnt vmcnt(24) lgkmcnt(0)
	v_fma_f64 v[121:122], v[145:146], v[125:126], v[121:122]
	s_waitcnt vmcnt(19)
	v_fma_f64 v[129:130], v[129:130], v[127:128], v[121:122]
	ds_read2_b64 v[121:124], v120 offset0:89 offset1:90
	ds_read2_b64 v[125:128], v120 offset0:91 offset1:92
	s_waitcnt vmcnt(18) lgkmcnt(1)
	v_fma_f64 v[121:122], v[153:154], v[121:122], v[129:130]
	s_waitcnt vmcnt(17)
	v_fma_f64 v[121:122], v[151:152], v[123:124], v[121:122]
	buffer_load_dword v130, off, s[0:3], 0 offset:324
	buffer_load_dword v145, off, s[0:3], 0 offset:344
	;; [unrolled: 1-line block ×8, first 2 shown]
	s_waitcnt vmcnt(24) lgkmcnt(0)
	v_fma_f64 v[121:122], v[131:132], v[125:126], v[121:122]
	s_waitcnt vmcnt(19)
	v_fma_f64 v[131:132], v[133:134], v[127:128], v[121:122]
	ds_read2_b64 v[121:124], v120 offset0:93 offset1:94
	ds_read2_b64 v[125:128], v120 offset0:95 offset1:96
	s_waitcnt vmcnt(18) lgkmcnt(1)
	v_fma_f64 v[121:122], v[139:140], v[121:122], v[131:132]
	s_waitcnt vmcnt(17)
	v_fma_f64 v[121:122], v[137:138], v[123:124], v[121:122]
	buffer_load_dword v132, off, s[0:3], 0 offset:356
	buffer_load_dword v133, off, s[0:3], 0 offset:376
	;; [unrolled: 1-line block ×7, first 2 shown]
	s_waitcnt vmcnt(23) lgkmcnt(0)
	v_fma_f64 v[121:122], v[135:136], v[125:126], v[121:122]
	s_waitcnt vmcnt(18)
	v_fma_f64 v[134:135], v[141:142], v[127:128], v[121:122]
	ds_read2_b64 v[121:124], v120 offset0:97 offset1:98
	ds_read2_b64 v[125:128], v120 offset0:99 offset1:100
	s_waitcnt vmcnt(17) lgkmcnt(1)
	v_fma_f64 v[121:122], v[149:150], v[121:122], v[134:135]
	buffer_load_dword v134, off, s[0:3], 0 offset:380
	s_waitcnt vmcnt(17)
	v_fma_f64 v[121:122], v[147:148], v[123:124], v[121:122]
	buffer_load_dword v136, off, s[0:3], 0 offset:388
	buffer_load_dword v141, off, s[0:3], 0 offset:408
	;; [unrolled: 1-line block ×8, first 2 shown]
	s_waitcnt vmcnt(24) lgkmcnt(0)
	v_fma_f64 v[121:122], v[143:144], v[125:126], v[121:122]
	s_waitcnt vmcnt(19)
	v_fma_f64 v[129:130], v[129:130], v[127:128], v[121:122]
	ds_read2_b64 v[121:124], v120 offset0:101 offset1:102
	ds_read2_b64 v[125:128], v120 offset0:103 offset1:104
	s_waitcnt vmcnt(18) lgkmcnt(1)
	v_fma_f64 v[121:122], v[153:154], v[121:122], v[129:130]
	s_waitcnt vmcnt(17)
	v_fma_f64 v[121:122], v[151:152], v[123:124], v[121:122]
	buffer_load_dword v130, off, s[0:3], 0 offset:420
	buffer_load_dword v143, off, s[0:3], 0 offset:440
	;; [unrolled: 1-line block ×8, first 2 shown]
	s_waitcnt vmcnt(24) lgkmcnt(0)
	v_fma_f64 v[121:122], v[145:146], v[125:126], v[121:122]
	s_waitcnt vmcnt(19)
	v_fma_f64 v[131:132], v[131:132], v[127:128], v[121:122]
	ds_read2_b64 v[121:124], v120 offset0:105 offset1:106
	ds_read2_b64 v[125:128], v120 offset0:107 offset1:108
	s_waitcnt vmcnt(18) lgkmcnt(1)
	v_fma_f64 v[121:122], v[139:140], v[121:122], v[131:132]
	s_waitcnt vmcnt(17)
	v_fma_f64 v[121:122], v[137:138], v[123:124], v[121:122]
	buffer_load_dword v132, off, s[0:3], 0 offset:452
	buffer_load_dword v137, off, s[0:3], 0 offset:464
	;; [unrolled: 1-line block ×6, first 2 shown]
	s_waitcnt vmcnt(22) lgkmcnt(0)
	v_fma_f64 v[121:122], v[133:134], v[125:126], v[121:122]
	s_waitcnt vmcnt(17)
	v_fma_f64 v[133:134], v[135:136], v[127:128], v[121:122]
	ds_read2_b64 v[121:124], v120 offset0:109 offset1:110
	buffer_load_dword v135, off, s[0:3], 0 offset:128
	buffer_load_dword v136, off, s[0:3], 0 offset:132
	ds_read2_b64 v[125:128], v120 offset0:111 offset1:112
	s_waitcnt vmcnt(18) lgkmcnt(1)
	v_fma_f64 v[121:122], v[149:150], v[121:122], v[133:134]
	s_waitcnt vmcnt(17)
	v_fma_f64 v[121:122], v[147:148], v[123:124], v[121:122]
	s_waitcnt vmcnt(16) lgkmcnt(0)
	v_fma_f64 v[121:122], v[141:142], v[125:126], v[121:122]
	s_waitcnt vmcnt(11)
	v_fma_f64 v[129:130], v[129:130], v[127:128], v[121:122]
	ds_read2_b64 v[121:124], v120 offset0:113 offset1:114
	ds_read2_b64 v[125:128], v120 offset0:115 offset1:116
	s_waitcnt vmcnt(10) lgkmcnt(1)
	v_fma_f64 v[121:122], v[153:154], v[121:122], v[129:130]
	s_waitcnt vmcnt(9)
	v_fma_f64 v[121:122], v[151:152], v[123:124], v[121:122]
	s_waitcnt vmcnt(8) lgkmcnt(0)
	v_fma_f64 v[121:122], v[143:144], v[125:126], v[121:122]
	s_waitcnt vmcnt(4)
	v_fma_f64 v[124:125], v[131:132], v[127:128], v[121:122]
	ds_read2_b64 v[120:123], v120 offset0:117 offset1:118
	s_waitcnt vmcnt(3) lgkmcnt(0)
	v_fma_f64 v[120:121], v[139:140], v[120:121], v[124:125]
	s_waitcnt vmcnt(2)
	v_fma_f64 v[120:121], v[137:138], v[122:123], v[120:121]
	s_waitcnt vmcnt(0)
	v_add_f64 v[120:121], v[135:136], -v[120:121]
	buffer_store_dword v121, off, s[0:3], 0 offset:132
	buffer_store_dword v120, off, s[0:3], 0 offset:128
	s_and_saveexec_b64 s[4:5], vcc
	s_cbranch_execz .LBB58_331
; %bb.330:
	buffer_load_dword v120, off, s[0:3], 0 offset:120
	buffer_load_dword v121, off, s[0:3], 0 offset:124
	v_mov_b32_e32 v122, 0
	buffer_store_dword v122, off, s[0:3], 0 offset:120
	buffer_store_dword v122, off, s[0:3], 0 offset:124
	s_waitcnt vmcnt(2)
	ds_write_b64 v119, v[120:121]
.LBB58_331:
	s_or_b64 exec, exec, s[4:5]
	s_waitcnt lgkmcnt(0)
	; wave barrier
	buffer_load_dword v129, off, s[0:3], 0 offset:128
	buffer_load_dword v130, off, s[0:3], 0 offset:132
	;; [unrolled: 1-line block ×22, first 2 shown]
	v_mov_b32_e32 v120, 0
	ds_read_b128 v[121:124], v120 offset:608
	ds_read_b128 v[125:128], v120 offset:624
	v_cmp_lt_u32_e32 vcc, 14, v0
	s_waitcnt vmcnt(20) lgkmcnt(1)
	v_fma_f64 v[121:122], v[129:130], v[121:122], 0
	s_waitcnt vmcnt(18)
	v_fma_f64 v[121:122], v[131:132], v[123:124], v[121:122]
	buffer_load_dword v130, off, s[0:3], 0 offset:220
	buffer_load_dword v131, off, s[0:3], 0 offset:240
	;; [unrolled: 1-line block ×7, first 2 shown]
	s_waitcnt vmcnt(23) lgkmcnt(0)
	v_fma_f64 v[121:122], v[133:134], v[125:126], v[121:122]
	s_waitcnt vmcnt(21)
	v_fma_f64 v[132:133], v[135:136], v[127:128], v[121:122]
	ds_read_b128 v[121:124], v120 offset:640
	ds_read_b128 v[125:128], v120 offset:656
	s_waitcnt vmcnt(19) lgkmcnt(1)
	v_fma_f64 v[121:122], v[137:138], v[121:122], v[132:133]
	buffer_load_dword v132, off, s[0:3], 0 offset:244
	s_waitcnt vmcnt(18)
	v_fma_f64 v[121:122], v[139:140], v[123:124], v[121:122]
	buffer_load_dword v134, off, s[0:3], 0 offset:252
	buffer_load_dword v135, off, s[0:3], 0 offset:272
	;; [unrolled: 1-line block ×7, first 2 shown]
	s_waitcnt vmcnt(23) lgkmcnt(0)
	v_fma_f64 v[121:122], v[141:142], v[125:126], v[121:122]
	s_waitcnt vmcnt(18)
	v_fma_f64 v[141:142], v[143:144], v[127:128], v[121:122]
	ds_read_b128 v[121:124], v120 offset:672
	ds_read_b128 v[125:128], v120 offset:688
	buffer_load_dword v136, off, s[0:3], 0 offset:276
	s_waitcnt vmcnt(18) lgkmcnt(1)
	v_fma_f64 v[121:122], v[149:150], v[121:122], v[141:142]
	s_waitcnt vmcnt(17)
	v_fma_f64 v[121:122], v[147:148], v[123:124], v[121:122]
	buffer_load_dword v142, off, s[0:3], 0 offset:284
	buffer_load_dword v143, off, s[0:3], 0 offset:304
	;; [unrolled: 1-line block ×8, first 2 shown]
	s_waitcnt vmcnt(24) lgkmcnt(0)
	v_fma_f64 v[121:122], v[145:146], v[125:126], v[121:122]
	s_waitcnt vmcnt(19)
	v_fma_f64 v[129:130], v[129:130], v[127:128], v[121:122]
	ds_read_b128 v[121:124], v120 offset:704
	ds_read_b128 v[125:128], v120 offset:720
	s_waitcnt vmcnt(18) lgkmcnt(1)
	v_fma_f64 v[121:122], v[153:154], v[121:122], v[129:130]
	s_waitcnt vmcnt(17)
	v_fma_f64 v[121:122], v[151:152], v[123:124], v[121:122]
	buffer_load_dword v130, off, s[0:3], 0 offset:316
	buffer_load_dword v145, off, s[0:3], 0 offset:336
	;; [unrolled: 1-line block ×8, first 2 shown]
	s_waitcnt vmcnt(24) lgkmcnt(0)
	v_fma_f64 v[121:122], v[131:132], v[125:126], v[121:122]
	s_waitcnt vmcnt(19)
	v_fma_f64 v[131:132], v[133:134], v[127:128], v[121:122]
	ds_read_b128 v[121:124], v120 offset:736
	ds_read_b128 v[125:128], v120 offset:752
	s_waitcnt vmcnt(18) lgkmcnt(1)
	v_fma_f64 v[121:122], v[139:140], v[121:122], v[131:132]
	s_waitcnt vmcnt(17)
	v_fma_f64 v[121:122], v[137:138], v[123:124], v[121:122]
	buffer_load_dword v132, off, s[0:3], 0 offset:348
	buffer_load_dword v133, off, s[0:3], 0 offset:368
	;; [unrolled: 1-line block ×7, first 2 shown]
	s_waitcnt vmcnt(23) lgkmcnt(0)
	v_fma_f64 v[121:122], v[135:136], v[125:126], v[121:122]
	s_waitcnt vmcnt(18)
	v_fma_f64 v[134:135], v[141:142], v[127:128], v[121:122]
	ds_read_b128 v[121:124], v120 offset:768
	ds_read_b128 v[125:128], v120 offset:784
	s_waitcnt vmcnt(17) lgkmcnt(1)
	v_fma_f64 v[121:122], v[149:150], v[121:122], v[134:135]
	buffer_load_dword v134, off, s[0:3], 0 offset:372
	s_waitcnt vmcnt(17)
	v_fma_f64 v[121:122], v[147:148], v[123:124], v[121:122]
	buffer_load_dword v136, off, s[0:3], 0 offset:380
	buffer_load_dword v141, off, s[0:3], 0 offset:400
	buffer_load_dword v147, off, s[0:3], 0 offset:392
	buffer_load_dword v149, off, s[0:3], 0 offset:384
	buffer_load_dword v135, off, s[0:3], 0 offset:376
	buffer_load_dword v150, off, s[0:3], 0 offset:388
	buffer_load_dword v148, off, s[0:3], 0 offset:396
	buffer_load_dword v142, off, s[0:3], 0 offset:404
	s_waitcnt vmcnt(24) lgkmcnt(0)
	v_fma_f64 v[121:122], v[143:144], v[125:126], v[121:122]
	s_waitcnt vmcnt(19)
	v_fma_f64 v[129:130], v[129:130], v[127:128], v[121:122]
	ds_read_b128 v[121:124], v120 offset:800
	ds_read_b128 v[125:128], v120 offset:816
	s_waitcnt vmcnt(18) lgkmcnt(1)
	v_fma_f64 v[121:122], v[153:154], v[121:122], v[129:130]
	s_waitcnt vmcnt(17)
	v_fma_f64 v[121:122], v[151:152], v[123:124], v[121:122]
	buffer_load_dword v130, off, s[0:3], 0 offset:412
	buffer_load_dword v143, off, s[0:3], 0 offset:432
	buffer_load_dword v151, off, s[0:3], 0 offset:424
	buffer_load_dword v153, off, s[0:3], 0 offset:416
	buffer_load_dword v129, off, s[0:3], 0 offset:408
	buffer_load_dword v154, off, s[0:3], 0 offset:420
	buffer_load_dword v152, off, s[0:3], 0 offset:428
	buffer_load_dword v144, off, s[0:3], 0 offset:436
	s_waitcnt vmcnt(24) lgkmcnt(0)
	v_fma_f64 v[121:122], v[145:146], v[125:126], v[121:122]
	s_waitcnt vmcnt(19)
	v_fma_f64 v[131:132], v[131:132], v[127:128], v[121:122]
	ds_read_b128 v[121:124], v120 offset:832
	ds_read_b128 v[125:128], v120 offset:848
	s_waitcnt vmcnt(18) lgkmcnt(1)
	v_fma_f64 v[121:122], v[139:140], v[121:122], v[131:132]
	;; [unrolled: 18-line block ×3, first 2 shown]
	buffer_load_dword v133, off, s[0:3], 0 offset:120
	buffer_load_dword v134, off, s[0:3], 0 offset:124
	s_waitcnt vmcnt(19)
	v_fma_f64 v[121:122], v[147:148], v[123:124], v[121:122]
	s_waitcnt vmcnt(18) lgkmcnt(0)
	v_fma_f64 v[121:122], v[141:142], v[125:126], v[121:122]
	s_waitcnt vmcnt(13)
	v_fma_f64 v[129:130], v[129:130], v[127:128], v[121:122]
	ds_read_b128 v[121:124], v120 offset:896
	ds_read_b128 v[125:128], v120 offset:912
	s_waitcnt vmcnt(12) lgkmcnt(1)
	v_fma_f64 v[121:122], v[153:154], v[121:122], v[129:130]
	s_waitcnt vmcnt(11)
	v_fma_f64 v[121:122], v[151:152], v[123:124], v[121:122]
	s_waitcnt vmcnt(10) lgkmcnt(0)
	v_fma_f64 v[121:122], v[143:144], v[125:126], v[121:122]
	s_waitcnt vmcnt(5)
	v_fma_f64 v[125:126], v[131:132], v[127:128], v[121:122]
	ds_read_b128 v[121:124], v120 offset:928
	ds_read_b64 v[127:128], v120 offset:944
	s_waitcnt vmcnt(4) lgkmcnt(1)
	v_fma_f64 v[121:122], v[145:146], v[121:122], v[125:126]
	s_waitcnt vmcnt(3)
	v_fma_f64 v[121:122], v[139:140], v[123:124], v[121:122]
	s_waitcnt vmcnt(2) lgkmcnt(0)
	v_fma_f64 v[121:122], v[137:138], v[127:128], v[121:122]
	s_waitcnt vmcnt(0)
	v_add_f64 v[121:122], v[133:134], -v[121:122]
	buffer_store_dword v122, off, s[0:3], 0 offset:124
	buffer_store_dword v121, off, s[0:3], 0 offset:120
	s_and_saveexec_b64 s[4:5], vcc
	s_cbranch_execz .LBB58_333
; %bb.332:
	buffer_load_dword v121, off, s[0:3], 0 offset:112
	buffer_load_dword v122, off, s[0:3], 0 offset:116
	s_waitcnt vmcnt(0)
	ds_write_b64 v119, v[121:122]
	buffer_store_dword v120, off, s[0:3], 0 offset:112
	buffer_store_dword v120, off, s[0:3], 0 offset:116
.LBB58_333:
	s_or_b64 exec, exec, s[4:5]
	s_waitcnt lgkmcnt(0)
	; wave barrier
	buffer_load_dword v129, off, s[0:3], 0 offset:120
	buffer_load_dword v130, off, s[0:3], 0 offset:124
	;; [unrolled: 1-line block ×22, first 2 shown]
	ds_read2_b64 v[121:124], v120 offset0:75 offset1:76
	ds_read2_b64 v[125:128], v120 offset0:77 offset1:78
	v_cmp_lt_u32_e32 vcc, 13, v0
	s_waitcnt vmcnt(20) lgkmcnt(1)
	v_fma_f64 v[121:122], v[129:130], v[121:122], 0
	s_waitcnt vmcnt(18)
	v_fma_f64 v[121:122], v[131:132], v[123:124], v[121:122]
	buffer_load_dword v130, off, s[0:3], 0 offset:212
	buffer_load_dword v131, off, s[0:3], 0 offset:232
	;; [unrolled: 1-line block ×7, first 2 shown]
	s_waitcnt vmcnt(23) lgkmcnt(0)
	v_fma_f64 v[121:122], v[133:134], v[125:126], v[121:122]
	s_waitcnt vmcnt(21)
	v_fma_f64 v[132:133], v[135:136], v[127:128], v[121:122]
	ds_read2_b64 v[121:124], v120 offset0:79 offset1:80
	ds_read2_b64 v[125:128], v120 offset0:81 offset1:82
	s_waitcnt vmcnt(19) lgkmcnt(1)
	v_fma_f64 v[121:122], v[137:138], v[121:122], v[132:133]
	buffer_load_dword v132, off, s[0:3], 0 offset:236
	s_waitcnt vmcnt(18)
	v_fma_f64 v[121:122], v[139:140], v[123:124], v[121:122]
	buffer_load_dword v134, off, s[0:3], 0 offset:244
	buffer_load_dword v135, off, s[0:3], 0 offset:264
	buffer_load_dword v137, off, s[0:3], 0 offset:256
	buffer_load_dword v139, off, s[0:3], 0 offset:248
	buffer_load_dword v133, off, s[0:3], 0 offset:240
	buffer_load_dword v140, off, s[0:3], 0 offset:252
	buffer_load_dword v138, off, s[0:3], 0 offset:260
	s_waitcnt vmcnt(23) lgkmcnt(0)
	v_fma_f64 v[121:122], v[141:142], v[125:126], v[121:122]
	s_waitcnt vmcnt(18)
	v_fma_f64 v[141:142], v[143:144], v[127:128], v[121:122]
	ds_read2_b64 v[121:124], v120 offset0:83 offset1:84
	ds_read2_b64 v[125:128], v120 offset0:85 offset1:86
	buffer_load_dword v136, off, s[0:3], 0 offset:268
	s_waitcnt vmcnt(18) lgkmcnt(1)
	v_fma_f64 v[121:122], v[149:150], v[121:122], v[141:142]
	s_waitcnt vmcnt(17)
	v_fma_f64 v[121:122], v[147:148], v[123:124], v[121:122]
	buffer_load_dword v142, off, s[0:3], 0 offset:276
	buffer_load_dword v143, off, s[0:3], 0 offset:296
	;; [unrolled: 1-line block ×8, first 2 shown]
	s_waitcnt vmcnt(24) lgkmcnt(0)
	v_fma_f64 v[121:122], v[145:146], v[125:126], v[121:122]
	s_waitcnt vmcnt(19)
	v_fma_f64 v[129:130], v[129:130], v[127:128], v[121:122]
	ds_read2_b64 v[121:124], v120 offset0:87 offset1:88
	ds_read2_b64 v[125:128], v120 offset0:89 offset1:90
	s_waitcnt vmcnt(18) lgkmcnt(1)
	v_fma_f64 v[121:122], v[153:154], v[121:122], v[129:130]
	s_waitcnt vmcnt(17)
	v_fma_f64 v[121:122], v[151:152], v[123:124], v[121:122]
	buffer_load_dword v130, off, s[0:3], 0 offset:308
	buffer_load_dword v145, off, s[0:3], 0 offset:328
	;; [unrolled: 1-line block ×8, first 2 shown]
	s_waitcnt vmcnt(24) lgkmcnt(0)
	v_fma_f64 v[121:122], v[131:132], v[125:126], v[121:122]
	s_waitcnt vmcnt(19)
	v_fma_f64 v[131:132], v[133:134], v[127:128], v[121:122]
	ds_read2_b64 v[121:124], v120 offset0:91 offset1:92
	ds_read2_b64 v[125:128], v120 offset0:93 offset1:94
	s_waitcnt vmcnt(18) lgkmcnt(1)
	v_fma_f64 v[121:122], v[139:140], v[121:122], v[131:132]
	s_waitcnt vmcnt(17)
	v_fma_f64 v[121:122], v[137:138], v[123:124], v[121:122]
	buffer_load_dword v132, off, s[0:3], 0 offset:340
	buffer_load_dword v133, off, s[0:3], 0 offset:360
	;; [unrolled: 1-line block ×7, first 2 shown]
	s_waitcnt vmcnt(23) lgkmcnt(0)
	v_fma_f64 v[121:122], v[135:136], v[125:126], v[121:122]
	s_waitcnt vmcnt(18)
	v_fma_f64 v[134:135], v[141:142], v[127:128], v[121:122]
	ds_read2_b64 v[121:124], v120 offset0:95 offset1:96
	ds_read2_b64 v[125:128], v120 offset0:97 offset1:98
	s_waitcnt vmcnt(17) lgkmcnt(1)
	v_fma_f64 v[121:122], v[149:150], v[121:122], v[134:135]
	buffer_load_dword v134, off, s[0:3], 0 offset:364
	s_waitcnt vmcnt(17)
	v_fma_f64 v[121:122], v[147:148], v[123:124], v[121:122]
	buffer_load_dword v136, off, s[0:3], 0 offset:372
	buffer_load_dword v141, off, s[0:3], 0 offset:392
	buffer_load_dword v147, off, s[0:3], 0 offset:384
	buffer_load_dword v149, off, s[0:3], 0 offset:376
	buffer_load_dword v135, off, s[0:3], 0 offset:368
	buffer_load_dword v150, off, s[0:3], 0 offset:380
	buffer_load_dword v148, off, s[0:3], 0 offset:388
	buffer_load_dword v142, off, s[0:3], 0 offset:396
	s_waitcnt vmcnt(24) lgkmcnt(0)
	v_fma_f64 v[121:122], v[143:144], v[125:126], v[121:122]
	s_waitcnt vmcnt(19)
	v_fma_f64 v[129:130], v[129:130], v[127:128], v[121:122]
	ds_read2_b64 v[121:124], v120 offset0:99 offset1:100
	ds_read2_b64 v[125:128], v120 offset0:101 offset1:102
	s_waitcnt vmcnt(18) lgkmcnt(1)
	v_fma_f64 v[121:122], v[153:154], v[121:122], v[129:130]
	s_waitcnt vmcnt(17)
	v_fma_f64 v[121:122], v[151:152], v[123:124], v[121:122]
	buffer_load_dword v130, off, s[0:3], 0 offset:404
	buffer_load_dword v143, off, s[0:3], 0 offset:424
	buffer_load_dword v151, off, s[0:3], 0 offset:416
	buffer_load_dword v153, off, s[0:3], 0 offset:408
	buffer_load_dword v129, off, s[0:3], 0 offset:400
	buffer_load_dword v154, off, s[0:3], 0 offset:412
	buffer_load_dword v152, off, s[0:3], 0 offset:420
	buffer_load_dword v144, off, s[0:3], 0 offset:428
	s_waitcnt vmcnt(24) lgkmcnt(0)
	v_fma_f64 v[121:122], v[145:146], v[125:126], v[121:122]
	s_waitcnt vmcnt(19)
	v_fma_f64 v[131:132], v[131:132], v[127:128], v[121:122]
	ds_read2_b64 v[121:124], v120 offset0:103 offset1:104
	ds_read2_b64 v[125:128], v120 offset0:105 offset1:106
	s_waitcnt vmcnt(18) lgkmcnt(1)
	v_fma_f64 v[121:122], v[139:140], v[121:122], v[131:132]
	;; [unrolled: 18-line block ×3, first 2 shown]
	buffer_load_dword v134, off, s[0:3], 0 offset:468
	buffer_load_dword v133, off, s[0:3], 0 offset:464
	;; [unrolled: 1-line block ×4, first 2 shown]
	s_waitcnt vmcnt(21)
	v_fma_f64 v[121:122], v[147:148], v[123:124], v[121:122]
	s_waitcnt vmcnt(20) lgkmcnt(0)
	v_fma_f64 v[121:122], v[141:142], v[125:126], v[121:122]
	s_waitcnt vmcnt(15)
	v_fma_f64 v[129:130], v[129:130], v[127:128], v[121:122]
	ds_read2_b64 v[121:124], v120 offset0:111 offset1:112
	ds_read2_b64 v[125:128], v120 offset0:113 offset1:114
	s_waitcnt vmcnt(14) lgkmcnt(1)
	v_fma_f64 v[121:122], v[153:154], v[121:122], v[129:130]
	s_waitcnt vmcnt(13)
	v_fma_f64 v[121:122], v[151:152], v[123:124], v[121:122]
	s_waitcnt vmcnt(12) lgkmcnt(0)
	v_fma_f64 v[121:122], v[143:144], v[125:126], v[121:122]
	s_waitcnt vmcnt(7)
	v_fma_f64 v[129:130], v[131:132], v[127:128], v[121:122]
	ds_read2_b64 v[121:124], v120 offset0:115 offset1:116
	ds_read2_b64 v[125:128], v120 offset0:117 offset1:118
	s_waitcnt vmcnt(6) lgkmcnt(1)
	v_fma_f64 v[120:121], v[145:146], v[121:122], v[129:130]
	s_waitcnt vmcnt(5)
	v_fma_f64 v[120:121], v[139:140], v[123:124], v[120:121]
	s_waitcnt vmcnt(4) lgkmcnt(0)
	v_fma_f64 v[120:121], v[137:138], v[125:126], v[120:121]
	s_waitcnt vmcnt(2)
	v_fma_f64 v[120:121], v[133:134], v[127:128], v[120:121]
	s_waitcnt vmcnt(0)
	v_add_f64 v[120:121], v[135:136], -v[120:121]
	buffer_store_dword v121, off, s[0:3], 0 offset:116
	buffer_store_dword v120, off, s[0:3], 0 offset:112
	s_and_saveexec_b64 s[4:5], vcc
	s_cbranch_execz .LBB58_335
; %bb.334:
	buffer_load_dword v120, off, s[0:3], 0 offset:104
	buffer_load_dword v121, off, s[0:3], 0 offset:108
	v_mov_b32_e32 v122, 0
	buffer_store_dword v122, off, s[0:3], 0 offset:104
	buffer_store_dword v122, off, s[0:3], 0 offset:108
	s_waitcnt vmcnt(2)
	ds_write_b64 v119, v[120:121]
.LBB58_335:
	s_or_b64 exec, exec, s[4:5]
	s_waitcnt lgkmcnt(0)
	; wave barrier
	buffer_load_dword v129, off, s[0:3], 0 offset:112
	buffer_load_dword v130, off, s[0:3], 0 offset:116
	;; [unrolled: 1-line block ×21, first 2 shown]
	v_mov_b32_e32 v120, 0
	ds_read_b128 v[121:124], v120 offset:592
	ds_read_b128 v[125:128], v120 offset:608
	buffer_load_dword v146, off, s[0:3], 0 offset:196
	v_cmp_lt_u32_e32 vcc, 12, v0
	s_waitcnt vmcnt(20) lgkmcnt(1)
	v_fma_f64 v[121:122], v[129:130], v[121:122], 0
	s_waitcnt vmcnt(18)
	v_fma_f64 v[121:122], v[131:132], v[123:124], v[121:122]
	buffer_load_dword v130, off, s[0:3], 0 offset:204
	buffer_load_dword v131, off, s[0:3], 0 offset:224
	;; [unrolled: 1-line block ×7, first 2 shown]
	s_waitcnt vmcnt(23) lgkmcnt(0)
	v_fma_f64 v[121:122], v[133:134], v[125:126], v[121:122]
	s_waitcnt vmcnt(21)
	v_fma_f64 v[132:133], v[135:136], v[127:128], v[121:122]
	ds_read_b128 v[121:124], v120 offset:624
	ds_read_b128 v[125:128], v120 offset:640
	s_waitcnt vmcnt(19) lgkmcnt(1)
	v_fma_f64 v[121:122], v[137:138], v[121:122], v[132:133]
	buffer_load_dword v132, off, s[0:3], 0 offset:228
	s_waitcnt vmcnt(18)
	v_fma_f64 v[121:122], v[139:140], v[123:124], v[121:122]
	buffer_load_dword v134, off, s[0:3], 0 offset:236
	buffer_load_dword v135, off, s[0:3], 0 offset:256
	;; [unrolled: 1-line block ×7, first 2 shown]
	s_waitcnt vmcnt(23) lgkmcnt(0)
	v_fma_f64 v[121:122], v[141:142], v[125:126], v[121:122]
	s_waitcnt vmcnt(18)
	v_fma_f64 v[141:142], v[143:144], v[127:128], v[121:122]
	ds_read_b128 v[121:124], v120 offset:656
	ds_read_b128 v[125:128], v120 offset:672
	buffer_load_dword v136, off, s[0:3], 0 offset:260
	s_waitcnt vmcnt(18) lgkmcnt(1)
	v_fma_f64 v[121:122], v[149:150], v[121:122], v[141:142]
	s_waitcnt vmcnt(17)
	v_fma_f64 v[121:122], v[147:148], v[123:124], v[121:122]
	buffer_load_dword v142, off, s[0:3], 0 offset:268
	buffer_load_dword v143, off, s[0:3], 0 offset:288
	;; [unrolled: 1-line block ×7, first 2 shown]
	s_waitcnt vmcnt(23) lgkmcnt(0)
	v_fma_f64 v[121:122], v[145:146], v[125:126], v[121:122]
	s_waitcnt vmcnt(18)
	v_fma_f64 v[129:130], v[129:130], v[127:128], v[121:122]
	ds_read_b128 v[121:124], v120 offset:688
	ds_read_b128 v[125:128], v120 offset:704
	buffer_load_dword v144, off, s[0:3], 0 offset:292
	s_waitcnt vmcnt(18) lgkmcnt(1)
	v_fma_f64 v[121:122], v[153:154], v[121:122], v[129:130]
	s_waitcnt vmcnt(17)
	v_fma_f64 v[121:122], v[151:152], v[123:124], v[121:122]
	buffer_load_dword v130, off, s[0:3], 0 offset:300
	buffer_load_dword v145, off, s[0:3], 0 offset:320
	;; [unrolled: 1-line block ×8, first 2 shown]
	s_waitcnt vmcnt(24) lgkmcnt(0)
	v_fma_f64 v[121:122], v[131:132], v[125:126], v[121:122]
	s_waitcnt vmcnt(19)
	v_fma_f64 v[131:132], v[133:134], v[127:128], v[121:122]
	ds_read_b128 v[121:124], v120 offset:720
	ds_read_b128 v[125:128], v120 offset:736
	s_waitcnt vmcnt(18) lgkmcnt(1)
	v_fma_f64 v[121:122], v[139:140], v[121:122], v[131:132]
	s_waitcnt vmcnt(17)
	v_fma_f64 v[121:122], v[137:138], v[123:124], v[121:122]
	buffer_load_dword v132, off, s[0:3], 0 offset:332
	buffer_load_dword v133, off, s[0:3], 0 offset:352
	buffer_load_dword v137, off, s[0:3], 0 offset:344
	buffer_load_dword v139, off, s[0:3], 0 offset:336
	buffer_load_dword v131, off, s[0:3], 0 offset:328
	buffer_load_dword v140, off, s[0:3], 0 offset:340
	buffer_load_dword v138, off, s[0:3], 0 offset:348
	s_waitcnt vmcnt(23) lgkmcnt(0)
	v_fma_f64 v[121:122], v[135:136], v[125:126], v[121:122]
	s_waitcnt vmcnt(18)
	v_fma_f64 v[134:135], v[141:142], v[127:128], v[121:122]
	ds_read_b128 v[121:124], v120 offset:752
	ds_read_b128 v[125:128], v120 offset:768
	s_waitcnt vmcnt(17) lgkmcnt(1)
	v_fma_f64 v[121:122], v[149:150], v[121:122], v[134:135]
	buffer_load_dword v134, off, s[0:3], 0 offset:356
	s_waitcnt vmcnt(17)
	v_fma_f64 v[121:122], v[147:148], v[123:124], v[121:122]
	buffer_load_dword v136, off, s[0:3], 0 offset:364
	buffer_load_dword v141, off, s[0:3], 0 offset:384
	buffer_load_dword v147, off, s[0:3], 0 offset:376
	buffer_load_dword v149, off, s[0:3], 0 offset:368
	buffer_load_dword v135, off, s[0:3], 0 offset:360
	buffer_load_dword v150, off, s[0:3], 0 offset:372
	buffer_load_dword v148, off, s[0:3], 0 offset:380
	s_waitcnt vmcnt(23) lgkmcnt(0)
	v_fma_f64 v[121:122], v[143:144], v[125:126], v[121:122]
	s_waitcnt vmcnt(18)
	v_fma_f64 v[129:130], v[129:130], v[127:128], v[121:122]
	ds_read_b128 v[121:124], v120 offset:784
	ds_read_b128 v[125:128], v120 offset:800
	buffer_load_dword v142, off, s[0:3], 0 offset:388
	s_waitcnt vmcnt(18) lgkmcnt(1)
	v_fma_f64 v[121:122], v[153:154], v[121:122], v[129:130]
	s_waitcnt vmcnt(17)
	v_fma_f64 v[121:122], v[151:152], v[123:124], v[121:122]
	buffer_load_dword v130, off, s[0:3], 0 offset:396
	buffer_load_dword v143, off, s[0:3], 0 offset:416
	;; [unrolled: 1-line block ×8, first 2 shown]
	s_waitcnt vmcnt(24) lgkmcnt(0)
	v_fma_f64 v[121:122], v[145:146], v[125:126], v[121:122]
	s_waitcnt vmcnt(19)
	v_fma_f64 v[131:132], v[131:132], v[127:128], v[121:122]
	ds_read_b128 v[121:124], v120 offset:816
	ds_read_b128 v[125:128], v120 offset:832
	s_waitcnt vmcnt(18) lgkmcnt(1)
	v_fma_f64 v[121:122], v[139:140], v[121:122], v[131:132]
	s_waitcnt vmcnt(17)
	v_fma_f64 v[121:122], v[137:138], v[123:124], v[121:122]
	buffer_load_dword v132, off, s[0:3], 0 offset:428
	buffer_load_dword v137, off, s[0:3], 0 offset:448
	;; [unrolled: 1-line block ×7, first 2 shown]
	s_waitcnt vmcnt(23) lgkmcnt(0)
	v_fma_f64 v[121:122], v[133:134], v[125:126], v[121:122]
	s_waitcnt vmcnt(18)
	v_fma_f64 v[133:134], v[135:136], v[127:128], v[121:122]
	ds_read_b128 v[121:124], v120 offset:848
	ds_read_b128 v[125:128], v120 offset:864
	buffer_load_dword v138, off, s[0:3], 0 offset:452
	s_waitcnt vmcnt(18) lgkmcnt(1)
	v_fma_f64 v[121:122], v[149:150], v[121:122], v[133:134]
	buffer_load_dword v134, off, s[0:3], 0 offset:460
	buffer_load_dword v135, off, s[0:3], 0 offset:464
	;; [unrolled: 1-line block ×4, first 2 shown]
	s_waitcnt vmcnt(21)
	v_fma_f64 v[121:122], v[147:148], v[123:124], v[121:122]
	s_waitcnt vmcnt(20) lgkmcnt(0)
	v_fma_f64 v[121:122], v[141:142], v[125:126], v[121:122]
	buffer_load_dword v141, off, s[0:3], 0 offset:104
	buffer_load_dword v142, off, s[0:3], 0 offset:108
	s_waitcnt vmcnt(17)
	v_fma_f64 v[129:130], v[129:130], v[127:128], v[121:122]
	ds_read_b128 v[121:124], v120 offset:880
	ds_read_b128 v[125:128], v120 offset:896
	s_waitcnt vmcnt(16) lgkmcnt(1)
	v_fma_f64 v[121:122], v[153:154], v[121:122], v[129:130]
	s_waitcnt vmcnt(15)
	v_fma_f64 v[121:122], v[151:152], v[123:124], v[121:122]
	s_waitcnt vmcnt(14) lgkmcnt(0)
	v_fma_f64 v[121:122], v[143:144], v[125:126], v[121:122]
	s_waitcnt vmcnt(9)
	v_fma_f64 v[129:130], v[131:132], v[127:128], v[121:122]
	ds_read_b128 v[121:124], v120 offset:912
	ds_read_b128 v[125:128], v120 offset:928
	s_waitcnt vmcnt(8) lgkmcnt(1)
	v_fma_f64 v[121:122], v[145:146], v[121:122], v[129:130]
	s_waitcnt vmcnt(7)
	v_fma_f64 v[121:122], v[139:140], v[123:124], v[121:122]
	ds_read_b64 v[123:124], v120 offset:944
	s_waitcnt vmcnt(6) lgkmcnt(1)
	v_fma_f64 v[121:122], v[137:138], v[125:126], v[121:122]
	s_waitcnt vmcnt(3)
	v_fma_f64 v[121:122], v[133:134], v[127:128], v[121:122]
	s_waitcnt vmcnt(2) lgkmcnt(0)
	v_fma_f64 v[121:122], v[135:136], v[123:124], v[121:122]
	s_waitcnt vmcnt(0)
	v_add_f64 v[121:122], v[141:142], -v[121:122]
	buffer_store_dword v122, off, s[0:3], 0 offset:108
	buffer_store_dword v121, off, s[0:3], 0 offset:104
	s_and_saveexec_b64 s[4:5], vcc
	s_cbranch_execz .LBB58_337
; %bb.336:
	buffer_load_dword v121, off, s[0:3], 0 offset:96
	buffer_load_dword v122, off, s[0:3], 0 offset:100
	s_waitcnt vmcnt(0)
	ds_write_b64 v119, v[121:122]
	buffer_store_dword v120, off, s[0:3], 0 offset:96
	buffer_store_dword v120, off, s[0:3], 0 offset:100
.LBB58_337:
	s_or_b64 exec, exec, s[4:5]
	s_waitcnt lgkmcnt(0)
	; wave barrier
	buffer_load_dword v129, off, s[0:3], 0 offset:104
	buffer_load_dword v130, off, s[0:3], 0 offset:108
	;; [unrolled: 1-line block ×21, first 2 shown]
	ds_read2_b64 v[121:124], v120 offset0:73 offset1:74
	ds_read2_b64 v[125:128], v120 offset0:75 offset1:76
	buffer_load_dword v146, off, s[0:3], 0 offset:188
	v_cmp_lt_u32_e32 vcc, 11, v0
	s_waitcnt vmcnt(20) lgkmcnt(1)
	v_fma_f64 v[121:122], v[129:130], v[121:122], 0
	s_waitcnt vmcnt(18)
	v_fma_f64 v[121:122], v[131:132], v[123:124], v[121:122]
	buffer_load_dword v130, off, s[0:3], 0 offset:196
	buffer_load_dword v131, off, s[0:3], 0 offset:216
	;; [unrolled: 1-line block ×7, first 2 shown]
	s_waitcnt vmcnt(23) lgkmcnt(0)
	v_fma_f64 v[121:122], v[133:134], v[125:126], v[121:122]
	s_waitcnt vmcnt(21)
	v_fma_f64 v[132:133], v[135:136], v[127:128], v[121:122]
	ds_read2_b64 v[121:124], v120 offset0:77 offset1:78
	ds_read2_b64 v[125:128], v120 offset0:79 offset1:80
	s_waitcnt vmcnt(19) lgkmcnt(1)
	v_fma_f64 v[121:122], v[137:138], v[121:122], v[132:133]
	buffer_load_dword v132, off, s[0:3], 0 offset:220
	s_waitcnt vmcnt(18)
	v_fma_f64 v[121:122], v[139:140], v[123:124], v[121:122]
	buffer_load_dword v134, off, s[0:3], 0 offset:228
	buffer_load_dword v135, off, s[0:3], 0 offset:248
	;; [unrolled: 1-line block ×8, first 2 shown]
	s_waitcnt vmcnt(24) lgkmcnt(0)
	v_fma_f64 v[121:122], v[141:142], v[125:126], v[121:122]
	s_waitcnt vmcnt(19)
	v_fma_f64 v[141:142], v[143:144], v[127:128], v[121:122]
	ds_read2_b64 v[121:124], v120 offset0:81 offset1:82
	ds_read2_b64 v[125:128], v120 offset0:83 offset1:84
	s_waitcnt vmcnt(18) lgkmcnt(1)
	v_fma_f64 v[121:122], v[149:150], v[121:122], v[141:142]
	s_waitcnt vmcnt(17)
	v_fma_f64 v[121:122], v[147:148], v[123:124], v[121:122]
	buffer_load_dword v142, off, s[0:3], 0 offset:260
	buffer_load_dword v143, off, s[0:3], 0 offset:280
	;; [unrolled: 1-line block ×7, first 2 shown]
	s_waitcnt vmcnt(23) lgkmcnt(0)
	v_fma_f64 v[121:122], v[145:146], v[125:126], v[121:122]
	s_waitcnt vmcnt(18)
	v_fma_f64 v[129:130], v[129:130], v[127:128], v[121:122]
	ds_read2_b64 v[121:124], v120 offset0:85 offset1:86
	ds_read2_b64 v[125:128], v120 offset0:87 offset1:88
	buffer_load_dword v144, off, s[0:3], 0 offset:284
	s_waitcnt vmcnt(18) lgkmcnt(1)
	v_fma_f64 v[121:122], v[153:154], v[121:122], v[129:130]
	s_waitcnt vmcnt(17)
	v_fma_f64 v[121:122], v[151:152], v[123:124], v[121:122]
	buffer_load_dword v130, off, s[0:3], 0 offset:292
	buffer_load_dword v145, off, s[0:3], 0 offset:312
	buffer_load_dword v151, off, s[0:3], 0 offset:304
	buffer_load_dword v153, off, s[0:3], 0 offset:296
	buffer_load_dword v129, off, s[0:3], 0 offset:288
	buffer_load_dword v154, off, s[0:3], 0 offset:300
	buffer_load_dword v152, off, s[0:3], 0 offset:308
	buffer_load_dword v146, off, s[0:3], 0 offset:316
	s_waitcnt vmcnt(24) lgkmcnt(0)
	v_fma_f64 v[121:122], v[131:132], v[125:126], v[121:122]
	s_waitcnt vmcnt(19)
	v_fma_f64 v[131:132], v[133:134], v[127:128], v[121:122]
	ds_read2_b64 v[121:124], v120 offset0:89 offset1:90
	ds_read2_b64 v[125:128], v120 offset0:91 offset1:92
	s_waitcnt vmcnt(18) lgkmcnt(1)
	v_fma_f64 v[121:122], v[139:140], v[121:122], v[131:132]
	s_waitcnt vmcnt(17)
	v_fma_f64 v[121:122], v[137:138], v[123:124], v[121:122]
	buffer_load_dword v132, off, s[0:3], 0 offset:324
	buffer_load_dword v133, off, s[0:3], 0 offset:344
	;; [unrolled: 1-line block ×7, first 2 shown]
	s_waitcnt vmcnt(23) lgkmcnt(0)
	v_fma_f64 v[121:122], v[135:136], v[125:126], v[121:122]
	s_waitcnt vmcnt(18)
	v_fma_f64 v[134:135], v[141:142], v[127:128], v[121:122]
	ds_read2_b64 v[121:124], v120 offset0:93 offset1:94
	ds_read2_b64 v[125:128], v120 offset0:95 offset1:96
	s_waitcnt vmcnt(17) lgkmcnt(1)
	v_fma_f64 v[121:122], v[149:150], v[121:122], v[134:135]
	buffer_load_dword v134, off, s[0:3], 0 offset:348
	s_waitcnt vmcnt(17)
	v_fma_f64 v[121:122], v[147:148], v[123:124], v[121:122]
	buffer_load_dword v136, off, s[0:3], 0 offset:356
	buffer_load_dword v141, off, s[0:3], 0 offset:376
	;; [unrolled: 1-line block ×7, first 2 shown]
	s_waitcnt vmcnt(23) lgkmcnt(0)
	v_fma_f64 v[121:122], v[143:144], v[125:126], v[121:122]
	s_waitcnt vmcnt(18)
	v_fma_f64 v[129:130], v[129:130], v[127:128], v[121:122]
	ds_read2_b64 v[121:124], v120 offset0:97 offset1:98
	ds_read2_b64 v[125:128], v120 offset0:99 offset1:100
	buffer_load_dword v142, off, s[0:3], 0 offset:380
	s_waitcnt vmcnt(18) lgkmcnt(1)
	v_fma_f64 v[121:122], v[153:154], v[121:122], v[129:130]
	s_waitcnt vmcnt(17)
	v_fma_f64 v[121:122], v[151:152], v[123:124], v[121:122]
	buffer_load_dword v130, off, s[0:3], 0 offset:388
	buffer_load_dword v143, off, s[0:3], 0 offset:408
	;; [unrolled: 1-line block ×8, first 2 shown]
	s_waitcnt vmcnt(24) lgkmcnt(0)
	v_fma_f64 v[121:122], v[145:146], v[125:126], v[121:122]
	s_waitcnt vmcnt(19)
	v_fma_f64 v[131:132], v[131:132], v[127:128], v[121:122]
	ds_read2_b64 v[121:124], v120 offset0:101 offset1:102
	ds_read2_b64 v[125:128], v120 offset0:103 offset1:104
	s_waitcnt vmcnt(18) lgkmcnt(1)
	v_fma_f64 v[121:122], v[139:140], v[121:122], v[131:132]
	s_waitcnt vmcnt(17)
	v_fma_f64 v[121:122], v[137:138], v[123:124], v[121:122]
	buffer_load_dword v132, off, s[0:3], 0 offset:420
	buffer_load_dword v137, off, s[0:3], 0 offset:440
	;; [unrolled: 1-line block ×8, first 2 shown]
	s_waitcnt vmcnt(24) lgkmcnt(0)
	v_fma_f64 v[121:122], v[133:134], v[125:126], v[121:122]
	s_waitcnt vmcnt(19)
	v_fma_f64 v[133:134], v[135:136], v[127:128], v[121:122]
	ds_read2_b64 v[121:124], v120 offset0:105 offset1:106
	ds_read2_b64 v[125:128], v120 offset0:107 offset1:108
	s_waitcnt vmcnt(18) lgkmcnt(1)
	v_fma_f64 v[121:122], v[149:150], v[121:122], v[133:134]
	s_waitcnt vmcnt(17)
	v_fma_f64 v[121:122], v[147:148], v[123:124], v[121:122]
	buffer_load_dword v134, off, s[0:3], 0 offset:452
	buffer_load_dword v135, off, s[0:3], 0 offset:464
	;; [unrolled: 1-line block ×6, first 2 shown]
	s_waitcnt vmcnt(22) lgkmcnt(0)
	v_fma_f64 v[121:122], v[141:142], v[125:126], v[121:122]
	s_waitcnt vmcnt(17)
	v_fma_f64 v[129:130], v[129:130], v[127:128], v[121:122]
	ds_read2_b64 v[121:124], v120 offset0:109 offset1:110
	buffer_load_dword v141, off, s[0:3], 0 offset:96
	buffer_load_dword v142, off, s[0:3], 0 offset:100
	ds_read2_b64 v[125:128], v120 offset0:111 offset1:112
	s_waitcnt vmcnt(18) lgkmcnt(1)
	v_fma_f64 v[121:122], v[153:154], v[121:122], v[129:130]
	s_waitcnt vmcnt(17)
	v_fma_f64 v[121:122], v[151:152], v[123:124], v[121:122]
	s_waitcnt vmcnt(16) lgkmcnt(0)
	v_fma_f64 v[121:122], v[143:144], v[125:126], v[121:122]
	s_waitcnt vmcnt(11)
	v_fma_f64 v[129:130], v[131:132], v[127:128], v[121:122]
	ds_read2_b64 v[121:124], v120 offset0:113 offset1:114
	ds_read2_b64 v[125:128], v120 offset0:115 offset1:116
	s_waitcnt vmcnt(10) lgkmcnt(1)
	v_fma_f64 v[121:122], v[145:146], v[121:122], v[129:130]
	s_waitcnt vmcnt(9)
	v_fma_f64 v[121:122], v[139:140], v[123:124], v[121:122]
	s_waitcnt vmcnt(8) lgkmcnt(0)
	v_fma_f64 v[121:122], v[137:138], v[125:126], v[121:122]
	s_waitcnt vmcnt(4)
	v_fma_f64 v[124:125], v[133:134], v[127:128], v[121:122]
	ds_read2_b64 v[120:123], v120 offset0:117 offset1:118
	s_waitcnt vmcnt(3) lgkmcnt(0)
	v_fma_f64 v[120:121], v[147:148], v[120:121], v[124:125]
	s_waitcnt vmcnt(2)
	v_fma_f64 v[120:121], v[135:136], v[122:123], v[120:121]
	s_waitcnt vmcnt(0)
	v_add_f64 v[120:121], v[141:142], -v[120:121]
	buffer_store_dword v121, off, s[0:3], 0 offset:100
	buffer_store_dword v120, off, s[0:3], 0 offset:96
	s_and_saveexec_b64 s[4:5], vcc
	s_cbranch_execz .LBB58_339
; %bb.338:
	buffer_load_dword v120, off, s[0:3], 0 offset:88
	buffer_load_dword v121, off, s[0:3], 0 offset:92
	v_mov_b32_e32 v122, 0
	buffer_store_dword v122, off, s[0:3], 0 offset:88
	buffer_store_dword v122, off, s[0:3], 0 offset:92
	s_waitcnt vmcnt(2)
	ds_write_b64 v119, v[120:121]
.LBB58_339:
	s_or_b64 exec, exec, s[4:5]
	s_waitcnt lgkmcnt(0)
	; wave barrier
	buffer_load_dword v129, off, s[0:3], 0 offset:96
	buffer_load_dword v130, off, s[0:3], 0 offset:100
	;; [unrolled: 1-line block ×21, first 2 shown]
	v_mov_b32_e32 v120, 0
	ds_read_b128 v[121:124], v120 offset:576
	ds_read_b128 v[125:128], v120 offset:592
	buffer_load_dword v146, off, s[0:3], 0 offset:180
	v_cmp_lt_u32_e32 vcc, 10, v0
	s_waitcnt vmcnt(20) lgkmcnt(1)
	v_fma_f64 v[121:122], v[129:130], v[121:122], 0
	s_waitcnt vmcnt(18)
	v_fma_f64 v[121:122], v[131:132], v[123:124], v[121:122]
	buffer_load_dword v130, off, s[0:3], 0 offset:188
	buffer_load_dword v131, off, s[0:3], 0 offset:208
	;; [unrolled: 1-line block ×7, first 2 shown]
	s_waitcnt vmcnt(23) lgkmcnt(0)
	v_fma_f64 v[121:122], v[133:134], v[125:126], v[121:122]
	s_waitcnt vmcnt(21)
	v_fma_f64 v[132:133], v[135:136], v[127:128], v[121:122]
	ds_read_b128 v[121:124], v120 offset:608
	ds_read_b128 v[125:128], v120 offset:624
	s_waitcnt vmcnt(19) lgkmcnt(1)
	v_fma_f64 v[121:122], v[137:138], v[121:122], v[132:133]
	buffer_load_dword v132, off, s[0:3], 0 offset:212
	s_waitcnt vmcnt(18)
	v_fma_f64 v[121:122], v[139:140], v[123:124], v[121:122]
	buffer_load_dword v134, off, s[0:3], 0 offset:220
	buffer_load_dword v135, off, s[0:3], 0 offset:240
	;; [unrolled: 1-line block ×8, first 2 shown]
	s_waitcnt vmcnt(24) lgkmcnt(0)
	v_fma_f64 v[121:122], v[141:142], v[125:126], v[121:122]
	s_waitcnt vmcnt(19)
	v_fma_f64 v[141:142], v[143:144], v[127:128], v[121:122]
	ds_read_b128 v[121:124], v120 offset:640
	ds_read_b128 v[125:128], v120 offset:656
	s_waitcnt vmcnt(18) lgkmcnt(1)
	v_fma_f64 v[121:122], v[149:150], v[121:122], v[141:142]
	s_waitcnt vmcnt(17)
	v_fma_f64 v[121:122], v[147:148], v[123:124], v[121:122]
	buffer_load_dword v142, off, s[0:3], 0 offset:252
	buffer_load_dword v143, off, s[0:3], 0 offset:272
	;; [unrolled: 1-line block ×7, first 2 shown]
	s_waitcnt vmcnt(23) lgkmcnt(0)
	v_fma_f64 v[121:122], v[145:146], v[125:126], v[121:122]
	s_waitcnt vmcnt(18)
	v_fma_f64 v[129:130], v[129:130], v[127:128], v[121:122]
	ds_read_b128 v[121:124], v120 offset:672
	ds_read_b128 v[125:128], v120 offset:688
	buffer_load_dword v144, off, s[0:3], 0 offset:276
	s_waitcnt vmcnt(18) lgkmcnt(1)
	v_fma_f64 v[121:122], v[153:154], v[121:122], v[129:130]
	s_waitcnt vmcnt(17)
	v_fma_f64 v[121:122], v[151:152], v[123:124], v[121:122]
	buffer_load_dword v130, off, s[0:3], 0 offset:284
	buffer_load_dword v145, off, s[0:3], 0 offset:304
	;; [unrolled: 1-line block ×8, first 2 shown]
	s_waitcnt vmcnt(24) lgkmcnt(0)
	v_fma_f64 v[121:122], v[131:132], v[125:126], v[121:122]
	s_waitcnt vmcnt(19)
	v_fma_f64 v[131:132], v[133:134], v[127:128], v[121:122]
	ds_read_b128 v[121:124], v120 offset:704
	ds_read_b128 v[125:128], v120 offset:720
	s_waitcnt vmcnt(18) lgkmcnt(1)
	v_fma_f64 v[121:122], v[139:140], v[121:122], v[131:132]
	s_waitcnt vmcnt(17)
	v_fma_f64 v[121:122], v[137:138], v[123:124], v[121:122]
	buffer_load_dword v132, off, s[0:3], 0 offset:316
	buffer_load_dword v133, off, s[0:3], 0 offset:336
	;; [unrolled: 1-line block ×7, first 2 shown]
	s_waitcnt vmcnt(23) lgkmcnt(0)
	v_fma_f64 v[121:122], v[135:136], v[125:126], v[121:122]
	s_waitcnt vmcnt(18)
	v_fma_f64 v[134:135], v[141:142], v[127:128], v[121:122]
	ds_read_b128 v[121:124], v120 offset:736
	ds_read_b128 v[125:128], v120 offset:752
	s_waitcnt vmcnt(17) lgkmcnt(1)
	v_fma_f64 v[121:122], v[149:150], v[121:122], v[134:135]
	buffer_load_dword v134, off, s[0:3], 0 offset:340
	s_waitcnt vmcnt(17)
	v_fma_f64 v[121:122], v[147:148], v[123:124], v[121:122]
	buffer_load_dword v136, off, s[0:3], 0 offset:348
	buffer_load_dword v141, off, s[0:3], 0 offset:368
	;; [unrolled: 1-line block ×7, first 2 shown]
	s_waitcnt vmcnt(23) lgkmcnt(0)
	v_fma_f64 v[121:122], v[143:144], v[125:126], v[121:122]
	s_waitcnt vmcnt(18)
	v_fma_f64 v[129:130], v[129:130], v[127:128], v[121:122]
	ds_read_b128 v[121:124], v120 offset:768
	ds_read_b128 v[125:128], v120 offset:784
	buffer_load_dword v142, off, s[0:3], 0 offset:372
	s_waitcnt vmcnt(18) lgkmcnt(1)
	v_fma_f64 v[121:122], v[153:154], v[121:122], v[129:130]
	s_waitcnt vmcnt(17)
	v_fma_f64 v[121:122], v[151:152], v[123:124], v[121:122]
	buffer_load_dword v130, off, s[0:3], 0 offset:380
	buffer_load_dword v143, off, s[0:3], 0 offset:400
	buffer_load_dword v151, off, s[0:3], 0 offset:392
	buffer_load_dword v153, off, s[0:3], 0 offset:384
	buffer_load_dword v129, off, s[0:3], 0 offset:376
	buffer_load_dword v154, off, s[0:3], 0 offset:388
	buffer_load_dword v152, off, s[0:3], 0 offset:396
	buffer_load_dword v144, off, s[0:3], 0 offset:404
	s_waitcnt vmcnt(24) lgkmcnt(0)
	v_fma_f64 v[121:122], v[145:146], v[125:126], v[121:122]
	s_waitcnt vmcnt(19)
	v_fma_f64 v[131:132], v[131:132], v[127:128], v[121:122]
	ds_read_b128 v[121:124], v120 offset:800
	ds_read_b128 v[125:128], v120 offset:816
	s_waitcnt vmcnt(18) lgkmcnt(1)
	v_fma_f64 v[121:122], v[139:140], v[121:122], v[131:132]
	s_waitcnt vmcnt(17)
	v_fma_f64 v[121:122], v[137:138], v[123:124], v[121:122]
	buffer_load_dword v132, off, s[0:3], 0 offset:412
	buffer_load_dword v137, off, s[0:3], 0 offset:432
	buffer_load_dword v139, off, s[0:3], 0 offset:424
	buffer_load_dword v145, off, s[0:3], 0 offset:416
	buffer_load_dword v131, off, s[0:3], 0 offset:408
	buffer_load_dword v146, off, s[0:3], 0 offset:420
	buffer_load_dword v140, off, s[0:3], 0 offset:428
	buffer_load_dword v138, off, s[0:3], 0 offset:436
	s_waitcnt vmcnt(24) lgkmcnt(0)
	v_fma_f64 v[121:122], v[133:134], v[125:126], v[121:122]
	s_waitcnt vmcnt(19)
	v_fma_f64 v[133:134], v[135:136], v[127:128], v[121:122]
	ds_read_b128 v[121:124], v120 offset:832
	ds_read_b128 v[125:128], v120 offset:848
	s_waitcnt vmcnt(18) lgkmcnt(1)
	v_fma_f64 v[121:122], v[149:150], v[121:122], v[133:134]
	s_waitcnt vmcnt(17)
	v_fma_f64 v[121:122], v[147:148], v[123:124], v[121:122]
	buffer_load_dword v134, off, s[0:3], 0 offset:444
	buffer_load_dword v135, off, s[0:3], 0 offset:464
	buffer_load_dword v147, off, s[0:3], 0 offset:456
	buffer_load_dword v149, off, s[0:3], 0 offset:448
	buffer_load_dword v133, off, s[0:3], 0 offset:440
	buffer_load_dword v150, off, s[0:3], 0 offset:452
	buffer_load_dword v148, off, s[0:3], 0 offset:460
	buffer_load_dword v136, off, s[0:3], 0 offset:468
	s_waitcnt vmcnt(24) lgkmcnt(0)
	v_fma_f64 v[121:122], v[141:142], v[125:126], v[121:122]
	s_waitcnt vmcnt(19)
	v_fma_f64 v[129:130], v[129:130], v[127:128], v[121:122]
	ds_read_b128 v[121:124], v120 offset:864
	ds_read_b128 v[125:128], v120 offset:880
	s_waitcnt vmcnt(18) lgkmcnt(1)
	v_fma_f64 v[121:122], v[153:154], v[121:122], v[129:130]
	buffer_load_dword v129, off, s[0:3], 0 offset:88
	buffer_load_dword v130, off, s[0:3], 0 offset:92
	s_waitcnt vmcnt(19)
	v_fma_f64 v[121:122], v[151:152], v[123:124], v[121:122]
	s_waitcnt vmcnt(18) lgkmcnt(0)
	v_fma_f64 v[121:122], v[143:144], v[125:126], v[121:122]
	s_waitcnt vmcnt(13)
	v_fma_f64 v[131:132], v[131:132], v[127:128], v[121:122]
	ds_read_b128 v[121:124], v120 offset:896
	ds_read_b128 v[125:128], v120 offset:912
	s_waitcnt vmcnt(12) lgkmcnt(1)
	v_fma_f64 v[121:122], v[145:146], v[121:122], v[131:132]
	s_waitcnt vmcnt(11)
	v_fma_f64 v[121:122], v[139:140], v[123:124], v[121:122]
	s_waitcnt vmcnt(10) lgkmcnt(0)
	v_fma_f64 v[121:122], v[137:138], v[125:126], v[121:122]
	s_waitcnt vmcnt(5)
	v_fma_f64 v[125:126], v[133:134], v[127:128], v[121:122]
	ds_read_b128 v[121:124], v120 offset:928
	ds_read_b64 v[127:128], v120 offset:944
	s_waitcnt vmcnt(4) lgkmcnt(1)
	v_fma_f64 v[121:122], v[149:150], v[121:122], v[125:126]
	s_waitcnt vmcnt(3)
	v_fma_f64 v[121:122], v[147:148], v[123:124], v[121:122]
	s_waitcnt vmcnt(2) lgkmcnt(0)
	v_fma_f64 v[121:122], v[135:136], v[127:128], v[121:122]
	s_waitcnt vmcnt(0)
	v_add_f64 v[121:122], v[129:130], -v[121:122]
	buffer_store_dword v122, off, s[0:3], 0 offset:92
	buffer_store_dword v121, off, s[0:3], 0 offset:88
	s_and_saveexec_b64 s[4:5], vcc
	s_cbranch_execz .LBB58_341
; %bb.340:
	buffer_load_dword v121, off, s[0:3], 0 offset:80
	buffer_load_dword v122, off, s[0:3], 0 offset:84
	s_waitcnt vmcnt(0)
	ds_write_b64 v119, v[121:122]
	buffer_store_dword v120, off, s[0:3], 0 offset:80
	buffer_store_dword v120, off, s[0:3], 0 offset:84
.LBB58_341:
	s_or_b64 exec, exec, s[4:5]
	s_waitcnt lgkmcnt(0)
	; wave barrier
	buffer_load_dword v129, off, s[0:3], 0 offset:88
	buffer_load_dword v130, off, s[0:3], 0 offset:92
	;; [unrolled: 1-line block ×21, first 2 shown]
	ds_read2_b64 v[121:124], v120 offset0:71 offset1:72
	ds_read2_b64 v[125:128], v120 offset0:73 offset1:74
	buffer_load_dword v146, off, s[0:3], 0 offset:172
	v_cmp_lt_u32_e32 vcc, 9, v0
	s_waitcnt vmcnt(20) lgkmcnt(1)
	v_fma_f64 v[121:122], v[129:130], v[121:122], 0
	s_waitcnt vmcnt(18)
	v_fma_f64 v[121:122], v[131:132], v[123:124], v[121:122]
	buffer_load_dword v130, off, s[0:3], 0 offset:180
	buffer_load_dword v131, off, s[0:3], 0 offset:200
	;; [unrolled: 1-line block ×7, first 2 shown]
	s_waitcnt vmcnt(23) lgkmcnt(0)
	v_fma_f64 v[121:122], v[133:134], v[125:126], v[121:122]
	s_waitcnt vmcnt(21)
	v_fma_f64 v[132:133], v[135:136], v[127:128], v[121:122]
	ds_read2_b64 v[121:124], v120 offset0:75 offset1:76
	ds_read2_b64 v[125:128], v120 offset0:77 offset1:78
	s_waitcnt vmcnt(19) lgkmcnt(1)
	v_fma_f64 v[121:122], v[137:138], v[121:122], v[132:133]
	buffer_load_dword v132, off, s[0:3], 0 offset:204
	s_waitcnt vmcnt(18)
	v_fma_f64 v[121:122], v[139:140], v[123:124], v[121:122]
	buffer_load_dword v134, off, s[0:3], 0 offset:212
	buffer_load_dword v135, off, s[0:3], 0 offset:232
	;; [unrolled: 1-line block ×8, first 2 shown]
	s_waitcnt vmcnt(24) lgkmcnt(0)
	v_fma_f64 v[121:122], v[141:142], v[125:126], v[121:122]
	s_waitcnt vmcnt(19)
	v_fma_f64 v[141:142], v[143:144], v[127:128], v[121:122]
	ds_read2_b64 v[121:124], v120 offset0:79 offset1:80
	ds_read2_b64 v[125:128], v120 offset0:81 offset1:82
	s_waitcnt vmcnt(18) lgkmcnt(1)
	v_fma_f64 v[121:122], v[149:150], v[121:122], v[141:142]
	s_waitcnt vmcnt(17)
	v_fma_f64 v[121:122], v[147:148], v[123:124], v[121:122]
	buffer_load_dword v142, off, s[0:3], 0 offset:244
	buffer_load_dword v143, off, s[0:3], 0 offset:264
	;; [unrolled: 1-line block ×7, first 2 shown]
	s_waitcnt vmcnt(23) lgkmcnt(0)
	v_fma_f64 v[121:122], v[145:146], v[125:126], v[121:122]
	s_waitcnt vmcnt(18)
	v_fma_f64 v[129:130], v[129:130], v[127:128], v[121:122]
	ds_read2_b64 v[121:124], v120 offset0:83 offset1:84
	ds_read2_b64 v[125:128], v120 offset0:85 offset1:86
	buffer_load_dword v144, off, s[0:3], 0 offset:268
	s_waitcnt vmcnt(18) lgkmcnt(1)
	v_fma_f64 v[121:122], v[153:154], v[121:122], v[129:130]
	s_waitcnt vmcnt(17)
	v_fma_f64 v[121:122], v[151:152], v[123:124], v[121:122]
	buffer_load_dword v130, off, s[0:3], 0 offset:276
	buffer_load_dword v145, off, s[0:3], 0 offset:296
	;; [unrolled: 1-line block ×8, first 2 shown]
	s_waitcnt vmcnt(24) lgkmcnt(0)
	v_fma_f64 v[121:122], v[131:132], v[125:126], v[121:122]
	s_waitcnt vmcnt(19)
	v_fma_f64 v[131:132], v[133:134], v[127:128], v[121:122]
	ds_read2_b64 v[121:124], v120 offset0:87 offset1:88
	ds_read2_b64 v[125:128], v120 offset0:89 offset1:90
	s_waitcnt vmcnt(18) lgkmcnt(1)
	v_fma_f64 v[121:122], v[139:140], v[121:122], v[131:132]
	s_waitcnt vmcnt(17)
	v_fma_f64 v[121:122], v[137:138], v[123:124], v[121:122]
	buffer_load_dword v132, off, s[0:3], 0 offset:308
	buffer_load_dword v133, off, s[0:3], 0 offset:328
	buffer_load_dword v137, off, s[0:3], 0 offset:320
	buffer_load_dword v139, off, s[0:3], 0 offset:312
	buffer_load_dword v131, off, s[0:3], 0 offset:304
	buffer_load_dword v140, off, s[0:3], 0 offset:316
	buffer_load_dword v138, off, s[0:3], 0 offset:324
	s_waitcnt vmcnt(23) lgkmcnt(0)
	v_fma_f64 v[121:122], v[135:136], v[125:126], v[121:122]
	s_waitcnt vmcnt(18)
	v_fma_f64 v[134:135], v[141:142], v[127:128], v[121:122]
	ds_read2_b64 v[121:124], v120 offset0:91 offset1:92
	ds_read2_b64 v[125:128], v120 offset0:93 offset1:94
	s_waitcnt vmcnt(17) lgkmcnt(1)
	v_fma_f64 v[121:122], v[149:150], v[121:122], v[134:135]
	buffer_load_dword v134, off, s[0:3], 0 offset:332
	s_waitcnt vmcnt(17)
	v_fma_f64 v[121:122], v[147:148], v[123:124], v[121:122]
	buffer_load_dword v136, off, s[0:3], 0 offset:340
	buffer_load_dword v141, off, s[0:3], 0 offset:360
	;; [unrolled: 1-line block ×7, first 2 shown]
	s_waitcnt vmcnt(23) lgkmcnt(0)
	v_fma_f64 v[121:122], v[143:144], v[125:126], v[121:122]
	s_waitcnt vmcnt(18)
	v_fma_f64 v[129:130], v[129:130], v[127:128], v[121:122]
	ds_read2_b64 v[121:124], v120 offset0:95 offset1:96
	ds_read2_b64 v[125:128], v120 offset0:97 offset1:98
	buffer_load_dword v142, off, s[0:3], 0 offset:364
	s_waitcnt vmcnt(18) lgkmcnt(1)
	v_fma_f64 v[121:122], v[153:154], v[121:122], v[129:130]
	s_waitcnt vmcnt(17)
	v_fma_f64 v[121:122], v[151:152], v[123:124], v[121:122]
	buffer_load_dword v130, off, s[0:3], 0 offset:372
	buffer_load_dword v143, off, s[0:3], 0 offset:392
	buffer_load_dword v151, off, s[0:3], 0 offset:384
	buffer_load_dword v153, off, s[0:3], 0 offset:376
	buffer_load_dword v129, off, s[0:3], 0 offset:368
	buffer_load_dword v154, off, s[0:3], 0 offset:380
	buffer_load_dword v152, off, s[0:3], 0 offset:388
	buffer_load_dword v144, off, s[0:3], 0 offset:396
	s_waitcnt vmcnt(24) lgkmcnt(0)
	v_fma_f64 v[121:122], v[145:146], v[125:126], v[121:122]
	s_waitcnt vmcnt(19)
	v_fma_f64 v[131:132], v[131:132], v[127:128], v[121:122]
	ds_read2_b64 v[121:124], v120 offset0:99 offset1:100
	ds_read2_b64 v[125:128], v120 offset0:101 offset1:102
	s_waitcnt vmcnt(18) lgkmcnt(1)
	v_fma_f64 v[121:122], v[139:140], v[121:122], v[131:132]
	s_waitcnt vmcnt(17)
	v_fma_f64 v[121:122], v[137:138], v[123:124], v[121:122]
	buffer_load_dword v132, off, s[0:3], 0 offset:404
	buffer_load_dword v137, off, s[0:3], 0 offset:424
	buffer_load_dword v139, off, s[0:3], 0 offset:416
	buffer_load_dword v145, off, s[0:3], 0 offset:408
	buffer_load_dword v131, off, s[0:3], 0 offset:400
	buffer_load_dword v146, off, s[0:3], 0 offset:412
	buffer_load_dword v140, off, s[0:3], 0 offset:420
	buffer_load_dword v138, off, s[0:3], 0 offset:428
	s_waitcnt vmcnt(24) lgkmcnt(0)
	v_fma_f64 v[121:122], v[133:134], v[125:126], v[121:122]
	s_waitcnt vmcnt(19)
	v_fma_f64 v[133:134], v[135:136], v[127:128], v[121:122]
	ds_read2_b64 v[121:124], v120 offset0:103 offset1:104
	ds_read2_b64 v[125:128], v120 offset0:105 offset1:106
	;; [unrolled: 18-line block ×3, first 2 shown]
	s_waitcnt vmcnt(18) lgkmcnt(1)
	v_fma_f64 v[121:122], v[153:154], v[121:122], v[129:130]
	buffer_load_dword v130, off, s[0:3], 0 offset:468
	buffer_load_dword v129, off, s[0:3], 0 offset:464
	;; [unrolled: 1-line block ×4, first 2 shown]
	s_waitcnt vmcnt(21)
	v_fma_f64 v[121:122], v[151:152], v[123:124], v[121:122]
	s_waitcnt vmcnt(20) lgkmcnt(0)
	v_fma_f64 v[121:122], v[143:144], v[125:126], v[121:122]
	s_waitcnt vmcnt(15)
	v_fma_f64 v[131:132], v[131:132], v[127:128], v[121:122]
	ds_read2_b64 v[121:124], v120 offset0:111 offset1:112
	ds_read2_b64 v[125:128], v120 offset0:113 offset1:114
	s_waitcnt vmcnt(14) lgkmcnt(1)
	v_fma_f64 v[121:122], v[145:146], v[121:122], v[131:132]
	s_waitcnt vmcnt(13)
	v_fma_f64 v[121:122], v[139:140], v[123:124], v[121:122]
	s_waitcnt vmcnt(12) lgkmcnt(0)
	v_fma_f64 v[121:122], v[137:138], v[125:126], v[121:122]
	s_waitcnt vmcnt(7)
	v_fma_f64 v[131:132], v[133:134], v[127:128], v[121:122]
	ds_read2_b64 v[121:124], v120 offset0:115 offset1:116
	ds_read2_b64 v[125:128], v120 offset0:117 offset1:118
	s_waitcnt vmcnt(6) lgkmcnt(1)
	v_fma_f64 v[120:121], v[149:150], v[121:122], v[131:132]
	s_waitcnt vmcnt(5)
	v_fma_f64 v[120:121], v[147:148], v[123:124], v[120:121]
	s_waitcnt vmcnt(4) lgkmcnt(0)
	v_fma_f64 v[120:121], v[135:136], v[125:126], v[120:121]
	s_waitcnt vmcnt(2)
	v_fma_f64 v[120:121], v[129:130], v[127:128], v[120:121]
	s_waitcnt vmcnt(0)
	v_add_f64 v[120:121], v[141:142], -v[120:121]
	buffer_store_dword v121, off, s[0:3], 0 offset:84
	buffer_store_dword v120, off, s[0:3], 0 offset:80
	s_and_saveexec_b64 s[4:5], vcc
	s_cbranch_execz .LBB58_343
; %bb.342:
	buffer_load_dword v120, off, s[0:3], 0 offset:72
	buffer_load_dword v121, off, s[0:3], 0 offset:76
	v_mov_b32_e32 v122, 0
	buffer_store_dword v122, off, s[0:3], 0 offset:72
	buffer_store_dword v122, off, s[0:3], 0 offset:76
	s_waitcnt vmcnt(2)
	ds_write_b64 v119, v[120:121]
.LBB58_343:
	s_or_b64 exec, exec, s[4:5]
	s_waitcnt lgkmcnt(0)
	; wave barrier
	buffer_load_dword v129, off, s[0:3], 0 offset:80
	buffer_load_dword v130, off, s[0:3], 0 offset:84
	;; [unrolled: 1-line block ×21, first 2 shown]
	v_mov_b32_e32 v120, 0
	ds_read_b128 v[121:124], v120 offset:560
	ds_read_b128 v[125:128], v120 offset:576
	buffer_load_dword v146, off, s[0:3], 0 offset:164
	v_cmp_lt_u32_e32 vcc, 8, v0
	s_waitcnt vmcnt(20) lgkmcnt(1)
	v_fma_f64 v[121:122], v[129:130], v[121:122], 0
	s_waitcnt vmcnt(18)
	v_fma_f64 v[121:122], v[131:132], v[123:124], v[121:122]
	buffer_load_dword v130, off, s[0:3], 0 offset:172
	buffer_load_dword v131, off, s[0:3], 0 offset:192
	;; [unrolled: 1-line block ×7, first 2 shown]
	s_waitcnt vmcnt(23) lgkmcnt(0)
	v_fma_f64 v[121:122], v[133:134], v[125:126], v[121:122]
	s_waitcnt vmcnt(21)
	v_fma_f64 v[132:133], v[135:136], v[127:128], v[121:122]
	ds_read_b128 v[121:124], v120 offset:592
	ds_read_b128 v[125:128], v120 offset:608
	s_waitcnt vmcnt(19) lgkmcnt(1)
	v_fma_f64 v[121:122], v[137:138], v[121:122], v[132:133]
	buffer_load_dword v132, off, s[0:3], 0 offset:196
	s_waitcnt vmcnt(18)
	v_fma_f64 v[121:122], v[139:140], v[123:124], v[121:122]
	buffer_load_dword v134, off, s[0:3], 0 offset:204
	buffer_load_dword v135, off, s[0:3], 0 offset:224
	;; [unrolled: 1-line block ×8, first 2 shown]
	s_waitcnt vmcnt(24) lgkmcnt(0)
	v_fma_f64 v[121:122], v[141:142], v[125:126], v[121:122]
	s_waitcnt vmcnt(19)
	v_fma_f64 v[141:142], v[143:144], v[127:128], v[121:122]
	ds_read_b128 v[121:124], v120 offset:624
	ds_read_b128 v[125:128], v120 offset:640
	s_waitcnt vmcnt(18) lgkmcnt(1)
	v_fma_f64 v[121:122], v[149:150], v[121:122], v[141:142]
	s_waitcnt vmcnt(17)
	v_fma_f64 v[121:122], v[147:148], v[123:124], v[121:122]
	buffer_load_dword v142, off, s[0:3], 0 offset:236
	buffer_load_dword v143, off, s[0:3], 0 offset:256
	;; [unrolled: 1-line block ×7, first 2 shown]
	s_waitcnt vmcnt(23) lgkmcnt(0)
	v_fma_f64 v[121:122], v[145:146], v[125:126], v[121:122]
	s_waitcnt vmcnt(18)
	v_fma_f64 v[129:130], v[129:130], v[127:128], v[121:122]
	ds_read_b128 v[121:124], v120 offset:656
	ds_read_b128 v[125:128], v120 offset:672
	buffer_load_dword v144, off, s[0:3], 0 offset:260
	s_waitcnt vmcnt(18) lgkmcnt(1)
	v_fma_f64 v[121:122], v[153:154], v[121:122], v[129:130]
	s_waitcnt vmcnt(17)
	v_fma_f64 v[121:122], v[151:152], v[123:124], v[121:122]
	buffer_load_dword v130, off, s[0:3], 0 offset:268
	buffer_load_dword v145, off, s[0:3], 0 offset:288
	;; [unrolled: 1-line block ×7, first 2 shown]
	s_waitcnt vmcnt(23) lgkmcnt(0)
	v_fma_f64 v[121:122], v[131:132], v[125:126], v[121:122]
	s_waitcnt vmcnt(18)
	v_fma_f64 v[131:132], v[133:134], v[127:128], v[121:122]
	ds_read_b128 v[121:124], v120 offset:688
	ds_read_b128 v[125:128], v120 offset:704
	buffer_load_dword v146, off, s[0:3], 0 offset:292
	s_waitcnt vmcnt(18) lgkmcnt(1)
	v_fma_f64 v[121:122], v[139:140], v[121:122], v[131:132]
	s_waitcnt vmcnt(17)
	v_fma_f64 v[121:122], v[137:138], v[123:124], v[121:122]
	buffer_load_dword v132, off, s[0:3], 0 offset:300
	buffer_load_dword v133, off, s[0:3], 0 offset:320
	;; [unrolled: 1-line block ×7, first 2 shown]
	s_waitcnt vmcnt(23) lgkmcnt(0)
	v_fma_f64 v[121:122], v[135:136], v[125:126], v[121:122]
	s_waitcnt vmcnt(18)
	v_fma_f64 v[134:135], v[141:142], v[127:128], v[121:122]
	ds_read_b128 v[121:124], v120 offset:720
	ds_read_b128 v[125:128], v120 offset:736
	s_waitcnt vmcnt(17) lgkmcnt(1)
	v_fma_f64 v[121:122], v[149:150], v[121:122], v[134:135]
	buffer_load_dword v134, off, s[0:3], 0 offset:324
	s_waitcnt vmcnt(17)
	v_fma_f64 v[121:122], v[147:148], v[123:124], v[121:122]
	buffer_load_dword v136, off, s[0:3], 0 offset:332
	buffer_load_dword v141, off, s[0:3], 0 offset:352
	;; [unrolled: 1-line block ×7, first 2 shown]
	s_waitcnt vmcnt(23) lgkmcnt(0)
	v_fma_f64 v[121:122], v[143:144], v[125:126], v[121:122]
	s_waitcnt vmcnt(18)
	v_fma_f64 v[129:130], v[129:130], v[127:128], v[121:122]
	ds_read_b128 v[121:124], v120 offset:752
	ds_read_b128 v[125:128], v120 offset:768
	buffer_load_dword v142, off, s[0:3], 0 offset:356
	s_waitcnt vmcnt(18) lgkmcnt(1)
	v_fma_f64 v[121:122], v[153:154], v[121:122], v[129:130]
	s_waitcnt vmcnt(17)
	v_fma_f64 v[121:122], v[151:152], v[123:124], v[121:122]
	buffer_load_dword v130, off, s[0:3], 0 offset:364
	buffer_load_dword v143, off, s[0:3], 0 offset:384
	;; [unrolled: 1-line block ×7, first 2 shown]
	s_waitcnt vmcnt(23) lgkmcnt(0)
	v_fma_f64 v[121:122], v[145:146], v[125:126], v[121:122]
	s_waitcnt vmcnt(18)
	v_fma_f64 v[131:132], v[131:132], v[127:128], v[121:122]
	ds_read_b128 v[121:124], v120 offset:784
	ds_read_b128 v[125:128], v120 offset:800
	buffer_load_dword v144, off, s[0:3], 0 offset:388
	s_waitcnt vmcnt(18) lgkmcnt(1)
	v_fma_f64 v[121:122], v[139:140], v[121:122], v[131:132]
	s_waitcnt vmcnt(17)
	v_fma_f64 v[121:122], v[137:138], v[123:124], v[121:122]
	buffer_load_dword v132, off, s[0:3], 0 offset:396
	buffer_load_dword v137, off, s[0:3], 0 offset:416
	;; [unrolled: 1-line block ×8, first 2 shown]
	s_waitcnt vmcnt(24) lgkmcnt(0)
	v_fma_f64 v[121:122], v[133:134], v[125:126], v[121:122]
	s_waitcnt vmcnt(19)
	v_fma_f64 v[133:134], v[135:136], v[127:128], v[121:122]
	ds_read_b128 v[121:124], v120 offset:816
	ds_read_b128 v[125:128], v120 offset:832
	s_waitcnt vmcnt(18) lgkmcnt(1)
	v_fma_f64 v[121:122], v[149:150], v[121:122], v[133:134]
	s_waitcnt vmcnt(17)
	v_fma_f64 v[121:122], v[147:148], v[123:124], v[121:122]
	buffer_load_dword v134, off, s[0:3], 0 offset:428
	buffer_load_dword v135, off, s[0:3], 0 offset:448
	;; [unrolled: 1-line block ×7, first 2 shown]
	s_waitcnt vmcnt(23) lgkmcnt(0)
	v_fma_f64 v[121:122], v[141:142], v[125:126], v[121:122]
	s_waitcnt vmcnt(18)
	v_fma_f64 v[129:130], v[129:130], v[127:128], v[121:122]
	ds_read_b128 v[121:124], v120 offset:848
	ds_read_b128 v[125:128], v120 offset:864
	buffer_load_dword v136, off, s[0:3], 0 offset:452
	s_waitcnt vmcnt(18) lgkmcnt(1)
	v_fma_f64 v[121:122], v[153:154], v[121:122], v[129:130]
	buffer_load_dword v130, off, s[0:3], 0 offset:460
	buffer_load_dword v141, off, s[0:3], 0 offset:464
	;; [unrolled: 1-line block ×4, first 2 shown]
	s_waitcnt vmcnt(21)
	v_fma_f64 v[121:122], v[151:152], v[123:124], v[121:122]
	s_waitcnt vmcnt(20) lgkmcnt(0)
	v_fma_f64 v[121:122], v[143:144], v[125:126], v[121:122]
	buffer_load_dword v143, off, s[0:3], 0 offset:72
	buffer_load_dword v144, off, s[0:3], 0 offset:76
	s_waitcnt vmcnt(17)
	v_fma_f64 v[131:132], v[131:132], v[127:128], v[121:122]
	ds_read_b128 v[121:124], v120 offset:880
	ds_read_b128 v[125:128], v120 offset:896
	s_waitcnt vmcnt(16) lgkmcnt(1)
	v_fma_f64 v[121:122], v[145:146], v[121:122], v[131:132]
	s_waitcnt vmcnt(15)
	v_fma_f64 v[121:122], v[139:140], v[123:124], v[121:122]
	s_waitcnt vmcnt(14) lgkmcnt(0)
	v_fma_f64 v[121:122], v[137:138], v[125:126], v[121:122]
	s_waitcnt vmcnt(9)
	v_fma_f64 v[131:132], v[133:134], v[127:128], v[121:122]
	ds_read_b128 v[121:124], v120 offset:912
	ds_read_b128 v[125:128], v120 offset:928
	s_waitcnt vmcnt(8) lgkmcnt(1)
	v_fma_f64 v[121:122], v[149:150], v[121:122], v[131:132]
	s_waitcnt vmcnt(7)
	v_fma_f64 v[121:122], v[147:148], v[123:124], v[121:122]
	ds_read_b64 v[123:124], v120 offset:944
	s_waitcnt vmcnt(6) lgkmcnt(1)
	v_fma_f64 v[121:122], v[135:136], v[125:126], v[121:122]
	s_waitcnt vmcnt(3)
	v_fma_f64 v[121:122], v[129:130], v[127:128], v[121:122]
	s_waitcnt vmcnt(2) lgkmcnt(0)
	v_fma_f64 v[121:122], v[141:142], v[123:124], v[121:122]
	s_waitcnt vmcnt(0)
	v_add_f64 v[121:122], v[143:144], -v[121:122]
	buffer_store_dword v122, off, s[0:3], 0 offset:76
	buffer_store_dword v121, off, s[0:3], 0 offset:72
	s_and_saveexec_b64 s[4:5], vcc
	s_cbranch_execz .LBB58_345
; %bb.344:
	buffer_load_dword v121, off, s[0:3], 0 offset:64
	buffer_load_dword v122, off, s[0:3], 0 offset:68
	s_waitcnt vmcnt(0)
	ds_write_b64 v119, v[121:122]
	buffer_store_dword v120, off, s[0:3], 0 offset:64
	buffer_store_dword v120, off, s[0:3], 0 offset:68
.LBB58_345:
	s_or_b64 exec, exec, s[4:5]
	s_waitcnt lgkmcnt(0)
	; wave barrier
	buffer_load_dword v129, off, s[0:3], 0 offset:72
	buffer_load_dword v130, off, s[0:3], 0 offset:76
	;; [unrolled: 1-line block ×22, first 2 shown]
	ds_read2_b64 v[121:124], v120 offset0:69 offset1:70
	ds_read2_b64 v[125:128], v120 offset0:71 offset1:72
	v_cmp_lt_u32_e32 vcc, 7, v0
	s_waitcnt vmcnt(20) lgkmcnt(1)
	v_fma_f64 v[121:122], v[129:130], v[121:122], 0
	s_waitcnt vmcnt(18)
	v_fma_f64 v[121:122], v[131:132], v[123:124], v[121:122]
	buffer_load_dword v130, off, s[0:3], 0 offset:164
	buffer_load_dword v131, off, s[0:3], 0 offset:184
	;; [unrolled: 1-line block ×7, first 2 shown]
	s_waitcnt vmcnt(23) lgkmcnt(0)
	v_fma_f64 v[121:122], v[133:134], v[125:126], v[121:122]
	s_waitcnt vmcnt(21)
	v_fma_f64 v[132:133], v[135:136], v[127:128], v[121:122]
	ds_read2_b64 v[121:124], v120 offset0:73 offset1:74
	ds_read2_b64 v[125:128], v120 offset0:75 offset1:76
	s_waitcnt vmcnt(19) lgkmcnt(1)
	v_fma_f64 v[121:122], v[137:138], v[121:122], v[132:133]
	buffer_load_dword v132, off, s[0:3], 0 offset:188
	s_waitcnt vmcnt(18)
	v_fma_f64 v[121:122], v[139:140], v[123:124], v[121:122]
	buffer_load_dword v134, off, s[0:3], 0 offset:196
	buffer_load_dword v135, off, s[0:3], 0 offset:216
	;; [unrolled: 1-line block ×8, first 2 shown]
	s_waitcnt vmcnt(24) lgkmcnt(0)
	v_fma_f64 v[121:122], v[141:142], v[125:126], v[121:122]
	s_waitcnt vmcnt(19)
	v_fma_f64 v[141:142], v[143:144], v[127:128], v[121:122]
	ds_read2_b64 v[121:124], v120 offset0:77 offset1:78
	ds_read2_b64 v[125:128], v120 offset0:79 offset1:80
	s_waitcnt vmcnt(18) lgkmcnt(1)
	v_fma_f64 v[121:122], v[149:150], v[121:122], v[141:142]
	s_waitcnt vmcnt(17)
	v_fma_f64 v[121:122], v[147:148], v[123:124], v[121:122]
	buffer_load_dword v142, off, s[0:3], 0 offset:228
	buffer_load_dword v143, off, s[0:3], 0 offset:248
	buffer_load_dword v147, off, s[0:3], 0 offset:240
	buffer_load_dword v149, off, s[0:3], 0 offset:232
	buffer_load_dword v141, off, s[0:3], 0 offset:224
	buffer_load_dword v150, off, s[0:3], 0 offset:236
	buffer_load_dword v148, off, s[0:3], 0 offset:244
	buffer_load_dword v144, off, s[0:3], 0 offset:252
	s_waitcnt vmcnt(24) lgkmcnt(0)
	v_fma_f64 v[121:122], v[145:146], v[125:126], v[121:122]
	s_waitcnt vmcnt(19)
	v_fma_f64 v[129:130], v[129:130], v[127:128], v[121:122]
	ds_read2_b64 v[121:124], v120 offset0:81 offset1:82
	ds_read2_b64 v[125:128], v120 offset0:83 offset1:84
	s_waitcnt vmcnt(18) lgkmcnt(1)
	v_fma_f64 v[121:122], v[153:154], v[121:122], v[129:130]
	s_waitcnt vmcnt(17)
	v_fma_f64 v[121:122], v[151:152], v[123:124], v[121:122]
	buffer_load_dword v130, off, s[0:3], 0 offset:260
	buffer_load_dword v145, off, s[0:3], 0 offset:280
	;; [unrolled: 1-line block ×7, first 2 shown]
	s_waitcnt vmcnt(23) lgkmcnt(0)
	v_fma_f64 v[121:122], v[131:132], v[125:126], v[121:122]
	s_waitcnt vmcnt(18)
	v_fma_f64 v[131:132], v[133:134], v[127:128], v[121:122]
	ds_read2_b64 v[121:124], v120 offset0:85 offset1:86
	ds_read2_b64 v[125:128], v120 offset0:87 offset1:88
	buffer_load_dword v146, off, s[0:3], 0 offset:284
	s_waitcnt vmcnt(18) lgkmcnt(1)
	v_fma_f64 v[121:122], v[139:140], v[121:122], v[131:132]
	s_waitcnt vmcnt(17)
	v_fma_f64 v[121:122], v[137:138], v[123:124], v[121:122]
	buffer_load_dword v132, off, s[0:3], 0 offset:292
	buffer_load_dword v133, off, s[0:3], 0 offset:312
	;; [unrolled: 1-line block ×7, first 2 shown]
	s_waitcnt vmcnt(23) lgkmcnt(0)
	v_fma_f64 v[121:122], v[135:136], v[125:126], v[121:122]
	s_waitcnt vmcnt(18)
	v_fma_f64 v[134:135], v[141:142], v[127:128], v[121:122]
	ds_read2_b64 v[121:124], v120 offset0:89 offset1:90
	ds_read2_b64 v[125:128], v120 offset0:91 offset1:92
	s_waitcnt vmcnt(17) lgkmcnt(1)
	v_fma_f64 v[121:122], v[149:150], v[121:122], v[134:135]
	buffer_load_dword v134, off, s[0:3], 0 offset:316
	s_waitcnt vmcnt(17)
	v_fma_f64 v[121:122], v[147:148], v[123:124], v[121:122]
	buffer_load_dword v136, off, s[0:3], 0 offset:324
	buffer_load_dword v141, off, s[0:3], 0 offset:344
	;; [unrolled: 1-line block ×8, first 2 shown]
	s_waitcnt vmcnt(24) lgkmcnt(0)
	v_fma_f64 v[121:122], v[143:144], v[125:126], v[121:122]
	s_waitcnt vmcnt(19)
	v_fma_f64 v[129:130], v[129:130], v[127:128], v[121:122]
	ds_read2_b64 v[121:124], v120 offset0:93 offset1:94
	ds_read2_b64 v[125:128], v120 offset0:95 offset1:96
	s_waitcnt vmcnt(18) lgkmcnt(1)
	v_fma_f64 v[121:122], v[153:154], v[121:122], v[129:130]
	s_waitcnt vmcnt(17)
	v_fma_f64 v[121:122], v[151:152], v[123:124], v[121:122]
	buffer_load_dword v130, off, s[0:3], 0 offset:356
	buffer_load_dword v143, off, s[0:3], 0 offset:376
	;; [unrolled: 1-line block ×7, first 2 shown]
	s_waitcnt vmcnt(23) lgkmcnt(0)
	v_fma_f64 v[121:122], v[145:146], v[125:126], v[121:122]
	s_waitcnt vmcnt(18)
	v_fma_f64 v[131:132], v[131:132], v[127:128], v[121:122]
	ds_read2_b64 v[121:124], v120 offset0:97 offset1:98
	ds_read2_b64 v[125:128], v120 offset0:99 offset1:100
	buffer_load_dword v144, off, s[0:3], 0 offset:380
	s_waitcnt vmcnt(18) lgkmcnt(1)
	v_fma_f64 v[121:122], v[139:140], v[121:122], v[131:132]
	s_waitcnt vmcnt(17)
	v_fma_f64 v[121:122], v[137:138], v[123:124], v[121:122]
	buffer_load_dword v132, off, s[0:3], 0 offset:388
	buffer_load_dword v137, off, s[0:3], 0 offset:408
	;; [unrolled: 1-line block ×8, first 2 shown]
	s_waitcnt vmcnt(24) lgkmcnt(0)
	v_fma_f64 v[121:122], v[133:134], v[125:126], v[121:122]
	s_waitcnt vmcnt(19)
	v_fma_f64 v[133:134], v[135:136], v[127:128], v[121:122]
	ds_read2_b64 v[121:124], v120 offset0:101 offset1:102
	ds_read2_b64 v[125:128], v120 offset0:103 offset1:104
	s_waitcnt vmcnt(18) lgkmcnt(1)
	v_fma_f64 v[121:122], v[149:150], v[121:122], v[133:134]
	s_waitcnt vmcnt(17)
	v_fma_f64 v[121:122], v[147:148], v[123:124], v[121:122]
	buffer_load_dword v134, off, s[0:3], 0 offset:420
	buffer_load_dword v135, off, s[0:3], 0 offset:440
	;; [unrolled: 1-line block ×8, first 2 shown]
	s_waitcnt vmcnt(24) lgkmcnt(0)
	v_fma_f64 v[121:122], v[141:142], v[125:126], v[121:122]
	s_waitcnt vmcnt(19)
	v_fma_f64 v[129:130], v[129:130], v[127:128], v[121:122]
	ds_read2_b64 v[121:124], v120 offset0:105 offset1:106
	ds_read2_b64 v[125:128], v120 offset0:107 offset1:108
	s_waitcnt vmcnt(18) lgkmcnt(1)
	v_fma_f64 v[121:122], v[153:154], v[121:122], v[129:130]
	s_waitcnt vmcnt(17)
	v_fma_f64 v[121:122], v[151:152], v[123:124], v[121:122]
	buffer_load_dword v130, off, s[0:3], 0 offset:452
	buffer_load_dword v141, off, s[0:3], 0 offset:464
	;; [unrolled: 1-line block ×6, first 2 shown]
	s_waitcnt vmcnt(22) lgkmcnt(0)
	v_fma_f64 v[121:122], v[143:144], v[125:126], v[121:122]
	s_waitcnt vmcnt(17)
	v_fma_f64 v[131:132], v[131:132], v[127:128], v[121:122]
	ds_read2_b64 v[121:124], v120 offset0:109 offset1:110
	buffer_load_dword v143, off, s[0:3], 0 offset:64
	buffer_load_dword v144, off, s[0:3], 0 offset:68
	ds_read2_b64 v[125:128], v120 offset0:111 offset1:112
	s_waitcnt vmcnt(18) lgkmcnt(1)
	v_fma_f64 v[121:122], v[145:146], v[121:122], v[131:132]
	s_waitcnt vmcnt(17)
	v_fma_f64 v[121:122], v[139:140], v[123:124], v[121:122]
	s_waitcnt vmcnt(16) lgkmcnt(0)
	v_fma_f64 v[121:122], v[137:138], v[125:126], v[121:122]
	s_waitcnt vmcnt(11)
	v_fma_f64 v[131:132], v[133:134], v[127:128], v[121:122]
	ds_read2_b64 v[121:124], v120 offset0:113 offset1:114
	ds_read2_b64 v[125:128], v120 offset0:115 offset1:116
	s_waitcnt vmcnt(10) lgkmcnt(1)
	v_fma_f64 v[121:122], v[149:150], v[121:122], v[131:132]
	s_waitcnt vmcnt(9)
	v_fma_f64 v[121:122], v[147:148], v[123:124], v[121:122]
	s_waitcnt vmcnt(8) lgkmcnt(0)
	v_fma_f64 v[121:122], v[135:136], v[125:126], v[121:122]
	s_waitcnt vmcnt(4)
	v_fma_f64 v[124:125], v[129:130], v[127:128], v[121:122]
	ds_read2_b64 v[120:123], v120 offset0:117 offset1:118
	s_waitcnt vmcnt(3) lgkmcnt(0)
	v_fma_f64 v[120:121], v[151:152], v[120:121], v[124:125]
	s_waitcnt vmcnt(2)
	v_fma_f64 v[120:121], v[141:142], v[122:123], v[120:121]
	s_waitcnt vmcnt(0)
	v_add_f64 v[120:121], v[143:144], -v[120:121]
	buffer_store_dword v121, off, s[0:3], 0 offset:68
	buffer_store_dword v120, off, s[0:3], 0 offset:64
	s_and_saveexec_b64 s[4:5], vcc
	s_cbranch_execz .LBB58_347
; %bb.346:
	buffer_load_dword v120, off, s[0:3], 0 offset:56
	buffer_load_dword v121, off, s[0:3], 0 offset:60
	v_mov_b32_e32 v122, 0
	buffer_store_dword v122, off, s[0:3], 0 offset:56
	buffer_store_dword v122, off, s[0:3], 0 offset:60
	s_waitcnt vmcnt(2)
	ds_write_b64 v119, v[120:121]
.LBB58_347:
	s_or_b64 exec, exec, s[4:5]
	s_waitcnt lgkmcnt(0)
	; wave barrier
	buffer_load_dword v129, off, s[0:3], 0 offset:64
	buffer_load_dword v130, off, s[0:3], 0 offset:68
	;; [unrolled: 1-line block ×22, first 2 shown]
	v_mov_b32_e32 v120, 0
	ds_read_b128 v[121:124], v120 offset:544
	ds_read_b128 v[125:128], v120 offset:560
	v_cmp_lt_u32_e32 vcc, 6, v0
	s_waitcnt vmcnt(20) lgkmcnt(1)
	v_fma_f64 v[121:122], v[129:130], v[121:122], 0
	s_waitcnt vmcnt(18)
	v_fma_f64 v[121:122], v[131:132], v[123:124], v[121:122]
	buffer_load_dword v130, off, s[0:3], 0 offset:156
	buffer_load_dword v131, off, s[0:3], 0 offset:176
	;; [unrolled: 1-line block ×7, first 2 shown]
	s_waitcnt vmcnt(23) lgkmcnt(0)
	v_fma_f64 v[121:122], v[133:134], v[125:126], v[121:122]
	s_waitcnt vmcnt(21)
	v_fma_f64 v[132:133], v[135:136], v[127:128], v[121:122]
	ds_read_b128 v[121:124], v120 offset:576
	ds_read_b128 v[125:128], v120 offset:592
	s_waitcnt vmcnt(19) lgkmcnt(1)
	v_fma_f64 v[121:122], v[137:138], v[121:122], v[132:133]
	buffer_load_dword v132, off, s[0:3], 0 offset:180
	s_waitcnt vmcnt(18)
	v_fma_f64 v[121:122], v[139:140], v[123:124], v[121:122]
	buffer_load_dword v134, off, s[0:3], 0 offset:188
	buffer_load_dword v135, off, s[0:3], 0 offset:208
	;; [unrolled: 1-line block ×8, first 2 shown]
	s_waitcnt vmcnt(24) lgkmcnt(0)
	v_fma_f64 v[121:122], v[141:142], v[125:126], v[121:122]
	s_waitcnt vmcnt(19)
	v_fma_f64 v[141:142], v[143:144], v[127:128], v[121:122]
	ds_read_b128 v[121:124], v120 offset:608
	ds_read_b128 v[125:128], v120 offset:624
	s_waitcnt vmcnt(18) lgkmcnt(1)
	v_fma_f64 v[121:122], v[149:150], v[121:122], v[141:142]
	s_waitcnt vmcnt(17)
	v_fma_f64 v[121:122], v[147:148], v[123:124], v[121:122]
	buffer_load_dword v142, off, s[0:3], 0 offset:220
	buffer_load_dword v143, off, s[0:3], 0 offset:240
	;; [unrolled: 1-line block ×8, first 2 shown]
	s_waitcnt vmcnt(24) lgkmcnt(0)
	v_fma_f64 v[121:122], v[145:146], v[125:126], v[121:122]
	s_waitcnt vmcnt(19)
	v_fma_f64 v[129:130], v[129:130], v[127:128], v[121:122]
	ds_read_b128 v[121:124], v120 offset:640
	ds_read_b128 v[125:128], v120 offset:656
	s_waitcnt vmcnt(18) lgkmcnt(1)
	v_fma_f64 v[121:122], v[153:154], v[121:122], v[129:130]
	s_waitcnt vmcnt(17)
	v_fma_f64 v[121:122], v[151:152], v[123:124], v[121:122]
	buffer_load_dword v130, off, s[0:3], 0 offset:252
	buffer_load_dword v145, off, s[0:3], 0 offset:272
	;; [unrolled: 1-line block ×7, first 2 shown]
	s_waitcnt vmcnt(23) lgkmcnt(0)
	v_fma_f64 v[121:122], v[131:132], v[125:126], v[121:122]
	s_waitcnt vmcnt(18)
	v_fma_f64 v[131:132], v[133:134], v[127:128], v[121:122]
	ds_read_b128 v[121:124], v120 offset:672
	ds_read_b128 v[125:128], v120 offset:688
	buffer_load_dword v146, off, s[0:3], 0 offset:276
	s_waitcnt vmcnt(18) lgkmcnt(1)
	v_fma_f64 v[121:122], v[139:140], v[121:122], v[131:132]
	s_waitcnt vmcnt(17)
	v_fma_f64 v[121:122], v[137:138], v[123:124], v[121:122]
	buffer_load_dword v132, off, s[0:3], 0 offset:284
	buffer_load_dword v133, off, s[0:3], 0 offset:304
	;; [unrolled: 1-line block ×7, first 2 shown]
	s_waitcnt vmcnt(23) lgkmcnt(0)
	v_fma_f64 v[121:122], v[135:136], v[125:126], v[121:122]
	s_waitcnt vmcnt(18)
	v_fma_f64 v[134:135], v[141:142], v[127:128], v[121:122]
	ds_read_b128 v[121:124], v120 offset:704
	ds_read_b128 v[125:128], v120 offset:720
	s_waitcnt vmcnt(17) lgkmcnt(1)
	v_fma_f64 v[121:122], v[149:150], v[121:122], v[134:135]
	buffer_load_dword v134, off, s[0:3], 0 offset:308
	s_waitcnt vmcnt(17)
	v_fma_f64 v[121:122], v[147:148], v[123:124], v[121:122]
	buffer_load_dword v136, off, s[0:3], 0 offset:316
	buffer_load_dword v141, off, s[0:3], 0 offset:336
	;; [unrolled: 1-line block ×8, first 2 shown]
	s_waitcnt vmcnt(24) lgkmcnt(0)
	v_fma_f64 v[121:122], v[143:144], v[125:126], v[121:122]
	s_waitcnt vmcnt(19)
	v_fma_f64 v[129:130], v[129:130], v[127:128], v[121:122]
	ds_read_b128 v[121:124], v120 offset:736
	ds_read_b128 v[125:128], v120 offset:752
	s_waitcnt vmcnt(18) lgkmcnt(1)
	v_fma_f64 v[121:122], v[153:154], v[121:122], v[129:130]
	s_waitcnt vmcnt(17)
	v_fma_f64 v[121:122], v[151:152], v[123:124], v[121:122]
	buffer_load_dword v130, off, s[0:3], 0 offset:348
	buffer_load_dword v143, off, s[0:3], 0 offset:368
	;; [unrolled: 1-line block ×7, first 2 shown]
	s_waitcnt vmcnt(23) lgkmcnt(0)
	v_fma_f64 v[121:122], v[145:146], v[125:126], v[121:122]
	s_waitcnt vmcnt(18)
	v_fma_f64 v[131:132], v[131:132], v[127:128], v[121:122]
	ds_read_b128 v[121:124], v120 offset:768
	ds_read_b128 v[125:128], v120 offset:784
	buffer_load_dword v144, off, s[0:3], 0 offset:372
	s_waitcnt vmcnt(18) lgkmcnt(1)
	v_fma_f64 v[121:122], v[139:140], v[121:122], v[131:132]
	s_waitcnt vmcnt(17)
	v_fma_f64 v[121:122], v[137:138], v[123:124], v[121:122]
	buffer_load_dword v132, off, s[0:3], 0 offset:380
	buffer_load_dword v137, off, s[0:3], 0 offset:400
	buffer_load_dword v139, off, s[0:3], 0 offset:392
	buffer_load_dword v145, off, s[0:3], 0 offset:384
	buffer_load_dword v131, off, s[0:3], 0 offset:376
	buffer_load_dword v146, off, s[0:3], 0 offset:388
	buffer_load_dword v140, off, s[0:3], 0 offset:396
	buffer_load_dword v138, off, s[0:3], 0 offset:404
	s_waitcnt vmcnt(24) lgkmcnt(0)
	v_fma_f64 v[121:122], v[133:134], v[125:126], v[121:122]
	s_waitcnt vmcnt(19)
	v_fma_f64 v[133:134], v[135:136], v[127:128], v[121:122]
	ds_read_b128 v[121:124], v120 offset:800
	ds_read_b128 v[125:128], v120 offset:816
	s_waitcnt vmcnt(18) lgkmcnt(1)
	v_fma_f64 v[121:122], v[149:150], v[121:122], v[133:134]
	s_waitcnt vmcnt(17)
	v_fma_f64 v[121:122], v[147:148], v[123:124], v[121:122]
	buffer_load_dword v134, off, s[0:3], 0 offset:412
	buffer_load_dword v135, off, s[0:3], 0 offset:432
	buffer_load_dword v147, off, s[0:3], 0 offset:424
	buffer_load_dword v149, off, s[0:3], 0 offset:416
	buffer_load_dword v133, off, s[0:3], 0 offset:408
	buffer_load_dword v150, off, s[0:3], 0 offset:420
	buffer_load_dword v148, off, s[0:3], 0 offset:428
	buffer_load_dword v136, off, s[0:3], 0 offset:436
	s_waitcnt vmcnt(24) lgkmcnt(0)
	v_fma_f64 v[121:122], v[141:142], v[125:126], v[121:122]
	s_waitcnt vmcnt(19)
	v_fma_f64 v[129:130], v[129:130], v[127:128], v[121:122]
	ds_read_b128 v[121:124], v120 offset:832
	ds_read_b128 v[125:128], v120 offset:848
	;; [unrolled: 18-line block ×3, first 2 shown]
	s_waitcnt vmcnt(18) lgkmcnt(1)
	v_fma_f64 v[121:122], v[145:146], v[121:122], v[131:132]
	buffer_load_dword v131, off, s[0:3], 0 offset:56
	buffer_load_dword v132, off, s[0:3], 0 offset:60
	s_waitcnt vmcnt(19)
	v_fma_f64 v[121:122], v[139:140], v[123:124], v[121:122]
	s_waitcnt vmcnt(18) lgkmcnt(0)
	v_fma_f64 v[121:122], v[137:138], v[125:126], v[121:122]
	s_waitcnt vmcnt(13)
	v_fma_f64 v[133:134], v[133:134], v[127:128], v[121:122]
	ds_read_b128 v[121:124], v120 offset:896
	ds_read_b128 v[125:128], v120 offset:912
	s_waitcnt vmcnt(12) lgkmcnt(1)
	v_fma_f64 v[121:122], v[149:150], v[121:122], v[133:134]
	s_waitcnt vmcnt(11)
	v_fma_f64 v[121:122], v[147:148], v[123:124], v[121:122]
	s_waitcnt vmcnt(10) lgkmcnt(0)
	v_fma_f64 v[121:122], v[135:136], v[125:126], v[121:122]
	s_waitcnt vmcnt(5)
	v_fma_f64 v[125:126], v[129:130], v[127:128], v[121:122]
	ds_read_b128 v[121:124], v120 offset:928
	ds_read_b64 v[127:128], v120 offset:944
	s_waitcnt vmcnt(4) lgkmcnt(1)
	v_fma_f64 v[121:122], v[153:154], v[121:122], v[125:126]
	s_waitcnt vmcnt(3)
	v_fma_f64 v[121:122], v[151:152], v[123:124], v[121:122]
	s_waitcnt vmcnt(2) lgkmcnt(0)
	v_fma_f64 v[121:122], v[141:142], v[127:128], v[121:122]
	s_waitcnt vmcnt(0)
	v_add_f64 v[121:122], v[131:132], -v[121:122]
	buffer_store_dword v122, off, s[0:3], 0 offset:60
	buffer_store_dword v121, off, s[0:3], 0 offset:56
	s_and_saveexec_b64 s[4:5], vcc
	s_cbranch_execz .LBB58_349
; %bb.348:
	buffer_load_dword v121, off, s[0:3], 0 offset:48
	buffer_load_dword v122, off, s[0:3], 0 offset:52
	s_waitcnt vmcnt(0)
	ds_write_b64 v119, v[121:122]
	buffer_store_dword v120, off, s[0:3], 0 offset:48
	buffer_store_dword v120, off, s[0:3], 0 offset:52
.LBB58_349:
	s_or_b64 exec, exec, s[4:5]
	s_waitcnt lgkmcnt(0)
	; wave barrier
	buffer_load_dword v129, off, s[0:3], 0 offset:56
	buffer_load_dword v130, off, s[0:3], 0 offset:60
	;; [unrolled: 1-line block ×22, first 2 shown]
	ds_read2_b64 v[121:124], v120 offset0:67 offset1:68
	ds_read2_b64 v[125:128], v120 offset0:69 offset1:70
	v_cmp_lt_u32_e32 vcc, 5, v0
	s_waitcnt vmcnt(20) lgkmcnt(1)
	v_fma_f64 v[121:122], v[129:130], v[121:122], 0
	s_waitcnt vmcnt(18)
	v_fma_f64 v[121:122], v[131:132], v[123:124], v[121:122]
	buffer_load_dword v130, off, s[0:3], 0 offset:148
	buffer_load_dword v131, off, s[0:3], 0 offset:168
	;; [unrolled: 1-line block ×7, first 2 shown]
	s_waitcnt vmcnt(23) lgkmcnt(0)
	v_fma_f64 v[121:122], v[133:134], v[125:126], v[121:122]
	s_waitcnt vmcnt(21)
	v_fma_f64 v[132:133], v[135:136], v[127:128], v[121:122]
	ds_read2_b64 v[121:124], v120 offset0:71 offset1:72
	ds_read2_b64 v[125:128], v120 offset0:73 offset1:74
	s_waitcnt vmcnt(19) lgkmcnt(1)
	v_fma_f64 v[121:122], v[137:138], v[121:122], v[132:133]
	buffer_load_dword v132, off, s[0:3], 0 offset:172
	s_waitcnt vmcnt(18)
	v_fma_f64 v[121:122], v[139:140], v[123:124], v[121:122]
	buffer_load_dword v134, off, s[0:3], 0 offset:180
	buffer_load_dword v135, off, s[0:3], 0 offset:200
	;; [unrolled: 1-line block ×8, first 2 shown]
	s_waitcnt vmcnt(24) lgkmcnt(0)
	v_fma_f64 v[121:122], v[141:142], v[125:126], v[121:122]
	s_waitcnt vmcnt(19)
	v_fma_f64 v[141:142], v[143:144], v[127:128], v[121:122]
	ds_read2_b64 v[121:124], v120 offset0:75 offset1:76
	ds_read2_b64 v[125:128], v120 offset0:77 offset1:78
	s_waitcnt vmcnt(18) lgkmcnt(1)
	v_fma_f64 v[121:122], v[149:150], v[121:122], v[141:142]
	s_waitcnt vmcnt(17)
	v_fma_f64 v[121:122], v[147:148], v[123:124], v[121:122]
	buffer_load_dword v142, off, s[0:3], 0 offset:212
	buffer_load_dword v143, off, s[0:3], 0 offset:232
	;; [unrolled: 1-line block ×8, first 2 shown]
	s_waitcnt vmcnt(24) lgkmcnt(0)
	v_fma_f64 v[121:122], v[145:146], v[125:126], v[121:122]
	s_waitcnt vmcnt(19)
	v_fma_f64 v[129:130], v[129:130], v[127:128], v[121:122]
	ds_read2_b64 v[121:124], v120 offset0:79 offset1:80
	ds_read2_b64 v[125:128], v120 offset0:81 offset1:82
	s_waitcnt vmcnt(18) lgkmcnt(1)
	v_fma_f64 v[121:122], v[153:154], v[121:122], v[129:130]
	s_waitcnt vmcnt(17)
	v_fma_f64 v[121:122], v[151:152], v[123:124], v[121:122]
	buffer_load_dword v130, off, s[0:3], 0 offset:244
	buffer_load_dword v145, off, s[0:3], 0 offset:264
	;; [unrolled: 1-line block ×7, first 2 shown]
	s_waitcnt vmcnt(23) lgkmcnt(0)
	v_fma_f64 v[121:122], v[131:132], v[125:126], v[121:122]
	s_waitcnt vmcnt(18)
	v_fma_f64 v[131:132], v[133:134], v[127:128], v[121:122]
	ds_read2_b64 v[121:124], v120 offset0:83 offset1:84
	ds_read2_b64 v[125:128], v120 offset0:85 offset1:86
	buffer_load_dword v146, off, s[0:3], 0 offset:268
	s_waitcnt vmcnt(18) lgkmcnt(1)
	v_fma_f64 v[121:122], v[139:140], v[121:122], v[131:132]
	s_waitcnt vmcnt(17)
	v_fma_f64 v[121:122], v[137:138], v[123:124], v[121:122]
	buffer_load_dword v132, off, s[0:3], 0 offset:276
	buffer_load_dword v133, off, s[0:3], 0 offset:296
	;; [unrolled: 1-line block ×7, first 2 shown]
	s_waitcnt vmcnt(23) lgkmcnt(0)
	v_fma_f64 v[121:122], v[135:136], v[125:126], v[121:122]
	s_waitcnt vmcnt(18)
	v_fma_f64 v[134:135], v[141:142], v[127:128], v[121:122]
	ds_read2_b64 v[121:124], v120 offset0:87 offset1:88
	ds_read2_b64 v[125:128], v120 offset0:89 offset1:90
	s_waitcnt vmcnt(17) lgkmcnt(1)
	v_fma_f64 v[121:122], v[149:150], v[121:122], v[134:135]
	buffer_load_dword v134, off, s[0:3], 0 offset:300
	s_waitcnt vmcnt(17)
	v_fma_f64 v[121:122], v[147:148], v[123:124], v[121:122]
	buffer_load_dword v136, off, s[0:3], 0 offset:308
	buffer_load_dword v141, off, s[0:3], 0 offset:328
	;; [unrolled: 1-line block ×8, first 2 shown]
	s_waitcnt vmcnt(24) lgkmcnt(0)
	v_fma_f64 v[121:122], v[143:144], v[125:126], v[121:122]
	s_waitcnt vmcnt(19)
	v_fma_f64 v[129:130], v[129:130], v[127:128], v[121:122]
	ds_read2_b64 v[121:124], v120 offset0:91 offset1:92
	ds_read2_b64 v[125:128], v120 offset0:93 offset1:94
	s_waitcnt vmcnt(18) lgkmcnt(1)
	v_fma_f64 v[121:122], v[153:154], v[121:122], v[129:130]
	s_waitcnt vmcnt(17)
	v_fma_f64 v[121:122], v[151:152], v[123:124], v[121:122]
	buffer_load_dword v130, off, s[0:3], 0 offset:340
	buffer_load_dword v143, off, s[0:3], 0 offset:360
	;; [unrolled: 1-line block ×7, first 2 shown]
	s_waitcnt vmcnt(23) lgkmcnt(0)
	v_fma_f64 v[121:122], v[145:146], v[125:126], v[121:122]
	s_waitcnt vmcnt(18)
	v_fma_f64 v[131:132], v[131:132], v[127:128], v[121:122]
	ds_read2_b64 v[121:124], v120 offset0:95 offset1:96
	ds_read2_b64 v[125:128], v120 offset0:97 offset1:98
	buffer_load_dword v144, off, s[0:3], 0 offset:364
	s_waitcnt vmcnt(18) lgkmcnt(1)
	v_fma_f64 v[121:122], v[139:140], v[121:122], v[131:132]
	s_waitcnt vmcnt(17)
	v_fma_f64 v[121:122], v[137:138], v[123:124], v[121:122]
	buffer_load_dword v132, off, s[0:3], 0 offset:372
	buffer_load_dword v137, off, s[0:3], 0 offset:392
	buffer_load_dword v139, off, s[0:3], 0 offset:384
	buffer_load_dword v145, off, s[0:3], 0 offset:376
	buffer_load_dword v131, off, s[0:3], 0 offset:368
	buffer_load_dword v146, off, s[0:3], 0 offset:380
	buffer_load_dword v140, off, s[0:3], 0 offset:388
	buffer_load_dword v138, off, s[0:3], 0 offset:396
	s_waitcnt vmcnt(24) lgkmcnt(0)
	v_fma_f64 v[121:122], v[133:134], v[125:126], v[121:122]
	s_waitcnt vmcnt(19)
	v_fma_f64 v[133:134], v[135:136], v[127:128], v[121:122]
	ds_read2_b64 v[121:124], v120 offset0:99 offset1:100
	ds_read2_b64 v[125:128], v120 offset0:101 offset1:102
	s_waitcnt vmcnt(18) lgkmcnt(1)
	v_fma_f64 v[121:122], v[149:150], v[121:122], v[133:134]
	s_waitcnt vmcnt(17)
	v_fma_f64 v[121:122], v[147:148], v[123:124], v[121:122]
	buffer_load_dword v134, off, s[0:3], 0 offset:404
	buffer_load_dword v135, off, s[0:3], 0 offset:424
	buffer_load_dword v147, off, s[0:3], 0 offset:416
	buffer_load_dword v149, off, s[0:3], 0 offset:408
	buffer_load_dword v133, off, s[0:3], 0 offset:400
	buffer_load_dword v150, off, s[0:3], 0 offset:412
	buffer_load_dword v148, off, s[0:3], 0 offset:420
	buffer_load_dword v136, off, s[0:3], 0 offset:428
	s_waitcnt vmcnt(24) lgkmcnt(0)
	v_fma_f64 v[121:122], v[141:142], v[125:126], v[121:122]
	s_waitcnt vmcnt(19)
	v_fma_f64 v[129:130], v[129:130], v[127:128], v[121:122]
	ds_read2_b64 v[121:124], v120 offset0:103 offset1:104
	ds_read2_b64 v[125:128], v120 offset0:105 offset1:106
	;; [unrolled: 18-line block ×3, first 2 shown]
	s_waitcnt vmcnt(18) lgkmcnt(1)
	v_fma_f64 v[121:122], v[145:146], v[121:122], v[131:132]
	buffer_load_dword v132, off, s[0:3], 0 offset:468
	buffer_load_dword v131, off, s[0:3], 0 offset:464
	s_waitcnt vmcnt(19)
	v_fma_f64 v[121:122], v[139:140], v[123:124], v[121:122]
	buffer_load_dword v139, off, s[0:3], 0 offset:48
	buffer_load_dword v140, off, s[0:3], 0 offset:52
	s_waitcnt vmcnt(20) lgkmcnt(0)
	v_fma_f64 v[121:122], v[137:138], v[125:126], v[121:122]
	s_waitcnt vmcnt(15)
	v_fma_f64 v[133:134], v[133:134], v[127:128], v[121:122]
	ds_read2_b64 v[121:124], v120 offset0:111 offset1:112
	ds_read2_b64 v[125:128], v120 offset0:113 offset1:114
	s_waitcnt vmcnt(14) lgkmcnt(1)
	v_fma_f64 v[121:122], v[149:150], v[121:122], v[133:134]
	s_waitcnt vmcnt(13)
	v_fma_f64 v[121:122], v[147:148], v[123:124], v[121:122]
	s_waitcnt vmcnt(12) lgkmcnt(0)
	v_fma_f64 v[121:122], v[135:136], v[125:126], v[121:122]
	s_waitcnt vmcnt(7)
	v_fma_f64 v[129:130], v[129:130], v[127:128], v[121:122]
	ds_read2_b64 v[121:124], v120 offset0:115 offset1:116
	ds_read2_b64 v[125:128], v120 offset0:117 offset1:118
	s_waitcnt vmcnt(6) lgkmcnt(1)
	v_fma_f64 v[120:121], v[153:154], v[121:122], v[129:130]
	s_waitcnt vmcnt(5)
	v_fma_f64 v[120:121], v[151:152], v[123:124], v[120:121]
	s_waitcnt vmcnt(4) lgkmcnt(0)
	v_fma_f64 v[120:121], v[141:142], v[125:126], v[120:121]
	s_waitcnt vmcnt(2)
	v_fma_f64 v[120:121], v[131:132], v[127:128], v[120:121]
	s_waitcnt vmcnt(0)
	v_add_f64 v[120:121], v[139:140], -v[120:121]
	buffer_store_dword v121, off, s[0:3], 0 offset:52
	buffer_store_dword v120, off, s[0:3], 0 offset:48
	s_and_saveexec_b64 s[4:5], vcc
	s_cbranch_execz .LBB58_351
; %bb.350:
	buffer_load_dword v120, off, s[0:3], 0 offset:40
	buffer_load_dword v121, off, s[0:3], 0 offset:44
	v_mov_b32_e32 v122, 0
	buffer_store_dword v122, off, s[0:3], 0 offset:40
	buffer_store_dword v122, off, s[0:3], 0 offset:44
	s_waitcnt vmcnt(2)
	ds_write_b64 v119, v[120:121]
.LBB58_351:
	s_or_b64 exec, exec, s[4:5]
	s_waitcnt lgkmcnt(0)
	; wave barrier
	buffer_load_dword v129, off, s[0:3], 0 offset:48
	buffer_load_dword v130, off, s[0:3], 0 offset:52
	buffer_load_dword v131, off, s[0:3], 0 offset:56
	buffer_load_dword v132, off, s[0:3], 0 offset:60
	buffer_load_dword v133, off, s[0:3], 0 offset:64
	buffer_load_dword v134, off, s[0:3], 0 offset:68
	buffer_load_dword v135, off, s[0:3], 0 offset:72
	buffer_load_dword v136, off, s[0:3], 0 offset:76
	buffer_load_dword v137, off, s[0:3], 0 offset:80
	buffer_load_dword v138, off, s[0:3], 0 offset:84
	buffer_load_dword v139, off, s[0:3], 0 offset:88
	buffer_load_dword v140, off, s[0:3], 0 offset:92
	buffer_load_dword v141, off, s[0:3], 0 offset:96
	buffer_load_dword v142, off, s[0:3], 0 offset:100
	buffer_load_dword v144, off, s[0:3], 0 offset:108
	buffer_load_dword v145, off, s[0:3], 0 offset:128
	buffer_load_dword v147, off, s[0:3], 0 offset:120
	buffer_load_dword v149, off, s[0:3], 0 offset:112
	buffer_load_dword v143, off, s[0:3], 0 offset:104
	buffer_load_dword v150, off, s[0:3], 0 offset:116
	buffer_load_dword v148, off, s[0:3], 0 offset:124
	buffer_load_dword v146, off, s[0:3], 0 offset:132
	v_mov_b32_e32 v120, 0
	ds_read_b128 v[121:124], v120 offset:528
	ds_read_b128 v[125:128], v120 offset:544
	v_cmp_lt_u32_e32 vcc, 4, v0
	s_waitcnt vmcnt(20) lgkmcnt(1)
	v_fma_f64 v[121:122], v[129:130], v[121:122], 0
	s_waitcnt vmcnt(18)
	v_fma_f64 v[121:122], v[131:132], v[123:124], v[121:122]
	buffer_load_dword v130, off, s[0:3], 0 offset:140
	buffer_load_dword v131, off, s[0:3], 0 offset:160
	buffer_load_dword v151, off, s[0:3], 0 offset:152
	buffer_load_dword v153, off, s[0:3], 0 offset:144
	buffer_load_dword v129, off, s[0:3], 0 offset:136
	buffer_load_dword v154, off, s[0:3], 0 offset:148
	buffer_load_dword v152, off, s[0:3], 0 offset:156
	s_waitcnt vmcnt(23) lgkmcnt(0)
	v_fma_f64 v[121:122], v[133:134], v[125:126], v[121:122]
	s_waitcnt vmcnt(21)
	v_fma_f64 v[132:133], v[135:136], v[127:128], v[121:122]
	ds_read_b128 v[121:124], v120 offset:560
	ds_read_b128 v[125:128], v120 offset:576
	s_waitcnt vmcnt(19) lgkmcnt(1)
	v_fma_f64 v[121:122], v[137:138], v[121:122], v[132:133]
	buffer_load_dword v132, off, s[0:3], 0 offset:164
	s_waitcnt vmcnt(18)
	v_fma_f64 v[121:122], v[139:140], v[123:124], v[121:122]
	buffer_load_dword v134, off, s[0:3], 0 offset:172
	buffer_load_dword v135, off, s[0:3], 0 offset:192
	;; [unrolled: 1-line block ×7, first 2 shown]
	s_waitcnt vmcnt(23) lgkmcnt(0)
	v_fma_f64 v[121:122], v[141:142], v[125:126], v[121:122]
	s_waitcnt vmcnt(18)
	v_fma_f64 v[141:142], v[143:144], v[127:128], v[121:122]
	ds_read_b128 v[121:124], v120 offset:592
	ds_read_b128 v[125:128], v120 offset:608
	buffer_load_dword v136, off, s[0:3], 0 offset:196
	s_waitcnt vmcnt(18) lgkmcnt(1)
	v_fma_f64 v[121:122], v[149:150], v[121:122], v[141:142]
	s_waitcnt vmcnt(17)
	v_fma_f64 v[121:122], v[147:148], v[123:124], v[121:122]
	buffer_load_dword v142, off, s[0:3], 0 offset:204
	buffer_load_dword v143, off, s[0:3], 0 offset:224
	buffer_load_dword v147, off, s[0:3], 0 offset:216
	buffer_load_dword v149, off, s[0:3], 0 offset:208
	buffer_load_dword v141, off, s[0:3], 0 offset:200
	buffer_load_dword v150, off, s[0:3], 0 offset:212
	buffer_load_dword v148, off, s[0:3], 0 offset:220
	buffer_load_dword v144, off, s[0:3], 0 offset:228
	s_waitcnt vmcnt(24) lgkmcnt(0)
	v_fma_f64 v[121:122], v[145:146], v[125:126], v[121:122]
	s_waitcnt vmcnt(19)
	v_fma_f64 v[129:130], v[129:130], v[127:128], v[121:122]
	ds_read_b128 v[121:124], v120 offset:624
	ds_read_b128 v[125:128], v120 offset:640
	s_waitcnt vmcnt(18) lgkmcnt(1)
	v_fma_f64 v[121:122], v[153:154], v[121:122], v[129:130]
	s_waitcnt vmcnt(17)
	v_fma_f64 v[121:122], v[151:152], v[123:124], v[121:122]
	buffer_load_dword v130, off, s[0:3], 0 offset:236
	buffer_load_dword v145, off, s[0:3], 0 offset:256
	;; [unrolled: 1-line block ×7, first 2 shown]
	s_waitcnt vmcnt(23) lgkmcnt(0)
	v_fma_f64 v[121:122], v[131:132], v[125:126], v[121:122]
	s_waitcnt vmcnt(18)
	v_fma_f64 v[131:132], v[133:134], v[127:128], v[121:122]
	ds_read_b128 v[121:124], v120 offset:656
	ds_read_b128 v[125:128], v120 offset:672
	buffer_load_dword v146, off, s[0:3], 0 offset:260
	s_waitcnt vmcnt(18) lgkmcnt(1)
	v_fma_f64 v[121:122], v[139:140], v[121:122], v[131:132]
	s_waitcnt vmcnt(17)
	v_fma_f64 v[121:122], v[137:138], v[123:124], v[121:122]
	buffer_load_dword v132, off, s[0:3], 0 offset:268
	buffer_load_dword v133, off, s[0:3], 0 offset:288
	;; [unrolled: 1-line block ×7, first 2 shown]
	s_waitcnt vmcnt(23) lgkmcnt(0)
	v_fma_f64 v[121:122], v[135:136], v[125:126], v[121:122]
	s_waitcnt vmcnt(18)
	v_fma_f64 v[134:135], v[141:142], v[127:128], v[121:122]
	ds_read_b128 v[121:124], v120 offset:688
	ds_read_b128 v[125:128], v120 offset:704
	s_waitcnt vmcnt(17) lgkmcnt(1)
	v_fma_f64 v[121:122], v[149:150], v[121:122], v[134:135]
	buffer_load_dword v134, off, s[0:3], 0 offset:292
	s_waitcnt vmcnt(17)
	v_fma_f64 v[121:122], v[147:148], v[123:124], v[121:122]
	buffer_load_dword v136, off, s[0:3], 0 offset:300
	buffer_load_dword v141, off, s[0:3], 0 offset:320
	;; [unrolled: 1-line block ×8, first 2 shown]
	s_waitcnt vmcnt(24) lgkmcnt(0)
	v_fma_f64 v[121:122], v[143:144], v[125:126], v[121:122]
	s_waitcnt vmcnt(19)
	v_fma_f64 v[129:130], v[129:130], v[127:128], v[121:122]
	ds_read_b128 v[121:124], v120 offset:720
	ds_read_b128 v[125:128], v120 offset:736
	s_waitcnt vmcnt(18) lgkmcnt(1)
	v_fma_f64 v[121:122], v[153:154], v[121:122], v[129:130]
	s_waitcnt vmcnt(17)
	v_fma_f64 v[121:122], v[151:152], v[123:124], v[121:122]
	buffer_load_dword v130, off, s[0:3], 0 offset:332
	buffer_load_dword v143, off, s[0:3], 0 offset:352
	;; [unrolled: 1-line block ×7, first 2 shown]
	s_waitcnt vmcnt(23) lgkmcnt(0)
	v_fma_f64 v[121:122], v[145:146], v[125:126], v[121:122]
	s_waitcnt vmcnt(18)
	v_fma_f64 v[131:132], v[131:132], v[127:128], v[121:122]
	ds_read_b128 v[121:124], v120 offset:752
	ds_read_b128 v[125:128], v120 offset:768
	buffer_load_dword v144, off, s[0:3], 0 offset:356
	s_waitcnt vmcnt(18) lgkmcnt(1)
	v_fma_f64 v[121:122], v[139:140], v[121:122], v[131:132]
	s_waitcnt vmcnt(17)
	v_fma_f64 v[121:122], v[137:138], v[123:124], v[121:122]
	buffer_load_dword v132, off, s[0:3], 0 offset:364
	buffer_load_dword v137, off, s[0:3], 0 offset:384
	;; [unrolled: 1-line block ×7, first 2 shown]
	s_waitcnt vmcnt(23) lgkmcnt(0)
	v_fma_f64 v[121:122], v[133:134], v[125:126], v[121:122]
	s_waitcnt vmcnt(18)
	v_fma_f64 v[133:134], v[135:136], v[127:128], v[121:122]
	ds_read_b128 v[121:124], v120 offset:784
	ds_read_b128 v[125:128], v120 offset:800
	buffer_load_dword v138, off, s[0:3], 0 offset:388
	s_waitcnt vmcnt(18) lgkmcnt(1)
	v_fma_f64 v[121:122], v[149:150], v[121:122], v[133:134]
	s_waitcnt vmcnt(17)
	v_fma_f64 v[121:122], v[147:148], v[123:124], v[121:122]
	buffer_load_dword v134, off, s[0:3], 0 offset:396
	buffer_load_dword v135, off, s[0:3], 0 offset:416
	;; [unrolled: 1-line block ×8, first 2 shown]
	s_waitcnt vmcnt(24) lgkmcnt(0)
	v_fma_f64 v[121:122], v[141:142], v[125:126], v[121:122]
	s_waitcnt vmcnt(19)
	v_fma_f64 v[129:130], v[129:130], v[127:128], v[121:122]
	ds_read_b128 v[121:124], v120 offset:816
	ds_read_b128 v[125:128], v120 offset:832
	s_waitcnt vmcnt(18) lgkmcnt(1)
	v_fma_f64 v[121:122], v[153:154], v[121:122], v[129:130]
	s_waitcnt vmcnt(17)
	v_fma_f64 v[121:122], v[151:152], v[123:124], v[121:122]
	buffer_load_dword v130, off, s[0:3], 0 offset:428
	buffer_load_dword v141, off, s[0:3], 0 offset:448
	buffer_load_dword v151, off, s[0:3], 0 offset:440
	buffer_load_dword v153, off, s[0:3], 0 offset:432
	buffer_load_dword v129, off, s[0:3], 0 offset:424
	buffer_load_dword v154, off, s[0:3], 0 offset:436
	buffer_load_dword v152, off, s[0:3], 0 offset:444
	s_waitcnt vmcnt(23) lgkmcnt(0)
	v_fma_f64 v[121:122], v[143:144], v[125:126], v[121:122]
	s_waitcnt vmcnt(18)
	v_fma_f64 v[131:132], v[131:132], v[127:128], v[121:122]
	ds_read_b128 v[121:124], v120 offset:848
	ds_read_b128 v[125:128], v120 offset:864
	buffer_load_dword v142, off, s[0:3], 0 offset:452
	s_waitcnt vmcnt(18) lgkmcnt(1)
	v_fma_f64 v[121:122], v[145:146], v[121:122], v[131:132]
	s_waitcnt vmcnt(17)
	v_fma_f64 v[121:122], v[139:140], v[123:124], v[121:122]
	buffer_load_dword v132, off, s[0:3], 0 offset:460
	buffer_load_dword v139, off, s[0:3], 0 offset:464
	;; [unrolled: 1-line block ×4, first 2 shown]
	s_waitcnt vmcnt(20) lgkmcnt(0)
	v_fma_f64 v[121:122], v[137:138], v[125:126], v[121:122]
	buffer_load_dword v137, off, s[0:3], 0 offset:40
	buffer_load_dword v138, off, s[0:3], 0 offset:44
	s_waitcnt vmcnt(17)
	v_fma_f64 v[133:134], v[133:134], v[127:128], v[121:122]
	ds_read_b128 v[121:124], v120 offset:880
	ds_read_b128 v[125:128], v120 offset:896
	s_waitcnt vmcnt(16) lgkmcnt(1)
	v_fma_f64 v[121:122], v[149:150], v[121:122], v[133:134]
	s_waitcnt vmcnt(15)
	v_fma_f64 v[121:122], v[147:148], v[123:124], v[121:122]
	s_waitcnt vmcnt(14) lgkmcnt(0)
	v_fma_f64 v[121:122], v[135:136], v[125:126], v[121:122]
	s_waitcnt vmcnt(9)
	v_fma_f64 v[129:130], v[129:130], v[127:128], v[121:122]
	ds_read_b128 v[121:124], v120 offset:912
	ds_read_b128 v[125:128], v120 offset:928
	s_waitcnt vmcnt(8) lgkmcnt(1)
	v_fma_f64 v[121:122], v[153:154], v[121:122], v[129:130]
	s_waitcnt vmcnt(7)
	v_fma_f64 v[121:122], v[151:152], v[123:124], v[121:122]
	ds_read_b64 v[123:124], v120 offset:944
	s_waitcnt vmcnt(6) lgkmcnt(1)
	v_fma_f64 v[121:122], v[141:142], v[125:126], v[121:122]
	s_waitcnt vmcnt(3)
	v_fma_f64 v[121:122], v[131:132], v[127:128], v[121:122]
	s_waitcnt vmcnt(2) lgkmcnt(0)
	v_fma_f64 v[121:122], v[139:140], v[123:124], v[121:122]
	s_waitcnt vmcnt(0)
	v_add_f64 v[121:122], v[137:138], -v[121:122]
	buffer_store_dword v122, off, s[0:3], 0 offset:44
	buffer_store_dword v121, off, s[0:3], 0 offset:40
	s_and_saveexec_b64 s[4:5], vcc
	s_cbranch_execz .LBB58_353
; %bb.352:
	buffer_load_dword v121, off, s[0:3], 0 offset:32
	buffer_load_dword v122, off, s[0:3], 0 offset:36
	s_waitcnt vmcnt(0)
	ds_write_b64 v119, v[121:122]
	buffer_store_dword v120, off, s[0:3], 0 offset:32
	buffer_store_dword v120, off, s[0:3], 0 offset:36
.LBB58_353:
	s_or_b64 exec, exec, s[4:5]
	s_waitcnt lgkmcnt(0)
	; wave barrier
	buffer_load_dword v129, off, s[0:3], 0 offset:40
	buffer_load_dword v130, off, s[0:3], 0 offset:44
	;; [unrolled: 1-line block ×22, first 2 shown]
	ds_read2_b64 v[121:124], v120 offset0:65 offset1:66
	ds_read2_b64 v[125:128], v120 offset0:67 offset1:68
	v_cmp_lt_u32_e32 vcc, 3, v0
	s_waitcnt vmcnt(20) lgkmcnt(1)
	v_fma_f64 v[121:122], v[129:130], v[121:122], 0
	s_waitcnt vmcnt(18)
	v_fma_f64 v[121:122], v[131:132], v[123:124], v[121:122]
	buffer_load_dword v130, off, s[0:3], 0 offset:132
	buffer_load_dword v131, off, s[0:3], 0 offset:152
	;; [unrolled: 1-line block ×7, first 2 shown]
	s_waitcnt vmcnt(23) lgkmcnt(0)
	v_fma_f64 v[121:122], v[133:134], v[125:126], v[121:122]
	s_waitcnt vmcnt(21)
	v_fma_f64 v[132:133], v[135:136], v[127:128], v[121:122]
	ds_read2_b64 v[121:124], v120 offset0:69 offset1:70
	ds_read2_b64 v[125:128], v120 offset0:71 offset1:72
	s_waitcnt vmcnt(19) lgkmcnt(1)
	v_fma_f64 v[121:122], v[137:138], v[121:122], v[132:133]
	buffer_load_dword v132, off, s[0:3], 0 offset:156
	s_waitcnt vmcnt(18)
	v_fma_f64 v[121:122], v[139:140], v[123:124], v[121:122]
	buffer_load_dword v134, off, s[0:3], 0 offset:164
	buffer_load_dword v135, off, s[0:3], 0 offset:184
	;; [unrolled: 1-line block ×7, first 2 shown]
	s_waitcnt vmcnt(23) lgkmcnt(0)
	v_fma_f64 v[121:122], v[141:142], v[125:126], v[121:122]
	s_waitcnt vmcnt(18)
	v_fma_f64 v[141:142], v[143:144], v[127:128], v[121:122]
	ds_read2_b64 v[121:124], v120 offset0:73 offset1:74
	ds_read2_b64 v[125:128], v120 offset0:75 offset1:76
	buffer_load_dword v136, off, s[0:3], 0 offset:188
	s_waitcnt vmcnt(18) lgkmcnt(1)
	v_fma_f64 v[121:122], v[149:150], v[121:122], v[141:142]
	s_waitcnt vmcnt(17)
	v_fma_f64 v[121:122], v[147:148], v[123:124], v[121:122]
	buffer_load_dword v142, off, s[0:3], 0 offset:196
	buffer_load_dword v143, off, s[0:3], 0 offset:216
	;; [unrolled: 1-line block ×8, first 2 shown]
	s_waitcnt vmcnt(24) lgkmcnt(0)
	v_fma_f64 v[121:122], v[145:146], v[125:126], v[121:122]
	s_waitcnt vmcnt(19)
	v_fma_f64 v[129:130], v[129:130], v[127:128], v[121:122]
	ds_read2_b64 v[121:124], v120 offset0:77 offset1:78
	ds_read2_b64 v[125:128], v120 offset0:79 offset1:80
	s_waitcnt vmcnt(18) lgkmcnt(1)
	v_fma_f64 v[121:122], v[153:154], v[121:122], v[129:130]
	s_waitcnt vmcnt(17)
	v_fma_f64 v[121:122], v[151:152], v[123:124], v[121:122]
	buffer_load_dword v130, off, s[0:3], 0 offset:228
	buffer_load_dword v145, off, s[0:3], 0 offset:248
	;; [unrolled: 1-line block ×8, first 2 shown]
	s_waitcnt vmcnt(24) lgkmcnt(0)
	v_fma_f64 v[121:122], v[131:132], v[125:126], v[121:122]
	s_waitcnt vmcnt(19)
	v_fma_f64 v[131:132], v[133:134], v[127:128], v[121:122]
	ds_read2_b64 v[121:124], v120 offset0:81 offset1:82
	ds_read2_b64 v[125:128], v120 offset0:83 offset1:84
	s_waitcnt vmcnt(18) lgkmcnt(1)
	v_fma_f64 v[121:122], v[139:140], v[121:122], v[131:132]
	s_waitcnt vmcnt(17)
	v_fma_f64 v[121:122], v[137:138], v[123:124], v[121:122]
	buffer_load_dword v132, off, s[0:3], 0 offset:260
	buffer_load_dword v133, off, s[0:3], 0 offset:280
	;; [unrolled: 1-line block ×7, first 2 shown]
	s_waitcnt vmcnt(23) lgkmcnt(0)
	v_fma_f64 v[121:122], v[135:136], v[125:126], v[121:122]
	s_waitcnt vmcnt(18)
	v_fma_f64 v[134:135], v[141:142], v[127:128], v[121:122]
	ds_read2_b64 v[121:124], v120 offset0:85 offset1:86
	ds_read2_b64 v[125:128], v120 offset0:87 offset1:88
	s_waitcnt vmcnt(17) lgkmcnt(1)
	v_fma_f64 v[121:122], v[149:150], v[121:122], v[134:135]
	buffer_load_dword v134, off, s[0:3], 0 offset:284
	s_waitcnt vmcnt(17)
	v_fma_f64 v[121:122], v[147:148], v[123:124], v[121:122]
	buffer_load_dword v136, off, s[0:3], 0 offset:292
	buffer_load_dword v141, off, s[0:3], 0 offset:312
	;; [unrolled: 1-line block ×8, first 2 shown]
	s_waitcnt vmcnt(24) lgkmcnt(0)
	v_fma_f64 v[121:122], v[143:144], v[125:126], v[121:122]
	s_waitcnt vmcnt(19)
	v_fma_f64 v[129:130], v[129:130], v[127:128], v[121:122]
	ds_read2_b64 v[121:124], v120 offset0:89 offset1:90
	ds_read2_b64 v[125:128], v120 offset0:91 offset1:92
	s_waitcnt vmcnt(18) lgkmcnt(1)
	v_fma_f64 v[121:122], v[153:154], v[121:122], v[129:130]
	s_waitcnt vmcnt(17)
	v_fma_f64 v[121:122], v[151:152], v[123:124], v[121:122]
	buffer_load_dword v130, off, s[0:3], 0 offset:324
	buffer_load_dword v143, off, s[0:3], 0 offset:344
	buffer_load_dword v151, off, s[0:3], 0 offset:336
	buffer_load_dword v153, off, s[0:3], 0 offset:328
	buffer_load_dword v129, off, s[0:3], 0 offset:320
	buffer_load_dword v154, off, s[0:3], 0 offset:332
	buffer_load_dword v152, off, s[0:3], 0 offset:340
	buffer_load_dword v144, off, s[0:3], 0 offset:348
	s_waitcnt vmcnt(24) lgkmcnt(0)
	v_fma_f64 v[121:122], v[145:146], v[125:126], v[121:122]
	s_waitcnt vmcnt(19)
	v_fma_f64 v[131:132], v[131:132], v[127:128], v[121:122]
	ds_read2_b64 v[121:124], v120 offset0:93 offset1:94
	ds_read2_b64 v[125:128], v120 offset0:95 offset1:96
	s_waitcnt vmcnt(18) lgkmcnt(1)
	v_fma_f64 v[121:122], v[139:140], v[121:122], v[131:132]
	s_waitcnt vmcnt(17)
	v_fma_f64 v[121:122], v[137:138], v[123:124], v[121:122]
	buffer_load_dword v132, off, s[0:3], 0 offset:356
	buffer_load_dword v137, off, s[0:3], 0 offset:376
	;; [unrolled: 1-line block ×7, first 2 shown]
	s_waitcnt vmcnt(23) lgkmcnt(0)
	v_fma_f64 v[121:122], v[133:134], v[125:126], v[121:122]
	s_waitcnt vmcnt(18)
	v_fma_f64 v[133:134], v[135:136], v[127:128], v[121:122]
	ds_read2_b64 v[121:124], v120 offset0:97 offset1:98
	ds_read2_b64 v[125:128], v120 offset0:99 offset1:100
	buffer_load_dword v138, off, s[0:3], 0 offset:380
	s_waitcnt vmcnt(18) lgkmcnt(1)
	v_fma_f64 v[121:122], v[149:150], v[121:122], v[133:134]
	s_waitcnt vmcnt(17)
	v_fma_f64 v[121:122], v[147:148], v[123:124], v[121:122]
	buffer_load_dword v134, off, s[0:3], 0 offset:388
	buffer_load_dword v135, off, s[0:3], 0 offset:408
	;; [unrolled: 1-line block ×8, first 2 shown]
	s_waitcnt vmcnt(24) lgkmcnt(0)
	v_fma_f64 v[121:122], v[141:142], v[125:126], v[121:122]
	s_waitcnt vmcnt(19)
	v_fma_f64 v[129:130], v[129:130], v[127:128], v[121:122]
	ds_read2_b64 v[121:124], v120 offset0:101 offset1:102
	ds_read2_b64 v[125:128], v120 offset0:103 offset1:104
	s_waitcnt vmcnt(18) lgkmcnt(1)
	v_fma_f64 v[121:122], v[153:154], v[121:122], v[129:130]
	s_waitcnt vmcnt(17)
	v_fma_f64 v[121:122], v[151:152], v[123:124], v[121:122]
	buffer_load_dword v130, off, s[0:3], 0 offset:420
	buffer_load_dword v141, off, s[0:3], 0 offset:440
	buffer_load_dword v151, off, s[0:3], 0 offset:432
	buffer_load_dword v153, off, s[0:3], 0 offset:424
	buffer_load_dword v129, off, s[0:3], 0 offset:416
	buffer_load_dword v154, off, s[0:3], 0 offset:428
	buffer_load_dword v152, off, s[0:3], 0 offset:436
	buffer_load_dword v142, off, s[0:3], 0 offset:444
	s_waitcnt vmcnt(24) lgkmcnt(0)
	v_fma_f64 v[121:122], v[143:144], v[125:126], v[121:122]
	s_waitcnt vmcnt(19)
	v_fma_f64 v[131:132], v[131:132], v[127:128], v[121:122]
	ds_read2_b64 v[121:124], v120 offset0:105 offset1:106
	ds_read2_b64 v[125:128], v120 offset0:107 offset1:108
	s_waitcnt vmcnt(18) lgkmcnt(1)
	v_fma_f64 v[121:122], v[145:146], v[121:122], v[131:132]
	s_waitcnt vmcnt(17)
	v_fma_f64 v[121:122], v[139:140], v[123:124], v[121:122]
	buffer_load_dword v132, off, s[0:3], 0 offset:452
	buffer_load_dword v139, off, s[0:3], 0 offset:464
	;; [unrolled: 1-line block ×6, first 2 shown]
	s_waitcnt vmcnt(22) lgkmcnt(0)
	v_fma_f64 v[121:122], v[137:138], v[125:126], v[121:122]
	s_waitcnt vmcnt(17)
	v_fma_f64 v[133:134], v[133:134], v[127:128], v[121:122]
	ds_read2_b64 v[121:124], v120 offset0:109 offset1:110
	buffer_load_dword v137, off, s[0:3], 0 offset:32
	buffer_load_dword v138, off, s[0:3], 0 offset:36
	ds_read2_b64 v[125:128], v120 offset0:111 offset1:112
	s_waitcnt vmcnt(18) lgkmcnt(1)
	v_fma_f64 v[121:122], v[149:150], v[121:122], v[133:134]
	s_waitcnt vmcnt(17)
	v_fma_f64 v[121:122], v[147:148], v[123:124], v[121:122]
	s_waitcnt vmcnt(16) lgkmcnt(0)
	v_fma_f64 v[121:122], v[135:136], v[125:126], v[121:122]
	s_waitcnt vmcnt(11)
	v_fma_f64 v[129:130], v[129:130], v[127:128], v[121:122]
	ds_read2_b64 v[121:124], v120 offset0:113 offset1:114
	ds_read2_b64 v[125:128], v120 offset0:115 offset1:116
	s_waitcnt vmcnt(10) lgkmcnt(1)
	v_fma_f64 v[121:122], v[153:154], v[121:122], v[129:130]
	s_waitcnt vmcnt(9)
	v_fma_f64 v[121:122], v[151:152], v[123:124], v[121:122]
	s_waitcnt vmcnt(8) lgkmcnt(0)
	v_fma_f64 v[121:122], v[141:142], v[125:126], v[121:122]
	s_waitcnt vmcnt(4)
	v_fma_f64 v[124:125], v[131:132], v[127:128], v[121:122]
	ds_read2_b64 v[120:123], v120 offset0:117 offset1:118
	s_waitcnt vmcnt(3) lgkmcnt(0)
	v_fma_f64 v[120:121], v[143:144], v[120:121], v[124:125]
	s_waitcnt vmcnt(2)
	v_fma_f64 v[120:121], v[139:140], v[122:123], v[120:121]
	s_waitcnt vmcnt(0)
	v_add_f64 v[120:121], v[137:138], -v[120:121]
	buffer_store_dword v121, off, s[0:3], 0 offset:36
	buffer_store_dword v120, off, s[0:3], 0 offset:32
	s_and_saveexec_b64 s[4:5], vcc
	s_cbranch_execz .LBB58_355
; %bb.354:
	buffer_load_dword v120, off, s[0:3], 0 offset:24
	buffer_load_dword v121, off, s[0:3], 0 offset:28
	v_mov_b32_e32 v122, 0
	buffer_store_dword v122, off, s[0:3], 0 offset:24
	buffer_store_dword v122, off, s[0:3], 0 offset:28
	s_waitcnt vmcnt(2)
	ds_write_b64 v119, v[120:121]
.LBB58_355:
	s_or_b64 exec, exec, s[4:5]
	s_waitcnt lgkmcnt(0)
	; wave barrier
	buffer_load_dword v129, off, s[0:3], 0 offset:32
	buffer_load_dword v130, off, s[0:3], 0 offset:36
	;; [unrolled: 1-line block ×22, first 2 shown]
	v_mov_b32_e32 v120, 0
	ds_read_b128 v[121:124], v120 offset:512
	ds_read_b128 v[125:128], v120 offset:528
	v_cmp_lt_u32_e32 vcc, 2, v0
	s_waitcnt vmcnt(20) lgkmcnt(1)
	v_fma_f64 v[121:122], v[129:130], v[121:122], 0
	s_waitcnt vmcnt(18)
	v_fma_f64 v[121:122], v[131:132], v[123:124], v[121:122]
	buffer_load_dword v130, off, s[0:3], 0 offset:124
	buffer_load_dword v131, off, s[0:3], 0 offset:144
	;; [unrolled: 1-line block ×7, first 2 shown]
	s_waitcnt vmcnt(23) lgkmcnt(0)
	v_fma_f64 v[121:122], v[133:134], v[125:126], v[121:122]
	s_waitcnt vmcnt(21)
	v_fma_f64 v[132:133], v[135:136], v[127:128], v[121:122]
	ds_read_b128 v[121:124], v120 offset:544
	ds_read_b128 v[125:128], v120 offset:560
	s_waitcnt vmcnt(19) lgkmcnt(1)
	v_fma_f64 v[121:122], v[137:138], v[121:122], v[132:133]
	buffer_load_dword v132, off, s[0:3], 0 offset:148
	s_waitcnt vmcnt(18)
	v_fma_f64 v[121:122], v[139:140], v[123:124], v[121:122]
	buffer_load_dword v134, off, s[0:3], 0 offset:156
	buffer_load_dword v135, off, s[0:3], 0 offset:176
	;; [unrolled: 1-line block ×7, first 2 shown]
	s_waitcnt vmcnt(23) lgkmcnt(0)
	v_fma_f64 v[121:122], v[141:142], v[125:126], v[121:122]
	s_waitcnt vmcnt(18)
	v_fma_f64 v[141:142], v[143:144], v[127:128], v[121:122]
	ds_read_b128 v[121:124], v120 offset:576
	ds_read_b128 v[125:128], v120 offset:592
	buffer_load_dword v136, off, s[0:3], 0 offset:180
	s_waitcnt vmcnt(18) lgkmcnt(1)
	v_fma_f64 v[121:122], v[149:150], v[121:122], v[141:142]
	s_waitcnt vmcnt(17)
	v_fma_f64 v[121:122], v[147:148], v[123:124], v[121:122]
	buffer_load_dword v142, off, s[0:3], 0 offset:188
	buffer_load_dword v143, off, s[0:3], 0 offset:208
	;; [unrolled: 1-line block ×8, first 2 shown]
	s_waitcnt vmcnt(24) lgkmcnt(0)
	v_fma_f64 v[121:122], v[145:146], v[125:126], v[121:122]
	s_waitcnt vmcnt(19)
	v_fma_f64 v[129:130], v[129:130], v[127:128], v[121:122]
	ds_read_b128 v[121:124], v120 offset:608
	ds_read_b128 v[125:128], v120 offset:624
	s_waitcnt vmcnt(18) lgkmcnt(1)
	v_fma_f64 v[121:122], v[153:154], v[121:122], v[129:130]
	s_waitcnt vmcnt(17)
	v_fma_f64 v[121:122], v[151:152], v[123:124], v[121:122]
	buffer_load_dword v130, off, s[0:3], 0 offset:220
	buffer_load_dword v145, off, s[0:3], 0 offset:240
	;; [unrolled: 1-line block ×8, first 2 shown]
	s_waitcnt vmcnt(24) lgkmcnt(0)
	v_fma_f64 v[121:122], v[131:132], v[125:126], v[121:122]
	s_waitcnt vmcnt(19)
	v_fma_f64 v[131:132], v[133:134], v[127:128], v[121:122]
	ds_read_b128 v[121:124], v120 offset:640
	ds_read_b128 v[125:128], v120 offset:656
	s_waitcnt vmcnt(18) lgkmcnt(1)
	v_fma_f64 v[121:122], v[139:140], v[121:122], v[131:132]
	s_waitcnt vmcnt(17)
	v_fma_f64 v[121:122], v[137:138], v[123:124], v[121:122]
	buffer_load_dword v132, off, s[0:3], 0 offset:252
	buffer_load_dword v133, off, s[0:3], 0 offset:272
	buffer_load_dword v137, off, s[0:3], 0 offset:264
	buffer_load_dword v139, off, s[0:3], 0 offset:256
	buffer_load_dword v131, off, s[0:3], 0 offset:248
	buffer_load_dword v140, off, s[0:3], 0 offset:260
	buffer_load_dword v138, off, s[0:3], 0 offset:268
	s_waitcnt vmcnt(23) lgkmcnt(0)
	v_fma_f64 v[121:122], v[135:136], v[125:126], v[121:122]
	s_waitcnt vmcnt(18)
	v_fma_f64 v[134:135], v[141:142], v[127:128], v[121:122]
	ds_read_b128 v[121:124], v120 offset:672
	ds_read_b128 v[125:128], v120 offset:688
	s_waitcnt vmcnt(17) lgkmcnt(1)
	v_fma_f64 v[121:122], v[149:150], v[121:122], v[134:135]
	buffer_load_dword v134, off, s[0:3], 0 offset:276
	s_waitcnt vmcnt(17)
	v_fma_f64 v[121:122], v[147:148], v[123:124], v[121:122]
	buffer_load_dword v136, off, s[0:3], 0 offset:284
	buffer_load_dword v141, off, s[0:3], 0 offset:304
	;; [unrolled: 1-line block ×8, first 2 shown]
	s_waitcnt vmcnt(24) lgkmcnt(0)
	v_fma_f64 v[121:122], v[143:144], v[125:126], v[121:122]
	s_waitcnt vmcnt(19)
	v_fma_f64 v[129:130], v[129:130], v[127:128], v[121:122]
	ds_read_b128 v[121:124], v120 offset:704
	ds_read_b128 v[125:128], v120 offset:720
	s_waitcnt vmcnt(18) lgkmcnt(1)
	v_fma_f64 v[121:122], v[153:154], v[121:122], v[129:130]
	s_waitcnt vmcnt(17)
	v_fma_f64 v[121:122], v[151:152], v[123:124], v[121:122]
	buffer_load_dword v130, off, s[0:3], 0 offset:316
	buffer_load_dword v143, off, s[0:3], 0 offset:336
	;; [unrolled: 1-line block ×8, first 2 shown]
	s_waitcnt vmcnt(24) lgkmcnt(0)
	v_fma_f64 v[121:122], v[145:146], v[125:126], v[121:122]
	s_waitcnt vmcnt(19)
	v_fma_f64 v[131:132], v[131:132], v[127:128], v[121:122]
	ds_read_b128 v[121:124], v120 offset:736
	ds_read_b128 v[125:128], v120 offset:752
	s_waitcnt vmcnt(18) lgkmcnt(1)
	v_fma_f64 v[121:122], v[139:140], v[121:122], v[131:132]
	s_waitcnt vmcnt(17)
	v_fma_f64 v[121:122], v[137:138], v[123:124], v[121:122]
	buffer_load_dword v132, off, s[0:3], 0 offset:348
	buffer_load_dword v137, off, s[0:3], 0 offset:368
	;; [unrolled: 1-line block ×7, first 2 shown]
	s_waitcnt vmcnt(23) lgkmcnt(0)
	v_fma_f64 v[121:122], v[133:134], v[125:126], v[121:122]
	s_waitcnt vmcnt(18)
	v_fma_f64 v[133:134], v[135:136], v[127:128], v[121:122]
	ds_read_b128 v[121:124], v120 offset:768
	ds_read_b128 v[125:128], v120 offset:784
	buffer_load_dword v138, off, s[0:3], 0 offset:372
	s_waitcnt vmcnt(18) lgkmcnt(1)
	v_fma_f64 v[121:122], v[149:150], v[121:122], v[133:134]
	s_waitcnt vmcnt(17)
	v_fma_f64 v[121:122], v[147:148], v[123:124], v[121:122]
	buffer_load_dword v134, off, s[0:3], 0 offset:380
	buffer_load_dword v135, off, s[0:3], 0 offset:400
	buffer_load_dword v147, off, s[0:3], 0 offset:392
	buffer_load_dword v149, off, s[0:3], 0 offset:384
	buffer_load_dword v133, off, s[0:3], 0 offset:376
	buffer_load_dword v150, off, s[0:3], 0 offset:388
	buffer_load_dword v148, off, s[0:3], 0 offset:396
	buffer_load_dword v136, off, s[0:3], 0 offset:404
	s_waitcnt vmcnt(24) lgkmcnt(0)
	v_fma_f64 v[121:122], v[141:142], v[125:126], v[121:122]
	s_waitcnt vmcnt(19)
	v_fma_f64 v[129:130], v[129:130], v[127:128], v[121:122]
	ds_read_b128 v[121:124], v120 offset:800
	ds_read_b128 v[125:128], v120 offset:816
	s_waitcnt vmcnt(18) lgkmcnt(1)
	v_fma_f64 v[121:122], v[153:154], v[121:122], v[129:130]
	s_waitcnt vmcnt(17)
	v_fma_f64 v[121:122], v[151:152], v[123:124], v[121:122]
	buffer_load_dword v130, off, s[0:3], 0 offset:412
	buffer_load_dword v141, off, s[0:3], 0 offset:432
	buffer_load_dword v151, off, s[0:3], 0 offset:424
	buffer_load_dword v153, off, s[0:3], 0 offset:416
	buffer_load_dword v129, off, s[0:3], 0 offset:408
	buffer_load_dword v154, off, s[0:3], 0 offset:420
	buffer_load_dword v152, off, s[0:3], 0 offset:428
	buffer_load_dword v142, off, s[0:3], 0 offset:436
	s_waitcnt vmcnt(24) lgkmcnt(0)
	v_fma_f64 v[121:122], v[143:144], v[125:126], v[121:122]
	s_waitcnt vmcnt(19)
	v_fma_f64 v[131:132], v[131:132], v[127:128], v[121:122]
	ds_read_b128 v[121:124], v120 offset:832
	ds_read_b128 v[125:128], v120 offset:848
	;; [unrolled: 18-line block ×3, first 2 shown]
	s_waitcnt vmcnt(18) lgkmcnt(1)
	v_fma_f64 v[121:122], v[149:150], v[121:122], v[133:134]
	buffer_load_dword v133, off, s[0:3], 0 offset:24
	buffer_load_dword v134, off, s[0:3], 0 offset:28
	s_waitcnt vmcnt(19)
	v_fma_f64 v[121:122], v[147:148], v[123:124], v[121:122]
	s_waitcnt vmcnt(18) lgkmcnt(0)
	v_fma_f64 v[121:122], v[135:136], v[125:126], v[121:122]
	s_waitcnt vmcnt(13)
	v_fma_f64 v[129:130], v[129:130], v[127:128], v[121:122]
	ds_read_b128 v[121:124], v120 offset:896
	ds_read_b128 v[125:128], v120 offset:912
	s_waitcnt vmcnt(12) lgkmcnt(1)
	v_fma_f64 v[121:122], v[153:154], v[121:122], v[129:130]
	s_waitcnt vmcnt(11)
	v_fma_f64 v[121:122], v[151:152], v[123:124], v[121:122]
	s_waitcnt vmcnt(10) lgkmcnt(0)
	v_fma_f64 v[121:122], v[141:142], v[125:126], v[121:122]
	s_waitcnt vmcnt(5)
	v_fma_f64 v[125:126], v[131:132], v[127:128], v[121:122]
	ds_read_b128 v[121:124], v120 offset:928
	ds_read_b64 v[127:128], v120 offset:944
	s_waitcnt vmcnt(4) lgkmcnt(1)
	v_fma_f64 v[121:122], v[145:146], v[121:122], v[125:126]
	s_waitcnt vmcnt(3)
	v_fma_f64 v[121:122], v[143:144], v[123:124], v[121:122]
	s_waitcnt vmcnt(2) lgkmcnt(0)
	v_fma_f64 v[121:122], v[139:140], v[127:128], v[121:122]
	s_waitcnt vmcnt(0)
	v_add_f64 v[121:122], v[133:134], -v[121:122]
	buffer_store_dword v122, off, s[0:3], 0 offset:28
	buffer_store_dword v121, off, s[0:3], 0 offset:24
	s_and_saveexec_b64 s[4:5], vcc
	s_cbranch_execz .LBB58_357
; %bb.356:
	buffer_load_dword v121, off, s[0:3], 0 offset:16
	buffer_load_dword v122, off, s[0:3], 0 offset:20
	s_waitcnt vmcnt(0)
	ds_write_b64 v119, v[121:122]
	buffer_store_dword v120, off, s[0:3], 0 offset:16
	buffer_store_dword v120, off, s[0:3], 0 offset:20
.LBB58_357:
	s_or_b64 exec, exec, s[4:5]
	s_waitcnt lgkmcnt(0)
	; wave barrier
	buffer_load_dword v129, off, s[0:3], 0 offset:24
	buffer_load_dword v130, off, s[0:3], 0 offset:28
	;; [unrolled: 1-line block ×22, first 2 shown]
	ds_read2_b64 v[121:124], v120 offset0:63 offset1:64
	ds_read2_b64 v[125:128], v120 offset0:65 offset1:66
	v_cmp_lt_u32_e32 vcc, 1, v0
	s_waitcnt vmcnt(20) lgkmcnt(1)
	v_fma_f64 v[121:122], v[129:130], v[121:122], 0
	s_waitcnt vmcnt(18)
	v_fma_f64 v[121:122], v[131:132], v[123:124], v[121:122]
	buffer_load_dword v130, off, s[0:3], 0 offset:116
	buffer_load_dword v131, off, s[0:3], 0 offset:136
	;; [unrolled: 1-line block ×7, first 2 shown]
	s_waitcnt vmcnt(23) lgkmcnt(0)
	v_fma_f64 v[121:122], v[133:134], v[125:126], v[121:122]
	s_waitcnt vmcnt(21)
	v_fma_f64 v[132:133], v[135:136], v[127:128], v[121:122]
	ds_read2_b64 v[121:124], v120 offset0:67 offset1:68
	ds_read2_b64 v[125:128], v120 offset0:69 offset1:70
	s_waitcnt vmcnt(19) lgkmcnt(1)
	v_fma_f64 v[121:122], v[137:138], v[121:122], v[132:133]
	buffer_load_dword v132, off, s[0:3], 0 offset:140
	s_waitcnt vmcnt(18)
	v_fma_f64 v[121:122], v[139:140], v[123:124], v[121:122]
	buffer_load_dword v134, off, s[0:3], 0 offset:148
	buffer_load_dword v135, off, s[0:3], 0 offset:168
	;; [unrolled: 1-line block ×7, first 2 shown]
	s_waitcnt vmcnt(23) lgkmcnt(0)
	v_fma_f64 v[121:122], v[141:142], v[125:126], v[121:122]
	s_waitcnt vmcnt(18)
	v_fma_f64 v[141:142], v[143:144], v[127:128], v[121:122]
	ds_read2_b64 v[121:124], v120 offset0:71 offset1:72
	ds_read2_b64 v[125:128], v120 offset0:73 offset1:74
	buffer_load_dword v136, off, s[0:3], 0 offset:172
	s_waitcnt vmcnt(18) lgkmcnt(1)
	v_fma_f64 v[121:122], v[149:150], v[121:122], v[141:142]
	s_waitcnt vmcnt(17)
	v_fma_f64 v[121:122], v[147:148], v[123:124], v[121:122]
	buffer_load_dword v142, off, s[0:3], 0 offset:180
	buffer_load_dword v143, off, s[0:3], 0 offset:200
	;; [unrolled: 1-line block ×8, first 2 shown]
	s_waitcnt vmcnt(24) lgkmcnt(0)
	v_fma_f64 v[121:122], v[145:146], v[125:126], v[121:122]
	s_waitcnt vmcnt(19)
	v_fma_f64 v[129:130], v[129:130], v[127:128], v[121:122]
	ds_read2_b64 v[121:124], v120 offset0:75 offset1:76
	ds_read2_b64 v[125:128], v120 offset0:77 offset1:78
	s_waitcnt vmcnt(18) lgkmcnt(1)
	v_fma_f64 v[121:122], v[153:154], v[121:122], v[129:130]
	s_waitcnt vmcnt(17)
	v_fma_f64 v[121:122], v[151:152], v[123:124], v[121:122]
	buffer_load_dword v130, off, s[0:3], 0 offset:212
	buffer_load_dword v145, off, s[0:3], 0 offset:232
	;; [unrolled: 1-line block ×8, first 2 shown]
	s_waitcnt vmcnt(24) lgkmcnt(0)
	v_fma_f64 v[121:122], v[131:132], v[125:126], v[121:122]
	s_waitcnt vmcnt(19)
	v_fma_f64 v[131:132], v[133:134], v[127:128], v[121:122]
	ds_read2_b64 v[121:124], v120 offset0:79 offset1:80
	ds_read2_b64 v[125:128], v120 offset0:81 offset1:82
	s_waitcnt vmcnt(18) lgkmcnt(1)
	v_fma_f64 v[121:122], v[139:140], v[121:122], v[131:132]
	s_waitcnt vmcnt(17)
	v_fma_f64 v[121:122], v[137:138], v[123:124], v[121:122]
	buffer_load_dword v132, off, s[0:3], 0 offset:244
	buffer_load_dword v133, off, s[0:3], 0 offset:264
	;; [unrolled: 1-line block ×7, first 2 shown]
	s_waitcnt vmcnt(23) lgkmcnt(0)
	v_fma_f64 v[121:122], v[135:136], v[125:126], v[121:122]
	s_waitcnt vmcnt(18)
	v_fma_f64 v[134:135], v[141:142], v[127:128], v[121:122]
	ds_read2_b64 v[121:124], v120 offset0:83 offset1:84
	ds_read2_b64 v[125:128], v120 offset0:85 offset1:86
	s_waitcnt vmcnt(17) lgkmcnt(1)
	v_fma_f64 v[121:122], v[149:150], v[121:122], v[134:135]
	buffer_load_dword v134, off, s[0:3], 0 offset:268
	s_waitcnt vmcnt(17)
	v_fma_f64 v[121:122], v[147:148], v[123:124], v[121:122]
	buffer_load_dword v136, off, s[0:3], 0 offset:276
	buffer_load_dword v141, off, s[0:3], 0 offset:296
	buffer_load_dword v147, off, s[0:3], 0 offset:288
	buffer_load_dword v149, off, s[0:3], 0 offset:280
	buffer_load_dword v135, off, s[0:3], 0 offset:272
	buffer_load_dword v150, off, s[0:3], 0 offset:284
	buffer_load_dword v148, off, s[0:3], 0 offset:292
	buffer_load_dword v142, off, s[0:3], 0 offset:300
	s_waitcnt vmcnt(24) lgkmcnt(0)
	v_fma_f64 v[121:122], v[143:144], v[125:126], v[121:122]
	s_waitcnt vmcnt(19)
	v_fma_f64 v[129:130], v[129:130], v[127:128], v[121:122]
	ds_read2_b64 v[121:124], v120 offset0:87 offset1:88
	ds_read2_b64 v[125:128], v120 offset0:89 offset1:90
	s_waitcnt vmcnt(18) lgkmcnt(1)
	v_fma_f64 v[121:122], v[153:154], v[121:122], v[129:130]
	s_waitcnt vmcnt(17)
	v_fma_f64 v[121:122], v[151:152], v[123:124], v[121:122]
	buffer_load_dword v130, off, s[0:3], 0 offset:308
	buffer_load_dword v143, off, s[0:3], 0 offset:328
	;; [unrolled: 1-line block ×8, first 2 shown]
	s_waitcnt vmcnt(24) lgkmcnt(0)
	v_fma_f64 v[121:122], v[145:146], v[125:126], v[121:122]
	s_waitcnt vmcnt(19)
	v_fma_f64 v[131:132], v[131:132], v[127:128], v[121:122]
	ds_read2_b64 v[121:124], v120 offset0:91 offset1:92
	ds_read2_b64 v[125:128], v120 offset0:93 offset1:94
	s_waitcnt vmcnt(18) lgkmcnt(1)
	v_fma_f64 v[121:122], v[139:140], v[121:122], v[131:132]
	s_waitcnt vmcnt(17)
	v_fma_f64 v[121:122], v[137:138], v[123:124], v[121:122]
	buffer_load_dword v132, off, s[0:3], 0 offset:340
	buffer_load_dword v137, off, s[0:3], 0 offset:360
	;; [unrolled: 1-line block ×7, first 2 shown]
	s_waitcnt vmcnt(23) lgkmcnt(0)
	v_fma_f64 v[121:122], v[133:134], v[125:126], v[121:122]
	s_waitcnt vmcnt(18)
	v_fma_f64 v[133:134], v[135:136], v[127:128], v[121:122]
	ds_read2_b64 v[121:124], v120 offset0:95 offset1:96
	ds_read2_b64 v[125:128], v120 offset0:97 offset1:98
	buffer_load_dword v138, off, s[0:3], 0 offset:364
	s_waitcnt vmcnt(18) lgkmcnt(1)
	v_fma_f64 v[121:122], v[149:150], v[121:122], v[133:134]
	s_waitcnt vmcnt(17)
	v_fma_f64 v[121:122], v[147:148], v[123:124], v[121:122]
	buffer_load_dword v134, off, s[0:3], 0 offset:372
	buffer_load_dword v135, off, s[0:3], 0 offset:392
	buffer_load_dword v147, off, s[0:3], 0 offset:384
	buffer_load_dword v149, off, s[0:3], 0 offset:376
	buffer_load_dword v133, off, s[0:3], 0 offset:368
	buffer_load_dword v150, off, s[0:3], 0 offset:380
	buffer_load_dword v148, off, s[0:3], 0 offset:388
	buffer_load_dword v136, off, s[0:3], 0 offset:396
	s_waitcnt vmcnt(24) lgkmcnt(0)
	v_fma_f64 v[121:122], v[141:142], v[125:126], v[121:122]
	s_waitcnt vmcnt(19)
	v_fma_f64 v[129:130], v[129:130], v[127:128], v[121:122]
	ds_read2_b64 v[121:124], v120 offset0:99 offset1:100
	ds_read2_b64 v[125:128], v120 offset0:101 offset1:102
	s_waitcnt vmcnt(18) lgkmcnt(1)
	v_fma_f64 v[121:122], v[153:154], v[121:122], v[129:130]
	s_waitcnt vmcnt(17)
	v_fma_f64 v[121:122], v[151:152], v[123:124], v[121:122]
	buffer_load_dword v130, off, s[0:3], 0 offset:404
	buffer_load_dword v141, off, s[0:3], 0 offset:424
	buffer_load_dword v151, off, s[0:3], 0 offset:416
	buffer_load_dword v153, off, s[0:3], 0 offset:408
	buffer_load_dword v129, off, s[0:3], 0 offset:400
	buffer_load_dword v154, off, s[0:3], 0 offset:412
	buffer_load_dword v152, off, s[0:3], 0 offset:420
	buffer_load_dword v142, off, s[0:3], 0 offset:428
	s_waitcnt vmcnt(24) lgkmcnt(0)
	v_fma_f64 v[121:122], v[143:144], v[125:126], v[121:122]
	s_waitcnt vmcnt(19)
	v_fma_f64 v[131:132], v[131:132], v[127:128], v[121:122]
	ds_read2_b64 v[121:124], v120 offset0:103 offset1:104
	ds_read2_b64 v[125:128], v120 offset0:105 offset1:106
	;; [unrolled: 18-line block ×3, first 2 shown]
	s_waitcnt vmcnt(18) lgkmcnt(1)
	v_fma_f64 v[121:122], v[149:150], v[121:122], v[133:134]
	buffer_load_dword v134, off, s[0:3], 0 offset:468
	buffer_load_dword v133, off, s[0:3], 0 offset:464
	;; [unrolled: 1-line block ×4, first 2 shown]
	s_waitcnt vmcnt(21)
	v_fma_f64 v[121:122], v[147:148], v[123:124], v[121:122]
	s_waitcnt vmcnt(20) lgkmcnt(0)
	v_fma_f64 v[121:122], v[135:136], v[125:126], v[121:122]
	s_waitcnt vmcnt(15)
	v_fma_f64 v[129:130], v[129:130], v[127:128], v[121:122]
	ds_read2_b64 v[121:124], v120 offset0:111 offset1:112
	ds_read2_b64 v[125:128], v120 offset0:113 offset1:114
	s_waitcnt vmcnt(14) lgkmcnt(1)
	v_fma_f64 v[121:122], v[153:154], v[121:122], v[129:130]
	s_waitcnt vmcnt(13)
	v_fma_f64 v[121:122], v[151:152], v[123:124], v[121:122]
	s_waitcnt vmcnt(12) lgkmcnt(0)
	v_fma_f64 v[121:122], v[141:142], v[125:126], v[121:122]
	s_waitcnt vmcnt(7)
	v_fma_f64 v[129:130], v[131:132], v[127:128], v[121:122]
	ds_read2_b64 v[121:124], v120 offset0:115 offset1:116
	ds_read2_b64 v[125:128], v120 offset0:117 offset1:118
	s_waitcnt vmcnt(6) lgkmcnt(1)
	v_fma_f64 v[120:121], v[145:146], v[121:122], v[129:130]
	s_waitcnt vmcnt(5)
	v_fma_f64 v[120:121], v[143:144], v[123:124], v[120:121]
	s_waitcnt vmcnt(4) lgkmcnt(0)
	v_fma_f64 v[120:121], v[139:140], v[125:126], v[120:121]
	s_waitcnt vmcnt(2)
	v_fma_f64 v[120:121], v[133:134], v[127:128], v[120:121]
	s_waitcnt vmcnt(0)
	v_add_f64 v[120:121], v[137:138], -v[120:121]
	buffer_store_dword v121, off, s[0:3], 0 offset:20
	buffer_store_dword v120, off, s[0:3], 0 offset:16
	s_and_saveexec_b64 s[4:5], vcc
	s_cbranch_execz .LBB58_359
; %bb.358:
	buffer_load_dword v120, off, s[0:3], 0 offset:8
	buffer_load_dword v121, off, s[0:3], 0 offset:12
	v_mov_b32_e32 v122, 0
	buffer_store_dword v122, off, s[0:3], 0 offset:8
	buffer_store_dword v122, off, s[0:3], 0 offset:12
	s_waitcnt vmcnt(2)
	ds_write_b64 v119, v[120:121]
.LBB58_359:
	s_or_b64 exec, exec, s[4:5]
	s_waitcnt lgkmcnt(0)
	; wave barrier
	buffer_load_dword v129, off, s[0:3], 0 offset:16
	buffer_load_dword v130, off, s[0:3], 0 offset:20
	;; [unrolled: 1-line block ×21, first 2 shown]
	v_mov_b32_e32 v120, 0
	ds_read_b128 v[121:124], v120 offset:496
	ds_read_b128 v[125:128], v120 offset:512
	buffer_load_dword v146, off, s[0:3], 0 offset:100
	v_cmp_ne_u32_e32 vcc, 0, v0
	s_waitcnt vmcnt(20) lgkmcnt(1)
	v_fma_f64 v[121:122], v[129:130], v[121:122], 0
	s_waitcnt vmcnt(18)
	v_fma_f64 v[121:122], v[131:132], v[123:124], v[121:122]
	buffer_load_dword v130, off, s[0:3], 0 offset:108
	buffer_load_dword v131, off, s[0:3], 0 offset:128
	;; [unrolled: 1-line block ×7, first 2 shown]
	s_waitcnt vmcnt(23) lgkmcnt(0)
	v_fma_f64 v[121:122], v[133:134], v[125:126], v[121:122]
	s_waitcnt vmcnt(21)
	v_fma_f64 v[132:133], v[135:136], v[127:128], v[121:122]
	ds_read_b128 v[121:124], v120 offset:528
	ds_read_b128 v[125:128], v120 offset:544
	s_waitcnt vmcnt(19) lgkmcnt(1)
	v_fma_f64 v[121:122], v[137:138], v[121:122], v[132:133]
	buffer_load_dword v132, off, s[0:3], 0 offset:132
	s_waitcnt vmcnt(18)
	v_fma_f64 v[121:122], v[139:140], v[123:124], v[121:122]
	buffer_load_dword v134, off, s[0:3], 0 offset:140
	buffer_load_dword v135, off, s[0:3], 0 offset:160
	;; [unrolled: 1-line block ×7, first 2 shown]
	s_waitcnt vmcnt(23) lgkmcnt(0)
	v_fma_f64 v[121:122], v[141:142], v[125:126], v[121:122]
	s_waitcnt vmcnt(18)
	v_fma_f64 v[141:142], v[143:144], v[127:128], v[121:122]
	ds_read_b128 v[121:124], v120 offset:560
	ds_read_b128 v[125:128], v120 offset:576
	buffer_load_dword v136, off, s[0:3], 0 offset:164
	s_waitcnt vmcnt(18) lgkmcnt(1)
	v_fma_f64 v[121:122], v[149:150], v[121:122], v[141:142]
	s_waitcnt vmcnt(17)
	v_fma_f64 v[121:122], v[147:148], v[123:124], v[121:122]
	buffer_load_dword v142, off, s[0:3], 0 offset:172
	buffer_load_dword v143, off, s[0:3], 0 offset:192
	;; [unrolled: 1-line block ×7, first 2 shown]
	s_waitcnt vmcnt(23) lgkmcnt(0)
	v_fma_f64 v[121:122], v[145:146], v[125:126], v[121:122]
	s_waitcnt vmcnt(18)
	v_fma_f64 v[129:130], v[129:130], v[127:128], v[121:122]
	ds_read_b128 v[121:124], v120 offset:592
	ds_read_b128 v[125:128], v120 offset:608
	buffer_load_dword v144, off, s[0:3], 0 offset:196
	s_waitcnt vmcnt(18) lgkmcnt(1)
	v_fma_f64 v[121:122], v[153:154], v[121:122], v[129:130]
	s_waitcnt vmcnt(17)
	v_fma_f64 v[121:122], v[151:152], v[123:124], v[121:122]
	buffer_load_dword v130, off, s[0:3], 0 offset:204
	buffer_load_dword v145, off, s[0:3], 0 offset:224
	;; [unrolled: 1-line block ×8, first 2 shown]
	s_waitcnt vmcnt(24) lgkmcnt(0)
	v_fma_f64 v[121:122], v[131:132], v[125:126], v[121:122]
	s_waitcnt vmcnt(19)
	v_fma_f64 v[131:132], v[133:134], v[127:128], v[121:122]
	ds_read_b128 v[121:124], v120 offset:624
	ds_read_b128 v[125:128], v120 offset:640
	s_waitcnt vmcnt(18) lgkmcnt(1)
	v_fma_f64 v[121:122], v[139:140], v[121:122], v[131:132]
	s_waitcnt vmcnt(17)
	v_fma_f64 v[121:122], v[137:138], v[123:124], v[121:122]
	buffer_load_dword v132, off, s[0:3], 0 offset:236
	buffer_load_dword v133, off, s[0:3], 0 offset:256
	buffer_load_dword v137, off, s[0:3], 0 offset:248
	buffer_load_dword v139, off, s[0:3], 0 offset:240
	buffer_load_dword v131, off, s[0:3], 0 offset:232
	buffer_load_dword v140, off, s[0:3], 0 offset:244
	buffer_load_dword v138, off, s[0:3], 0 offset:252
	s_waitcnt vmcnt(23) lgkmcnt(0)
	v_fma_f64 v[121:122], v[135:136], v[125:126], v[121:122]
	s_waitcnt vmcnt(18)
	v_fma_f64 v[134:135], v[141:142], v[127:128], v[121:122]
	ds_read_b128 v[121:124], v120 offset:656
	ds_read_b128 v[125:128], v120 offset:672
	s_waitcnt vmcnt(17) lgkmcnt(1)
	v_fma_f64 v[121:122], v[149:150], v[121:122], v[134:135]
	buffer_load_dword v134, off, s[0:3], 0 offset:260
	s_waitcnt vmcnt(17)
	v_fma_f64 v[121:122], v[147:148], v[123:124], v[121:122]
	buffer_load_dword v136, off, s[0:3], 0 offset:268
	buffer_load_dword v141, off, s[0:3], 0 offset:288
	;; [unrolled: 1-line block ×7, first 2 shown]
	s_waitcnt vmcnt(23) lgkmcnt(0)
	v_fma_f64 v[121:122], v[143:144], v[125:126], v[121:122]
	s_waitcnt vmcnt(18)
	v_fma_f64 v[129:130], v[129:130], v[127:128], v[121:122]
	ds_read_b128 v[121:124], v120 offset:688
	ds_read_b128 v[125:128], v120 offset:704
	buffer_load_dword v142, off, s[0:3], 0 offset:292
	s_waitcnt vmcnt(18) lgkmcnt(1)
	v_fma_f64 v[121:122], v[153:154], v[121:122], v[129:130]
	s_waitcnt vmcnt(17)
	v_fma_f64 v[121:122], v[151:152], v[123:124], v[121:122]
	buffer_load_dword v130, off, s[0:3], 0 offset:300
	buffer_load_dword v143, off, s[0:3], 0 offset:320
	;; [unrolled: 1-line block ×8, first 2 shown]
	s_waitcnt vmcnt(24) lgkmcnt(0)
	v_fma_f64 v[121:122], v[145:146], v[125:126], v[121:122]
	s_waitcnt vmcnt(19)
	v_fma_f64 v[131:132], v[131:132], v[127:128], v[121:122]
	ds_read_b128 v[121:124], v120 offset:720
	ds_read_b128 v[125:128], v120 offset:736
	s_waitcnt vmcnt(18) lgkmcnt(1)
	v_fma_f64 v[121:122], v[139:140], v[121:122], v[131:132]
	s_waitcnt vmcnt(17)
	v_fma_f64 v[121:122], v[137:138], v[123:124], v[121:122]
	buffer_load_dword v132, off, s[0:3], 0 offset:332
	buffer_load_dword v137, off, s[0:3], 0 offset:352
	;; [unrolled: 1-line block ×7, first 2 shown]
	s_waitcnt vmcnt(23) lgkmcnt(0)
	v_fma_f64 v[121:122], v[133:134], v[125:126], v[121:122]
	s_waitcnt vmcnt(18)
	v_fma_f64 v[133:134], v[135:136], v[127:128], v[121:122]
	ds_read_b128 v[121:124], v120 offset:752
	ds_read_b128 v[125:128], v120 offset:768
	buffer_load_dword v138, off, s[0:3], 0 offset:356
	s_waitcnt vmcnt(18) lgkmcnt(1)
	v_fma_f64 v[121:122], v[149:150], v[121:122], v[133:134]
	s_waitcnt vmcnt(17)
	v_fma_f64 v[121:122], v[147:148], v[123:124], v[121:122]
	buffer_load_dword v134, off, s[0:3], 0 offset:364
	buffer_load_dword v135, off, s[0:3], 0 offset:384
	;; [unrolled: 1-line block ×7, first 2 shown]
	s_waitcnt vmcnt(23) lgkmcnt(0)
	v_fma_f64 v[121:122], v[141:142], v[125:126], v[121:122]
	s_waitcnt vmcnt(18)
	v_fma_f64 v[129:130], v[129:130], v[127:128], v[121:122]
	ds_read_b128 v[121:124], v120 offset:784
	ds_read_b128 v[125:128], v120 offset:800
	buffer_load_dword v136, off, s[0:3], 0 offset:388
	s_waitcnt vmcnt(18) lgkmcnt(1)
	v_fma_f64 v[121:122], v[153:154], v[121:122], v[129:130]
	s_waitcnt vmcnt(17)
	v_fma_f64 v[121:122], v[151:152], v[123:124], v[121:122]
	buffer_load_dword v130, off, s[0:3], 0 offset:396
	buffer_load_dword v141, off, s[0:3], 0 offset:416
	;; [unrolled: 1-line block ×8, first 2 shown]
	s_waitcnt vmcnt(24) lgkmcnt(0)
	v_fma_f64 v[121:122], v[143:144], v[125:126], v[121:122]
	s_waitcnt vmcnt(19)
	v_fma_f64 v[131:132], v[131:132], v[127:128], v[121:122]
	ds_read_b128 v[121:124], v120 offset:816
	ds_read_b128 v[125:128], v120 offset:832
	s_waitcnt vmcnt(18) lgkmcnt(1)
	v_fma_f64 v[121:122], v[145:146], v[121:122], v[131:132]
	s_waitcnt vmcnt(17)
	v_fma_f64 v[121:122], v[139:140], v[123:124], v[121:122]
	buffer_load_dword v132, off, s[0:3], 0 offset:428
	buffer_load_dword v139, off, s[0:3], 0 offset:448
	;; [unrolled: 1-line block ×7, first 2 shown]
	s_waitcnt vmcnt(23) lgkmcnt(0)
	v_fma_f64 v[121:122], v[137:138], v[125:126], v[121:122]
	s_waitcnt vmcnt(18)
	v_fma_f64 v[133:134], v[133:134], v[127:128], v[121:122]
	ds_read_b128 v[121:124], v120 offset:848
	ds_read_b128 v[125:128], v120 offset:864
	buffer_load_dword v140, off, s[0:3], 0 offset:452
	s_waitcnt vmcnt(18) lgkmcnt(1)
	v_fma_f64 v[121:122], v[149:150], v[121:122], v[133:134]
	buffer_load_dword v134, off, s[0:3], 0 offset:460
	buffer_load_dword v137, off, s[0:3], 0 offset:464
	;; [unrolled: 1-line block ×4, first 2 shown]
	s_waitcnt vmcnt(21)
	v_fma_f64 v[121:122], v[147:148], v[123:124], v[121:122]
	s_waitcnt vmcnt(20) lgkmcnt(0)
	v_fma_f64 v[121:122], v[135:136], v[125:126], v[121:122]
	buffer_load_dword v135, off, s[0:3], 0 offset:8
	buffer_load_dword v136, off, s[0:3], 0 offset:12
	s_waitcnt vmcnt(17)
	v_fma_f64 v[129:130], v[129:130], v[127:128], v[121:122]
	ds_read_b128 v[121:124], v120 offset:880
	ds_read_b128 v[125:128], v120 offset:896
	s_waitcnt vmcnt(16) lgkmcnt(1)
	v_fma_f64 v[121:122], v[153:154], v[121:122], v[129:130]
	s_waitcnt vmcnt(15)
	v_fma_f64 v[121:122], v[151:152], v[123:124], v[121:122]
	s_waitcnt vmcnt(14) lgkmcnt(0)
	v_fma_f64 v[121:122], v[141:142], v[125:126], v[121:122]
	s_waitcnt vmcnt(9)
	v_fma_f64 v[129:130], v[131:132], v[127:128], v[121:122]
	ds_read_b128 v[121:124], v120 offset:912
	ds_read_b128 v[125:128], v120 offset:928
	s_waitcnt vmcnt(8) lgkmcnt(1)
	v_fma_f64 v[121:122], v[145:146], v[121:122], v[129:130]
	s_waitcnt vmcnt(7)
	v_fma_f64 v[121:122], v[143:144], v[123:124], v[121:122]
	ds_read_b64 v[123:124], v120 offset:944
	s_waitcnt vmcnt(6) lgkmcnt(1)
	v_fma_f64 v[121:122], v[139:140], v[125:126], v[121:122]
	s_waitcnt vmcnt(3)
	v_fma_f64 v[121:122], v[133:134], v[127:128], v[121:122]
	s_waitcnt vmcnt(2) lgkmcnt(0)
	v_fma_f64 v[121:122], v[137:138], v[123:124], v[121:122]
	s_waitcnt vmcnt(0)
	v_add_f64 v[121:122], v[135:136], -v[121:122]
	buffer_store_dword v122, off, s[0:3], 0 offset:12
	buffer_store_dword v121, off, s[0:3], 0 offset:8
	s_and_saveexec_b64 s[4:5], vcc
	s_cbranch_execz .LBB58_361
; %bb.360:
	buffer_load_dword v121, off, s[0:3], 0
	buffer_load_dword v122, off, s[0:3], 0 offset:4
	s_waitcnt vmcnt(0)
	ds_write_b64 v119, v[121:122]
	buffer_store_dword v120, off, s[0:3], 0
	buffer_store_dword v120, off, s[0:3], 0 offset:4
.LBB58_361:
	s_or_b64 exec, exec, s[4:5]
	s_waitcnt lgkmcnt(0)
	; wave barrier
	buffer_load_dword v129, off, s[0:3], 0 offset:8
	buffer_load_dword v130, off, s[0:3], 0 offset:12
	;; [unrolled: 1-line block ×21, first 2 shown]
	ds_read2_b64 v[121:124], v120 offset0:61 offset1:62
	ds_read2_b64 v[125:128], v120 offset0:63 offset1:64
	buffer_load_dword v146, off, s[0:3], 0 offset:92
	s_and_b64 vcc, exec, s[22:23]
	s_waitcnt vmcnt(20) lgkmcnt(1)
	v_fma_f64 v[121:122], v[129:130], v[121:122], 0
	s_waitcnt vmcnt(18)
	v_fma_f64 v[121:122], v[131:132], v[123:124], v[121:122]
	buffer_load_dword v130, off, s[0:3], 0 offset:100
	buffer_load_dword v131, off, s[0:3], 0 offset:120
	;; [unrolled: 1-line block ×7, first 2 shown]
	s_waitcnt vmcnt(23) lgkmcnt(0)
	v_fma_f64 v[121:122], v[133:134], v[125:126], v[121:122]
	s_waitcnt vmcnt(21)
	v_fma_f64 v[132:133], v[135:136], v[127:128], v[121:122]
	ds_read2_b64 v[121:124], v120 offset0:65 offset1:66
	ds_read2_b64 v[125:128], v120 offset0:67 offset1:68
	s_waitcnt vmcnt(19) lgkmcnt(1)
	v_fma_f64 v[121:122], v[137:138], v[121:122], v[132:133]
	buffer_load_dword v132, off, s[0:3], 0 offset:124
	s_waitcnt vmcnt(18)
	v_fma_f64 v[121:122], v[139:140], v[123:124], v[121:122]
	buffer_load_dword v134, off, s[0:3], 0 offset:132
	buffer_load_dword v135, off, s[0:3], 0 offset:152
	;; [unrolled: 1-line block ×8, first 2 shown]
	s_waitcnt vmcnt(24) lgkmcnt(0)
	v_fma_f64 v[121:122], v[141:142], v[125:126], v[121:122]
	s_waitcnt vmcnt(19)
	v_fma_f64 v[141:142], v[143:144], v[127:128], v[121:122]
	ds_read2_b64 v[121:124], v120 offset0:69 offset1:70
	ds_read2_b64 v[125:128], v120 offset0:71 offset1:72
	s_waitcnt vmcnt(18) lgkmcnt(1)
	v_fma_f64 v[121:122], v[149:150], v[121:122], v[141:142]
	s_waitcnt vmcnt(17)
	v_fma_f64 v[121:122], v[147:148], v[123:124], v[121:122]
	buffer_load_dword v142, off, s[0:3], 0 offset:164
	buffer_load_dword v143, off, s[0:3], 0 offset:184
	;; [unrolled: 1-line block ×7, first 2 shown]
	s_waitcnt vmcnt(23) lgkmcnt(0)
	v_fma_f64 v[121:122], v[145:146], v[125:126], v[121:122]
	s_waitcnt vmcnt(18)
	v_fma_f64 v[129:130], v[129:130], v[127:128], v[121:122]
	ds_read2_b64 v[121:124], v120 offset0:73 offset1:74
	ds_read2_b64 v[125:128], v120 offset0:75 offset1:76
	buffer_load_dword v144, off, s[0:3], 0 offset:188
	s_waitcnt vmcnt(18) lgkmcnt(1)
	v_fma_f64 v[121:122], v[153:154], v[121:122], v[129:130]
	s_waitcnt vmcnt(17)
	v_fma_f64 v[121:122], v[151:152], v[123:124], v[121:122]
	buffer_load_dword v130, off, s[0:3], 0 offset:196
	buffer_load_dword v145, off, s[0:3], 0 offset:216
	;; [unrolled: 1-line block ×8, first 2 shown]
	s_waitcnt vmcnt(24) lgkmcnt(0)
	v_fma_f64 v[121:122], v[131:132], v[125:126], v[121:122]
	s_waitcnt vmcnt(19)
	v_fma_f64 v[131:132], v[133:134], v[127:128], v[121:122]
	ds_read2_b64 v[121:124], v120 offset0:77 offset1:78
	ds_read2_b64 v[125:128], v120 offset0:79 offset1:80
	s_waitcnt vmcnt(18) lgkmcnt(1)
	v_fma_f64 v[121:122], v[139:140], v[121:122], v[131:132]
	s_waitcnt vmcnt(17)
	v_fma_f64 v[121:122], v[137:138], v[123:124], v[121:122]
	buffer_load_dword v132, off, s[0:3], 0 offset:228
	buffer_load_dword v133, off, s[0:3], 0 offset:248
	;; [unrolled: 1-line block ×7, first 2 shown]
	s_waitcnt vmcnt(23) lgkmcnt(0)
	v_fma_f64 v[121:122], v[135:136], v[125:126], v[121:122]
	s_waitcnt vmcnt(18)
	v_fma_f64 v[134:135], v[141:142], v[127:128], v[121:122]
	ds_read2_b64 v[121:124], v120 offset0:81 offset1:82
	ds_read2_b64 v[125:128], v120 offset0:83 offset1:84
	s_waitcnt vmcnt(17) lgkmcnt(1)
	v_fma_f64 v[121:122], v[149:150], v[121:122], v[134:135]
	buffer_load_dword v134, off, s[0:3], 0 offset:252
	s_waitcnt vmcnt(17)
	v_fma_f64 v[121:122], v[147:148], v[123:124], v[121:122]
	buffer_load_dword v136, off, s[0:3], 0 offset:260
	buffer_load_dword v141, off, s[0:3], 0 offset:280
	;; [unrolled: 1-line block ×7, first 2 shown]
	s_waitcnt vmcnt(23) lgkmcnt(0)
	v_fma_f64 v[121:122], v[143:144], v[125:126], v[121:122]
	s_waitcnt vmcnt(18)
	v_fma_f64 v[129:130], v[129:130], v[127:128], v[121:122]
	ds_read2_b64 v[121:124], v120 offset0:85 offset1:86
	ds_read2_b64 v[125:128], v120 offset0:87 offset1:88
	buffer_load_dword v142, off, s[0:3], 0 offset:284
	s_waitcnt vmcnt(18) lgkmcnt(1)
	v_fma_f64 v[121:122], v[153:154], v[121:122], v[129:130]
	s_waitcnt vmcnt(17)
	v_fma_f64 v[121:122], v[151:152], v[123:124], v[121:122]
	buffer_load_dword v130, off, s[0:3], 0 offset:292
	buffer_load_dword v143, off, s[0:3], 0 offset:312
	buffer_load_dword v151, off, s[0:3], 0 offset:304
	buffer_load_dword v153, off, s[0:3], 0 offset:296
	buffer_load_dword v129, off, s[0:3], 0 offset:288
	buffer_load_dword v154, off, s[0:3], 0 offset:300
	buffer_load_dword v152, off, s[0:3], 0 offset:308
	buffer_load_dword v144, off, s[0:3], 0 offset:316
	s_waitcnt vmcnt(24) lgkmcnt(0)
	v_fma_f64 v[121:122], v[145:146], v[125:126], v[121:122]
	s_waitcnt vmcnt(19)
	v_fma_f64 v[131:132], v[131:132], v[127:128], v[121:122]
	ds_read2_b64 v[121:124], v120 offset0:89 offset1:90
	ds_read2_b64 v[125:128], v120 offset0:91 offset1:92
	s_waitcnt vmcnt(18) lgkmcnt(1)
	v_fma_f64 v[121:122], v[139:140], v[121:122], v[131:132]
	s_waitcnt vmcnt(17)
	v_fma_f64 v[121:122], v[137:138], v[123:124], v[121:122]
	buffer_load_dword v132, off, s[0:3], 0 offset:324
	buffer_load_dword v137, off, s[0:3], 0 offset:344
	;; [unrolled: 1-line block ×8, first 2 shown]
	s_waitcnt vmcnt(24) lgkmcnt(0)
	v_fma_f64 v[121:122], v[133:134], v[125:126], v[121:122]
	s_waitcnt vmcnt(19)
	v_fma_f64 v[133:134], v[135:136], v[127:128], v[121:122]
	ds_read2_b64 v[121:124], v120 offset0:93 offset1:94
	ds_read2_b64 v[125:128], v120 offset0:95 offset1:96
	s_waitcnt vmcnt(18) lgkmcnt(1)
	v_fma_f64 v[121:122], v[149:150], v[121:122], v[133:134]
	s_waitcnt vmcnt(17)
	v_fma_f64 v[121:122], v[147:148], v[123:124], v[121:122]
	buffer_load_dword v134, off, s[0:3], 0 offset:356
	buffer_load_dword v135, off, s[0:3], 0 offset:376
	;; [unrolled: 1-line block ×7, first 2 shown]
	s_waitcnt vmcnt(23) lgkmcnt(0)
	v_fma_f64 v[121:122], v[141:142], v[125:126], v[121:122]
	s_waitcnt vmcnt(18)
	v_fma_f64 v[129:130], v[129:130], v[127:128], v[121:122]
	ds_read2_b64 v[121:124], v120 offset0:97 offset1:98
	ds_read2_b64 v[125:128], v120 offset0:99 offset1:100
	buffer_load_dword v136, off, s[0:3], 0 offset:380
	s_waitcnt vmcnt(18) lgkmcnt(1)
	v_fma_f64 v[121:122], v[153:154], v[121:122], v[129:130]
	s_waitcnt vmcnt(17)
	v_fma_f64 v[121:122], v[151:152], v[123:124], v[121:122]
	buffer_load_dword v130, off, s[0:3], 0 offset:388
	buffer_load_dword v141, off, s[0:3], 0 offset:408
	;; [unrolled: 1-line block ×8, first 2 shown]
	s_waitcnt vmcnt(24) lgkmcnt(0)
	v_fma_f64 v[121:122], v[143:144], v[125:126], v[121:122]
	s_waitcnt vmcnt(19)
	v_fma_f64 v[131:132], v[131:132], v[127:128], v[121:122]
	ds_read2_b64 v[121:124], v120 offset0:101 offset1:102
	ds_read2_b64 v[125:128], v120 offset0:103 offset1:104
	s_waitcnt vmcnt(18) lgkmcnt(1)
	v_fma_f64 v[121:122], v[145:146], v[121:122], v[131:132]
	s_waitcnt vmcnt(17)
	v_fma_f64 v[121:122], v[139:140], v[123:124], v[121:122]
	buffer_load_dword v132, off, s[0:3], 0 offset:420
	buffer_load_dword v139, off, s[0:3], 0 offset:440
	;; [unrolled: 1-line block ×8, first 2 shown]
	s_waitcnt vmcnt(24) lgkmcnt(0)
	v_fma_f64 v[121:122], v[137:138], v[125:126], v[121:122]
	s_waitcnt vmcnt(19)
	v_fma_f64 v[133:134], v[133:134], v[127:128], v[121:122]
	ds_read2_b64 v[121:124], v120 offset0:105 offset1:106
	ds_read2_b64 v[125:128], v120 offset0:107 offset1:108
	s_waitcnt vmcnt(18) lgkmcnt(1)
	v_fma_f64 v[121:122], v[149:150], v[121:122], v[133:134]
	s_waitcnt vmcnt(17)
	v_fma_f64 v[122:123], v[147:148], v[123:124], v[121:122]
	buffer_load_dword v134, off, s[0:3], 0 offset:452
	buffer_load_dword v137, off, s[0:3], 0 offset:464
	;; [unrolled: 1-line block ×4, first 2 shown]
	s_waitcnt vmcnt(20) lgkmcnt(0)
	v_fma_f64 v[123:124], v[135:136], v[125:126], v[122:123]
	buffer_load_dword v122, off, s[0:3], 0 offset:460
	buffer_load_dword v138, off, s[0:3], 0 offset:468
	s_waitcnt vmcnt(17)
	v_fma_f64 v[135:136], v[129:130], v[127:128], v[123:124]
	ds_read2_b64 v[123:126], v120 offset0:109 offset1:110
	buffer_load_dword v147, off, s[0:3], 0
	buffer_load_dword v148, off, s[0:3], 0 offset:4
	ds_read2_b64 v[127:130], v120 offset0:111 offset1:112
	s_waitcnt vmcnt(18) lgkmcnt(1)
	v_fma_f64 v[123:124], v[153:154], v[123:124], v[135:136]
	s_waitcnt vmcnt(17)
	v_fma_f64 v[123:124], v[151:152], v[125:126], v[123:124]
	s_waitcnt vmcnt(16) lgkmcnt(0)
	v_fma_f64 v[123:124], v[141:142], v[127:128], v[123:124]
	s_waitcnt vmcnt(11)
	v_fma_f64 v[131:132], v[131:132], v[129:130], v[123:124]
	ds_read2_b64 v[123:126], v120 offset0:113 offset1:114
	ds_read2_b64 v[127:130], v120 offset0:115 offset1:116
	s_waitcnt vmcnt(10) lgkmcnt(1)
	v_fma_f64 v[123:124], v[145:146], v[123:124], v[131:132]
	s_waitcnt vmcnt(9)
	v_fma_f64 v[123:124], v[143:144], v[125:126], v[123:124]
	s_waitcnt vmcnt(8) lgkmcnt(0)
	v_fma_f64 v[123:124], v[139:140], v[127:128], v[123:124]
	s_waitcnt vmcnt(4)
	v_fma_f64 v[127:128], v[133:134], v[129:130], v[123:124]
	ds_read2_b64 v[123:126], v120 offset0:117 offset1:118
	s_waitcnt vmcnt(3) lgkmcnt(0)
	v_fma_f64 v[119:120], v[121:122], v[123:124], v[127:128]
	s_waitcnt vmcnt(2)
	v_fma_f64 v[119:120], v[137:138], v[125:126], v[119:120]
	s_waitcnt vmcnt(0)
	v_add_f64 v[119:120], v[147:148], -v[119:120]
	buffer_store_dword v120, off, s[0:3], 0 offset:4
	buffer_store_dword v119, off, s[0:3], 0
	s_cbranch_vccz .LBB58_478
; %bb.362:
	v_mov_b32_e32 v0, 0
	global_load_dword v119, v0, s[20:21] offset:228
	s_waitcnt vmcnt(0)
	v_add_u32_e32 v119, -1, v119
	v_cmp_ne_u32_e32 vcc, 57, v119
	s_cbranch_vccz .LBB58_364
; %bb.363:
	v_lshlrev_b32_e32 v119, 3, v119
	buffer_load_dword v120, v119, s[0:3], 0 offen
	buffer_load_dword v123, v119, s[0:3], 0 offen offset:4
	s_waitcnt vmcnt(1)
	buffer_store_dword v120, off, s[0:3], 0 offset:456
	s_waitcnt vmcnt(1)
	buffer_store_dword v123, off, s[0:3], 0 offset:460
	buffer_store_dword v121, v119, s[0:3], 0 offen
	buffer_store_dword v122, v119, s[0:3], 0 offen offset:4
.LBB58_364:
	global_load_dword v0, v0, s[20:21] offset:224
	s_waitcnt vmcnt(0)
	v_add_u32_e32 v0, -1, v0
	v_cmp_eq_u32_e32 vcc, 56, v0
	s_cbranch_vccnz .LBB58_366
; %bb.365:
	v_lshlrev_b32_e32 v0, 3, v0
	buffer_load_dword v119, v0, s[0:3], 0 offen
	buffer_load_dword v120, v0, s[0:3], 0 offen offset:4
	buffer_load_dword v121, off, s[0:3], 0 offset:452
	buffer_load_dword v122, off, s[0:3], 0 offset:448
	s_waitcnt vmcnt(3)
	buffer_store_dword v119, off, s[0:3], 0 offset:448
	s_waitcnt vmcnt(3)
	buffer_store_dword v120, off, s[0:3], 0 offset:452
	s_waitcnt vmcnt(3)
	buffer_store_dword v121, v0, s[0:3], 0 offen offset:4
	s_waitcnt vmcnt(3)
	buffer_store_dword v122, v0, s[0:3], 0 offen
.LBB58_366:
	v_mov_b32_e32 v0, 0
	global_load_dword v119, v0, s[20:21] offset:220
	s_waitcnt vmcnt(0)
	v_add_u32_e32 v119, -1, v119
	v_cmp_eq_u32_e32 vcc, 55, v119
	s_cbranch_vccnz .LBB58_368
; %bb.367:
	v_lshlrev_b32_e32 v119, 3, v119
	buffer_load_dword v120, v119, s[0:3], 0 offen
	buffer_load_dword v121, v119, s[0:3], 0 offen offset:4
	buffer_load_dword v122, off, s[0:3], 0 offset:440
	buffer_load_dword v123, off, s[0:3], 0 offset:444
	s_waitcnt vmcnt(3)
	buffer_store_dword v120, off, s[0:3], 0 offset:440
	s_waitcnt vmcnt(3)
	buffer_store_dword v121, off, s[0:3], 0 offset:444
	s_waitcnt vmcnt(3)
	buffer_store_dword v122, v119, s[0:3], 0 offen
	s_waitcnt vmcnt(3)
	buffer_store_dword v123, v119, s[0:3], 0 offen offset:4
.LBB58_368:
	global_load_dword v0, v0, s[20:21] offset:216
	s_waitcnt vmcnt(0)
	v_add_u32_e32 v0, -1, v0
	v_cmp_eq_u32_e32 vcc, 54, v0
	s_cbranch_vccnz .LBB58_370
; %bb.369:
	v_lshlrev_b32_e32 v0, 3, v0
	buffer_load_dword v119, v0, s[0:3], 0 offen
	buffer_load_dword v120, v0, s[0:3], 0 offen offset:4
	buffer_load_dword v121, off, s[0:3], 0 offset:436
	buffer_load_dword v122, off, s[0:3], 0 offset:432
	s_waitcnt vmcnt(3)
	buffer_store_dword v119, off, s[0:3], 0 offset:432
	s_waitcnt vmcnt(3)
	buffer_store_dword v120, off, s[0:3], 0 offset:436
	s_waitcnt vmcnt(3)
	buffer_store_dword v121, v0, s[0:3], 0 offen offset:4
	s_waitcnt vmcnt(3)
	buffer_store_dword v122, v0, s[0:3], 0 offen
.LBB58_370:
	v_mov_b32_e32 v0, 0
	global_load_dword v119, v0, s[20:21] offset:212
	s_waitcnt vmcnt(0)
	v_add_u32_e32 v119, -1, v119
	v_cmp_eq_u32_e32 vcc, 53, v119
	s_cbranch_vccnz .LBB58_372
; %bb.371:
	v_lshlrev_b32_e32 v119, 3, v119
	buffer_load_dword v120, v119, s[0:3], 0 offen
	buffer_load_dword v121, v119, s[0:3], 0 offen offset:4
	buffer_load_dword v122, off, s[0:3], 0 offset:424
	buffer_load_dword v123, off, s[0:3], 0 offset:428
	s_waitcnt vmcnt(3)
	buffer_store_dword v120, off, s[0:3], 0 offset:424
	s_waitcnt vmcnt(3)
	buffer_store_dword v121, off, s[0:3], 0 offset:428
	s_waitcnt vmcnt(3)
	buffer_store_dword v122, v119, s[0:3], 0 offen
	s_waitcnt vmcnt(3)
	buffer_store_dword v123, v119, s[0:3], 0 offen offset:4
.LBB58_372:
	;; [unrolled: 41-line block ×28, first 2 shown]
	global_load_dword v0, v0, s[20:21]
	s_nop 0
	buffer_load_dword v119, off, s[0:3], 0
	buffer_load_dword v120, off, s[0:3], 0 offset:4
	s_waitcnt vmcnt(2)
	v_add_u32_e32 v0, -1, v0
	v_cmp_eq_u32_e32 vcc, 0, v0
	s_cbranch_vccnz .LBB58_478
; %bb.477:
	v_lshlrev_b32_e32 v0, 3, v0
	buffer_load_dword v121, v0, s[0:3], 0 offen offset:4
	buffer_load_dword v122, v0, s[0:3], 0 offen
	s_waitcnt vmcnt(1)
	buffer_store_dword v121, off, s[0:3], 0 offset:4
	s_waitcnt vmcnt(1)
	buffer_store_dword v122, off, s[0:3], 0
	buffer_store_dword v120, v0, s[0:3], 0 offen offset:4
	buffer_store_dword v119, v0, s[0:3], 0 offen
	buffer_load_dword v119, off, s[0:3], 0
	s_nop 0
	buffer_load_dword v120, off, s[0:3], 0 offset:4
.LBB58_478:
	buffer_load_dword v121, off, s[0:3], 0 offset:8
	buffer_load_dword v122, off, s[0:3], 0 offset:12
	;; [unrolled: 1-line block ×116, first 2 shown]
	s_waitcnt vmcnt(62)
	global_store_dwordx2 v[107:108], v[119:120], off
	global_store_dwordx2 v[111:112], v[121:122], off
	;; [unrolled: 1-line block ×28, first 2 shown]
	s_waitcnt vmcnt(62)
	global_store_dwordx2 v[53:54], v[175:176], off
	global_store_dwordx2 v[55:56], v[177:178], off
	global_store_dwordx2 v[57:58], v[179:180], off
	global_store_dwordx2 v[59:60], v[181:182], off
	global_store_dwordx2 v[61:62], v[183:184], off
	global_store_dwordx2 v[63:64], v[185:186], off
	global_store_dwordx2 v[65:66], v[187:188], off
	global_store_dwordx2 v[67:68], v[189:190], off
	global_store_dwordx2 v[69:70], v[191:192], off
	global_store_dwordx2 v[71:72], v[193:194], off
	global_store_dwordx2 v[73:74], v[195:196], off
	global_store_dwordx2 v[75:76], v[197:198], off
	global_store_dwordx2 v[77:78], v[199:200], off
	global_store_dwordx2 v[79:80], v[201:202], off
	s_waitcnt vmcnt(62)
	global_store_dwordx2 v[81:82], v[203:204], off
	global_store_dwordx2 v[83:84], v[205:206], off
	;; [unrolled: 1-line block ×7, first 2 shown]
	s_waitcnt vmcnt(62)
	global_store_dwordx2 v[95:96], v[217:218], off
	global_store_dwordx2 v[97:98], v[219:220], off
	;; [unrolled: 1-line block ×3, first 2 shown]
	s_waitcnt vmcnt(62)
	global_store_dwordx2 v[101:102], v[223:224], off
	global_store_dwordx2 v[103:104], v[225:226], off
	s_waitcnt vmcnt(62)
	global_store_dwordx2 v[105:106], v[227:228], off
	s_waitcnt vmcnt(61)
	;; [unrolled: 2-line block ×5, first 2 shown]
	global_store_dwordx2 v[117:118], v[235:236], off
	s_endpgm
	.section	.rodata,"a",@progbits
	.p2align	6, 0x0
	.amdhsa_kernel _ZN9rocsolver6v33100L18getri_kernel_smallILi59EdPdEEvT1_iilPiilS4_bb
		.amdhsa_group_segment_fixed_size 952
		.amdhsa_private_segment_fixed_size 480
		.amdhsa_kernarg_size 60
		.amdhsa_user_sgpr_count 6
		.amdhsa_user_sgpr_private_segment_buffer 1
		.amdhsa_user_sgpr_dispatch_ptr 0
		.amdhsa_user_sgpr_queue_ptr 0
		.amdhsa_user_sgpr_kernarg_segment_ptr 1
		.amdhsa_user_sgpr_dispatch_id 0
		.amdhsa_user_sgpr_flat_scratch_init 0
		.amdhsa_user_sgpr_private_segment_size 0
		.amdhsa_uses_dynamic_stack 0
		.amdhsa_system_sgpr_private_segment_wavefront_offset 1
		.amdhsa_system_sgpr_workgroup_id_x 1
		.amdhsa_system_sgpr_workgroup_id_y 0
		.amdhsa_system_sgpr_workgroup_id_z 0
		.amdhsa_system_sgpr_workgroup_info 0
		.amdhsa_system_vgpr_workitem_id 0
		.amdhsa_next_free_vgpr 237
		.amdhsa_next_free_sgpr 24
		.amdhsa_reserve_vcc 1
		.amdhsa_reserve_flat_scratch 0
		.amdhsa_float_round_mode_32 0
		.amdhsa_float_round_mode_16_64 0
		.amdhsa_float_denorm_mode_32 3
		.amdhsa_float_denorm_mode_16_64 3
		.amdhsa_dx10_clamp 1
		.amdhsa_ieee_mode 1
		.amdhsa_fp16_overflow 0
		.amdhsa_exception_fp_ieee_invalid_op 0
		.amdhsa_exception_fp_denorm_src 0
		.amdhsa_exception_fp_ieee_div_zero 0
		.amdhsa_exception_fp_ieee_overflow 0
		.amdhsa_exception_fp_ieee_underflow 0
		.amdhsa_exception_fp_ieee_inexact 0
		.amdhsa_exception_int_div_zero 0
	.end_amdhsa_kernel
	.section	.text._ZN9rocsolver6v33100L18getri_kernel_smallILi59EdPdEEvT1_iilPiilS4_bb,"axG",@progbits,_ZN9rocsolver6v33100L18getri_kernel_smallILi59EdPdEEvT1_iilPiilS4_bb,comdat
.Lfunc_end58:
	.size	_ZN9rocsolver6v33100L18getri_kernel_smallILi59EdPdEEvT1_iilPiilS4_bb, .Lfunc_end58-_ZN9rocsolver6v33100L18getri_kernel_smallILi59EdPdEEvT1_iilPiilS4_bb
                                        ; -- End function
	.set _ZN9rocsolver6v33100L18getri_kernel_smallILi59EdPdEEvT1_iilPiilS4_bb.num_vgpr, 237
	.set _ZN9rocsolver6v33100L18getri_kernel_smallILi59EdPdEEvT1_iilPiilS4_bb.num_agpr, 0
	.set _ZN9rocsolver6v33100L18getri_kernel_smallILi59EdPdEEvT1_iilPiilS4_bb.numbered_sgpr, 24
	.set _ZN9rocsolver6v33100L18getri_kernel_smallILi59EdPdEEvT1_iilPiilS4_bb.num_named_barrier, 0
	.set _ZN9rocsolver6v33100L18getri_kernel_smallILi59EdPdEEvT1_iilPiilS4_bb.private_seg_size, 480
	.set _ZN9rocsolver6v33100L18getri_kernel_smallILi59EdPdEEvT1_iilPiilS4_bb.uses_vcc, 1
	.set _ZN9rocsolver6v33100L18getri_kernel_smallILi59EdPdEEvT1_iilPiilS4_bb.uses_flat_scratch, 0
	.set _ZN9rocsolver6v33100L18getri_kernel_smallILi59EdPdEEvT1_iilPiilS4_bb.has_dyn_sized_stack, 0
	.set _ZN9rocsolver6v33100L18getri_kernel_smallILi59EdPdEEvT1_iilPiilS4_bb.has_recursion, 0
	.set _ZN9rocsolver6v33100L18getri_kernel_smallILi59EdPdEEvT1_iilPiilS4_bb.has_indirect_call, 0
	.section	.AMDGPU.csdata,"",@progbits
; Kernel info:
; codeLenInByte = 83620
; TotalNumSgprs: 28
; NumVgprs: 237
; ScratchSize: 480
; MemoryBound: 1
; FloatMode: 240
; IeeeMode: 1
; LDSByteSize: 952 bytes/workgroup (compile time only)
; SGPRBlocks: 3
; VGPRBlocks: 59
; NumSGPRsForWavesPerEU: 28
; NumVGPRsForWavesPerEU: 237
; Occupancy: 1
; WaveLimiterHint : 1
; COMPUTE_PGM_RSRC2:SCRATCH_EN: 1
; COMPUTE_PGM_RSRC2:USER_SGPR: 6
; COMPUTE_PGM_RSRC2:TRAP_HANDLER: 0
; COMPUTE_PGM_RSRC2:TGID_X_EN: 1
; COMPUTE_PGM_RSRC2:TGID_Y_EN: 0
; COMPUTE_PGM_RSRC2:TGID_Z_EN: 0
; COMPUTE_PGM_RSRC2:TIDIG_COMP_CNT: 0
	.section	.text._ZN9rocsolver6v33100L18getri_kernel_smallILi60EdPdEEvT1_iilPiilS4_bb,"axG",@progbits,_ZN9rocsolver6v33100L18getri_kernel_smallILi60EdPdEEvT1_iilPiilS4_bb,comdat
	.globl	_ZN9rocsolver6v33100L18getri_kernel_smallILi60EdPdEEvT1_iilPiilS4_bb ; -- Begin function _ZN9rocsolver6v33100L18getri_kernel_smallILi60EdPdEEvT1_iilPiilS4_bb
	.p2align	8
	.type	_ZN9rocsolver6v33100L18getri_kernel_smallILi60EdPdEEvT1_iilPiilS4_bb,@function
_ZN9rocsolver6v33100L18getri_kernel_smallILi60EdPdEEvT1_iilPiilS4_bb: ; @_ZN9rocsolver6v33100L18getri_kernel_smallILi60EdPdEEvT1_iilPiilS4_bb
; %bb.0:
	s_add_u32 s0, s0, s7
	s_addc_u32 s1, s1, 0
	v_cmp_gt_u32_e32 vcc, 60, v0
	s_and_saveexec_b64 s[8:9], vcc
	s_cbranch_execz .LBB59_248
; %bb.1:
	s_load_dword s12, s[4:5], 0x38
	s_load_dwordx4 s[16:19], s[4:5], 0x10
	s_load_dwordx4 s[8:11], s[4:5], 0x28
                                        ; implicit-def: $sgpr20_sgpr21
	s_waitcnt lgkmcnt(0)
	s_bitcmp1_b32 s12, 8
	s_cselect_b64 s[22:23], -1, 0
	s_ashr_i32 s7, s6, 31
	s_bfe_u32 s12, s12, 0x10008
	s_cmp_eq_u32 s12, 0
	s_cbranch_scc1 .LBB59_3
; %bb.2:
	s_load_dword s12, s[4:5], 0x20
	s_mul_i32 s13, s8, s7
	s_mul_hi_u32 s14, s8, s6
	s_mul_i32 s9, s9, s6
	s_add_i32 s14, s14, s13
	s_add_i32 s9, s14, s9
	s_mul_i32 s8, s8, s6
	s_waitcnt lgkmcnt(0)
	s_ashr_i32 s13, s12, 31
	s_lshl_b64 s[8:9], s[8:9], 2
	s_add_u32 s14, s18, s8
	s_addc_u32 s15, s19, s9
	s_lshl_b64 s[8:9], s[12:13], 2
	s_add_u32 s20, s14, s8
	s_addc_u32 s21, s15, s9
.LBB59_3:
	s_load_dwordx4 s[12:15], s[4:5], 0x0
	s_load_dword s8, s[4:5], 0x38
	s_mul_i32 s9, s16, s7
	s_mul_hi_u32 s18, s16, s6
	s_add_i32 s9, s18, s9
	s_waitcnt lgkmcnt(0)
	s_ashr_i32 s5, s14, 31
	s_mov_b32 s4, s14
	s_mul_i32 s14, s17, s6
	s_add_i32 s17, s9, s14
	s_mul_i32 s16, s16, s6
	s_lshl_b64 s[16:17], s[16:17], 3
	s_add_u32 s9, s12, s16
	s_addc_u32 s12, s13, s17
	s_lshl_b64 s[4:5], s[4:5], 3
	s_add_u32 s4, s9, s4
	s_addc_u32 s5, s12, s5
	v_lshlrev_b32_e32 v173, 3, v0
	s_add_i32 s9, s15, s15
	v_mov_b32_e32 v2, s5
	v_add_co_u32_e32 v1, vcc, s4, v173
	s_ashr_i32 s13, s15, 31
	s_mov_b32 s12, s15
	v_add_u32_e32 v7, s9, v0
	v_addc_co_u32_e32 v2, vcc, 0, v2, vcc
	s_lshl_b64 s[12:13], s[12:13], 3
	v_ashrrev_i32_e32 v8, 31, v7
	v_mov_b32_e32 v4, s13
	v_add_co_u32_e32 v3, vcc, s12, v1
	v_lshlrev_b64 v[5:6], 3, v[7:8]
	v_addc_co_u32_e32 v4, vcc, v2, v4, vcc
	v_add_u32_e32 v9, s15, v7
	v_mov_b32_e32 v8, s5
	v_add_co_u32_e32 v5, vcc, s4, v5
	v_ashrrev_i32_e32 v10, 31, v9
	v_addc_co_u32_e32 v6, vcc, v8, v6, vcc
	v_lshlrev_b64 v[7:8], 3, v[9:10]
	v_add_u32_e32 v11, s15, v9
	v_mov_b32_e32 v10, s5
	v_add_co_u32_e32 v7, vcc, s4, v7
	v_ashrrev_i32_e32 v12, 31, v11
	v_addc_co_u32_e32 v8, vcc, v10, v8, vcc
	v_lshlrev_b64 v[9:10], 3, v[11:12]
	;; [unrolled: 6-line block ×14, first 2 shown]
	v_mov_b32_e32 v36, s5
	v_add_co_u32_e32 v33, vcc, s4, v33
	global_load_dwordx2 v[41:42], v173, s[4:5]
	global_load_dwordx2 v[43:44], v[3:4], off
	global_load_dwordx2 v[45:46], v[5:6], off
	;; [unrolled: 1-line block ×12, first 2 shown]
	v_addc_co_u32_e32 v34, vcc, v36, v34, vcc
	global_load_dwordx2 v[67:68], v[27:28], off
	global_load_dwordx2 v[69:70], v[29:30], off
	;; [unrolled: 1-line block ×4, first 2 shown]
	v_add_u32_e32 v37, s15, v35
	v_ashrrev_i32_e32 v38, 31, v37
	v_lshlrev_b64 v[35:36], 3, v[37:38]
	v_add_u32_e32 v39, s15, v37
	v_mov_b32_e32 v38, s5
	v_add_co_u32_e32 v35, vcc, s4, v35
	v_ashrrev_i32_e32 v40, 31, v39
	v_addc_co_u32_e32 v36, vcc, v38, v36, vcc
	v_lshlrev_b64 v[37:38], 3, v[39:40]
	v_add_u32_e32 v79, s15, v39
	v_mov_b32_e32 v40, s5
	v_add_co_u32_e32 v37, vcc, s4, v37
	v_ashrrev_i32_e32 v80, 31, v79
	v_addc_co_u32_e32 v38, vcc, v40, v38, vcc
	global_load_dwordx2 v[75:76], v[35:36], off
	global_load_dwordx2 v[77:78], v[37:38], off
	v_lshlrev_b64 v[39:40], 3, v[79:80]
	v_mov_b32_e32 v80, s5
	v_add_co_u32_e32 v39, vcc, s4, v39
	v_addc_co_u32_e32 v40, vcc, v80, v40, vcc
	global_load_dwordx2 v[121:122], v[39:40], off
	s_waitcnt vmcnt(19)
	buffer_store_dword v42, off, s[0:3], 0 offset:4
	buffer_store_dword v41, off, s[0:3], 0
	s_waitcnt vmcnt(20)
	buffer_store_dword v44, off, s[0:3], 0 offset:12
	buffer_store_dword v43, off, s[0:3], 0 offset:8
	s_waitcnt vmcnt(21)
	buffer_store_dword v46, off, s[0:3], 0 offset:20
	buffer_store_dword v45, off, s[0:3], 0 offset:16
	;; [unrolled: 3-line block ×16, first 2 shown]
	v_add_u32_e32 v43, s15, v79
	v_ashrrev_i32_e32 v44, 31, v43
	v_lshlrev_b64 v[41:42], 3, v[43:44]
	v_add_u32_e32 v45, s15, v43
	v_mov_b32_e32 v44, s5
	v_add_co_u32_e32 v41, vcc, s4, v41
	v_ashrrev_i32_e32 v46, 31, v45
	v_addc_co_u32_e32 v42, vcc, v44, v42, vcc
	v_lshlrev_b64 v[43:44], 3, v[45:46]
	v_add_u32_e32 v47, s15, v45
	v_mov_b32_e32 v46, s5
	v_add_co_u32_e32 v43, vcc, s4, v43
	v_ashrrev_i32_e32 v48, 31, v47
	v_addc_co_u32_e32 v44, vcc, v46, v44, vcc
	;; [unrolled: 6-line block ×15, first 2 shown]
	v_lshlrev_b64 v[71:72], 3, v[73:74]
	global_load_dwordx2 v[123:124], v[41:42], off
	s_waitcnt vmcnt(37)
	buffer_store_dword v75, off, s[0:3], 0 offset:136
	buffer_store_dword v76, off, s[0:3], 0 offset:140
	s_waitcnt vmcnt(38)
	buffer_store_dword v77, off, s[0:3], 0 offset:144
	buffer_store_dword v78, off, s[0:3], 0 offset:148
	s_waitcnt vmcnt(39)
	buffer_store_dword v122, off, s[0:3], 0 offset:156
	v_add_u32_e32 v75, s15, v73
	v_mov_b32_e32 v74, s5
	v_add_co_u32_e32 v71, vcc, s4, v71
	v_ashrrev_i32_e32 v76, 31, v75
	v_addc_co_u32_e32 v72, vcc, v74, v72, vcc
	v_lshlrev_b64 v[73:74], 3, v[75:76]
	v_add_u32_e32 v77, s15, v75
	v_mov_b32_e32 v76, s5
	v_add_co_u32_e32 v73, vcc, s4, v73
	v_ashrrev_i32_e32 v78, 31, v77
	v_addc_co_u32_e32 v74, vcc, v76, v74, vcc
	v_lshlrev_b64 v[75:76], 3, v[77:78]
	;; [unrolled: 6-line block ×23, first 2 shown]
	v_mov_b32_e32 v120, s5
	v_add_co_u32_e32 v117, vcc, s4, v117
	global_load_dwordx2 v[131:132], v[43:44], off
	global_load_dwordx2 v[129:130], v[45:46], off
	global_load_dwordx2 v[127:128], v[47:48], off
	global_load_dwordx2 v[125:126], v[49:50], off
	global_load_dwordx2 v[139:140], v[51:52], off
	global_load_dwordx2 v[137:138], v[53:54], off
	global_load_dwordx2 v[135:136], v[55:56], off
	global_load_dwordx2 v[133:134], v[57:58], off
	global_load_dwordx2 v[147:148], v[59:60], off
	global_load_dwordx2 v[145:146], v[61:62], off
	global_load_dwordx2 v[143:144], v[63:64], off
	global_load_dwordx2 v[141:142], v[65:66], off
	global_load_dwordx2 v[155:156], v[67:68], off
	global_load_dwordx2 v[153:154], v[69:70], off
	global_load_dwordx2 v[151:152], v[71:72], off
	global_load_dwordx2 v[149:150], v[73:74], off
	global_load_dwordx2 v[163:164], v[75:76], off
	global_load_dwordx2 v[161:162], v[77:78], off
	global_load_dwordx2 v[159:160], v[79:80], off
	global_load_dwordx2 v[157:158], v[81:82], off
	global_load_dwordx2 v[171:172], v[83:84], off
	global_load_dwordx2 v[169:170], v[85:86], off
	global_load_dwordx2 v[167:168], v[87:88], off
	global_load_dwordx2 v[165:166], v[89:90], off
	global_load_dwordx2 v[174:175], v[91:92], off
	global_load_dwordx2 v[176:177], v[93:94], off
	global_load_dwordx2 v[178:179], v[95:96], off
	global_load_dwordx2 v[180:181], v[97:98], off
	global_load_dwordx2 v[182:183], v[99:100], off
	global_load_dwordx2 v[184:185], v[101:102], off
	global_load_dwordx2 v[186:187], v[103:104], off
	global_load_dwordx2 v[188:189], v[105:106], off
	global_load_dwordx2 v[190:191], v[107:108], off
	global_load_dwordx2 v[192:193], v[109:110], off
	global_load_dwordx2 v[194:195], v[111:112], off
	global_load_dwordx2 v[196:197], v[113:114], off
	v_addc_co_u32_e32 v118, vcc, v120, v118, vcc
	global_load_dwordx2 v[198:199], v[115:116], off
	global_load_dwordx2 v[200:201], v[117:118], off
	v_add_u32_e32 v119, s15, v119
	v_ashrrev_i32_e32 v120, 31, v119
	v_lshlrev_b64 v[119:120], 3, v[119:120]
	v_mov_b32_e32 v122, s5
	v_add_co_u32_e32 v119, vcc, s4, v119
	v_addc_co_u32_e32 v120, vcc, v122, v120, vcc
	global_load_dwordx2 v[202:203], v[119:120], off
	s_bitcmp0_b32 s8, 0
	s_mov_b64 s[8:9], -1
	buffer_store_dword v121, off, s[0:3], 0 offset:152
	s_waitcnt vmcnt(45)
	buffer_store_dword v124, off, s[0:3], 0 offset:164
	buffer_store_dword v123, off, s[0:3], 0 offset:160
	s_waitcnt vmcnt(41)
	buffer_store_dword v131, off, s[0:3], 0 offset:168
	;; [unrolled: 3-line block ×24, first 2 shown]
	buffer_store_dword v167, off, s[0:3], 0 offset:344
	buffer_store_dword v166, off, s[0:3], 0 offset:356
	;; [unrolled: 1-line block ×3, first 2 shown]
	s_waitcnt vmcnt(62)
	buffer_store_dword v174, off, s[0:3], 0 offset:360
	buffer_store_dword v175, off, s[0:3], 0 offset:364
	;; [unrolled: 1-line block ×8, first 2 shown]
	s_waitcnt vmcnt(62)
	buffer_store_dword v183, off, s[0:3], 0 offset:396
	buffer_store_dword v182, off, s[0:3], 0 offset:392
	buffer_store_dword v185, off, s[0:3], 0 offset:404
	buffer_store_dword v184, off, s[0:3], 0 offset:400
	buffer_store_dword v186, off, s[0:3], 0 offset:408
	buffer_store_dword v187, off, s[0:3], 0 offset:412
	buffer_store_dword v188, off, s[0:3], 0 offset:416
	buffer_store_dword v189, off, s[0:3], 0 offset:420
	buffer_store_dword v190, off, s[0:3], 0 offset:424
	buffer_store_dword v191, off, s[0:3], 0 offset:428
	buffer_store_dword v192, off, s[0:3], 0 offset:432
	buffer_store_dword v193, off, s[0:3], 0 offset:436
	buffer_store_dword v195, off, s[0:3], 0 offset:444
	buffer_store_dword v194, off, s[0:3], 0 offset:440
	buffer_store_dword v197, off, s[0:3], 0 offset:452
	buffer_store_dword v196, off, s[0:3], 0 offset:448
	s_waitcnt vmcnt(62)
	buffer_store_dword v198, off, s[0:3], 0 offset:456
	buffer_store_dword v199, off, s[0:3], 0 offset:460
	;; [unrolled: 1-line block ×6, first 2 shown]
	s_cbranch_scc1 .LBB59_246
; %bb.4:
	v_cmp_eq_u32_e64 s[4:5], 0, v0
	s_and_saveexec_b64 s[8:9], s[4:5]
; %bb.5:
	v_mov_b32_e32 v121, 0
	ds_write_b32 v121, v121 offset:960
; %bb.6:
	s_or_b64 exec, exec, s[8:9]
	v_mov_b32_e32 v121, 0
	v_lshl_add_u32 v121, v0, 3, v121
	s_waitcnt lgkmcnt(0)
	; wave barrier
	buffer_load_dword v122, v121, s[0:3], 0 offen
	buffer_load_dword v123, v121, s[0:3], 0 offen offset:4
	s_waitcnt vmcnt(0)
	v_cmp_eq_f64_e32 vcc, 0, v[122:123]
	s_and_saveexec_b64 s[12:13], vcc
	s_cbranch_execz .LBB59_10
; %bb.7:
	v_mov_b32_e32 v122, 0
	ds_read_b32 v124, v122 offset:960
	v_add_u32_e32 v123, 1, v0
	s_waitcnt lgkmcnt(0)
	v_readfirstlane_b32 s8, v124
	s_cmp_eq_u32 s8, 0
	s_cselect_b64 s[14:15], -1, 0
	v_cmp_gt_i32_e32 vcc, s8, v123
	s_or_b64 s[14:15], s[14:15], vcc
	s_and_b64 exec, exec, s[14:15]
	s_cbranch_execz .LBB59_10
; %bb.8:
	s_mov_b64 s[14:15], 0
	v_mov_b32_e32 v124, s8
.LBB59_9:                               ; =>This Inner Loop Header: Depth=1
	ds_cmpst_rtn_b32 v124, v122, v124, v123 offset:960
	s_waitcnt lgkmcnt(0)
	v_cmp_ne_u32_e32 vcc, 0, v124
	v_cmp_le_i32_e64 s[8:9], v124, v123
	s_and_b64 s[8:9], vcc, s[8:9]
	s_and_b64 s[8:9], exec, s[8:9]
	s_or_b64 s[14:15], s[8:9], s[14:15]
	s_andn2_b64 exec, exec, s[14:15]
	s_cbranch_execnz .LBB59_9
.LBB59_10:
	s_or_b64 exec, exec, s[12:13]
	v_mov_b32_e32 v123, 0
	; wave barrier
	ds_read_b32 v122, v123 offset:960
	s_and_saveexec_b64 s[8:9], s[4:5]
	s_cbranch_execz .LBB59_12
; %bb.11:
	s_lshl_b64 s[12:13], s[6:7], 2
	s_add_u32 s12, s10, s12
	s_addc_u32 s13, s11, s13
	s_waitcnt lgkmcnt(0)
	global_store_dword v123, v122, s[12:13]
.LBB59_12:
	s_or_b64 exec, exec, s[8:9]
	s_waitcnt lgkmcnt(0)
	v_cmp_ne_u32_e32 vcc, 0, v122
	s_mov_b64 s[8:9], 0
	s_cbranch_vccnz .LBB59_246
; %bb.13:
	buffer_load_dword v122, v121, s[0:3], 0 offen
	buffer_load_dword v123, v121, s[0:3], 0 offen offset:4
	s_waitcnt vmcnt(0)
	v_div_scale_f64 v[124:125], s[8:9], v[122:123], v[122:123], 1.0
	v_rcp_f64_e32 v[126:127], v[124:125]
	v_fma_f64 v[128:129], -v[124:125], v[126:127], 1.0
	v_fma_f64 v[126:127], v[126:127], v[128:129], v[126:127]
	v_div_scale_f64 v[128:129], vcc, 1.0, v[122:123], 1.0
	v_fma_f64 v[130:131], -v[124:125], v[126:127], 1.0
	v_fma_f64 v[126:127], v[126:127], v[130:131], v[126:127]
	v_mul_f64 v[130:131], v[128:129], v[126:127]
	v_fma_f64 v[124:125], -v[124:125], v[130:131], v[128:129]
	v_div_fmas_f64 v[124:125], v[124:125], v[126:127], v[130:131]
	v_div_fixup_f64 v[124:125], v[124:125], v[122:123], 1.0
	v_add_u32_e32 v123, 0x1e0, v173
	buffer_store_dword v125, v121, s[0:3], 0 offen offset:4
	buffer_store_dword v124, v121, s[0:3], 0 offen
	buffer_load_dword v127, off, s[0:3], 0 offset:12
	buffer_load_dword v126, off, s[0:3], 0 offset:8
	v_xor_b32_e32 v125, 0x80000000, v125
	s_waitcnt vmcnt(0)
	ds_write2_b64 v173, v[124:125], v[126:127] offset1:60
	s_waitcnt lgkmcnt(0)
	; wave barrier
	s_and_saveexec_b64 s[8:9], s[4:5]
	s_cbranch_execz .LBB59_15
; %bb.14:
	buffer_load_dword v124, v121, s[0:3], 0 offen
	buffer_load_dword v125, v121, s[0:3], 0 offen offset:4
	ds_read_b64 v[126:127], v123
	v_mov_b32_e32 v122, 0
	ds_read_b64 v[128:129], v122 offset:8
	s_waitcnt vmcnt(0) lgkmcnt(1)
	v_fma_f64 v[124:125], v[124:125], v[126:127], 0
	s_waitcnt lgkmcnt(0)
	v_mul_f64 v[124:125], v[124:125], v[128:129]
	buffer_store_dword v124, off, s[0:3], 0 offset:8
	buffer_store_dword v125, off, s[0:3], 0 offset:12
.LBB59_15:
	s_or_b64 exec, exec, s[8:9]
	; wave barrier
	buffer_load_dword v124, off, s[0:3], 0 offset:16
	buffer_load_dword v125, off, s[0:3], 0 offset:20
	v_cmp_gt_u32_e32 vcc, 2, v0
	s_waitcnt vmcnt(0)
	ds_write_b64 v123, v[124:125]
	s_waitcnt lgkmcnt(0)
	; wave barrier
	s_and_saveexec_b64 s[8:9], vcc
	s_cbranch_execz .LBB59_17
; %bb.16:
	buffer_load_dword v124, v121, s[0:3], 0 offen
	buffer_load_dword v125, v121, s[0:3], 0 offen offset:4
                                        ; kill: killed $vgpr121
	s_nop 0
	buffer_load_dword v121, off, s[0:3], 0 offset:8
	buffer_load_dword v122, off, s[0:3], 0 offset:12
	ds_read_b64 v[126:127], v123
	s_waitcnt vmcnt(2) lgkmcnt(0)
	v_fma_f64 v[128:129], v[124:125], v[126:127], 0
	v_mov_b32_e32 v124, 0
	ds_read2_b64 v[124:127], v124 offset0:2 offset1:61
	s_waitcnt vmcnt(0) lgkmcnt(0)
	v_fma_f64 v[121:122], v[121:122], v[126:127], v[128:129]
	v_cndmask_b32_e64 v122, v129, v122, s[4:5]
	v_cndmask_b32_e64 v121, v128, v121, s[4:5]
	v_mul_f64 v[121:122], v[121:122], v[124:125]
	buffer_store_dword v122, off, s[0:3], 0 offset:20
	buffer_store_dword v121, off, s[0:3], 0 offset:16
.LBB59_17:
	s_or_b64 exec, exec, s[8:9]
	; wave barrier
	buffer_load_dword v121, off, s[0:3], 0 offset:24
	buffer_load_dword v122, off, s[0:3], 0 offset:28
	v_cmp_gt_u32_e32 vcc, 3, v0
	v_add_u32_e32 v124, -1, v0
	s_waitcnt vmcnt(0)
	ds_write_b64 v123, v[121:122]
	s_waitcnt lgkmcnt(0)
	; wave barrier
	s_and_saveexec_b64 s[4:5], vcc
	s_cbranch_execz .LBB59_21
; %bb.18:
	v_mov_b32_e32 v121, 0
	v_add_u32_e32 v125, -1, v0
	v_add_u32_e32 v126, 0x1e0, v173
	v_mov_b32_e32 v127, v173
	v_mov_b32_e32 v122, 0
	s_mov_b64 s[8:9], 0
.LBB59_19:                              ; =>This Inner Loop Header: Depth=1
	buffer_load_dword v128, v127, s[0:3], 0 offen
	buffer_load_dword v129, v127, s[0:3], 0 offen offset:4
	ds_read_b64 v[130:131], v126
	v_add_u32_e32 v125, 1, v125
	v_cmp_lt_u32_e32 vcc, 1, v125
	v_add_u32_e32 v126, 8, v126
	s_or_b64 s[8:9], vcc, s[8:9]
	v_add_u32_e32 v127, 8, v127
	s_waitcnt vmcnt(0) lgkmcnt(0)
	v_fma_f64 v[121:122], v[128:129], v[130:131], v[121:122]
	s_andn2_b64 exec, exec, s[8:9]
	s_cbranch_execnz .LBB59_19
; %bb.20:
	s_or_b64 exec, exec, s[8:9]
	v_mov_b32_e32 v125, 0
	ds_read_b64 v[125:126], v125 offset:24
	s_waitcnt lgkmcnt(0)
	v_mul_f64 v[121:122], v[121:122], v[125:126]
	buffer_store_dword v122, off, s[0:3], 0 offset:28
	buffer_store_dword v121, off, s[0:3], 0 offset:24
.LBB59_21:
	s_or_b64 exec, exec, s[4:5]
	; wave barrier
	buffer_load_dword v121, off, s[0:3], 0 offset:32
	buffer_load_dword v122, off, s[0:3], 0 offset:36
	v_cmp_gt_u32_e32 vcc, 4, v0
	s_waitcnt vmcnt(0)
	ds_write_b64 v123, v[121:122]
	s_waitcnt lgkmcnt(0)
	; wave barrier
	s_and_saveexec_b64 s[4:5], vcc
	s_cbranch_execz .LBB59_25
; %bb.22:
	v_mov_b32_e32 v121, 0
	v_add_u32_e32 v125, -1, v0
	v_add_u32_e32 v126, 0x1e0, v173
	v_mov_b32_e32 v127, v173
	v_mov_b32_e32 v122, 0
	s_mov_b64 s[8:9], 0
.LBB59_23:                              ; =>This Inner Loop Header: Depth=1
	buffer_load_dword v128, v127, s[0:3], 0 offen
	buffer_load_dword v129, v127, s[0:3], 0 offen offset:4
	ds_read_b64 v[130:131], v126
	v_add_u32_e32 v125, 1, v125
	v_cmp_lt_u32_e32 vcc, 2, v125
	v_add_u32_e32 v126, 8, v126
	s_or_b64 s[8:9], vcc, s[8:9]
	v_add_u32_e32 v127, 8, v127
	s_waitcnt vmcnt(0) lgkmcnt(0)
	v_fma_f64 v[121:122], v[128:129], v[130:131], v[121:122]
	s_andn2_b64 exec, exec, s[8:9]
	s_cbranch_execnz .LBB59_23
; %bb.24:
	s_or_b64 exec, exec, s[8:9]
	v_mov_b32_e32 v125, 0
	ds_read_b64 v[125:126], v125 offset:32
	s_waitcnt lgkmcnt(0)
	v_mul_f64 v[121:122], v[121:122], v[125:126]
	buffer_store_dword v122, off, s[0:3], 0 offset:36
	buffer_store_dword v121, off, s[0:3], 0 offset:32
.LBB59_25:
	s_or_b64 exec, exec, s[4:5]
	; wave barrier
	buffer_load_dword v121, off, s[0:3], 0 offset:40
	buffer_load_dword v122, off, s[0:3], 0 offset:44
	v_cmp_gt_u32_e32 vcc, 5, v0
	;; [unrolled: 40-line block ×21, first 2 shown]
	s_waitcnt vmcnt(0)
	ds_write_b64 v123, v[121:122]
	s_waitcnt lgkmcnt(0)
	; wave barrier
	s_and_saveexec_b64 s[4:5], vcc
	s_cbranch_execz .LBB59_105
; %bb.102:
	v_mov_b32_e32 v121, 0
	v_add_u32_e32 v125, -1, v0
	v_add_u32_e32 v126, 0x1e0, v173
	v_mov_b32_e32 v127, v173
	v_mov_b32_e32 v122, 0
	s_mov_b64 s[8:9], 0
.LBB59_103:                             ; =>This Inner Loop Header: Depth=1
	buffer_load_dword v128, v127, s[0:3], 0 offen
	buffer_load_dword v129, v127, s[0:3], 0 offen offset:4
	ds_read_b64 v[130:131], v126
	v_add_u32_e32 v125, 1, v125
	v_cmp_lt_u32_e32 vcc, 22, v125
	v_add_u32_e32 v126, 8, v126
	s_or_b64 s[8:9], vcc, s[8:9]
	v_add_u32_e32 v127, 8, v127
	s_waitcnt vmcnt(0) lgkmcnt(0)
	v_fma_f64 v[121:122], v[128:129], v[130:131], v[121:122]
	s_andn2_b64 exec, exec, s[8:9]
	s_cbranch_execnz .LBB59_103
; %bb.104:
	s_or_b64 exec, exec, s[8:9]
	v_mov_b32_e32 v125, 0
	ds_read_b64 v[125:126], v125 offset:192
	s_waitcnt lgkmcnt(0)
	v_mul_f64 v[121:122], v[121:122], v[125:126]
	buffer_store_dword v122, off, s[0:3], 0 offset:196
	buffer_store_dword v121, off, s[0:3], 0 offset:192
.LBB59_105:
	s_or_b64 exec, exec, s[4:5]
	; wave barrier
	buffer_load_dword v121, off, s[0:3], 0 offset:200
	buffer_load_dword v122, off, s[0:3], 0 offset:204
	v_cmp_gt_u32_e32 vcc, 25, v0
	s_waitcnt vmcnt(0)
	ds_write_b64 v123, v[121:122]
	s_waitcnt lgkmcnt(0)
	; wave barrier
	s_and_saveexec_b64 s[4:5], vcc
	s_cbranch_execz .LBB59_109
; %bb.106:
	v_mov_b32_e32 v121, 0
	v_add_u32_e32 v125, -1, v0
	v_add_u32_e32 v126, 0x1e0, v173
	v_mov_b32_e32 v127, v173
	v_mov_b32_e32 v122, 0
	s_mov_b64 s[8:9], 0
.LBB59_107:                             ; =>This Inner Loop Header: Depth=1
	buffer_load_dword v128, v127, s[0:3], 0 offen
	buffer_load_dword v129, v127, s[0:3], 0 offen offset:4
	ds_read_b64 v[130:131], v126
	v_add_u32_e32 v125, 1, v125
	v_cmp_lt_u32_e32 vcc, 23, v125
	v_add_u32_e32 v126, 8, v126
	s_or_b64 s[8:9], vcc, s[8:9]
	v_add_u32_e32 v127, 8, v127
	s_waitcnt vmcnt(0) lgkmcnt(0)
	v_fma_f64 v[121:122], v[128:129], v[130:131], v[121:122]
	s_andn2_b64 exec, exec, s[8:9]
	s_cbranch_execnz .LBB59_107
; %bb.108:
	s_or_b64 exec, exec, s[8:9]
	v_mov_b32_e32 v125, 0
	ds_read_b64 v[125:126], v125 offset:200
	s_waitcnt lgkmcnt(0)
	v_mul_f64 v[121:122], v[121:122], v[125:126]
	buffer_store_dword v122, off, s[0:3], 0 offset:204
	buffer_store_dword v121, off, s[0:3], 0 offset:200
.LBB59_109:
	s_or_b64 exec, exec, s[4:5]
	; wave barrier
	buffer_load_dword v121, off, s[0:3], 0 offset:208
	buffer_load_dword v122, off, s[0:3], 0 offset:212
	v_cmp_gt_u32_e32 vcc, 26, v0
	;; [unrolled: 40-line block ×34, first 2 shown]
	s_waitcnt vmcnt(0)
	ds_write_b64 v123, v[121:122]
	s_waitcnt lgkmcnt(0)
	; wave barrier
	s_and_saveexec_b64 s[4:5], vcc
	s_cbranch_execz .LBB59_241
; %bb.238:
	v_mov_b32_e32 v121, 0
	v_add_u32_e32 v125, -1, v0
	v_add_u32_e32 v126, 0x1e0, v173
	v_mov_b32_e32 v127, v173
	v_mov_b32_e32 v122, 0
	s_mov_b64 s[8:9], 0
.LBB59_239:                             ; =>This Inner Loop Header: Depth=1
	buffer_load_dword v128, v127, s[0:3], 0 offen
	buffer_load_dword v129, v127, s[0:3], 0 offen offset:4
	ds_read_b64 v[130:131], v126
	v_add_u32_e32 v125, 1, v125
	v_cmp_lt_u32_e32 vcc, 56, v125
	v_add_u32_e32 v126, 8, v126
	s_or_b64 s[8:9], vcc, s[8:9]
	v_add_u32_e32 v127, 8, v127
	s_waitcnt vmcnt(0) lgkmcnt(0)
	v_fma_f64 v[121:122], v[128:129], v[130:131], v[121:122]
	s_andn2_b64 exec, exec, s[8:9]
	s_cbranch_execnz .LBB59_239
; %bb.240:
	s_or_b64 exec, exec, s[8:9]
	v_mov_b32_e32 v125, 0
	ds_read_b64 v[125:126], v125 offset:464
	s_waitcnt lgkmcnt(0)
	v_mul_f64 v[121:122], v[121:122], v[125:126]
	buffer_store_dword v122, off, s[0:3], 0 offset:468
	buffer_store_dword v121, off, s[0:3], 0 offset:464
.LBB59_241:
	s_or_b64 exec, exec, s[4:5]
	; wave barrier
	buffer_load_dword v121, off, s[0:3], 0 offset:472
	buffer_load_dword v122, off, s[0:3], 0 offset:476
	v_cmp_ne_u32_e32 vcc, 59, v0
	s_waitcnt vmcnt(0)
	ds_write_b64 v123, v[121:122]
	s_waitcnt lgkmcnt(0)
	; wave barrier
	s_and_saveexec_b64 s[4:5], vcc
	s_cbranch_execz .LBB59_245
; %bb.242:
	v_mov_b32_e32 v121, 0
	v_add_u32_e32 v123, 0x1e0, v173
	v_mov_b32_e32 v125, v173
	v_mov_b32_e32 v122, 0
	s_mov_b64 s[8:9], 0
.LBB59_243:                             ; =>This Inner Loop Header: Depth=1
	buffer_load_dword v126, v125, s[0:3], 0 offen
	buffer_load_dword v127, v125, s[0:3], 0 offen offset:4
	ds_read_b64 v[128:129], v123
	v_add_u32_e32 v124, 1, v124
	v_cmp_lt_u32_e32 vcc, 57, v124
	v_add_u32_e32 v123, 8, v123
	s_or_b64 s[8:9], vcc, s[8:9]
	v_add_u32_e32 v125, 8, v125
	s_waitcnt vmcnt(0) lgkmcnt(0)
	v_fma_f64 v[121:122], v[126:127], v[128:129], v[121:122]
	s_andn2_b64 exec, exec, s[8:9]
	s_cbranch_execnz .LBB59_243
; %bb.244:
	s_or_b64 exec, exec, s[8:9]
	v_mov_b32_e32 v123, 0
	ds_read_b64 v[123:124], v123 offset:472
	s_waitcnt lgkmcnt(0)
	v_mul_f64 v[121:122], v[121:122], v[123:124]
	buffer_store_dword v122, off, s[0:3], 0 offset:476
	buffer_store_dword v121, off, s[0:3], 0 offset:472
.LBB59_245:
	s_or_b64 exec, exec, s[4:5]
	s_mov_b64 s[8:9], -1
	; wave barrier
.LBB59_246:
	s_and_b64 vcc, exec, s[8:9]
	s_cbranch_vccz .LBB59_248
; %bb.247:
	s_lshl_b64 s[4:5], s[6:7], 2
	s_add_u32 s4, s10, s4
	s_addc_u32 s5, s11, s5
	v_mov_b32_e32 v121, 0
	global_load_dword v121, v121, s[4:5]
	s_waitcnt vmcnt(0)
	v_cmp_ne_u32_e32 vcc, 0, v121
	s_cbranch_vccz .LBB59_249
.LBB59_248:
	s_endpgm
.LBB59_249:
	v_mov_b32_e32 v121, 0x1e0
	v_lshl_add_u32 v121, v0, 3, v121
	v_cmp_eq_u32_e32 vcc, 59, v0
	s_and_saveexec_b64 s[4:5], vcc
	s_cbranch_execz .LBB59_251
; %bb.250:
	buffer_load_dword v122, off, s[0:3], 0 offset:464
	buffer_load_dword v123, off, s[0:3], 0 offset:468
	v_mov_b32_e32 v124, 0
	buffer_store_dword v124, off, s[0:3], 0 offset:464
	buffer_store_dword v124, off, s[0:3], 0 offset:468
	s_waitcnt vmcnt(2)
	ds_write_b64 v121, v[122:123]
.LBB59_251:
	s_or_b64 exec, exec, s[4:5]
	s_waitcnt lgkmcnt(0)
	; wave barrier
	buffer_load_dword v123, off, s[0:3], 0 offset:472
	buffer_load_dword v124, off, s[0:3], 0 offset:476
	buffer_load_dword v125, off, s[0:3], 0 offset:464
	buffer_load_dword v126, off, s[0:3], 0 offset:468
	v_mov_b32_e32 v122, 0
	ds_read_b64 v[127:128], v122 offset:952
	v_cmp_lt_u32_e32 vcc, 57, v0
	s_waitcnt vmcnt(2) lgkmcnt(0)
	v_fma_f64 v[123:124], v[123:124], v[127:128], 0
	s_waitcnt vmcnt(0)
	v_add_f64 v[123:124], v[125:126], -v[123:124]
	buffer_store_dword v123, off, s[0:3], 0 offset:464
	buffer_store_dword v124, off, s[0:3], 0 offset:468
	s_and_saveexec_b64 s[4:5], vcc
	s_cbranch_execz .LBB59_253
; %bb.252:
	buffer_load_dword v123, off, s[0:3], 0 offset:456
	buffer_load_dword v124, off, s[0:3], 0 offset:460
	s_waitcnt vmcnt(0)
	ds_write_b64 v121, v[123:124]
	buffer_store_dword v122, off, s[0:3], 0 offset:456
	buffer_store_dword v122, off, s[0:3], 0 offset:460
.LBB59_253:
	s_or_b64 exec, exec, s[4:5]
	s_waitcnt lgkmcnt(0)
	; wave barrier
	buffer_load_dword v126, off, s[0:3], 0 offset:464
	buffer_load_dword v127, off, s[0:3], 0 offset:468
	;; [unrolled: 1-line block ×6, first 2 shown]
	ds_read_b128 v[122:125], v122 offset:944
	v_cmp_lt_u32_e32 vcc, 56, v0
	s_waitcnt vmcnt(4) lgkmcnt(0)
	v_fma_f64 v[122:123], v[126:127], v[122:123], 0
	s_waitcnt vmcnt(2)
	v_fma_f64 v[122:123], v[128:129], v[124:125], v[122:123]
	s_waitcnt vmcnt(0)
	v_add_f64 v[122:123], v[130:131], -v[122:123]
	buffer_store_dword v122, off, s[0:3], 0 offset:456
	buffer_store_dword v123, off, s[0:3], 0 offset:460
	s_and_saveexec_b64 s[4:5], vcc
	s_cbranch_execz .LBB59_255
; %bb.254:
	buffer_load_dword v122, off, s[0:3], 0 offset:448
	buffer_load_dword v123, off, s[0:3], 0 offset:452
	v_mov_b32_e32 v124, 0
	buffer_store_dword v124, off, s[0:3], 0 offset:448
	buffer_store_dword v124, off, s[0:3], 0 offset:452
	s_waitcnt vmcnt(2)
	ds_write_b64 v121, v[122:123]
.LBB59_255:
	s_or_b64 exec, exec, s[4:5]
	s_waitcnt lgkmcnt(0)
	; wave barrier
	buffer_load_dword v127, off, s[0:3], 0 offset:456
	buffer_load_dword v128, off, s[0:3], 0 offset:460
	;; [unrolled: 1-line block ×8, first 2 shown]
	v_mov_b32_e32 v122, 0
	ds_read2_b64 v[123:126], v122 offset0:117 offset1:118
	ds_read_b64 v[135:136], v122 offset:952
	v_cmp_lt_u32_e32 vcc, 55, v0
	s_waitcnt vmcnt(6) lgkmcnt(1)
	v_fma_f64 v[123:124], v[127:128], v[123:124], 0
	s_waitcnt vmcnt(4)
	v_fma_f64 v[123:124], v[129:130], v[125:126], v[123:124]
	s_waitcnt vmcnt(2) lgkmcnt(0)
	v_fma_f64 v[123:124], v[131:132], v[135:136], v[123:124]
	s_waitcnt vmcnt(0)
	v_add_f64 v[123:124], v[133:134], -v[123:124]
	buffer_store_dword v123, off, s[0:3], 0 offset:448
	buffer_store_dword v124, off, s[0:3], 0 offset:452
	s_and_saveexec_b64 s[4:5], vcc
	s_cbranch_execz .LBB59_257
; %bb.256:
	buffer_load_dword v123, off, s[0:3], 0 offset:440
	buffer_load_dword v124, off, s[0:3], 0 offset:444
	s_waitcnt vmcnt(0)
	ds_write_b64 v121, v[123:124]
	buffer_store_dword v122, off, s[0:3], 0 offset:440
	buffer_store_dword v122, off, s[0:3], 0 offset:444
.LBB59_257:
	s_or_b64 exec, exec, s[4:5]
	s_waitcnt lgkmcnt(0)
	; wave barrier
	buffer_load_dword v131, off, s[0:3], 0 offset:448
	buffer_load_dword v132, off, s[0:3], 0 offset:452
	;; [unrolled: 1-line block ×10, first 2 shown]
	ds_read_b128 v[123:126], v122 offset:928
	ds_read_b128 v[127:130], v122 offset:944
	v_cmp_lt_u32_e32 vcc, 54, v0
	s_waitcnt vmcnt(8) lgkmcnt(1)
	v_fma_f64 v[122:123], v[131:132], v[123:124], 0
	s_waitcnt vmcnt(6)
	v_fma_f64 v[122:123], v[133:134], v[125:126], v[122:123]
	s_waitcnt vmcnt(4) lgkmcnt(0)
	v_fma_f64 v[122:123], v[135:136], v[127:128], v[122:123]
	s_waitcnt vmcnt(2)
	v_fma_f64 v[122:123], v[137:138], v[129:130], v[122:123]
	s_waitcnt vmcnt(0)
	v_add_f64 v[122:123], v[139:140], -v[122:123]
	buffer_store_dword v122, off, s[0:3], 0 offset:440
	buffer_store_dword v123, off, s[0:3], 0 offset:444
	s_and_saveexec_b64 s[4:5], vcc
	s_cbranch_execz .LBB59_259
; %bb.258:
	buffer_load_dword v122, off, s[0:3], 0 offset:432
	buffer_load_dword v123, off, s[0:3], 0 offset:436
	v_mov_b32_e32 v124, 0
	buffer_store_dword v124, off, s[0:3], 0 offset:432
	buffer_store_dword v124, off, s[0:3], 0 offset:436
	s_waitcnt vmcnt(2)
	ds_write_b64 v121, v[122:123]
.LBB59_259:
	s_or_b64 exec, exec, s[4:5]
	s_waitcnt lgkmcnt(0)
	; wave barrier
	buffer_load_dword v131, off, s[0:3], 0 offset:440
	buffer_load_dword v132, off, s[0:3], 0 offset:444
	;; [unrolled: 1-line block ×12, first 2 shown]
	v_mov_b32_e32 v122, 0
	ds_read2_b64 v[123:126], v122 offset0:115 offset1:116
	ds_read2_b64 v[127:130], v122 offset0:117 offset1:118
	v_cmp_lt_u32_e32 vcc, 53, v0
	s_waitcnt vmcnt(10) lgkmcnt(1)
	v_fma_f64 v[123:124], v[131:132], v[123:124], 0
	s_waitcnt vmcnt(8)
	v_fma_f64 v[123:124], v[133:134], v[125:126], v[123:124]
	ds_read_b64 v[125:126], v122 offset:952
	s_waitcnt vmcnt(6) lgkmcnt(1)
	v_fma_f64 v[123:124], v[135:136], v[127:128], v[123:124]
	s_waitcnt vmcnt(4)
	v_fma_f64 v[123:124], v[137:138], v[129:130], v[123:124]
	s_waitcnt vmcnt(2) lgkmcnt(0)
	v_fma_f64 v[123:124], v[139:140], v[125:126], v[123:124]
	s_waitcnt vmcnt(0)
	v_add_f64 v[123:124], v[141:142], -v[123:124]
	buffer_store_dword v123, off, s[0:3], 0 offset:432
	buffer_store_dword v124, off, s[0:3], 0 offset:436
	s_and_saveexec_b64 s[4:5], vcc
	s_cbranch_execz .LBB59_261
; %bb.260:
	buffer_load_dword v123, off, s[0:3], 0 offset:424
	buffer_load_dword v124, off, s[0:3], 0 offset:428
	s_waitcnt vmcnt(0)
	ds_write_b64 v121, v[123:124]
	buffer_store_dword v122, off, s[0:3], 0 offset:424
	buffer_store_dword v122, off, s[0:3], 0 offset:428
.LBB59_261:
	s_or_b64 exec, exec, s[4:5]
	s_waitcnt lgkmcnt(0)
	; wave barrier
	buffer_load_dword v131, off, s[0:3], 0 offset:432
	buffer_load_dword v132, off, s[0:3], 0 offset:436
	;; [unrolled: 1-line block ×14, first 2 shown]
	ds_read_b128 v[123:126], v122 offset:912
	ds_read_b128 v[127:130], v122 offset:928
	v_cmp_lt_u32_e32 vcc, 52, v0
	s_waitcnt vmcnt(12) lgkmcnt(1)
	v_fma_f64 v[123:124], v[131:132], v[123:124], 0
	s_waitcnt vmcnt(10)
	v_fma_f64 v[123:124], v[133:134], v[125:126], v[123:124]
	s_waitcnt vmcnt(8) lgkmcnt(0)
	v_fma_f64 v[123:124], v[135:136], v[127:128], v[123:124]
	s_waitcnt vmcnt(6)
	v_fma_f64 v[126:127], v[137:138], v[129:130], v[123:124]
	ds_read_b128 v[122:125], v122 offset:944
	s_waitcnt vmcnt(4) lgkmcnt(0)
	v_fma_f64 v[122:123], v[139:140], v[122:123], v[126:127]
	s_waitcnt vmcnt(2)
	v_fma_f64 v[122:123], v[141:142], v[124:125], v[122:123]
	s_waitcnt vmcnt(0)
	v_add_f64 v[122:123], v[143:144], -v[122:123]
	buffer_store_dword v122, off, s[0:3], 0 offset:424
	buffer_store_dword v123, off, s[0:3], 0 offset:428
	s_and_saveexec_b64 s[4:5], vcc
	s_cbranch_execz .LBB59_263
; %bb.262:
	buffer_load_dword v122, off, s[0:3], 0 offset:416
	buffer_load_dword v123, off, s[0:3], 0 offset:420
	v_mov_b32_e32 v124, 0
	buffer_store_dword v124, off, s[0:3], 0 offset:416
	buffer_store_dword v124, off, s[0:3], 0 offset:420
	s_waitcnt vmcnt(2)
	ds_write_b64 v121, v[122:123]
.LBB59_263:
	s_or_b64 exec, exec, s[4:5]
	s_waitcnt lgkmcnt(0)
	; wave barrier
	buffer_load_dword v131, off, s[0:3], 0 offset:424
	buffer_load_dword v132, off, s[0:3], 0 offset:428
	;; [unrolled: 1-line block ×16, first 2 shown]
	v_mov_b32_e32 v122, 0
	ds_read2_b64 v[123:126], v122 offset0:113 offset1:114
	ds_read2_b64 v[127:130], v122 offset0:115 offset1:116
	v_cmp_lt_u32_e32 vcc, 51, v0
	s_waitcnt vmcnt(14) lgkmcnt(1)
	v_fma_f64 v[123:124], v[131:132], v[123:124], 0
	s_waitcnt vmcnt(12)
	v_fma_f64 v[123:124], v[133:134], v[125:126], v[123:124]
	s_waitcnt vmcnt(10) lgkmcnt(0)
	v_fma_f64 v[123:124], v[135:136], v[127:128], v[123:124]
	s_waitcnt vmcnt(8)
	v_fma_f64 v[127:128], v[137:138], v[129:130], v[123:124]
	ds_read2_b64 v[123:126], v122 offset0:117 offset1:118
	ds_read_b64 v[129:130], v122 offset:952
	s_waitcnt vmcnt(6) lgkmcnt(1)
	v_fma_f64 v[123:124], v[139:140], v[123:124], v[127:128]
	s_waitcnt vmcnt(4)
	v_fma_f64 v[123:124], v[141:142], v[125:126], v[123:124]
	s_waitcnt vmcnt(2) lgkmcnt(0)
	v_fma_f64 v[123:124], v[143:144], v[129:130], v[123:124]
	s_waitcnt vmcnt(0)
	v_add_f64 v[123:124], v[145:146], -v[123:124]
	buffer_store_dword v123, off, s[0:3], 0 offset:416
	buffer_store_dword v124, off, s[0:3], 0 offset:420
	s_and_saveexec_b64 s[4:5], vcc
	s_cbranch_execz .LBB59_265
; %bb.264:
	buffer_load_dword v123, off, s[0:3], 0 offset:408
	buffer_load_dword v124, off, s[0:3], 0 offset:412
	s_waitcnt vmcnt(0)
	ds_write_b64 v121, v[123:124]
	buffer_store_dword v122, off, s[0:3], 0 offset:408
	buffer_store_dword v122, off, s[0:3], 0 offset:412
.LBB59_265:
	s_or_b64 exec, exec, s[4:5]
	s_waitcnt lgkmcnt(0)
	; wave barrier
	buffer_load_dword v131, off, s[0:3], 0 offset:416
	buffer_load_dword v132, off, s[0:3], 0 offset:420
	;; [unrolled: 1-line block ×18, first 2 shown]
	ds_read_b128 v[123:126], v122 offset:896
	ds_read_b128 v[127:130], v122 offset:912
	v_cmp_lt_u32_e32 vcc, 50, v0
	s_waitcnt vmcnt(16) lgkmcnt(1)
	v_fma_f64 v[123:124], v[131:132], v[123:124], 0
	s_waitcnt vmcnt(14)
	v_fma_f64 v[123:124], v[133:134], v[125:126], v[123:124]
	s_waitcnt vmcnt(12) lgkmcnt(0)
	v_fma_f64 v[123:124], v[135:136], v[127:128], v[123:124]
	s_waitcnt vmcnt(10)
	v_fma_f64 v[131:132], v[137:138], v[129:130], v[123:124]
	ds_read_b128 v[123:126], v122 offset:928
	ds_read_b128 v[127:130], v122 offset:944
	s_waitcnt vmcnt(8) lgkmcnt(1)
	v_fma_f64 v[122:123], v[139:140], v[123:124], v[131:132]
	s_waitcnt vmcnt(6)
	v_fma_f64 v[122:123], v[141:142], v[125:126], v[122:123]
	s_waitcnt vmcnt(4) lgkmcnt(0)
	v_fma_f64 v[122:123], v[143:144], v[127:128], v[122:123]
	s_waitcnt vmcnt(2)
	v_fma_f64 v[122:123], v[145:146], v[129:130], v[122:123]
	s_waitcnt vmcnt(0)
	v_add_f64 v[122:123], v[147:148], -v[122:123]
	buffer_store_dword v122, off, s[0:3], 0 offset:408
	buffer_store_dword v123, off, s[0:3], 0 offset:412
	s_and_saveexec_b64 s[4:5], vcc
	s_cbranch_execz .LBB59_267
; %bb.266:
	buffer_load_dword v122, off, s[0:3], 0 offset:400
	buffer_load_dword v123, off, s[0:3], 0 offset:404
	v_mov_b32_e32 v124, 0
	buffer_store_dword v124, off, s[0:3], 0 offset:400
	buffer_store_dword v124, off, s[0:3], 0 offset:404
	s_waitcnt vmcnt(2)
	ds_write_b64 v121, v[122:123]
.LBB59_267:
	s_or_b64 exec, exec, s[4:5]
	s_waitcnt lgkmcnt(0)
	; wave barrier
	buffer_load_dword v131, off, s[0:3], 0 offset:408
	buffer_load_dword v132, off, s[0:3], 0 offset:412
	buffer_load_dword v133, off, s[0:3], 0 offset:416
	buffer_load_dword v134, off, s[0:3], 0 offset:420
	buffer_load_dword v135, off, s[0:3], 0 offset:424
	buffer_load_dword v136, off, s[0:3], 0 offset:428
	buffer_load_dword v137, off, s[0:3], 0 offset:432
	buffer_load_dword v138, off, s[0:3], 0 offset:436
	buffer_load_dword v139, off, s[0:3], 0 offset:440
	buffer_load_dword v140, off, s[0:3], 0 offset:444
	buffer_load_dword v141, off, s[0:3], 0 offset:448
	buffer_load_dword v142, off, s[0:3], 0 offset:452
	buffer_load_dword v143, off, s[0:3], 0 offset:456
	buffer_load_dword v144, off, s[0:3], 0 offset:460
	buffer_load_dword v146, off, s[0:3], 0 offset:468
	buffer_load_dword v147, off, s[0:3], 0 offset:472
	buffer_load_dword v145, off, s[0:3], 0 offset:464
	buffer_load_dword v148, off, s[0:3], 0 offset:476
	buffer_load_dword v149, off, s[0:3], 0 offset:400
	buffer_load_dword v150, off, s[0:3], 0 offset:404
	v_mov_b32_e32 v122, 0
	ds_read2_b64 v[123:126], v122 offset0:111 offset1:112
	ds_read2_b64 v[127:130], v122 offset0:113 offset1:114
	v_cmp_lt_u32_e32 vcc, 49, v0
	s_waitcnt vmcnt(18) lgkmcnt(1)
	v_fma_f64 v[123:124], v[131:132], v[123:124], 0
	s_waitcnt vmcnt(16)
	v_fma_f64 v[123:124], v[133:134], v[125:126], v[123:124]
	s_waitcnt vmcnt(14) lgkmcnt(0)
	v_fma_f64 v[123:124], v[135:136], v[127:128], v[123:124]
	s_waitcnt vmcnt(12)
	v_fma_f64 v[131:132], v[137:138], v[129:130], v[123:124]
	ds_read2_b64 v[123:126], v122 offset0:115 offset1:116
	ds_read2_b64 v[127:130], v122 offset0:117 offset1:118
	s_waitcnt vmcnt(10) lgkmcnt(1)
	v_fma_f64 v[123:124], v[139:140], v[123:124], v[131:132]
	s_waitcnt vmcnt(8)
	v_fma_f64 v[123:124], v[141:142], v[125:126], v[123:124]
	ds_read_b64 v[125:126], v122 offset:952
	s_waitcnt vmcnt(6) lgkmcnt(1)
	v_fma_f64 v[123:124], v[143:144], v[127:128], v[123:124]
	s_waitcnt vmcnt(3)
	v_fma_f64 v[123:124], v[145:146], v[129:130], v[123:124]
	s_waitcnt vmcnt(2) lgkmcnt(0)
	v_fma_f64 v[123:124], v[147:148], v[125:126], v[123:124]
	s_waitcnt vmcnt(0)
	v_add_f64 v[123:124], v[149:150], -v[123:124]
	buffer_store_dword v123, off, s[0:3], 0 offset:400
	buffer_store_dword v124, off, s[0:3], 0 offset:404
	s_and_saveexec_b64 s[4:5], vcc
	s_cbranch_execz .LBB59_269
; %bb.268:
	buffer_load_dword v123, off, s[0:3], 0 offset:392
	buffer_load_dword v124, off, s[0:3], 0 offset:396
	s_waitcnt vmcnt(0)
	ds_write_b64 v121, v[123:124]
	buffer_store_dword v122, off, s[0:3], 0 offset:392
	buffer_store_dword v122, off, s[0:3], 0 offset:396
.LBB59_269:
	s_or_b64 exec, exec, s[4:5]
	s_waitcnt lgkmcnt(0)
	; wave barrier
	buffer_load_dword v131, off, s[0:3], 0 offset:400
	buffer_load_dword v132, off, s[0:3], 0 offset:404
	;; [unrolled: 1-line block ×20, first 2 shown]
	ds_read_b128 v[123:126], v122 offset:880
	buffer_load_dword v151, off, s[0:3], 0 offset:392
	buffer_load_dword v152, off, s[0:3], 0 offset:396
	ds_read_b128 v[127:130], v122 offset:896
	v_cmp_lt_u32_e32 vcc, 48, v0
	s_waitcnt vmcnt(20) lgkmcnt(1)
	v_fma_f64 v[123:124], v[131:132], v[123:124], 0
	s_waitcnt vmcnt(18)
	v_fma_f64 v[123:124], v[133:134], v[125:126], v[123:124]
	s_waitcnt vmcnt(16) lgkmcnt(0)
	v_fma_f64 v[123:124], v[135:136], v[127:128], v[123:124]
	s_waitcnt vmcnt(14)
	v_fma_f64 v[131:132], v[137:138], v[129:130], v[123:124]
	ds_read_b128 v[123:126], v122 offset:912
	ds_read_b128 v[127:130], v122 offset:928
	s_waitcnt vmcnt(12) lgkmcnt(1)
	v_fma_f64 v[123:124], v[139:140], v[123:124], v[131:132]
	s_waitcnt vmcnt(10)
	v_fma_f64 v[123:124], v[141:142], v[125:126], v[123:124]
	s_waitcnt vmcnt(8) lgkmcnt(0)
	v_fma_f64 v[123:124], v[143:144], v[127:128], v[123:124]
	s_waitcnt vmcnt(4)
	v_fma_f64 v[126:127], v[145:146], v[129:130], v[123:124]
	ds_read_b128 v[122:125], v122 offset:944
	s_waitcnt vmcnt(3) lgkmcnt(0)
	v_fma_f64 v[122:123], v[149:150], v[122:123], v[126:127]
	s_waitcnt vmcnt(2)
	v_fma_f64 v[122:123], v[147:148], v[124:125], v[122:123]
	s_waitcnt vmcnt(0)
	v_add_f64 v[122:123], v[151:152], -v[122:123]
	buffer_store_dword v122, off, s[0:3], 0 offset:392
	buffer_store_dword v123, off, s[0:3], 0 offset:396
	s_and_saveexec_b64 s[4:5], vcc
	s_cbranch_execz .LBB59_271
; %bb.270:
	buffer_load_dword v122, off, s[0:3], 0 offset:384
	buffer_load_dword v123, off, s[0:3], 0 offset:388
	v_mov_b32_e32 v124, 0
	buffer_store_dword v124, off, s[0:3], 0 offset:384
	buffer_store_dword v124, off, s[0:3], 0 offset:388
	s_waitcnt vmcnt(2)
	ds_write_b64 v121, v[122:123]
.LBB59_271:
	s_or_b64 exec, exec, s[4:5]
	s_waitcnt lgkmcnt(0)
	; wave barrier
	buffer_load_dword v131, off, s[0:3], 0 offset:392
	buffer_load_dword v132, off, s[0:3], 0 offset:396
	;; [unrolled: 1-line block ×21, first 2 shown]
	v_mov_b32_e32 v122, 0
	ds_read2_b64 v[123:126], v122 offset0:109 offset1:110
	ds_read2_b64 v[127:130], v122 offset0:111 offset1:112
	buffer_load_dword v148, off, s[0:3], 0 offset:476
	v_cmp_lt_u32_e32 vcc, 47, v0
	s_waitcnt vmcnt(20) lgkmcnt(1)
	v_fma_f64 v[123:124], v[131:132], v[123:124], 0
	buffer_load_dword v131, off, s[0:3], 0 offset:384
	buffer_load_dword v132, off, s[0:3], 0 offset:388
	s_waitcnt vmcnt(20)
	v_fma_f64 v[123:124], v[133:134], v[125:126], v[123:124]
	s_waitcnt vmcnt(18) lgkmcnt(0)
	v_fma_f64 v[123:124], v[135:136], v[127:128], v[123:124]
	s_waitcnt vmcnt(16)
	v_fma_f64 v[133:134], v[137:138], v[129:130], v[123:124]
	ds_read2_b64 v[123:126], v122 offset0:113 offset1:114
	ds_read2_b64 v[127:130], v122 offset0:115 offset1:116
	s_waitcnt vmcnt(14) lgkmcnt(1)
	v_fma_f64 v[123:124], v[139:140], v[123:124], v[133:134]
	s_waitcnt vmcnt(12)
	v_fma_f64 v[123:124], v[141:142], v[125:126], v[123:124]
	s_waitcnt vmcnt(10) lgkmcnt(0)
	v_fma_f64 v[123:124], v[143:144], v[127:128], v[123:124]
	s_waitcnt vmcnt(5)
	v_fma_f64 v[127:128], v[145:146], v[129:130], v[123:124]
	ds_read2_b64 v[123:126], v122 offset0:117 offset1:118
	ds_read_b64 v[129:130], v122 offset:952
	s_waitcnt vmcnt(4) lgkmcnt(1)
	v_fma_f64 v[123:124], v[151:152], v[123:124], v[127:128]
	s_waitcnt vmcnt(3)
	v_fma_f64 v[123:124], v[149:150], v[125:126], v[123:124]
	s_waitcnt vmcnt(2) lgkmcnt(0)
	v_fma_f64 v[123:124], v[147:148], v[129:130], v[123:124]
	s_waitcnt vmcnt(0)
	v_add_f64 v[123:124], v[131:132], -v[123:124]
	buffer_store_dword v124, off, s[0:3], 0 offset:388
	buffer_store_dword v123, off, s[0:3], 0 offset:384
	s_and_saveexec_b64 s[4:5], vcc
	s_cbranch_execz .LBB59_273
; %bb.272:
	buffer_load_dword v123, off, s[0:3], 0 offset:376
	buffer_load_dword v124, off, s[0:3], 0 offset:380
	s_waitcnt vmcnt(0)
	ds_write_b64 v121, v[123:124]
	buffer_store_dword v122, off, s[0:3], 0 offset:376
	buffer_store_dword v122, off, s[0:3], 0 offset:380
.LBB59_273:
	s_or_b64 exec, exec, s[4:5]
	s_waitcnt lgkmcnt(0)
	; wave barrier
	buffer_load_dword v131, off, s[0:3], 0 offset:384
	buffer_load_dword v132, off, s[0:3], 0 offset:388
	;; [unrolled: 1-line block ×21, first 2 shown]
	ds_read_b128 v[123:126], v122 offset:864
	ds_read_b128 v[127:130], v122 offset:880
	buffer_load_dword v148, off, s[0:3], 0 offset:468
	v_cmp_lt_u32_e32 vcc, 46, v0
	s_waitcnt vmcnt(20) lgkmcnt(1)
	v_fma_f64 v[123:124], v[131:132], v[123:124], 0
	buffer_load_dword v132, off, s[0:3], 0 offset:476
	buffer_load_dword v131, off, s[0:3], 0 offset:472
	s_waitcnt vmcnt(20)
	v_fma_f64 v[123:124], v[133:134], v[125:126], v[123:124]
	buffer_load_dword v133, off, s[0:3], 0 offset:376
	buffer_load_dword v134, off, s[0:3], 0 offset:380
	s_waitcnt vmcnt(20) lgkmcnt(0)
	v_fma_f64 v[123:124], v[135:136], v[127:128], v[123:124]
	s_waitcnt vmcnt(18)
	v_fma_f64 v[135:136], v[137:138], v[129:130], v[123:124]
	ds_read_b128 v[123:126], v122 offset:896
	ds_read_b128 v[127:130], v122 offset:912
	s_waitcnt vmcnt(16) lgkmcnt(1)
	v_fma_f64 v[123:124], v[139:140], v[123:124], v[135:136]
	s_waitcnt vmcnt(14)
	v_fma_f64 v[123:124], v[141:142], v[125:126], v[123:124]
	s_waitcnt vmcnt(12) lgkmcnt(0)
	v_fma_f64 v[123:124], v[143:144], v[127:128], v[123:124]
	s_waitcnt vmcnt(7)
	v_fma_f64 v[135:136], v[145:146], v[129:130], v[123:124]
	ds_read_b128 v[123:126], v122 offset:928
	ds_read_b128 v[127:130], v122 offset:944
	s_waitcnt vmcnt(6) lgkmcnt(1)
	v_fma_f64 v[122:123], v[151:152], v[123:124], v[135:136]
	s_waitcnt vmcnt(5)
	v_fma_f64 v[122:123], v[149:150], v[125:126], v[122:123]
	s_waitcnt vmcnt(4) lgkmcnt(0)
	v_fma_f64 v[122:123], v[147:148], v[127:128], v[122:123]
	s_waitcnt vmcnt(2)
	v_fma_f64 v[122:123], v[131:132], v[129:130], v[122:123]
	s_waitcnt vmcnt(0)
	v_add_f64 v[122:123], v[133:134], -v[122:123]
	buffer_store_dword v123, off, s[0:3], 0 offset:380
	buffer_store_dword v122, off, s[0:3], 0 offset:376
	s_and_saveexec_b64 s[4:5], vcc
	s_cbranch_execz .LBB59_275
; %bb.274:
	buffer_load_dword v122, off, s[0:3], 0 offset:368
	buffer_load_dword v123, off, s[0:3], 0 offset:372
	v_mov_b32_e32 v124, 0
	buffer_store_dword v124, off, s[0:3], 0 offset:368
	buffer_store_dword v124, off, s[0:3], 0 offset:372
	s_waitcnt vmcnt(2)
	ds_write_b64 v121, v[122:123]
.LBB59_275:
	s_or_b64 exec, exec, s[4:5]
	s_waitcnt lgkmcnt(0)
	; wave barrier
	buffer_load_dword v131, off, s[0:3], 0 offset:376
	buffer_load_dword v132, off, s[0:3], 0 offset:380
	;; [unrolled: 1-line block ×21, first 2 shown]
	v_mov_b32_e32 v122, 0
	ds_read2_b64 v[123:126], v122 offset0:107 offset1:108
	ds_read2_b64 v[127:130], v122 offset0:109 offset1:110
	buffer_load_dword v148, off, s[0:3], 0 offset:460
	v_cmp_lt_u32_e32 vcc, 45, v0
	s_waitcnt vmcnt(20) lgkmcnt(1)
	v_fma_f64 v[123:124], v[131:132], v[123:124], 0
	s_waitcnt vmcnt(18)
	v_fma_f64 v[123:124], v[133:134], v[125:126], v[123:124]
	buffer_load_dword v132, off, s[0:3], 0 offset:468
	buffer_load_dword v133, off, s[0:3], 0 offset:472
	;; [unrolled: 1-line block ×4, first 2 shown]
	s_waitcnt vmcnt(20) lgkmcnt(0)
	v_fma_f64 v[123:124], v[135:136], v[127:128], v[123:124]
	buffer_load_dword v135, off, s[0:3], 0 offset:368
	buffer_load_dword v136, off, s[0:3], 0 offset:372
	s_waitcnt vmcnt(20)
	v_fma_f64 v[137:138], v[137:138], v[129:130], v[123:124]
	ds_read2_b64 v[123:126], v122 offset0:111 offset1:112
	ds_read2_b64 v[127:130], v122 offset0:113 offset1:114
	s_waitcnt vmcnt(18) lgkmcnt(1)
	v_fma_f64 v[123:124], v[139:140], v[123:124], v[137:138]
	s_waitcnt vmcnt(16)
	v_fma_f64 v[123:124], v[141:142], v[125:126], v[123:124]
	s_waitcnt vmcnt(14) lgkmcnt(0)
	v_fma_f64 v[123:124], v[143:144], v[127:128], v[123:124]
	s_waitcnt vmcnt(9)
	v_fma_f64 v[137:138], v[145:146], v[129:130], v[123:124]
	ds_read2_b64 v[123:126], v122 offset0:115 offset1:116
	ds_read2_b64 v[127:130], v122 offset0:117 offset1:118
	s_waitcnt vmcnt(8) lgkmcnt(1)
	v_fma_f64 v[123:124], v[151:152], v[123:124], v[137:138]
	s_waitcnt vmcnt(7)
	v_fma_f64 v[123:124], v[149:150], v[125:126], v[123:124]
	ds_read_b64 v[125:126], v122 offset:952
	s_waitcnt vmcnt(6) lgkmcnt(1)
	v_fma_f64 v[123:124], v[147:148], v[127:128], v[123:124]
	s_waitcnt vmcnt(3)
	v_fma_f64 v[123:124], v[131:132], v[129:130], v[123:124]
	s_waitcnt vmcnt(2) lgkmcnt(0)
	v_fma_f64 v[123:124], v[133:134], v[125:126], v[123:124]
	s_waitcnt vmcnt(0)
	v_add_f64 v[123:124], v[135:136], -v[123:124]
	buffer_store_dword v124, off, s[0:3], 0 offset:372
	buffer_store_dword v123, off, s[0:3], 0 offset:368
	s_and_saveexec_b64 s[4:5], vcc
	s_cbranch_execz .LBB59_277
; %bb.276:
	buffer_load_dword v123, off, s[0:3], 0 offset:360
	buffer_load_dword v124, off, s[0:3], 0 offset:364
	s_waitcnt vmcnt(0)
	ds_write_b64 v121, v[123:124]
	buffer_store_dword v122, off, s[0:3], 0 offset:360
	buffer_store_dword v122, off, s[0:3], 0 offset:364
.LBB59_277:
	s_or_b64 exec, exec, s[4:5]
	s_waitcnt lgkmcnt(0)
	; wave barrier
	buffer_load_dword v131, off, s[0:3], 0 offset:368
	buffer_load_dword v132, off, s[0:3], 0 offset:372
	;; [unrolled: 1-line block ×22, first 2 shown]
	ds_read_b128 v[123:126], v122 offset:848
	ds_read_b128 v[127:130], v122 offset:864
	v_cmp_lt_u32_e32 vcc, 44, v0
	s_waitcnt vmcnt(20) lgkmcnt(1)
	v_fma_f64 v[123:124], v[131:132], v[123:124], 0
	s_waitcnt vmcnt(18)
	v_fma_f64 v[123:124], v[133:134], v[125:126], v[123:124]
	buffer_load_dword v132, off, s[0:3], 0 offset:460
	buffer_load_dword v133, off, s[0:3], 0 offset:472
	;; [unrolled: 1-line block ×6, first 2 shown]
	s_waitcnt vmcnt(22) lgkmcnt(0)
	v_fma_f64 v[123:124], v[135:136], v[127:128], v[123:124]
	s_waitcnt vmcnt(20)
	v_fma_f64 v[135:136], v[137:138], v[129:130], v[123:124]
	ds_read_b128 v[123:126], v122 offset:880
	buffer_load_dword v137, off, s[0:3], 0 offset:360
	buffer_load_dword v138, off, s[0:3], 0 offset:364
	ds_read_b128 v[127:130], v122 offset:896
	s_waitcnt vmcnt(20) lgkmcnt(1)
	v_fma_f64 v[123:124], v[139:140], v[123:124], v[135:136]
	s_waitcnt vmcnt(18)
	v_fma_f64 v[123:124], v[141:142], v[125:126], v[123:124]
	s_waitcnt vmcnt(16) lgkmcnt(0)
	v_fma_f64 v[123:124], v[143:144], v[127:128], v[123:124]
	s_waitcnt vmcnt(11)
	v_fma_f64 v[135:136], v[145:146], v[129:130], v[123:124]
	ds_read_b128 v[123:126], v122 offset:912
	ds_read_b128 v[127:130], v122 offset:928
	s_waitcnt vmcnt(10) lgkmcnt(1)
	v_fma_f64 v[123:124], v[151:152], v[123:124], v[135:136]
	s_waitcnt vmcnt(9)
	v_fma_f64 v[123:124], v[149:150], v[125:126], v[123:124]
	s_waitcnt vmcnt(8) lgkmcnt(0)
	v_fma_f64 v[123:124], v[147:148], v[127:128], v[123:124]
	s_waitcnt vmcnt(4)
	v_fma_f64 v[126:127], v[131:132], v[129:130], v[123:124]
	ds_read_b128 v[122:125], v122 offset:944
	s_waitcnt vmcnt(3) lgkmcnt(0)
	v_fma_f64 v[122:123], v[153:154], v[122:123], v[126:127]
	s_waitcnt vmcnt(2)
	v_fma_f64 v[122:123], v[133:134], v[124:125], v[122:123]
	s_waitcnt vmcnt(0)
	v_add_f64 v[122:123], v[137:138], -v[122:123]
	buffer_store_dword v123, off, s[0:3], 0 offset:364
	buffer_store_dword v122, off, s[0:3], 0 offset:360
	s_and_saveexec_b64 s[4:5], vcc
	s_cbranch_execz .LBB59_279
; %bb.278:
	buffer_load_dword v122, off, s[0:3], 0 offset:352
	buffer_load_dword v123, off, s[0:3], 0 offset:356
	v_mov_b32_e32 v124, 0
	buffer_store_dword v124, off, s[0:3], 0 offset:352
	buffer_store_dword v124, off, s[0:3], 0 offset:356
	s_waitcnt vmcnt(2)
	ds_write_b64 v121, v[122:123]
.LBB59_279:
	s_or_b64 exec, exec, s[4:5]
	s_waitcnt lgkmcnt(0)
	; wave barrier
	buffer_load_dword v131, off, s[0:3], 0 offset:360
	buffer_load_dword v132, off, s[0:3], 0 offset:364
	;; [unrolled: 1-line block ×22, first 2 shown]
	v_mov_b32_e32 v122, 0
	ds_read2_b64 v[123:126], v122 offset0:105 offset1:106
	ds_read2_b64 v[127:130], v122 offset0:107 offset1:108
	v_cmp_lt_u32_e32 vcc, 43, v0
	s_waitcnt vmcnt(20) lgkmcnt(1)
	v_fma_f64 v[123:124], v[131:132], v[123:124], 0
	s_waitcnt vmcnt(18)
	v_fma_f64 v[123:124], v[133:134], v[125:126], v[123:124]
	buffer_load_dword v132, off, s[0:3], 0 offset:452
	buffer_load_dword v133, off, s[0:3], 0 offset:472
	;; [unrolled: 1-line block ×8, first 2 shown]
	s_waitcnt vmcnt(24) lgkmcnt(0)
	v_fma_f64 v[123:124], v[135:136], v[127:128], v[123:124]
	s_waitcnt vmcnt(22)
	v_fma_f64 v[135:136], v[137:138], v[129:130], v[123:124]
	ds_read2_b64 v[123:126], v122 offset0:109 offset1:110
	ds_read2_b64 v[127:130], v122 offset0:111 offset1:112
	s_waitcnt vmcnt(20) lgkmcnt(1)
	v_fma_f64 v[123:124], v[139:140], v[123:124], v[135:136]
	buffer_load_dword v135, off, s[0:3], 0 offset:352
	buffer_load_dword v136, off, s[0:3], 0 offset:356
	s_waitcnt vmcnt(20)
	v_fma_f64 v[123:124], v[141:142], v[125:126], v[123:124]
	s_waitcnt vmcnt(18) lgkmcnt(0)
	v_fma_f64 v[123:124], v[143:144], v[127:128], v[123:124]
	s_waitcnt vmcnt(13)
	v_fma_f64 v[137:138], v[145:146], v[129:130], v[123:124]
	ds_read2_b64 v[123:126], v122 offset0:113 offset1:114
	ds_read2_b64 v[127:130], v122 offset0:115 offset1:116
	s_waitcnt vmcnt(12) lgkmcnt(1)
	v_fma_f64 v[123:124], v[151:152], v[123:124], v[137:138]
	s_waitcnt vmcnt(11)
	v_fma_f64 v[123:124], v[149:150], v[125:126], v[123:124]
	s_waitcnt vmcnt(10) lgkmcnt(0)
	v_fma_f64 v[123:124], v[147:148], v[127:128], v[123:124]
	s_waitcnt vmcnt(5)
	v_fma_f64 v[127:128], v[131:132], v[129:130], v[123:124]
	ds_read2_b64 v[123:126], v122 offset0:117 offset1:118
	ds_read_b64 v[129:130], v122 offset:952
	s_waitcnt vmcnt(4) lgkmcnt(1)
	v_fma_f64 v[123:124], v[155:156], v[123:124], v[127:128]
	s_waitcnt vmcnt(3)
	v_fma_f64 v[123:124], v[153:154], v[125:126], v[123:124]
	s_waitcnt vmcnt(2) lgkmcnt(0)
	v_fma_f64 v[123:124], v[133:134], v[129:130], v[123:124]
	s_waitcnt vmcnt(0)
	v_add_f64 v[123:124], v[135:136], -v[123:124]
	buffer_store_dword v124, off, s[0:3], 0 offset:356
	buffer_store_dword v123, off, s[0:3], 0 offset:352
	s_and_saveexec_b64 s[4:5], vcc
	s_cbranch_execz .LBB59_281
; %bb.280:
	buffer_load_dword v123, off, s[0:3], 0 offset:344
	buffer_load_dword v124, off, s[0:3], 0 offset:348
	s_waitcnt vmcnt(0)
	ds_write_b64 v121, v[123:124]
	buffer_store_dword v122, off, s[0:3], 0 offset:344
	buffer_store_dword v122, off, s[0:3], 0 offset:348
.LBB59_281:
	s_or_b64 exec, exec, s[4:5]
	s_waitcnt lgkmcnt(0)
	; wave barrier
	buffer_load_dword v131, off, s[0:3], 0 offset:352
	buffer_load_dword v132, off, s[0:3], 0 offset:356
	;; [unrolled: 1-line block ×22, first 2 shown]
	ds_read_b128 v[123:126], v122 offset:832
	ds_read_b128 v[127:130], v122 offset:848
	v_cmp_lt_u32_e32 vcc, 42, v0
	s_waitcnt vmcnt(20) lgkmcnt(1)
	v_fma_f64 v[123:124], v[131:132], v[123:124], 0
	s_waitcnt vmcnt(18)
	v_fma_f64 v[123:124], v[133:134], v[125:126], v[123:124]
	buffer_load_dword v132, off, s[0:3], 0 offset:444
	buffer_load_dword v133, off, s[0:3], 0 offset:464
	;; [unrolled: 1-line block ×8, first 2 shown]
	s_waitcnt vmcnt(24) lgkmcnt(0)
	v_fma_f64 v[123:124], v[135:136], v[127:128], v[123:124]
	s_waitcnt vmcnt(22)
	v_fma_f64 v[135:136], v[137:138], v[129:130], v[123:124]
	ds_read_b128 v[123:126], v122 offset:864
	ds_read_b128 v[127:130], v122 offset:880
	s_waitcnt vmcnt(20) lgkmcnt(1)
	v_fma_f64 v[123:124], v[139:140], v[123:124], v[135:136]
	buffer_load_dword v136, off, s[0:3], 0 offset:476
	buffer_load_dword v135, off, s[0:3], 0 offset:472
	;; [unrolled: 1-line block ×4, first 2 shown]
	s_waitcnt vmcnt(22)
	v_fma_f64 v[123:124], v[141:142], v[125:126], v[123:124]
	s_waitcnt vmcnt(20) lgkmcnt(0)
	v_fma_f64 v[123:124], v[143:144], v[127:128], v[123:124]
	s_waitcnt vmcnt(15)
	v_fma_f64 v[139:140], v[145:146], v[129:130], v[123:124]
	ds_read_b128 v[123:126], v122 offset:896
	ds_read_b128 v[127:130], v122 offset:912
	s_waitcnt vmcnt(14) lgkmcnt(1)
	v_fma_f64 v[123:124], v[151:152], v[123:124], v[139:140]
	s_waitcnt vmcnt(13)
	v_fma_f64 v[123:124], v[149:150], v[125:126], v[123:124]
	s_waitcnt vmcnt(12) lgkmcnt(0)
	v_fma_f64 v[123:124], v[147:148], v[127:128], v[123:124]
	s_waitcnt vmcnt(7)
	v_fma_f64 v[131:132], v[131:132], v[129:130], v[123:124]
	ds_read_b128 v[123:126], v122 offset:928
	ds_read_b128 v[127:130], v122 offset:944
	s_waitcnt vmcnt(6) lgkmcnt(1)
	v_fma_f64 v[122:123], v[155:156], v[123:124], v[131:132]
	s_waitcnt vmcnt(5)
	v_fma_f64 v[122:123], v[153:154], v[125:126], v[122:123]
	s_waitcnt vmcnt(4) lgkmcnt(0)
	v_fma_f64 v[122:123], v[133:134], v[127:128], v[122:123]
	s_waitcnt vmcnt(2)
	v_fma_f64 v[122:123], v[135:136], v[129:130], v[122:123]
	s_waitcnt vmcnt(0)
	v_add_f64 v[122:123], v[137:138], -v[122:123]
	buffer_store_dword v123, off, s[0:3], 0 offset:348
	buffer_store_dword v122, off, s[0:3], 0 offset:344
	s_and_saveexec_b64 s[4:5], vcc
	s_cbranch_execz .LBB59_283
; %bb.282:
	buffer_load_dword v122, off, s[0:3], 0 offset:336
	buffer_load_dword v123, off, s[0:3], 0 offset:340
	v_mov_b32_e32 v124, 0
	buffer_store_dword v124, off, s[0:3], 0 offset:336
	buffer_store_dword v124, off, s[0:3], 0 offset:340
	s_waitcnt vmcnt(2)
	ds_write_b64 v121, v[122:123]
.LBB59_283:
	s_or_b64 exec, exec, s[4:5]
	s_waitcnt lgkmcnt(0)
	; wave barrier
	buffer_load_dword v131, off, s[0:3], 0 offset:344
	buffer_load_dword v132, off, s[0:3], 0 offset:348
	;; [unrolled: 1-line block ×22, first 2 shown]
	v_mov_b32_e32 v122, 0
	ds_read2_b64 v[123:126], v122 offset0:103 offset1:104
	ds_read2_b64 v[127:130], v122 offset0:105 offset1:106
	v_cmp_lt_u32_e32 vcc, 41, v0
	s_waitcnt vmcnt(20) lgkmcnt(1)
	v_fma_f64 v[123:124], v[131:132], v[123:124], 0
	s_waitcnt vmcnt(18)
	v_fma_f64 v[123:124], v[133:134], v[125:126], v[123:124]
	buffer_load_dword v132, off, s[0:3], 0 offset:436
	buffer_load_dword v133, off, s[0:3], 0 offset:456
	;; [unrolled: 1-line block ×7, first 2 shown]
	s_waitcnt vmcnt(23) lgkmcnt(0)
	v_fma_f64 v[123:124], v[135:136], v[127:128], v[123:124]
	s_waitcnt vmcnt(21)
	v_fma_f64 v[134:135], v[137:138], v[129:130], v[123:124]
	ds_read2_b64 v[123:126], v122 offset0:107 offset1:108
	ds_read2_b64 v[127:130], v122 offset0:109 offset1:110
	s_waitcnt vmcnt(19) lgkmcnt(1)
	v_fma_f64 v[123:124], v[139:140], v[123:124], v[134:135]
	buffer_load_dword v134, off, s[0:3], 0 offset:460
	buffer_load_dword v136, off, s[0:3], 0 offset:468
	;; [unrolled: 1-line block ×7, first 2 shown]
	s_waitcnt vmcnt(24)
	v_fma_f64 v[123:124], v[141:142], v[125:126], v[123:124]
	s_waitcnt vmcnt(22) lgkmcnt(0)
	v_fma_f64 v[123:124], v[143:144], v[127:128], v[123:124]
	s_waitcnt vmcnt(17)
	v_fma_f64 v[141:142], v[145:146], v[129:130], v[123:124]
	ds_read2_b64 v[123:126], v122 offset0:111 offset1:112
	ds_read2_b64 v[127:130], v122 offset0:113 offset1:114
	s_waitcnt vmcnt(16) lgkmcnt(1)
	v_fma_f64 v[123:124], v[151:152], v[123:124], v[141:142]
	s_waitcnt vmcnt(15)
	v_fma_f64 v[123:124], v[149:150], v[125:126], v[123:124]
	s_waitcnt vmcnt(14) lgkmcnt(0)
	v_fma_f64 v[123:124], v[147:148], v[127:128], v[123:124]
	s_waitcnt vmcnt(9)
	v_fma_f64 v[131:132], v[131:132], v[129:130], v[123:124]
	ds_read2_b64 v[123:126], v122 offset0:115 offset1:116
	ds_read2_b64 v[127:130], v122 offset0:117 offset1:118
	s_waitcnt vmcnt(8) lgkmcnt(1)
	v_fma_f64 v[123:124], v[155:156], v[123:124], v[131:132]
	s_waitcnt vmcnt(7)
	v_fma_f64 v[123:124], v[153:154], v[125:126], v[123:124]
	ds_read_b64 v[125:126], v122 offset:952
	s_waitcnt vmcnt(6) lgkmcnt(1)
	v_fma_f64 v[123:124], v[133:134], v[127:128], v[123:124]
	s_waitcnt vmcnt(3)
	v_fma_f64 v[123:124], v[135:136], v[129:130], v[123:124]
	s_waitcnt vmcnt(2) lgkmcnt(0)
	v_fma_f64 v[123:124], v[137:138], v[125:126], v[123:124]
	s_waitcnt vmcnt(0)
	v_add_f64 v[123:124], v[139:140], -v[123:124]
	buffer_store_dword v124, off, s[0:3], 0 offset:340
	buffer_store_dword v123, off, s[0:3], 0 offset:336
	s_and_saveexec_b64 s[4:5], vcc
	s_cbranch_execz .LBB59_285
; %bb.284:
	buffer_load_dword v123, off, s[0:3], 0 offset:328
	buffer_load_dword v124, off, s[0:3], 0 offset:332
	s_waitcnt vmcnt(0)
	ds_write_b64 v121, v[123:124]
	buffer_store_dword v122, off, s[0:3], 0 offset:328
	buffer_store_dword v122, off, s[0:3], 0 offset:332
.LBB59_285:
	s_or_b64 exec, exec, s[4:5]
	s_waitcnt lgkmcnt(0)
	; wave barrier
	buffer_load_dword v131, off, s[0:3], 0 offset:336
	buffer_load_dword v132, off, s[0:3], 0 offset:340
	;; [unrolled: 1-line block ×22, first 2 shown]
	ds_read_b128 v[123:126], v122 offset:816
	ds_read_b128 v[127:130], v122 offset:832
	v_cmp_lt_u32_e32 vcc, 40, v0
	s_waitcnt vmcnt(20) lgkmcnt(1)
	v_fma_f64 v[123:124], v[131:132], v[123:124], 0
	s_waitcnt vmcnt(18)
	v_fma_f64 v[123:124], v[133:134], v[125:126], v[123:124]
	buffer_load_dword v132, off, s[0:3], 0 offset:428
	buffer_load_dword v133, off, s[0:3], 0 offset:448
	;; [unrolled: 1-line block ×7, first 2 shown]
	s_waitcnt vmcnt(23) lgkmcnt(0)
	v_fma_f64 v[123:124], v[135:136], v[127:128], v[123:124]
	s_waitcnt vmcnt(21)
	v_fma_f64 v[134:135], v[137:138], v[129:130], v[123:124]
	ds_read_b128 v[123:126], v122 offset:848
	ds_read_b128 v[127:130], v122 offset:864
	s_waitcnt vmcnt(19) lgkmcnt(1)
	v_fma_f64 v[123:124], v[139:140], v[123:124], v[134:135]
	buffer_load_dword v134, off, s[0:3], 0 offset:452
	buffer_load_dword v136, off, s[0:3], 0 offset:460
	;; [unrolled: 1-line block ×7, first 2 shown]
	s_waitcnt vmcnt(24)
	v_fma_f64 v[123:124], v[141:142], v[125:126], v[123:124]
	s_waitcnt vmcnt(22) lgkmcnt(0)
	v_fma_f64 v[123:124], v[143:144], v[127:128], v[123:124]
	s_waitcnt vmcnt(17)
	v_fma_f64 v[141:142], v[145:146], v[129:130], v[123:124]
	ds_read_b128 v[123:126], v122 offset:880
	buffer_load_dword v143, off, s[0:3], 0 offset:328
	buffer_load_dword v144, off, s[0:3], 0 offset:332
	ds_read_b128 v[127:130], v122 offset:896
	s_waitcnt vmcnt(18) lgkmcnt(1)
	v_fma_f64 v[123:124], v[151:152], v[123:124], v[141:142]
	s_waitcnt vmcnt(17)
	v_fma_f64 v[123:124], v[149:150], v[125:126], v[123:124]
	s_waitcnt vmcnt(16) lgkmcnt(0)
	v_fma_f64 v[123:124], v[147:148], v[127:128], v[123:124]
	s_waitcnt vmcnt(11)
	v_fma_f64 v[131:132], v[131:132], v[129:130], v[123:124]
	ds_read_b128 v[123:126], v122 offset:912
	ds_read_b128 v[127:130], v122 offset:928
	s_waitcnt vmcnt(10) lgkmcnt(1)
	v_fma_f64 v[123:124], v[155:156], v[123:124], v[131:132]
	s_waitcnt vmcnt(9)
	v_fma_f64 v[123:124], v[153:154], v[125:126], v[123:124]
	s_waitcnt vmcnt(8) lgkmcnt(0)
	v_fma_f64 v[123:124], v[133:134], v[127:128], v[123:124]
	s_waitcnt vmcnt(4)
	v_fma_f64 v[126:127], v[135:136], v[129:130], v[123:124]
	ds_read_b128 v[122:125], v122 offset:944
	s_waitcnt vmcnt(3) lgkmcnt(0)
	v_fma_f64 v[122:123], v[139:140], v[122:123], v[126:127]
	s_waitcnt vmcnt(2)
	v_fma_f64 v[122:123], v[137:138], v[124:125], v[122:123]
	s_waitcnt vmcnt(0)
	v_add_f64 v[122:123], v[143:144], -v[122:123]
	buffer_store_dword v123, off, s[0:3], 0 offset:332
	buffer_store_dword v122, off, s[0:3], 0 offset:328
	s_and_saveexec_b64 s[4:5], vcc
	s_cbranch_execz .LBB59_287
; %bb.286:
	buffer_load_dword v122, off, s[0:3], 0 offset:320
	buffer_load_dword v123, off, s[0:3], 0 offset:324
	v_mov_b32_e32 v124, 0
	buffer_store_dword v124, off, s[0:3], 0 offset:320
	buffer_store_dword v124, off, s[0:3], 0 offset:324
	s_waitcnt vmcnt(2)
	ds_write_b64 v121, v[122:123]
.LBB59_287:
	s_or_b64 exec, exec, s[4:5]
	s_waitcnt lgkmcnt(0)
	; wave barrier
	buffer_load_dword v131, off, s[0:3], 0 offset:328
	buffer_load_dword v132, off, s[0:3], 0 offset:332
	;; [unrolled: 1-line block ×22, first 2 shown]
	v_mov_b32_e32 v122, 0
	ds_read2_b64 v[123:126], v122 offset0:101 offset1:102
	ds_read2_b64 v[127:130], v122 offset0:103 offset1:104
	v_cmp_lt_u32_e32 vcc, 39, v0
	s_waitcnt vmcnt(20) lgkmcnt(1)
	v_fma_f64 v[123:124], v[131:132], v[123:124], 0
	s_waitcnt vmcnt(18)
	v_fma_f64 v[123:124], v[133:134], v[125:126], v[123:124]
	buffer_load_dword v132, off, s[0:3], 0 offset:420
	buffer_load_dword v133, off, s[0:3], 0 offset:440
	;; [unrolled: 1-line block ×7, first 2 shown]
	s_waitcnt vmcnt(23) lgkmcnt(0)
	v_fma_f64 v[123:124], v[135:136], v[127:128], v[123:124]
	s_waitcnt vmcnt(21)
	v_fma_f64 v[134:135], v[137:138], v[129:130], v[123:124]
	ds_read2_b64 v[123:126], v122 offset0:105 offset1:106
	ds_read2_b64 v[127:130], v122 offset0:107 offset1:108
	s_waitcnt vmcnt(19) lgkmcnt(1)
	v_fma_f64 v[123:124], v[139:140], v[123:124], v[134:135]
	buffer_load_dword v134, off, s[0:3], 0 offset:444
	s_waitcnt vmcnt(18)
	v_fma_f64 v[123:124], v[141:142], v[125:126], v[123:124]
	buffer_load_dword v136, off, s[0:3], 0 offset:452
	buffer_load_dword v137, off, s[0:3], 0 offset:472
	;; [unrolled: 1-line block ×8, first 2 shown]
	s_waitcnt vmcnt(24) lgkmcnt(0)
	v_fma_f64 v[123:124], v[143:144], v[127:128], v[123:124]
	s_waitcnt vmcnt(19)
	v_fma_f64 v[143:144], v[145:146], v[129:130], v[123:124]
	ds_read2_b64 v[123:126], v122 offset0:109 offset1:110
	ds_read2_b64 v[127:130], v122 offset0:111 offset1:112
	s_waitcnt vmcnt(18) lgkmcnt(1)
	v_fma_f64 v[123:124], v[151:152], v[123:124], v[143:144]
	buffer_load_dword v143, off, s[0:3], 0 offset:320
	buffer_load_dword v144, off, s[0:3], 0 offset:324
	s_waitcnt vmcnt(19)
	v_fma_f64 v[123:124], v[149:150], v[125:126], v[123:124]
	s_waitcnt vmcnt(18) lgkmcnt(0)
	v_fma_f64 v[123:124], v[147:148], v[127:128], v[123:124]
	s_waitcnt vmcnt(13)
	v_fma_f64 v[131:132], v[131:132], v[129:130], v[123:124]
	ds_read2_b64 v[123:126], v122 offset0:113 offset1:114
	ds_read2_b64 v[127:130], v122 offset0:115 offset1:116
	s_waitcnt vmcnt(12) lgkmcnt(1)
	v_fma_f64 v[123:124], v[155:156], v[123:124], v[131:132]
	s_waitcnt vmcnt(11)
	v_fma_f64 v[123:124], v[153:154], v[125:126], v[123:124]
	s_waitcnt vmcnt(10) lgkmcnt(0)
	v_fma_f64 v[123:124], v[133:134], v[127:128], v[123:124]
	s_waitcnt vmcnt(5)
	v_fma_f64 v[127:128], v[135:136], v[129:130], v[123:124]
	ds_read2_b64 v[123:126], v122 offset0:117 offset1:118
	ds_read_b64 v[129:130], v122 offset:952
	s_waitcnt vmcnt(4) lgkmcnt(1)
	v_fma_f64 v[123:124], v[141:142], v[123:124], v[127:128]
	s_waitcnt vmcnt(3)
	v_fma_f64 v[123:124], v[139:140], v[125:126], v[123:124]
	s_waitcnt vmcnt(2) lgkmcnt(0)
	v_fma_f64 v[123:124], v[137:138], v[129:130], v[123:124]
	s_waitcnt vmcnt(0)
	v_add_f64 v[123:124], v[143:144], -v[123:124]
	buffer_store_dword v124, off, s[0:3], 0 offset:324
	buffer_store_dword v123, off, s[0:3], 0 offset:320
	s_and_saveexec_b64 s[4:5], vcc
	s_cbranch_execz .LBB59_289
; %bb.288:
	buffer_load_dword v123, off, s[0:3], 0 offset:312
	buffer_load_dword v124, off, s[0:3], 0 offset:316
	s_waitcnt vmcnt(0)
	ds_write_b64 v121, v[123:124]
	buffer_store_dword v122, off, s[0:3], 0 offset:312
	buffer_store_dword v122, off, s[0:3], 0 offset:316
.LBB59_289:
	s_or_b64 exec, exec, s[4:5]
	s_waitcnt lgkmcnt(0)
	; wave barrier
	buffer_load_dword v131, off, s[0:3], 0 offset:320
	buffer_load_dword v132, off, s[0:3], 0 offset:324
	;; [unrolled: 1-line block ×22, first 2 shown]
	ds_read_b128 v[123:126], v122 offset:800
	ds_read_b128 v[127:130], v122 offset:816
	v_cmp_lt_u32_e32 vcc, 38, v0
	s_waitcnt vmcnt(20) lgkmcnt(1)
	v_fma_f64 v[123:124], v[131:132], v[123:124], 0
	s_waitcnt vmcnt(18)
	v_fma_f64 v[123:124], v[133:134], v[125:126], v[123:124]
	buffer_load_dword v132, off, s[0:3], 0 offset:412
	buffer_load_dword v133, off, s[0:3], 0 offset:432
	;; [unrolled: 1-line block ×7, first 2 shown]
	s_waitcnt vmcnt(23) lgkmcnt(0)
	v_fma_f64 v[123:124], v[135:136], v[127:128], v[123:124]
	s_waitcnt vmcnt(21)
	v_fma_f64 v[134:135], v[137:138], v[129:130], v[123:124]
	ds_read_b128 v[123:126], v122 offset:832
	ds_read_b128 v[127:130], v122 offset:848
	s_waitcnt vmcnt(19) lgkmcnt(1)
	v_fma_f64 v[123:124], v[139:140], v[123:124], v[134:135]
	buffer_load_dword v134, off, s[0:3], 0 offset:436
	s_waitcnt vmcnt(18)
	v_fma_f64 v[123:124], v[141:142], v[125:126], v[123:124]
	buffer_load_dword v136, off, s[0:3], 0 offset:444
	buffer_load_dword v137, off, s[0:3], 0 offset:464
	;; [unrolled: 1-line block ×8, first 2 shown]
	s_waitcnt vmcnt(24) lgkmcnt(0)
	v_fma_f64 v[123:124], v[143:144], v[127:128], v[123:124]
	s_waitcnt vmcnt(19)
	v_fma_f64 v[143:144], v[145:146], v[129:130], v[123:124]
	ds_read_b128 v[123:126], v122 offset:864
	ds_read_b128 v[127:130], v122 offset:880
	s_waitcnt vmcnt(18) lgkmcnt(1)
	v_fma_f64 v[123:124], v[151:152], v[123:124], v[143:144]
	buffer_load_dword v144, off, s[0:3], 0 offset:476
	buffer_load_dword v143, off, s[0:3], 0 offset:472
	;; [unrolled: 1-line block ×4, first 2 shown]
	s_waitcnt vmcnt(21)
	v_fma_f64 v[123:124], v[149:150], v[125:126], v[123:124]
	s_waitcnt vmcnt(20) lgkmcnt(0)
	v_fma_f64 v[123:124], v[147:148], v[127:128], v[123:124]
	s_waitcnt vmcnt(15)
	v_fma_f64 v[131:132], v[131:132], v[129:130], v[123:124]
	ds_read_b128 v[123:126], v122 offset:896
	ds_read_b128 v[127:130], v122 offset:912
	s_waitcnt vmcnt(14) lgkmcnt(1)
	v_fma_f64 v[123:124], v[155:156], v[123:124], v[131:132]
	s_waitcnt vmcnt(13)
	v_fma_f64 v[123:124], v[153:154], v[125:126], v[123:124]
	s_waitcnt vmcnt(12) lgkmcnt(0)
	v_fma_f64 v[123:124], v[133:134], v[127:128], v[123:124]
	s_waitcnt vmcnt(7)
	v_fma_f64 v[131:132], v[135:136], v[129:130], v[123:124]
	ds_read_b128 v[123:126], v122 offset:928
	ds_read_b128 v[127:130], v122 offset:944
	s_waitcnt vmcnt(6) lgkmcnt(1)
	v_fma_f64 v[122:123], v[141:142], v[123:124], v[131:132]
	s_waitcnt vmcnt(5)
	v_fma_f64 v[122:123], v[139:140], v[125:126], v[122:123]
	s_waitcnt vmcnt(4) lgkmcnt(0)
	v_fma_f64 v[122:123], v[137:138], v[127:128], v[122:123]
	s_waitcnt vmcnt(2)
	v_fma_f64 v[122:123], v[143:144], v[129:130], v[122:123]
	s_waitcnt vmcnt(0)
	v_add_f64 v[122:123], v[145:146], -v[122:123]
	buffer_store_dword v123, off, s[0:3], 0 offset:316
	buffer_store_dword v122, off, s[0:3], 0 offset:312
	s_and_saveexec_b64 s[4:5], vcc
	s_cbranch_execz .LBB59_291
; %bb.290:
	buffer_load_dword v122, off, s[0:3], 0 offset:304
	buffer_load_dword v123, off, s[0:3], 0 offset:308
	v_mov_b32_e32 v124, 0
	buffer_store_dword v124, off, s[0:3], 0 offset:304
	buffer_store_dword v124, off, s[0:3], 0 offset:308
	s_waitcnt vmcnt(2)
	ds_write_b64 v121, v[122:123]
.LBB59_291:
	s_or_b64 exec, exec, s[4:5]
	s_waitcnt lgkmcnt(0)
	; wave barrier
	buffer_load_dword v131, off, s[0:3], 0 offset:312
	buffer_load_dword v132, off, s[0:3], 0 offset:316
	;; [unrolled: 1-line block ×21, first 2 shown]
	v_mov_b32_e32 v122, 0
	ds_read2_b64 v[123:126], v122 offset0:99 offset1:100
	ds_read2_b64 v[127:130], v122 offset0:101 offset1:102
	buffer_load_dword v148, off, s[0:3], 0 offset:396
	v_cmp_lt_u32_e32 vcc, 37, v0
	s_waitcnt vmcnt(20) lgkmcnt(1)
	v_fma_f64 v[123:124], v[131:132], v[123:124], 0
	s_waitcnt vmcnt(18)
	v_fma_f64 v[123:124], v[133:134], v[125:126], v[123:124]
	buffer_load_dword v132, off, s[0:3], 0 offset:404
	buffer_load_dword v133, off, s[0:3], 0 offset:424
	;; [unrolled: 1-line block ×7, first 2 shown]
	s_waitcnt vmcnt(23) lgkmcnt(0)
	v_fma_f64 v[123:124], v[135:136], v[127:128], v[123:124]
	s_waitcnt vmcnt(21)
	v_fma_f64 v[134:135], v[137:138], v[129:130], v[123:124]
	ds_read2_b64 v[123:126], v122 offset0:103 offset1:104
	ds_read2_b64 v[127:130], v122 offset0:105 offset1:106
	s_waitcnt vmcnt(19) lgkmcnt(1)
	v_fma_f64 v[123:124], v[139:140], v[123:124], v[134:135]
	buffer_load_dword v134, off, s[0:3], 0 offset:428
	s_waitcnt vmcnt(18)
	v_fma_f64 v[123:124], v[141:142], v[125:126], v[123:124]
	buffer_load_dword v136, off, s[0:3], 0 offset:436
	buffer_load_dword v137, off, s[0:3], 0 offset:456
	;; [unrolled: 1-line block ×7, first 2 shown]
	s_waitcnt vmcnt(23) lgkmcnt(0)
	v_fma_f64 v[123:124], v[143:144], v[127:128], v[123:124]
	s_waitcnt vmcnt(18)
	v_fma_f64 v[143:144], v[145:146], v[129:130], v[123:124]
	ds_read2_b64 v[123:126], v122 offset0:107 offset1:108
	ds_read2_b64 v[127:130], v122 offset0:109 offset1:110
	buffer_load_dword v138, off, s[0:3], 0 offset:460
	s_waitcnt vmcnt(18) lgkmcnt(1)
	v_fma_f64 v[123:124], v[151:152], v[123:124], v[143:144]
	buffer_load_dword v144, off, s[0:3], 0 offset:468
	buffer_load_dword v145, off, s[0:3], 0 offset:472
	;; [unrolled: 1-line block ×4, first 2 shown]
	s_waitcnt vmcnt(21)
	v_fma_f64 v[123:124], v[149:150], v[125:126], v[123:124]
	s_waitcnt vmcnt(20) lgkmcnt(0)
	v_fma_f64 v[123:124], v[147:148], v[127:128], v[123:124]
	buffer_load_dword v147, off, s[0:3], 0 offset:304
	buffer_load_dword v148, off, s[0:3], 0 offset:308
	s_waitcnt vmcnt(17)
	v_fma_f64 v[131:132], v[131:132], v[129:130], v[123:124]
	ds_read2_b64 v[123:126], v122 offset0:111 offset1:112
	ds_read2_b64 v[127:130], v122 offset0:113 offset1:114
	s_waitcnt vmcnt(16) lgkmcnt(1)
	v_fma_f64 v[123:124], v[155:156], v[123:124], v[131:132]
	s_waitcnt vmcnt(15)
	v_fma_f64 v[123:124], v[153:154], v[125:126], v[123:124]
	s_waitcnt vmcnt(14) lgkmcnt(0)
	v_fma_f64 v[123:124], v[133:134], v[127:128], v[123:124]
	s_waitcnt vmcnt(9)
	v_fma_f64 v[131:132], v[135:136], v[129:130], v[123:124]
	ds_read2_b64 v[123:126], v122 offset0:115 offset1:116
	ds_read2_b64 v[127:130], v122 offset0:117 offset1:118
	s_waitcnt vmcnt(8) lgkmcnt(1)
	v_fma_f64 v[123:124], v[141:142], v[123:124], v[131:132]
	s_waitcnt vmcnt(7)
	v_fma_f64 v[123:124], v[139:140], v[125:126], v[123:124]
	ds_read_b64 v[125:126], v122 offset:952
	s_waitcnt vmcnt(6) lgkmcnt(1)
	v_fma_f64 v[123:124], v[137:138], v[127:128], v[123:124]
	s_waitcnt vmcnt(3)
	v_fma_f64 v[123:124], v[143:144], v[129:130], v[123:124]
	s_waitcnt vmcnt(2) lgkmcnt(0)
	v_fma_f64 v[123:124], v[145:146], v[125:126], v[123:124]
	s_waitcnt vmcnt(0)
	v_add_f64 v[123:124], v[147:148], -v[123:124]
	buffer_store_dword v124, off, s[0:3], 0 offset:308
	buffer_store_dword v123, off, s[0:3], 0 offset:304
	s_and_saveexec_b64 s[4:5], vcc
	s_cbranch_execz .LBB59_293
; %bb.292:
	buffer_load_dword v123, off, s[0:3], 0 offset:296
	buffer_load_dword v124, off, s[0:3], 0 offset:300
	s_waitcnt vmcnt(0)
	ds_write_b64 v121, v[123:124]
	buffer_store_dword v122, off, s[0:3], 0 offset:296
	buffer_store_dword v122, off, s[0:3], 0 offset:300
.LBB59_293:
	s_or_b64 exec, exec, s[4:5]
	s_waitcnt lgkmcnt(0)
	; wave barrier
	buffer_load_dword v131, off, s[0:3], 0 offset:304
	buffer_load_dword v132, off, s[0:3], 0 offset:308
	;; [unrolled: 1-line block ×21, first 2 shown]
	ds_read_b128 v[123:126], v122 offset:784
	ds_read_b128 v[127:130], v122 offset:800
	buffer_load_dword v148, off, s[0:3], 0 offset:388
	v_cmp_lt_u32_e32 vcc, 36, v0
	s_waitcnt vmcnt(20) lgkmcnt(1)
	v_fma_f64 v[123:124], v[131:132], v[123:124], 0
	s_waitcnt vmcnt(18)
	v_fma_f64 v[123:124], v[133:134], v[125:126], v[123:124]
	buffer_load_dword v132, off, s[0:3], 0 offset:396
	buffer_load_dword v133, off, s[0:3], 0 offset:416
	;; [unrolled: 1-line block ×7, first 2 shown]
	s_waitcnt vmcnt(23) lgkmcnt(0)
	v_fma_f64 v[123:124], v[135:136], v[127:128], v[123:124]
	s_waitcnt vmcnt(21)
	v_fma_f64 v[134:135], v[137:138], v[129:130], v[123:124]
	ds_read_b128 v[123:126], v122 offset:816
	ds_read_b128 v[127:130], v122 offset:832
	s_waitcnt vmcnt(19) lgkmcnt(1)
	v_fma_f64 v[123:124], v[139:140], v[123:124], v[134:135]
	buffer_load_dword v134, off, s[0:3], 0 offset:420
	s_waitcnt vmcnt(18)
	v_fma_f64 v[123:124], v[141:142], v[125:126], v[123:124]
	buffer_load_dword v136, off, s[0:3], 0 offset:428
	buffer_load_dword v137, off, s[0:3], 0 offset:448
	;; [unrolled: 1-line block ×8, first 2 shown]
	s_waitcnt vmcnt(24) lgkmcnt(0)
	v_fma_f64 v[123:124], v[143:144], v[127:128], v[123:124]
	s_waitcnt vmcnt(19)
	v_fma_f64 v[143:144], v[145:146], v[129:130], v[123:124]
	ds_read_b128 v[123:126], v122 offset:848
	ds_read_b128 v[127:130], v122 offset:864
	s_waitcnt vmcnt(18) lgkmcnt(1)
	v_fma_f64 v[123:124], v[151:152], v[123:124], v[143:144]
	s_waitcnt vmcnt(17)
	v_fma_f64 v[123:124], v[149:150], v[125:126], v[123:124]
	buffer_load_dword v144, off, s[0:3], 0 offset:460
	buffer_load_dword v145, off, s[0:3], 0 offset:472
	;; [unrolled: 1-line block ×6, first 2 shown]
	s_waitcnt vmcnt(22) lgkmcnt(0)
	v_fma_f64 v[123:124], v[147:148], v[127:128], v[123:124]
	s_waitcnt vmcnt(17)
	v_fma_f64 v[131:132], v[131:132], v[129:130], v[123:124]
	ds_read_b128 v[123:126], v122 offset:880
	buffer_load_dword v147, off, s[0:3], 0 offset:296
	buffer_load_dword v148, off, s[0:3], 0 offset:300
	ds_read_b128 v[127:130], v122 offset:896
	s_waitcnt vmcnt(18) lgkmcnt(1)
	v_fma_f64 v[123:124], v[155:156], v[123:124], v[131:132]
	s_waitcnt vmcnt(17)
	v_fma_f64 v[123:124], v[153:154], v[125:126], v[123:124]
	s_waitcnt vmcnt(16) lgkmcnt(0)
	v_fma_f64 v[123:124], v[133:134], v[127:128], v[123:124]
	s_waitcnt vmcnt(11)
	v_fma_f64 v[131:132], v[135:136], v[129:130], v[123:124]
	ds_read_b128 v[123:126], v122 offset:912
	ds_read_b128 v[127:130], v122 offset:928
	s_waitcnt vmcnt(10) lgkmcnt(1)
	v_fma_f64 v[123:124], v[141:142], v[123:124], v[131:132]
	s_waitcnt vmcnt(9)
	v_fma_f64 v[123:124], v[139:140], v[125:126], v[123:124]
	s_waitcnt vmcnt(8) lgkmcnt(0)
	v_fma_f64 v[123:124], v[137:138], v[127:128], v[123:124]
	s_waitcnt vmcnt(4)
	v_fma_f64 v[126:127], v[143:144], v[129:130], v[123:124]
	ds_read_b128 v[122:125], v122 offset:944
	s_waitcnt vmcnt(3) lgkmcnt(0)
	v_fma_f64 v[122:123], v[149:150], v[122:123], v[126:127]
	s_waitcnt vmcnt(2)
	v_fma_f64 v[122:123], v[145:146], v[124:125], v[122:123]
	s_waitcnt vmcnt(0)
	v_add_f64 v[122:123], v[147:148], -v[122:123]
	buffer_store_dword v123, off, s[0:3], 0 offset:300
	buffer_store_dword v122, off, s[0:3], 0 offset:296
	s_and_saveexec_b64 s[4:5], vcc
	s_cbranch_execz .LBB59_295
; %bb.294:
	buffer_load_dword v122, off, s[0:3], 0 offset:288
	buffer_load_dword v123, off, s[0:3], 0 offset:292
	v_mov_b32_e32 v124, 0
	buffer_store_dword v124, off, s[0:3], 0 offset:288
	buffer_store_dword v124, off, s[0:3], 0 offset:292
	s_waitcnt vmcnt(2)
	ds_write_b64 v121, v[122:123]
.LBB59_295:
	s_or_b64 exec, exec, s[4:5]
	s_waitcnt lgkmcnt(0)
	; wave barrier
	buffer_load_dword v131, off, s[0:3], 0 offset:296
	buffer_load_dword v132, off, s[0:3], 0 offset:300
	;; [unrolled: 1-line block ×21, first 2 shown]
	v_mov_b32_e32 v122, 0
	ds_read2_b64 v[123:126], v122 offset0:97 offset1:98
	ds_read2_b64 v[127:130], v122 offset0:99 offset1:100
	buffer_load_dword v148, off, s[0:3], 0 offset:380
	v_cmp_lt_u32_e32 vcc, 35, v0
	s_waitcnt vmcnt(20) lgkmcnt(1)
	v_fma_f64 v[123:124], v[131:132], v[123:124], 0
	s_waitcnt vmcnt(18)
	v_fma_f64 v[123:124], v[133:134], v[125:126], v[123:124]
	buffer_load_dword v132, off, s[0:3], 0 offset:388
	buffer_load_dword v133, off, s[0:3], 0 offset:408
	;; [unrolled: 1-line block ×7, first 2 shown]
	s_waitcnt vmcnt(23) lgkmcnt(0)
	v_fma_f64 v[123:124], v[135:136], v[127:128], v[123:124]
	s_waitcnt vmcnt(21)
	v_fma_f64 v[134:135], v[137:138], v[129:130], v[123:124]
	ds_read2_b64 v[123:126], v122 offset0:101 offset1:102
	ds_read2_b64 v[127:130], v122 offset0:103 offset1:104
	s_waitcnt vmcnt(19) lgkmcnt(1)
	v_fma_f64 v[123:124], v[139:140], v[123:124], v[134:135]
	buffer_load_dword v134, off, s[0:3], 0 offset:412
	s_waitcnt vmcnt(18)
	v_fma_f64 v[123:124], v[141:142], v[125:126], v[123:124]
	buffer_load_dword v136, off, s[0:3], 0 offset:420
	buffer_load_dword v137, off, s[0:3], 0 offset:440
	;; [unrolled: 1-line block ×8, first 2 shown]
	s_waitcnt vmcnt(24) lgkmcnt(0)
	v_fma_f64 v[123:124], v[143:144], v[127:128], v[123:124]
	s_waitcnt vmcnt(19)
	v_fma_f64 v[143:144], v[145:146], v[129:130], v[123:124]
	ds_read2_b64 v[123:126], v122 offset0:105 offset1:106
	ds_read2_b64 v[127:130], v122 offset0:107 offset1:108
	s_waitcnt vmcnt(18) lgkmcnt(1)
	v_fma_f64 v[123:124], v[151:152], v[123:124], v[143:144]
	s_waitcnt vmcnt(17)
	v_fma_f64 v[123:124], v[149:150], v[125:126], v[123:124]
	buffer_load_dword v144, off, s[0:3], 0 offset:452
	buffer_load_dword v145, off, s[0:3], 0 offset:472
	;; [unrolled: 1-line block ×8, first 2 shown]
	s_waitcnt vmcnt(24) lgkmcnt(0)
	v_fma_f64 v[123:124], v[147:148], v[127:128], v[123:124]
	s_waitcnt vmcnt(19)
	v_fma_f64 v[131:132], v[131:132], v[129:130], v[123:124]
	ds_read2_b64 v[123:126], v122 offset0:109 offset1:110
	ds_read2_b64 v[127:130], v122 offset0:111 offset1:112
	s_waitcnt vmcnt(18) lgkmcnt(1)
	v_fma_f64 v[123:124], v[155:156], v[123:124], v[131:132]
	buffer_load_dword v131, off, s[0:3], 0 offset:288
	buffer_load_dword v132, off, s[0:3], 0 offset:292
	s_waitcnt vmcnt(19)
	v_fma_f64 v[123:124], v[153:154], v[125:126], v[123:124]
	s_waitcnt vmcnt(18) lgkmcnt(0)
	v_fma_f64 v[123:124], v[133:134], v[127:128], v[123:124]
	s_waitcnt vmcnt(13)
	v_fma_f64 v[133:134], v[135:136], v[129:130], v[123:124]
	ds_read2_b64 v[123:126], v122 offset0:113 offset1:114
	ds_read2_b64 v[127:130], v122 offset0:115 offset1:116
	s_waitcnt vmcnt(12) lgkmcnt(1)
	v_fma_f64 v[123:124], v[141:142], v[123:124], v[133:134]
	s_waitcnt vmcnt(11)
	v_fma_f64 v[123:124], v[139:140], v[125:126], v[123:124]
	s_waitcnt vmcnt(10) lgkmcnt(0)
	v_fma_f64 v[123:124], v[137:138], v[127:128], v[123:124]
	s_waitcnt vmcnt(5)
	v_fma_f64 v[127:128], v[143:144], v[129:130], v[123:124]
	ds_read2_b64 v[123:126], v122 offset0:117 offset1:118
	ds_read_b64 v[129:130], v122 offset:952
	s_waitcnt vmcnt(4) lgkmcnt(1)
	v_fma_f64 v[123:124], v[151:152], v[123:124], v[127:128]
	s_waitcnt vmcnt(3)
	v_fma_f64 v[123:124], v[149:150], v[125:126], v[123:124]
	s_waitcnt vmcnt(2) lgkmcnt(0)
	v_fma_f64 v[123:124], v[145:146], v[129:130], v[123:124]
	s_waitcnt vmcnt(0)
	v_add_f64 v[123:124], v[131:132], -v[123:124]
	buffer_store_dword v124, off, s[0:3], 0 offset:292
	buffer_store_dword v123, off, s[0:3], 0 offset:288
	s_and_saveexec_b64 s[4:5], vcc
	s_cbranch_execz .LBB59_297
; %bb.296:
	buffer_load_dword v123, off, s[0:3], 0 offset:280
	buffer_load_dword v124, off, s[0:3], 0 offset:284
	s_waitcnt vmcnt(0)
	ds_write_b64 v121, v[123:124]
	buffer_store_dword v122, off, s[0:3], 0 offset:280
	buffer_store_dword v122, off, s[0:3], 0 offset:284
.LBB59_297:
	s_or_b64 exec, exec, s[4:5]
	s_waitcnt lgkmcnt(0)
	; wave barrier
	buffer_load_dword v131, off, s[0:3], 0 offset:288
	buffer_load_dword v132, off, s[0:3], 0 offset:292
	;; [unrolled: 1-line block ×21, first 2 shown]
	ds_read_b128 v[123:126], v122 offset:768
	ds_read_b128 v[127:130], v122 offset:784
	buffer_load_dword v148, off, s[0:3], 0 offset:372
	v_cmp_lt_u32_e32 vcc, 34, v0
	s_waitcnt vmcnt(20) lgkmcnt(1)
	v_fma_f64 v[123:124], v[131:132], v[123:124], 0
	s_waitcnt vmcnt(18)
	v_fma_f64 v[123:124], v[133:134], v[125:126], v[123:124]
	buffer_load_dword v132, off, s[0:3], 0 offset:380
	buffer_load_dword v133, off, s[0:3], 0 offset:400
	;; [unrolled: 1-line block ×7, first 2 shown]
	s_waitcnt vmcnt(23) lgkmcnt(0)
	v_fma_f64 v[123:124], v[135:136], v[127:128], v[123:124]
	s_waitcnt vmcnt(21)
	v_fma_f64 v[134:135], v[137:138], v[129:130], v[123:124]
	ds_read_b128 v[123:126], v122 offset:800
	ds_read_b128 v[127:130], v122 offset:816
	s_waitcnt vmcnt(19) lgkmcnt(1)
	v_fma_f64 v[123:124], v[139:140], v[123:124], v[134:135]
	buffer_load_dword v134, off, s[0:3], 0 offset:404
	s_waitcnt vmcnt(18)
	v_fma_f64 v[123:124], v[141:142], v[125:126], v[123:124]
	buffer_load_dword v136, off, s[0:3], 0 offset:412
	buffer_load_dword v137, off, s[0:3], 0 offset:432
	;; [unrolled: 1-line block ×8, first 2 shown]
	s_waitcnt vmcnt(24) lgkmcnt(0)
	v_fma_f64 v[123:124], v[143:144], v[127:128], v[123:124]
	s_waitcnt vmcnt(19)
	v_fma_f64 v[143:144], v[145:146], v[129:130], v[123:124]
	ds_read_b128 v[123:126], v122 offset:832
	ds_read_b128 v[127:130], v122 offset:848
	s_waitcnt vmcnt(18) lgkmcnt(1)
	v_fma_f64 v[123:124], v[151:152], v[123:124], v[143:144]
	s_waitcnt vmcnt(17)
	v_fma_f64 v[123:124], v[149:150], v[125:126], v[123:124]
	buffer_load_dword v144, off, s[0:3], 0 offset:444
	buffer_load_dword v145, off, s[0:3], 0 offset:464
	;; [unrolled: 1-line block ×8, first 2 shown]
	s_waitcnt vmcnt(24) lgkmcnt(0)
	v_fma_f64 v[123:124], v[147:148], v[127:128], v[123:124]
	s_waitcnt vmcnt(19)
	v_fma_f64 v[131:132], v[131:132], v[129:130], v[123:124]
	ds_read_b128 v[123:126], v122 offset:864
	ds_read_b128 v[127:130], v122 offset:880
	s_waitcnt vmcnt(18) lgkmcnt(1)
	v_fma_f64 v[123:124], v[155:156], v[123:124], v[131:132]
	buffer_load_dword v132, off, s[0:3], 0 offset:476
	buffer_load_dword v131, off, s[0:3], 0 offset:472
	;; [unrolled: 1-line block ×4, first 2 shown]
	s_waitcnt vmcnt(21)
	v_fma_f64 v[123:124], v[153:154], v[125:126], v[123:124]
	s_waitcnt vmcnt(20) lgkmcnt(0)
	v_fma_f64 v[123:124], v[133:134], v[127:128], v[123:124]
	s_waitcnt vmcnt(15)
	v_fma_f64 v[133:134], v[135:136], v[129:130], v[123:124]
	ds_read_b128 v[123:126], v122 offset:896
	ds_read_b128 v[127:130], v122 offset:912
	s_waitcnt vmcnt(14) lgkmcnt(1)
	v_fma_f64 v[123:124], v[141:142], v[123:124], v[133:134]
	s_waitcnt vmcnt(13)
	v_fma_f64 v[123:124], v[139:140], v[125:126], v[123:124]
	s_waitcnt vmcnt(12) lgkmcnt(0)
	v_fma_f64 v[123:124], v[137:138], v[127:128], v[123:124]
	s_waitcnt vmcnt(7)
	v_fma_f64 v[133:134], v[143:144], v[129:130], v[123:124]
	ds_read_b128 v[123:126], v122 offset:928
	ds_read_b128 v[127:130], v122 offset:944
	s_waitcnt vmcnt(6) lgkmcnt(1)
	v_fma_f64 v[122:123], v[151:152], v[123:124], v[133:134]
	s_waitcnt vmcnt(5)
	v_fma_f64 v[122:123], v[149:150], v[125:126], v[122:123]
	s_waitcnt vmcnt(4) lgkmcnt(0)
	v_fma_f64 v[122:123], v[145:146], v[127:128], v[122:123]
	s_waitcnt vmcnt(2)
	v_fma_f64 v[122:123], v[131:132], v[129:130], v[122:123]
	s_waitcnt vmcnt(0)
	v_add_f64 v[122:123], v[147:148], -v[122:123]
	buffer_store_dword v123, off, s[0:3], 0 offset:284
	buffer_store_dword v122, off, s[0:3], 0 offset:280
	s_and_saveexec_b64 s[4:5], vcc
	s_cbranch_execz .LBB59_299
; %bb.298:
	buffer_load_dword v122, off, s[0:3], 0 offset:272
	buffer_load_dword v123, off, s[0:3], 0 offset:276
	v_mov_b32_e32 v124, 0
	buffer_store_dword v124, off, s[0:3], 0 offset:272
	buffer_store_dword v124, off, s[0:3], 0 offset:276
	s_waitcnt vmcnt(2)
	ds_write_b64 v121, v[122:123]
.LBB59_299:
	s_or_b64 exec, exec, s[4:5]
	s_waitcnt lgkmcnt(0)
	; wave barrier
	buffer_load_dword v131, off, s[0:3], 0 offset:280
	buffer_load_dword v132, off, s[0:3], 0 offset:284
	;; [unrolled: 1-line block ×21, first 2 shown]
	v_mov_b32_e32 v122, 0
	ds_read2_b64 v[123:126], v122 offset0:95 offset1:96
	ds_read2_b64 v[127:130], v122 offset0:97 offset1:98
	buffer_load_dword v148, off, s[0:3], 0 offset:364
	v_cmp_lt_u32_e32 vcc, 33, v0
	s_waitcnt vmcnt(20) lgkmcnt(1)
	v_fma_f64 v[123:124], v[131:132], v[123:124], 0
	s_waitcnt vmcnt(18)
	v_fma_f64 v[123:124], v[133:134], v[125:126], v[123:124]
	buffer_load_dword v132, off, s[0:3], 0 offset:372
	buffer_load_dword v133, off, s[0:3], 0 offset:392
	buffer_load_dword v153, off, s[0:3], 0 offset:384
	buffer_load_dword v155, off, s[0:3], 0 offset:376
	buffer_load_dword v131, off, s[0:3], 0 offset:368
	buffer_load_dword v156, off, s[0:3], 0 offset:380
	buffer_load_dword v154, off, s[0:3], 0 offset:388
	s_waitcnt vmcnt(23) lgkmcnt(0)
	v_fma_f64 v[123:124], v[135:136], v[127:128], v[123:124]
	s_waitcnt vmcnt(21)
	v_fma_f64 v[134:135], v[137:138], v[129:130], v[123:124]
	ds_read2_b64 v[123:126], v122 offset0:99 offset1:100
	ds_read2_b64 v[127:130], v122 offset0:101 offset1:102
	s_waitcnt vmcnt(19) lgkmcnt(1)
	v_fma_f64 v[123:124], v[139:140], v[123:124], v[134:135]
	buffer_load_dword v134, off, s[0:3], 0 offset:396
	s_waitcnt vmcnt(18)
	v_fma_f64 v[123:124], v[141:142], v[125:126], v[123:124]
	buffer_load_dword v136, off, s[0:3], 0 offset:404
	buffer_load_dword v137, off, s[0:3], 0 offset:424
	;; [unrolled: 1-line block ×8, first 2 shown]
	s_waitcnt vmcnt(24) lgkmcnt(0)
	v_fma_f64 v[123:124], v[143:144], v[127:128], v[123:124]
	s_waitcnt vmcnt(19)
	v_fma_f64 v[143:144], v[145:146], v[129:130], v[123:124]
	ds_read2_b64 v[123:126], v122 offset0:103 offset1:104
	ds_read2_b64 v[127:130], v122 offset0:105 offset1:106
	s_waitcnt vmcnt(18) lgkmcnt(1)
	v_fma_f64 v[123:124], v[151:152], v[123:124], v[143:144]
	s_waitcnt vmcnt(17)
	v_fma_f64 v[123:124], v[149:150], v[125:126], v[123:124]
	buffer_load_dword v144, off, s[0:3], 0 offset:436
	buffer_load_dword v145, off, s[0:3], 0 offset:456
	;; [unrolled: 1-line block ×7, first 2 shown]
	s_waitcnt vmcnt(23) lgkmcnt(0)
	v_fma_f64 v[123:124], v[147:148], v[127:128], v[123:124]
	s_waitcnt vmcnt(18)
	v_fma_f64 v[131:132], v[131:132], v[129:130], v[123:124]
	ds_read2_b64 v[123:126], v122 offset0:107 offset1:108
	ds_read2_b64 v[127:130], v122 offset0:109 offset1:110
	buffer_load_dword v146, off, s[0:3], 0 offset:460
	s_waitcnt vmcnt(18) lgkmcnt(1)
	v_fma_f64 v[123:124], v[155:156], v[123:124], v[131:132]
	buffer_load_dword v132, off, s[0:3], 0 offset:468
	buffer_load_dword v147, off, s[0:3], 0 offset:472
	;; [unrolled: 1-line block ×4, first 2 shown]
	s_waitcnt vmcnt(21)
	v_fma_f64 v[123:124], v[153:154], v[125:126], v[123:124]
	s_waitcnt vmcnt(20) lgkmcnt(0)
	v_fma_f64 v[123:124], v[133:134], v[127:128], v[123:124]
	buffer_load_dword v133, off, s[0:3], 0 offset:272
	buffer_load_dword v134, off, s[0:3], 0 offset:276
	s_waitcnt vmcnt(17)
	v_fma_f64 v[135:136], v[135:136], v[129:130], v[123:124]
	ds_read2_b64 v[123:126], v122 offset0:111 offset1:112
	ds_read2_b64 v[127:130], v122 offset0:113 offset1:114
	s_waitcnt vmcnt(16) lgkmcnt(1)
	v_fma_f64 v[123:124], v[141:142], v[123:124], v[135:136]
	s_waitcnt vmcnt(15)
	v_fma_f64 v[123:124], v[139:140], v[125:126], v[123:124]
	s_waitcnt vmcnt(14) lgkmcnt(0)
	v_fma_f64 v[123:124], v[137:138], v[127:128], v[123:124]
	s_waitcnt vmcnt(9)
	v_fma_f64 v[135:136], v[143:144], v[129:130], v[123:124]
	ds_read2_b64 v[123:126], v122 offset0:115 offset1:116
	ds_read2_b64 v[127:130], v122 offset0:117 offset1:118
	s_waitcnt vmcnt(8) lgkmcnt(1)
	v_fma_f64 v[123:124], v[151:152], v[123:124], v[135:136]
	s_waitcnt vmcnt(7)
	v_fma_f64 v[123:124], v[149:150], v[125:126], v[123:124]
	ds_read_b64 v[125:126], v122 offset:952
	s_waitcnt vmcnt(6) lgkmcnt(1)
	v_fma_f64 v[123:124], v[145:146], v[127:128], v[123:124]
	s_waitcnt vmcnt(3)
	v_fma_f64 v[123:124], v[131:132], v[129:130], v[123:124]
	s_waitcnt vmcnt(2) lgkmcnt(0)
	v_fma_f64 v[123:124], v[147:148], v[125:126], v[123:124]
	s_waitcnt vmcnt(0)
	v_add_f64 v[123:124], v[133:134], -v[123:124]
	buffer_store_dword v124, off, s[0:3], 0 offset:276
	buffer_store_dword v123, off, s[0:3], 0 offset:272
	s_and_saveexec_b64 s[4:5], vcc
	s_cbranch_execz .LBB59_301
; %bb.300:
	buffer_load_dword v123, off, s[0:3], 0 offset:264
	buffer_load_dword v124, off, s[0:3], 0 offset:268
	s_waitcnt vmcnt(0)
	ds_write_b64 v121, v[123:124]
	buffer_store_dword v122, off, s[0:3], 0 offset:264
	buffer_store_dword v122, off, s[0:3], 0 offset:268
.LBB59_301:
	s_or_b64 exec, exec, s[4:5]
	s_waitcnt lgkmcnt(0)
	; wave barrier
	buffer_load_dword v131, off, s[0:3], 0 offset:272
	buffer_load_dword v132, off, s[0:3], 0 offset:276
	;; [unrolled: 1-line block ×22, first 2 shown]
	ds_read_b128 v[123:126], v122 offset:752
	ds_read_b128 v[127:130], v122 offset:768
	v_cmp_lt_u32_e32 vcc, 32, v0
	s_waitcnt vmcnt(20) lgkmcnt(1)
	v_fma_f64 v[123:124], v[131:132], v[123:124], 0
	s_waitcnt vmcnt(18)
	v_fma_f64 v[123:124], v[133:134], v[125:126], v[123:124]
	buffer_load_dword v132, off, s[0:3], 0 offset:364
	buffer_load_dword v133, off, s[0:3], 0 offset:384
	;; [unrolled: 1-line block ×7, first 2 shown]
	s_waitcnt vmcnt(23) lgkmcnt(0)
	v_fma_f64 v[123:124], v[135:136], v[127:128], v[123:124]
	s_waitcnt vmcnt(21)
	v_fma_f64 v[134:135], v[137:138], v[129:130], v[123:124]
	ds_read_b128 v[123:126], v122 offset:784
	ds_read_b128 v[127:130], v122 offset:800
	s_waitcnt vmcnt(19) lgkmcnt(1)
	v_fma_f64 v[123:124], v[139:140], v[123:124], v[134:135]
	buffer_load_dword v134, off, s[0:3], 0 offset:388
	s_waitcnt vmcnt(18)
	v_fma_f64 v[123:124], v[141:142], v[125:126], v[123:124]
	buffer_load_dword v136, off, s[0:3], 0 offset:396
	buffer_load_dword v137, off, s[0:3], 0 offset:416
	;; [unrolled: 1-line block ×8, first 2 shown]
	s_waitcnt vmcnt(24) lgkmcnt(0)
	v_fma_f64 v[123:124], v[143:144], v[127:128], v[123:124]
	s_waitcnt vmcnt(19)
	v_fma_f64 v[143:144], v[145:146], v[129:130], v[123:124]
	ds_read_b128 v[123:126], v122 offset:816
	ds_read_b128 v[127:130], v122 offset:832
	s_waitcnt vmcnt(18) lgkmcnt(1)
	v_fma_f64 v[123:124], v[151:152], v[123:124], v[143:144]
	s_waitcnt vmcnt(17)
	v_fma_f64 v[123:124], v[149:150], v[125:126], v[123:124]
	buffer_load_dword v144, off, s[0:3], 0 offset:428
	buffer_load_dword v145, off, s[0:3], 0 offset:448
	;; [unrolled: 1-line block ×8, first 2 shown]
	s_waitcnt vmcnt(24) lgkmcnt(0)
	v_fma_f64 v[123:124], v[147:148], v[127:128], v[123:124]
	s_waitcnt vmcnt(19)
	v_fma_f64 v[131:132], v[131:132], v[129:130], v[123:124]
	ds_read_b128 v[123:126], v122 offset:848
	ds_read_b128 v[127:130], v122 offset:864
	s_waitcnt vmcnt(18) lgkmcnt(1)
	v_fma_f64 v[123:124], v[155:156], v[123:124], v[131:132]
	s_waitcnt vmcnt(17)
	v_fma_f64 v[123:124], v[153:154], v[125:126], v[123:124]
	buffer_load_dword v132, off, s[0:3], 0 offset:460
	buffer_load_dword v147, off, s[0:3], 0 offset:472
	;; [unrolled: 1-line block ×6, first 2 shown]
	s_waitcnt vmcnt(22) lgkmcnt(0)
	v_fma_f64 v[123:124], v[133:134], v[127:128], v[123:124]
	s_waitcnt vmcnt(17)
	v_fma_f64 v[133:134], v[135:136], v[129:130], v[123:124]
	ds_read_b128 v[123:126], v122 offset:880
	buffer_load_dword v135, off, s[0:3], 0 offset:264
	buffer_load_dword v136, off, s[0:3], 0 offset:268
	ds_read_b128 v[127:130], v122 offset:896
	s_waitcnt vmcnt(18) lgkmcnt(1)
	v_fma_f64 v[123:124], v[141:142], v[123:124], v[133:134]
	s_waitcnt vmcnt(17)
	v_fma_f64 v[123:124], v[139:140], v[125:126], v[123:124]
	s_waitcnt vmcnt(16) lgkmcnt(0)
	v_fma_f64 v[123:124], v[137:138], v[127:128], v[123:124]
	s_waitcnt vmcnt(11)
	v_fma_f64 v[133:134], v[143:144], v[129:130], v[123:124]
	ds_read_b128 v[123:126], v122 offset:912
	ds_read_b128 v[127:130], v122 offset:928
	s_waitcnt vmcnt(10) lgkmcnt(1)
	v_fma_f64 v[123:124], v[151:152], v[123:124], v[133:134]
	s_waitcnt vmcnt(9)
	v_fma_f64 v[123:124], v[149:150], v[125:126], v[123:124]
	s_waitcnt vmcnt(8) lgkmcnt(0)
	v_fma_f64 v[123:124], v[145:146], v[127:128], v[123:124]
	s_waitcnt vmcnt(4)
	v_fma_f64 v[126:127], v[131:132], v[129:130], v[123:124]
	ds_read_b128 v[122:125], v122 offset:944
	s_waitcnt vmcnt(3) lgkmcnt(0)
	v_fma_f64 v[122:123], v[153:154], v[122:123], v[126:127]
	s_waitcnt vmcnt(2)
	v_fma_f64 v[122:123], v[147:148], v[124:125], v[122:123]
	s_waitcnt vmcnt(0)
	v_add_f64 v[122:123], v[135:136], -v[122:123]
	buffer_store_dword v123, off, s[0:3], 0 offset:268
	buffer_store_dword v122, off, s[0:3], 0 offset:264
	s_and_saveexec_b64 s[4:5], vcc
	s_cbranch_execz .LBB59_303
; %bb.302:
	buffer_load_dword v122, off, s[0:3], 0 offset:256
	buffer_load_dword v123, off, s[0:3], 0 offset:260
	v_mov_b32_e32 v124, 0
	buffer_store_dword v124, off, s[0:3], 0 offset:256
	buffer_store_dword v124, off, s[0:3], 0 offset:260
	s_waitcnt vmcnt(2)
	ds_write_b64 v121, v[122:123]
.LBB59_303:
	s_or_b64 exec, exec, s[4:5]
	s_waitcnt lgkmcnt(0)
	; wave barrier
	buffer_load_dword v131, off, s[0:3], 0 offset:264
	buffer_load_dword v132, off, s[0:3], 0 offset:268
	;; [unrolled: 1-line block ×22, first 2 shown]
	v_mov_b32_e32 v122, 0
	ds_read2_b64 v[123:126], v122 offset0:93 offset1:94
	ds_read2_b64 v[127:130], v122 offset0:95 offset1:96
	v_cmp_lt_u32_e32 vcc, 31, v0
	s_waitcnt vmcnt(20) lgkmcnt(1)
	v_fma_f64 v[123:124], v[131:132], v[123:124], 0
	s_waitcnt vmcnt(18)
	v_fma_f64 v[123:124], v[133:134], v[125:126], v[123:124]
	buffer_load_dword v132, off, s[0:3], 0 offset:356
	buffer_load_dword v133, off, s[0:3], 0 offset:376
	buffer_load_dword v153, off, s[0:3], 0 offset:368
	buffer_load_dword v155, off, s[0:3], 0 offset:360
	buffer_load_dword v131, off, s[0:3], 0 offset:352
	buffer_load_dword v156, off, s[0:3], 0 offset:364
	buffer_load_dword v154, off, s[0:3], 0 offset:372
	s_waitcnt vmcnt(23) lgkmcnt(0)
	v_fma_f64 v[123:124], v[135:136], v[127:128], v[123:124]
	s_waitcnt vmcnt(21)
	v_fma_f64 v[134:135], v[137:138], v[129:130], v[123:124]
	ds_read2_b64 v[123:126], v122 offset0:97 offset1:98
	ds_read2_b64 v[127:130], v122 offset0:99 offset1:100
	s_waitcnt vmcnt(19) lgkmcnt(1)
	v_fma_f64 v[123:124], v[139:140], v[123:124], v[134:135]
	buffer_load_dword v134, off, s[0:3], 0 offset:380
	s_waitcnt vmcnt(18)
	v_fma_f64 v[123:124], v[141:142], v[125:126], v[123:124]
	buffer_load_dword v136, off, s[0:3], 0 offset:388
	buffer_load_dword v137, off, s[0:3], 0 offset:408
	buffer_load_dword v139, off, s[0:3], 0 offset:400
	buffer_load_dword v141, off, s[0:3], 0 offset:392
	buffer_load_dword v135, off, s[0:3], 0 offset:384
	buffer_load_dword v142, off, s[0:3], 0 offset:396
	buffer_load_dword v140, off, s[0:3], 0 offset:404
	buffer_load_dword v138, off, s[0:3], 0 offset:412
	s_waitcnt vmcnt(24) lgkmcnt(0)
	v_fma_f64 v[123:124], v[143:144], v[127:128], v[123:124]
	s_waitcnt vmcnt(19)
	v_fma_f64 v[143:144], v[145:146], v[129:130], v[123:124]
	ds_read2_b64 v[123:126], v122 offset0:101 offset1:102
	ds_read2_b64 v[127:130], v122 offset0:103 offset1:104
	s_waitcnt vmcnt(18) lgkmcnt(1)
	v_fma_f64 v[123:124], v[151:152], v[123:124], v[143:144]
	s_waitcnt vmcnt(17)
	v_fma_f64 v[123:124], v[149:150], v[125:126], v[123:124]
	buffer_load_dword v144, off, s[0:3], 0 offset:420
	buffer_load_dword v145, off, s[0:3], 0 offset:440
	buffer_load_dword v149, off, s[0:3], 0 offset:432
	buffer_load_dword v151, off, s[0:3], 0 offset:424
	buffer_load_dword v143, off, s[0:3], 0 offset:416
	buffer_load_dword v152, off, s[0:3], 0 offset:428
	buffer_load_dword v150, off, s[0:3], 0 offset:436
	buffer_load_dword v146, off, s[0:3], 0 offset:444
	s_waitcnt vmcnt(24) lgkmcnt(0)
	v_fma_f64 v[123:124], v[147:148], v[127:128], v[123:124]
	s_waitcnt vmcnt(19)
	v_fma_f64 v[131:132], v[131:132], v[129:130], v[123:124]
	ds_read2_b64 v[123:126], v122 offset0:105 offset1:106
	ds_read2_b64 v[127:130], v122 offset0:107 offset1:108
	s_waitcnt vmcnt(18) lgkmcnt(1)
	v_fma_f64 v[123:124], v[155:156], v[123:124], v[131:132]
	;; [unrolled: 18-line block ×3, first 2 shown]
	buffer_load_dword v133, off, s[0:3], 0 offset:256
	buffer_load_dword v134, off, s[0:3], 0 offset:260
	s_waitcnt vmcnt(19)
	v_fma_f64 v[123:124], v[139:140], v[125:126], v[123:124]
	s_waitcnt vmcnt(18) lgkmcnt(0)
	v_fma_f64 v[123:124], v[137:138], v[127:128], v[123:124]
	s_waitcnt vmcnt(13)
	v_fma_f64 v[135:136], v[143:144], v[129:130], v[123:124]
	ds_read2_b64 v[123:126], v122 offset0:113 offset1:114
	ds_read2_b64 v[127:130], v122 offset0:115 offset1:116
	s_waitcnt vmcnt(12) lgkmcnt(1)
	v_fma_f64 v[123:124], v[151:152], v[123:124], v[135:136]
	s_waitcnt vmcnt(11)
	v_fma_f64 v[123:124], v[149:150], v[125:126], v[123:124]
	s_waitcnt vmcnt(10) lgkmcnt(0)
	v_fma_f64 v[123:124], v[145:146], v[127:128], v[123:124]
	s_waitcnt vmcnt(5)
	v_fma_f64 v[127:128], v[131:132], v[129:130], v[123:124]
	ds_read2_b64 v[123:126], v122 offset0:117 offset1:118
	ds_read_b64 v[129:130], v122 offset:952
	s_waitcnt vmcnt(4) lgkmcnt(1)
	v_fma_f64 v[123:124], v[155:156], v[123:124], v[127:128]
	s_waitcnt vmcnt(3)
	v_fma_f64 v[123:124], v[153:154], v[125:126], v[123:124]
	s_waitcnt vmcnt(2) lgkmcnt(0)
	v_fma_f64 v[123:124], v[147:148], v[129:130], v[123:124]
	s_waitcnt vmcnt(0)
	v_add_f64 v[123:124], v[133:134], -v[123:124]
	buffer_store_dword v124, off, s[0:3], 0 offset:260
	buffer_store_dword v123, off, s[0:3], 0 offset:256
	s_and_saveexec_b64 s[4:5], vcc
	s_cbranch_execz .LBB59_305
; %bb.304:
	buffer_load_dword v123, off, s[0:3], 0 offset:248
	buffer_load_dword v124, off, s[0:3], 0 offset:252
	s_waitcnt vmcnt(0)
	ds_write_b64 v121, v[123:124]
	buffer_store_dword v122, off, s[0:3], 0 offset:248
	buffer_store_dword v122, off, s[0:3], 0 offset:252
.LBB59_305:
	s_or_b64 exec, exec, s[4:5]
	s_waitcnt lgkmcnt(0)
	; wave barrier
	buffer_load_dword v131, off, s[0:3], 0 offset:256
	buffer_load_dword v132, off, s[0:3], 0 offset:260
	buffer_load_dword v133, off, s[0:3], 0 offset:264
	buffer_load_dword v134, off, s[0:3], 0 offset:268
	buffer_load_dword v135, off, s[0:3], 0 offset:272
	buffer_load_dword v136, off, s[0:3], 0 offset:276
	buffer_load_dword v137, off, s[0:3], 0 offset:280
	buffer_load_dword v138, off, s[0:3], 0 offset:284
	buffer_load_dword v139, off, s[0:3], 0 offset:288
	buffer_load_dword v140, off, s[0:3], 0 offset:292
	buffer_load_dword v141, off, s[0:3], 0 offset:296
	buffer_load_dword v142, off, s[0:3], 0 offset:300
	buffer_load_dword v143, off, s[0:3], 0 offset:304
	buffer_load_dword v144, off, s[0:3], 0 offset:308
	buffer_load_dword v146, off, s[0:3], 0 offset:316
	buffer_load_dword v147, off, s[0:3], 0 offset:336
	buffer_load_dword v149, off, s[0:3], 0 offset:328
	buffer_load_dword v151, off, s[0:3], 0 offset:320
	buffer_load_dword v145, off, s[0:3], 0 offset:312
	buffer_load_dword v152, off, s[0:3], 0 offset:324
	buffer_load_dword v150, off, s[0:3], 0 offset:332
	buffer_load_dword v148, off, s[0:3], 0 offset:340
	ds_read_b128 v[123:126], v122 offset:736
	ds_read_b128 v[127:130], v122 offset:752
	v_cmp_lt_u32_e32 vcc, 30, v0
	s_waitcnt vmcnt(20) lgkmcnt(1)
	v_fma_f64 v[123:124], v[131:132], v[123:124], 0
	s_waitcnt vmcnt(18)
	v_fma_f64 v[123:124], v[133:134], v[125:126], v[123:124]
	buffer_load_dword v132, off, s[0:3], 0 offset:348
	buffer_load_dword v133, off, s[0:3], 0 offset:368
	;; [unrolled: 1-line block ×7, first 2 shown]
	s_waitcnt vmcnt(23) lgkmcnt(0)
	v_fma_f64 v[123:124], v[135:136], v[127:128], v[123:124]
	s_waitcnt vmcnt(21)
	v_fma_f64 v[134:135], v[137:138], v[129:130], v[123:124]
	ds_read_b128 v[123:126], v122 offset:768
	ds_read_b128 v[127:130], v122 offset:784
	s_waitcnt vmcnt(19) lgkmcnt(1)
	v_fma_f64 v[123:124], v[139:140], v[123:124], v[134:135]
	buffer_load_dword v134, off, s[0:3], 0 offset:372
	s_waitcnt vmcnt(18)
	v_fma_f64 v[123:124], v[141:142], v[125:126], v[123:124]
	buffer_load_dword v136, off, s[0:3], 0 offset:380
	buffer_load_dword v137, off, s[0:3], 0 offset:400
	buffer_load_dword v139, off, s[0:3], 0 offset:392
	buffer_load_dword v141, off, s[0:3], 0 offset:384
	buffer_load_dword v135, off, s[0:3], 0 offset:376
	buffer_load_dword v142, off, s[0:3], 0 offset:388
	buffer_load_dword v140, off, s[0:3], 0 offset:396
	buffer_load_dword v138, off, s[0:3], 0 offset:404
	s_waitcnt vmcnt(24) lgkmcnt(0)
	v_fma_f64 v[123:124], v[143:144], v[127:128], v[123:124]
	s_waitcnt vmcnt(19)
	v_fma_f64 v[143:144], v[145:146], v[129:130], v[123:124]
	ds_read_b128 v[123:126], v122 offset:800
	ds_read_b128 v[127:130], v122 offset:816
	s_waitcnt vmcnt(18) lgkmcnt(1)
	v_fma_f64 v[123:124], v[151:152], v[123:124], v[143:144]
	s_waitcnt vmcnt(17)
	v_fma_f64 v[123:124], v[149:150], v[125:126], v[123:124]
	buffer_load_dword v144, off, s[0:3], 0 offset:412
	buffer_load_dword v145, off, s[0:3], 0 offset:432
	buffer_load_dword v149, off, s[0:3], 0 offset:424
	buffer_load_dword v151, off, s[0:3], 0 offset:416
	buffer_load_dword v143, off, s[0:3], 0 offset:408
	buffer_load_dword v152, off, s[0:3], 0 offset:420
	buffer_load_dword v150, off, s[0:3], 0 offset:428
	buffer_load_dword v146, off, s[0:3], 0 offset:436
	s_waitcnt vmcnt(24) lgkmcnt(0)
	v_fma_f64 v[123:124], v[147:148], v[127:128], v[123:124]
	s_waitcnt vmcnt(19)
	v_fma_f64 v[131:132], v[131:132], v[129:130], v[123:124]
	ds_read_b128 v[123:126], v122 offset:832
	ds_read_b128 v[127:130], v122 offset:848
	s_waitcnt vmcnt(18) lgkmcnt(1)
	v_fma_f64 v[123:124], v[155:156], v[123:124], v[131:132]
	s_waitcnt vmcnt(17)
	v_fma_f64 v[123:124], v[153:154], v[125:126], v[123:124]
	buffer_load_dword v132, off, s[0:3], 0 offset:444
	buffer_load_dword v147, off, s[0:3], 0 offset:464
	buffer_load_dword v153, off, s[0:3], 0 offset:456
	buffer_load_dword v155, off, s[0:3], 0 offset:448
	buffer_load_dword v131, off, s[0:3], 0 offset:440
	buffer_load_dword v156, off, s[0:3], 0 offset:452
	buffer_load_dword v154, off, s[0:3], 0 offset:460
	buffer_load_dword v148, off, s[0:3], 0 offset:468
	s_waitcnt vmcnt(24) lgkmcnt(0)
	v_fma_f64 v[123:124], v[133:134], v[127:128], v[123:124]
	s_waitcnt vmcnt(19)
	v_fma_f64 v[133:134], v[135:136], v[129:130], v[123:124]
	ds_read_b128 v[123:126], v122 offset:864
	ds_read_b128 v[127:130], v122 offset:880
	s_waitcnt vmcnt(18) lgkmcnt(1)
	v_fma_f64 v[123:124], v[141:142], v[123:124], v[133:134]
	buffer_load_dword v134, off, s[0:3], 0 offset:476
	buffer_load_dword v133, off, s[0:3], 0 offset:472
	;; [unrolled: 1-line block ×4, first 2 shown]
	s_waitcnt vmcnt(21)
	v_fma_f64 v[123:124], v[139:140], v[125:126], v[123:124]
	s_waitcnt vmcnt(20) lgkmcnt(0)
	v_fma_f64 v[123:124], v[137:138], v[127:128], v[123:124]
	s_waitcnt vmcnt(15)
	v_fma_f64 v[137:138], v[143:144], v[129:130], v[123:124]
	ds_read_b128 v[123:126], v122 offset:896
	ds_read_b128 v[127:130], v122 offset:912
	s_waitcnt vmcnt(14) lgkmcnt(1)
	v_fma_f64 v[123:124], v[151:152], v[123:124], v[137:138]
	s_waitcnt vmcnt(13)
	v_fma_f64 v[123:124], v[149:150], v[125:126], v[123:124]
	s_waitcnt vmcnt(12) lgkmcnt(0)
	v_fma_f64 v[123:124], v[145:146], v[127:128], v[123:124]
	s_waitcnt vmcnt(7)
	v_fma_f64 v[131:132], v[131:132], v[129:130], v[123:124]
	ds_read_b128 v[123:126], v122 offset:928
	ds_read_b128 v[127:130], v122 offset:944
	s_waitcnt vmcnt(6) lgkmcnt(1)
	v_fma_f64 v[122:123], v[155:156], v[123:124], v[131:132]
	s_waitcnt vmcnt(5)
	v_fma_f64 v[122:123], v[153:154], v[125:126], v[122:123]
	s_waitcnt vmcnt(4) lgkmcnt(0)
	v_fma_f64 v[122:123], v[147:148], v[127:128], v[122:123]
	s_waitcnt vmcnt(2)
	v_fma_f64 v[122:123], v[133:134], v[129:130], v[122:123]
	s_waitcnt vmcnt(0)
	v_add_f64 v[122:123], v[135:136], -v[122:123]
	buffer_store_dword v123, off, s[0:3], 0 offset:252
	buffer_store_dword v122, off, s[0:3], 0 offset:248
	s_and_saveexec_b64 s[4:5], vcc
	s_cbranch_execz .LBB59_307
; %bb.306:
	buffer_load_dword v122, off, s[0:3], 0 offset:240
	buffer_load_dword v123, off, s[0:3], 0 offset:244
	v_mov_b32_e32 v124, 0
	buffer_store_dword v124, off, s[0:3], 0 offset:240
	buffer_store_dword v124, off, s[0:3], 0 offset:244
	s_waitcnt vmcnt(2)
	ds_write_b64 v121, v[122:123]
.LBB59_307:
	s_or_b64 exec, exec, s[4:5]
	s_waitcnt lgkmcnt(0)
	; wave barrier
	buffer_load_dword v131, off, s[0:3], 0 offset:248
	buffer_load_dword v132, off, s[0:3], 0 offset:252
	;; [unrolled: 1-line block ×22, first 2 shown]
	v_mov_b32_e32 v122, 0
	ds_read2_b64 v[123:126], v122 offset0:91 offset1:92
	ds_read2_b64 v[127:130], v122 offset0:93 offset1:94
	v_cmp_lt_u32_e32 vcc, 29, v0
	s_waitcnt vmcnt(20) lgkmcnt(1)
	v_fma_f64 v[123:124], v[131:132], v[123:124], 0
	s_waitcnt vmcnt(18)
	v_fma_f64 v[123:124], v[133:134], v[125:126], v[123:124]
	buffer_load_dword v132, off, s[0:3], 0 offset:340
	buffer_load_dword v133, off, s[0:3], 0 offset:360
	;; [unrolled: 1-line block ×7, first 2 shown]
	s_waitcnt vmcnt(23) lgkmcnt(0)
	v_fma_f64 v[123:124], v[135:136], v[127:128], v[123:124]
	s_waitcnt vmcnt(21)
	v_fma_f64 v[134:135], v[137:138], v[129:130], v[123:124]
	ds_read2_b64 v[123:126], v122 offset0:95 offset1:96
	ds_read2_b64 v[127:130], v122 offset0:97 offset1:98
	s_waitcnt vmcnt(19) lgkmcnt(1)
	v_fma_f64 v[123:124], v[139:140], v[123:124], v[134:135]
	buffer_load_dword v134, off, s[0:3], 0 offset:364
	s_waitcnt vmcnt(18)
	v_fma_f64 v[123:124], v[141:142], v[125:126], v[123:124]
	buffer_load_dword v136, off, s[0:3], 0 offset:372
	buffer_load_dword v137, off, s[0:3], 0 offset:392
	;; [unrolled: 1-line block ×7, first 2 shown]
	s_waitcnt vmcnt(23) lgkmcnt(0)
	v_fma_f64 v[123:124], v[143:144], v[127:128], v[123:124]
	s_waitcnt vmcnt(18)
	v_fma_f64 v[143:144], v[145:146], v[129:130], v[123:124]
	ds_read2_b64 v[123:126], v122 offset0:99 offset1:100
	ds_read2_b64 v[127:130], v122 offset0:101 offset1:102
	buffer_load_dword v138, off, s[0:3], 0 offset:396
	s_waitcnt vmcnt(18) lgkmcnt(1)
	v_fma_f64 v[123:124], v[151:152], v[123:124], v[143:144]
	s_waitcnt vmcnt(17)
	v_fma_f64 v[123:124], v[149:150], v[125:126], v[123:124]
	buffer_load_dword v144, off, s[0:3], 0 offset:404
	buffer_load_dword v145, off, s[0:3], 0 offset:424
	;; [unrolled: 1-line block ×8, first 2 shown]
	s_waitcnt vmcnt(24) lgkmcnt(0)
	v_fma_f64 v[123:124], v[147:148], v[127:128], v[123:124]
	s_waitcnt vmcnt(19)
	v_fma_f64 v[131:132], v[131:132], v[129:130], v[123:124]
	ds_read2_b64 v[123:126], v122 offset0:103 offset1:104
	ds_read2_b64 v[127:130], v122 offset0:105 offset1:106
	s_waitcnt vmcnt(18) lgkmcnt(1)
	v_fma_f64 v[123:124], v[155:156], v[123:124], v[131:132]
	s_waitcnt vmcnt(17)
	v_fma_f64 v[123:124], v[153:154], v[125:126], v[123:124]
	buffer_load_dword v132, off, s[0:3], 0 offset:436
	buffer_load_dword v147, off, s[0:3], 0 offset:456
	;; [unrolled: 1-line block ×7, first 2 shown]
	s_waitcnt vmcnt(23) lgkmcnt(0)
	v_fma_f64 v[123:124], v[133:134], v[127:128], v[123:124]
	s_waitcnt vmcnt(18)
	v_fma_f64 v[133:134], v[135:136], v[129:130], v[123:124]
	ds_read2_b64 v[123:126], v122 offset0:107 offset1:108
	ds_read2_b64 v[127:130], v122 offset0:109 offset1:110
	buffer_load_dword v148, off, s[0:3], 0 offset:460
	s_waitcnt vmcnt(18) lgkmcnt(1)
	v_fma_f64 v[123:124], v[141:142], v[123:124], v[133:134]
	buffer_load_dword v134, off, s[0:3], 0 offset:468
	buffer_load_dword v135, off, s[0:3], 0 offset:472
	;; [unrolled: 1-line block ×4, first 2 shown]
	s_waitcnt vmcnt(21)
	v_fma_f64 v[123:124], v[139:140], v[125:126], v[123:124]
	s_waitcnt vmcnt(20) lgkmcnt(0)
	v_fma_f64 v[123:124], v[137:138], v[127:128], v[123:124]
	buffer_load_dword v137, off, s[0:3], 0 offset:240
	buffer_load_dword v138, off, s[0:3], 0 offset:244
	s_waitcnt vmcnt(17)
	v_fma_f64 v[139:140], v[143:144], v[129:130], v[123:124]
	ds_read2_b64 v[123:126], v122 offset0:111 offset1:112
	ds_read2_b64 v[127:130], v122 offset0:113 offset1:114
	s_waitcnt vmcnt(16) lgkmcnt(1)
	v_fma_f64 v[123:124], v[151:152], v[123:124], v[139:140]
	s_waitcnt vmcnt(15)
	v_fma_f64 v[123:124], v[149:150], v[125:126], v[123:124]
	s_waitcnt vmcnt(14) lgkmcnt(0)
	v_fma_f64 v[123:124], v[145:146], v[127:128], v[123:124]
	s_waitcnt vmcnt(9)
	v_fma_f64 v[131:132], v[131:132], v[129:130], v[123:124]
	ds_read2_b64 v[123:126], v122 offset0:115 offset1:116
	ds_read2_b64 v[127:130], v122 offset0:117 offset1:118
	s_waitcnt vmcnt(8) lgkmcnt(1)
	v_fma_f64 v[123:124], v[155:156], v[123:124], v[131:132]
	s_waitcnt vmcnt(7)
	v_fma_f64 v[123:124], v[153:154], v[125:126], v[123:124]
	ds_read_b64 v[125:126], v122 offset:952
	s_waitcnt vmcnt(6) lgkmcnt(1)
	v_fma_f64 v[123:124], v[147:148], v[127:128], v[123:124]
	s_waitcnt vmcnt(3)
	v_fma_f64 v[123:124], v[133:134], v[129:130], v[123:124]
	s_waitcnt vmcnt(2) lgkmcnt(0)
	v_fma_f64 v[123:124], v[135:136], v[125:126], v[123:124]
	s_waitcnt vmcnt(0)
	v_add_f64 v[123:124], v[137:138], -v[123:124]
	buffer_store_dword v124, off, s[0:3], 0 offset:244
	buffer_store_dword v123, off, s[0:3], 0 offset:240
	s_and_saveexec_b64 s[4:5], vcc
	s_cbranch_execz .LBB59_309
; %bb.308:
	buffer_load_dword v123, off, s[0:3], 0 offset:232
	buffer_load_dword v124, off, s[0:3], 0 offset:236
	s_waitcnt vmcnt(0)
	ds_write_b64 v121, v[123:124]
	buffer_store_dword v122, off, s[0:3], 0 offset:232
	buffer_store_dword v122, off, s[0:3], 0 offset:236
.LBB59_309:
	s_or_b64 exec, exec, s[4:5]
	s_waitcnt lgkmcnt(0)
	; wave barrier
	buffer_load_dword v131, off, s[0:3], 0 offset:240
	buffer_load_dword v132, off, s[0:3], 0 offset:244
	;; [unrolled: 1-line block ×22, first 2 shown]
	ds_read_b128 v[123:126], v122 offset:720
	ds_read_b128 v[127:130], v122 offset:736
	v_cmp_lt_u32_e32 vcc, 28, v0
	s_waitcnt vmcnt(20) lgkmcnt(1)
	v_fma_f64 v[123:124], v[131:132], v[123:124], 0
	s_waitcnt vmcnt(18)
	v_fma_f64 v[123:124], v[133:134], v[125:126], v[123:124]
	buffer_load_dword v132, off, s[0:3], 0 offset:332
	buffer_load_dword v133, off, s[0:3], 0 offset:352
	;; [unrolled: 1-line block ×7, first 2 shown]
	s_waitcnt vmcnt(23) lgkmcnt(0)
	v_fma_f64 v[123:124], v[135:136], v[127:128], v[123:124]
	s_waitcnt vmcnt(21)
	v_fma_f64 v[134:135], v[137:138], v[129:130], v[123:124]
	ds_read_b128 v[123:126], v122 offset:752
	ds_read_b128 v[127:130], v122 offset:768
	s_waitcnt vmcnt(19) lgkmcnt(1)
	v_fma_f64 v[123:124], v[139:140], v[123:124], v[134:135]
	buffer_load_dword v134, off, s[0:3], 0 offset:356
	s_waitcnt vmcnt(18)
	v_fma_f64 v[123:124], v[141:142], v[125:126], v[123:124]
	buffer_load_dword v136, off, s[0:3], 0 offset:364
	buffer_load_dword v137, off, s[0:3], 0 offset:384
	;; [unrolled: 1-line block ×7, first 2 shown]
	s_waitcnt vmcnt(23) lgkmcnt(0)
	v_fma_f64 v[123:124], v[143:144], v[127:128], v[123:124]
	s_waitcnt vmcnt(18)
	v_fma_f64 v[143:144], v[145:146], v[129:130], v[123:124]
	ds_read_b128 v[123:126], v122 offset:784
	ds_read_b128 v[127:130], v122 offset:800
	buffer_load_dword v138, off, s[0:3], 0 offset:388
	s_waitcnt vmcnt(18) lgkmcnt(1)
	v_fma_f64 v[123:124], v[151:152], v[123:124], v[143:144]
	s_waitcnt vmcnt(17)
	v_fma_f64 v[123:124], v[149:150], v[125:126], v[123:124]
	buffer_load_dword v144, off, s[0:3], 0 offset:396
	buffer_load_dword v145, off, s[0:3], 0 offset:416
	;; [unrolled: 1-line block ×8, first 2 shown]
	s_waitcnt vmcnt(24) lgkmcnt(0)
	v_fma_f64 v[123:124], v[147:148], v[127:128], v[123:124]
	s_waitcnt vmcnt(19)
	v_fma_f64 v[131:132], v[131:132], v[129:130], v[123:124]
	ds_read_b128 v[123:126], v122 offset:816
	ds_read_b128 v[127:130], v122 offset:832
	s_waitcnt vmcnt(18) lgkmcnt(1)
	v_fma_f64 v[123:124], v[155:156], v[123:124], v[131:132]
	s_waitcnt vmcnt(17)
	v_fma_f64 v[123:124], v[153:154], v[125:126], v[123:124]
	buffer_load_dword v132, off, s[0:3], 0 offset:428
	buffer_load_dword v147, off, s[0:3], 0 offset:448
	;; [unrolled: 1-line block ×8, first 2 shown]
	s_waitcnt vmcnt(24) lgkmcnt(0)
	v_fma_f64 v[123:124], v[133:134], v[127:128], v[123:124]
	s_waitcnt vmcnt(19)
	v_fma_f64 v[133:134], v[135:136], v[129:130], v[123:124]
	ds_read_b128 v[123:126], v122 offset:848
	ds_read_b128 v[127:130], v122 offset:864
	s_waitcnt vmcnt(18) lgkmcnt(1)
	v_fma_f64 v[123:124], v[141:142], v[123:124], v[133:134]
	s_waitcnt vmcnt(17)
	v_fma_f64 v[123:124], v[139:140], v[125:126], v[123:124]
	buffer_load_dword v134, off, s[0:3], 0 offset:460
	buffer_load_dword v135, off, s[0:3], 0 offset:472
	;; [unrolled: 1-line block ×6, first 2 shown]
	s_waitcnt vmcnt(22) lgkmcnt(0)
	v_fma_f64 v[123:124], v[137:138], v[127:128], v[123:124]
	s_waitcnt vmcnt(17)
	v_fma_f64 v[137:138], v[143:144], v[129:130], v[123:124]
	ds_read_b128 v[123:126], v122 offset:880
	buffer_load_dword v141, off, s[0:3], 0 offset:232
	buffer_load_dword v142, off, s[0:3], 0 offset:236
	ds_read_b128 v[127:130], v122 offset:896
	s_waitcnt vmcnt(18) lgkmcnt(1)
	v_fma_f64 v[123:124], v[151:152], v[123:124], v[137:138]
	s_waitcnt vmcnt(17)
	v_fma_f64 v[123:124], v[149:150], v[125:126], v[123:124]
	s_waitcnt vmcnt(16) lgkmcnt(0)
	v_fma_f64 v[123:124], v[145:146], v[127:128], v[123:124]
	s_waitcnt vmcnt(11)
	v_fma_f64 v[131:132], v[131:132], v[129:130], v[123:124]
	ds_read_b128 v[123:126], v122 offset:912
	ds_read_b128 v[127:130], v122 offset:928
	s_waitcnt vmcnt(10) lgkmcnt(1)
	v_fma_f64 v[123:124], v[155:156], v[123:124], v[131:132]
	s_waitcnt vmcnt(9)
	v_fma_f64 v[123:124], v[153:154], v[125:126], v[123:124]
	s_waitcnt vmcnt(8) lgkmcnt(0)
	v_fma_f64 v[123:124], v[147:148], v[127:128], v[123:124]
	s_waitcnt vmcnt(4)
	v_fma_f64 v[126:127], v[133:134], v[129:130], v[123:124]
	ds_read_b128 v[122:125], v122 offset:944
	s_waitcnt vmcnt(3) lgkmcnt(0)
	v_fma_f64 v[122:123], v[139:140], v[122:123], v[126:127]
	s_waitcnt vmcnt(2)
	v_fma_f64 v[122:123], v[135:136], v[124:125], v[122:123]
	s_waitcnt vmcnt(0)
	v_add_f64 v[122:123], v[141:142], -v[122:123]
	buffer_store_dword v123, off, s[0:3], 0 offset:236
	buffer_store_dword v122, off, s[0:3], 0 offset:232
	s_and_saveexec_b64 s[4:5], vcc
	s_cbranch_execz .LBB59_311
; %bb.310:
	buffer_load_dword v122, off, s[0:3], 0 offset:224
	buffer_load_dword v123, off, s[0:3], 0 offset:228
	v_mov_b32_e32 v124, 0
	buffer_store_dword v124, off, s[0:3], 0 offset:224
	buffer_store_dword v124, off, s[0:3], 0 offset:228
	s_waitcnt vmcnt(2)
	ds_write_b64 v121, v[122:123]
.LBB59_311:
	s_or_b64 exec, exec, s[4:5]
	s_waitcnt lgkmcnt(0)
	; wave barrier
	buffer_load_dword v131, off, s[0:3], 0 offset:232
	buffer_load_dword v132, off, s[0:3], 0 offset:236
	;; [unrolled: 1-line block ×22, first 2 shown]
	v_mov_b32_e32 v122, 0
	ds_read2_b64 v[123:126], v122 offset0:89 offset1:90
	ds_read2_b64 v[127:130], v122 offset0:91 offset1:92
	v_cmp_lt_u32_e32 vcc, 27, v0
	s_waitcnt vmcnt(20) lgkmcnt(1)
	v_fma_f64 v[123:124], v[131:132], v[123:124], 0
	s_waitcnt vmcnt(18)
	v_fma_f64 v[123:124], v[133:134], v[125:126], v[123:124]
	buffer_load_dword v132, off, s[0:3], 0 offset:324
	buffer_load_dword v133, off, s[0:3], 0 offset:344
	;; [unrolled: 1-line block ×7, first 2 shown]
	s_waitcnt vmcnt(23) lgkmcnt(0)
	v_fma_f64 v[123:124], v[135:136], v[127:128], v[123:124]
	s_waitcnt vmcnt(21)
	v_fma_f64 v[134:135], v[137:138], v[129:130], v[123:124]
	ds_read2_b64 v[123:126], v122 offset0:93 offset1:94
	ds_read2_b64 v[127:130], v122 offset0:95 offset1:96
	s_waitcnt vmcnt(19) lgkmcnt(1)
	v_fma_f64 v[123:124], v[139:140], v[123:124], v[134:135]
	buffer_load_dword v134, off, s[0:3], 0 offset:348
	s_waitcnt vmcnt(18)
	v_fma_f64 v[123:124], v[141:142], v[125:126], v[123:124]
	buffer_load_dword v136, off, s[0:3], 0 offset:356
	buffer_load_dword v137, off, s[0:3], 0 offset:376
	;; [unrolled: 1-line block ×7, first 2 shown]
	s_waitcnt vmcnt(23) lgkmcnt(0)
	v_fma_f64 v[123:124], v[143:144], v[127:128], v[123:124]
	s_waitcnt vmcnt(18)
	v_fma_f64 v[143:144], v[145:146], v[129:130], v[123:124]
	ds_read2_b64 v[123:126], v122 offset0:97 offset1:98
	ds_read2_b64 v[127:130], v122 offset0:99 offset1:100
	buffer_load_dword v138, off, s[0:3], 0 offset:380
	s_waitcnt vmcnt(18) lgkmcnt(1)
	v_fma_f64 v[123:124], v[151:152], v[123:124], v[143:144]
	s_waitcnt vmcnt(17)
	v_fma_f64 v[123:124], v[149:150], v[125:126], v[123:124]
	buffer_load_dword v144, off, s[0:3], 0 offset:388
	buffer_load_dword v145, off, s[0:3], 0 offset:408
	buffer_load_dword v149, off, s[0:3], 0 offset:400
	buffer_load_dword v151, off, s[0:3], 0 offset:392
	buffer_load_dword v143, off, s[0:3], 0 offset:384
	buffer_load_dword v152, off, s[0:3], 0 offset:396
	buffer_load_dword v150, off, s[0:3], 0 offset:404
	buffer_load_dword v146, off, s[0:3], 0 offset:412
	s_waitcnt vmcnt(24) lgkmcnt(0)
	v_fma_f64 v[123:124], v[147:148], v[127:128], v[123:124]
	s_waitcnt vmcnt(19)
	v_fma_f64 v[131:132], v[131:132], v[129:130], v[123:124]
	ds_read2_b64 v[123:126], v122 offset0:101 offset1:102
	ds_read2_b64 v[127:130], v122 offset0:103 offset1:104
	s_waitcnt vmcnt(18) lgkmcnt(1)
	v_fma_f64 v[123:124], v[155:156], v[123:124], v[131:132]
	s_waitcnt vmcnt(17)
	v_fma_f64 v[123:124], v[153:154], v[125:126], v[123:124]
	buffer_load_dword v132, off, s[0:3], 0 offset:420
	buffer_load_dword v147, off, s[0:3], 0 offset:440
	buffer_load_dword v153, off, s[0:3], 0 offset:432
	buffer_load_dword v155, off, s[0:3], 0 offset:424
	buffer_load_dword v131, off, s[0:3], 0 offset:416
	buffer_load_dword v156, off, s[0:3], 0 offset:428
	buffer_load_dword v154, off, s[0:3], 0 offset:436
	buffer_load_dword v148, off, s[0:3], 0 offset:444
	s_waitcnt vmcnt(24) lgkmcnt(0)
	v_fma_f64 v[123:124], v[133:134], v[127:128], v[123:124]
	s_waitcnt vmcnt(19)
	v_fma_f64 v[133:134], v[135:136], v[129:130], v[123:124]
	ds_read2_b64 v[123:126], v122 offset0:105 offset1:106
	ds_read2_b64 v[127:130], v122 offset0:107 offset1:108
	;; [unrolled: 18-line block ×3, first 2 shown]
	s_waitcnt vmcnt(18) lgkmcnt(1)
	v_fma_f64 v[123:124], v[151:152], v[123:124], v[137:138]
	buffer_load_dword v137, off, s[0:3], 0 offset:224
	buffer_load_dword v138, off, s[0:3], 0 offset:228
	s_waitcnt vmcnt(19)
	v_fma_f64 v[123:124], v[149:150], v[125:126], v[123:124]
	s_waitcnt vmcnt(18) lgkmcnt(0)
	v_fma_f64 v[123:124], v[145:146], v[127:128], v[123:124]
	s_waitcnt vmcnt(13)
	v_fma_f64 v[131:132], v[131:132], v[129:130], v[123:124]
	ds_read2_b64 v[123:126], v122 offset0:113 offset1:114
	ds_read2_b64 v[127:130], v122 offset0:115 offset1:116
	s_waitcnt vmcnt(12) lgkmcnt(1)
	v_fma_f64 v[123:124], v[155:156], v[123:124], v[131:132]
	s_waitcnt vmcnt(11)
	v_fma_f64 v[123:124], v[153:154], v[125:126], v[123:124]
	s_waitcnt vmcnt(10) lgkmcnt(0)
	v_fma_f64 v[123:124], v[147:148], v[127:128], v[123:124]
	s_waitcnt vmcnt(5)
	v_fma_f64 v[127:128], v[133:134], v[129:130], v[123:124]
	ds_read2_b64 v[123:126], v122 offset0:117 offset1:118
	ds_read_b64 v[129:130], v122 offset:952
	s_waitcnt vmcnt(4) lgkmcnt(1)
	v_fma_f64 v[123:124], v[141:142], v[123:124], v[127:128]
	s_waitcnt vmcnt(3)
	v_fma_f64 v[123:124], v[139:140], v[125:126], v[123:124]
	s_waitcnt vmcnt(2) lgkmcnt(0)
	v_fma_f64 v[123:124], v[135:136], v[129:130], v[123:124]
	s_waitcnt vmcnt(0)
	v_add_f64 v[123:124], v[137:138], -v[123:124]
	buffer_store_dword v124, off, s[0:3], 0 offset:228
	buffer_store_dword v123, off, s[0:3], 0 offset:224
	s_and_saveexec_b64 s[4:5], vcc
	s_cbranch_execz .LBB59_313
; %bb.312:
	buffer_load_dword v123, off, s[0:3], 0 offset:216
	buffer_load_dword v124, off, s[0:3], 0 offset:220
	s_waitcnt vmcnt(0)
	ds_write_b64 v121, v[123:124]
	buffer_store_dword v122, off, s[0:3], 0 offset:216
	buffer_store_dword v122, off, s[0:3], 0 offset:220
.LBB59_313:
	s_or_b64 exec, exec, s[4:5]
	s_waitcnt lgkmcnt(0)
	; wave barrier
	buffer_load_dword v131, off, s[0:3], 0 offset:224
	buffer_load_dword v132, off, s[0:3], 0 offset:228
	;; [unrolled: 1-line block ×22, first 2 shown]
	ds_read_b128 v[123:126], v122 offset:704
	ds_read_b128 v[127:130], v122 offset:720
	v_cmp_lt_u32_e32 vcc, 26, v0
	s_waitcnt vmcnt(20) lgkmcnt(1)
	v_fma_f64 v[123:124], v[131:132], v[123:124], 0
	s_waitcnt vmcnt(18)
	v_fma_f64 v[123:124], v[133:134], v[125:126], v[123:124]
	buffer_load_dword v132, off, s[0:3], 0 offset:316
	buffer_load_dword v133, off, s[0:3], 0 offset:336
	;; [unrolled: 1-line block ×7, first 2 shown]
	s_waitcnt vmcnt(23) lgkmcnt(0)
	v_fma_f64 v[123:124], v[135:136], v[127:128], v[123:124]
	s_waitcnt vmcnt(21)
	v_fma_f64 v[134:135], v[137:138], v[129:130], v[123:124]
	ds_read_b128 v[123:126], v122 offset:736
	ds_read_b128 v[127:130], v122 offset:752
	s_waitcnt vmcnt(19) lgkmcnt(1)
	v_fma_f64 v[123:124], v[139:140], v[123:124], v[134:135]
	buffer_load_dword v134, off, s[0:3], 0 offset:340
	s_waitcnt vmcnt(18)
	v_fma_f64 v[123:124], v[141:142], v[125:126], v[123:124]
	buffer_load_dword v136, off, s[0:3], 0 offset:348
	buffer_load_dword v137, off, s[0:3], 0 offset:368
	;; [unrolled: 1-line block ×7, first 2 shown]
	s_waitcnt vmcnt(23) lgkmcnt(0)
	v_fma_f64 v[123:124], v[143:144], v[127:128], v[123:124]
	s_waitcnt vmcnt(18)
	v_fma_f64 v[143:144], v[145:146], v[129:130], v[123:124]
	ds_read_b128 v[123:126], v122 offset:768
	ds_read_b128 v[127:130], v122 offset:784
	buffer_load_dword v138, off, s[0:3], 0 offset:372
	s_waitcnt vmcnt(18) lgkmcnt(1)
	v_fma_f64 v[123:124], v[151:152], v[123:124], v[143:144]
	s_waitcnt vmcnt(17)
	v_fma_f64 v[123:124], v[149:150], v[125:126], v[123:124]
	buffer_load_dword v144, off, s[0:3], 0 offset:380
	buffer_load_dword v145, off, s[0:3], 0 offset:400
	buffer_load_dword v149, off, s[0:3], 0 offset:392
	buffer_load_dword v151, off, s[0:3], 0 offset:384
	buffer_load_dword v143, off, s[0:3], 0 offset:376
	buffer_load_dword v152, off, s[0:3], 0 offset:388
	buffer_load_dword v150, off, s[0:3], 0 offset:396
	buffer_load_dword v146, off, s[0:3], 0 offset:404
	s_waitcnt vmcnt(24) lgkmcnt(0)
	v_fma_f64 v[123:124], v[147:148], v[127:128], v[123:124]
	s_waitcnt vmcnt(19)
	v_fma_f64 v[131:132], v[131:132], v[129:130], v[123:124]
	ds_read_b128 v[123:126], v122 offset:800
	ds_read_b128 v[127:130], v122 offset:816
	s_waitcnt vmcnt(18) lgkmcnt(1)
	v_fma_f64 v[123:124], v[155:156], v[123:124], v[131:132]
	s_waitcnt vmcnt(17)
	v_fma_f64 v[123:124], v[153:154], v[125:126], v[123:124]
	buffer_load_dword v132, off, s[0:3], 0 offset:412
	buffer_load_dword v147, off, s[0:3], 0 offset:432
	buffer_load_dword v153, off, s[0:3], 0 offset:424
	buffer_load_dword v155, off, s[0:3], 0 offset:416
	buffer_load_dword v131, off, s[0:3], 0 offset:408
	buffer_load_dword v156, off, s[0:3], 0 offset:420
	buffer_load_dword v154, off, s[0:3], 0 offset:428
	buffer_load_dword v148, off, s[0:3], 0 offset:436
	s_waitcnt vmcnt(24) lgkmcnt(0)
	v_fma_f64 v[123:124], v[133:134], v[127:128], v[123:124]
	s_waitcnt vmcnt(19)
	v_fma_f64 v[133:134], v[135:136], v[129:130], v[123:124]
	ds_read_b128 v[123:126], v122 offset:832
	ds_read_b128 v[127:130], v122 offset:848
	;; [unrolled: 18-line block ×3, first 2 shown]
	s_waitcnt vmcnt(18) lgkmcnt(1)
	v_fma_f64 v[123:124], v[151:152], v[123:124], v[137:138]
	buffer_load_dword v138, off, s[0:3], 0 offset:476
	buffer_load_dword v137, off, s[0:3], 0 offset:472
	;; [unrolled: 1-line block ×4, first 2 shown]
	s_waitcnt vmcnt(21)
	v_fma_f64 v[123:124], v[149:150], v[125:126], v[123:124]
	s_waitcnt vmcnt(20) lgkmcnt(0)
	v_fma_f64 v[123:124], v[145:146], v[127:128], v[123:124]
	s_waitcnt vmcnt(15)
	v_fma_f64 v[131:132], v[131:132], v[129:130], v[123:124]
	ds_read_b128 v[123:126], v122 offset:896
	ds_read_b128 v[127:130], v122 offset:912
	s_waitcnt vmcnt(14) lgkmcnt(1)
	v_fma_f64 v[123:124], v[155:156], v[123:124], v[131:132]
	s_waitcnt vmcnt(13)
	v_fma_f64 v[123:124], v[153:154], v[125:126], v[123:124]
	s_waitcnt vmcnt(12) lgkmcnt(0)
	v_fma_f64 v[123:124], v[147:148], v[127:128], v[123:124]
	s_waitcnt vmcnt(7)
	v_fma_f64 v[131:132], v[133:134], v[129:130], v[123:124]
	ds_read_b128 v[123:126], v122 offset:928
	ds_read_b128 v[127:130], v122 offset:944
	s_waitcnt vmcnt(6) lgkmcnt(1)
	v_fma_f64 v[122:123], v[141:142], v[123:124], v[131:132]
	s_waitcnt vmcnt(5)
	v_fma_f64 v[122:123], v[139:140], v[125:126], v[122:123]
	s_waitcnt vmcnt(4) lgkmcnt(0)
	v_fma_f64 v[122:123], v[135:136], v[127:128], v[122:123]
	s_waitcnt vmcnt(2)
	v_fma_f64 v[122:123], v[137:138], v[129:130], v[122:123]
	s_waitcnt vmcnt(0)
	v_add_f64 v[122:123], v[143:144], -v[122:123]
	buffer_store_dword v123, off, s[0:3], 0 offset:220
	buffer_store_dword v122, off, s[0:3], 0 offset:216
	s_and_saveexec_b64 s[4:5], vcc
	s_cbranch_execz .LBB59_315
; %bb.314:
	buffer_load_dword v122, off, s[0:3], 0 offset:208
	buffer_load_dword v123, off, s[0:3], 0 offset:212
	v_mov_b32_e32 v124, 0
	buffer_store_dword v124, off, s[0:3], 0 offset:208
	buffer_store_dword v124, off, s[0:3], 0 offset:212
	s_waitcnt vmcnt(2)
	ds_write_b64 v121, v[122:123]
.LBB59_315:
	s_or_b64 exec, exec, s[4:5]
	s_waitcnt lgkmcnt(0)
	; wave barrier
	buffer_load_dword v131, off, s[0:3], 0 offset:216
	buffer_load_dword v132, off, s[0:3], 0 offset:220
	buffer_load_dword v133, off, s[0:3], 0 offset:224
	buffer_load_dword v134, off, s[0:3], 0 offset:228
	buffer_load_dword v135, off, s[0:3], 0 offset:232
	buffer_load_dword v136, off, s[0:3], 0 offset:236
	buffer_load_dword v137, off, s[0:3], 0 offset:240
	buffer_load_dword v138, off, s[0:3], 0 offset:244
	buffer_load_dword v139, off, s[0:3], 0 offset:248
	buffer_load_dword v140, off, s[0:3], 0 offset:252
	buffer_load_dword v141, off, s[0:3], 0 offset:256
	buffer_load_dword v142, off, s[0:3], 0 offset:260
	buffer_load_dword v143, off, s[0:3], 0 offset:264
	buffer_load_dword v144, off, s[0:3], 0 offset:268
	buffer_load_dword v146, off, s[0:3], 0 offset:276
	buffer_load_dword v147, off, s[0:3], 0 offset:296
	buffer_load_dword v149, off, s[0:3], 0 offset:288
	buffer_load_dword v151, off, s[0:3], 0 offset:280
	buffer_load_dword v145, off, s[0:3], 0 offset:272
	buffer_load_dword v152, off, s[0:3], 0 offset:284
	buffer_load_dword v150, off, s[0:3], 0 offset:292
	v_mov_b32_e32 v122, 0
	ds_read2_b64 v[123:126], v122 offset0:87 offset1:88
	ds_read2_b64 v[127:130], v122 offset0:89 offset1:90
	buffer_load_dword v148, off, s[0:3], 0 offset:300
	v_cmp_lt_u32_e32 vcc, 25, v0
	s_waitcnt vmcnt(20) lgkmcnt(1)
	v_fma_f64 v[123:124], v[131:132], v[123:124], 0
	s_waitcnt vmcnt(18)
	v_fma_f64 v[123:124], v[133:134], v[125:126], v[123:124]
	buffer_load_dword v132, off, s[0:3], 0 offset:308
	buffer_load_dword v133, off, s[0:3], 0 offset:328
	;; [unrolled: 1-line block ×7, first 2 shown]
	s_waitcnt vmcnt(23) lgkmcnt(0)
	v_fma_f64 v[123:124], v[135:136], v[127:128], v[123:124]
	s_waitcnt vmcnt(21)
	v_fma_f64 v[134:135], v[137:138], v[129:130], v[123:124]
	ds_read2_b64 v[123:126], v122 offset0:91 offset1:92
	ds_read2_b64 v[127:130], v122 offset0:93 offset1:94
	s_waitcnt vmcnt(19) lgkmcnt(1)
	v_fma_f64 v[123:124], v[139:140], v[123:124], v[134:135]
	buffer_load_dword v134, off, s[0:3], 0 offset:332
	s_waitcnt vmcnt(18)
	v_fma_f64 v[123:124], v[141:142], v[125:126], v[123:124]
	buffer_load_dword v136, off, s[0:3], 0 offset:340
	buffer_load_dword v137, off, s[0:3], 0 offset:360
	;; [unrolled: 1-line block ×7, first 2 shown]
	s_waitcnt vmcnt(23) lgkmcnt(0)
	v_fma_f64 v[123:124], v[143:144], v[127:128], v[123:124]
	s_waitcnt vmcnt(18)
	v_fma_f64 v[143:144], v[145:146], v[129:130], v[123:124]
	ds_read2_b64 v[123:126], v122 offset0:95 offset1:96
	ds_read2_b64 v[127:130], v122 offset0:97 offset1:98
	buffer_load_dword v138, off, s[0:3], 0 offset:364
	s_waitcnt vmcnt(18) lgkmcnt(1)
	v_fma_f64 v[123:124], v[151:152], v[123:124], v[143:144]
	s_waitcnt vmcnt(17)
	v_fma_f64 v[123:124], v[149:150], v[125:126], v[123:124]
	buffer_load_dword v144, off, s[0:3], 0 offset:372
	buffer_load_dword v145, off, s[0:3], 0 offset:392
	;; [unrolled: 1-line block ×7, first 2 shown]
	s_waitcnt vmcnt(23) lgkmcnt(0)
	v_fma_f64 v[123:124], v[147:148], v[127:128], v[123:124]
	s_waitcnt vmcnt(18)
	v_fma_f64 v[131:132], v[131:132], v[129:130], v[123:124]
	ds_read2_b64 v[123:126], v122 offset0:99 offset1:100
	ds_read2_b64 v[127:130], v122 offset0:101 offset1:102
	buffer_load_dword v146, off, s[0:3], 0 offset:396
	s_waitcnt vmcnt(18) lgkmcnt(1)
	v_fma_f64 v[123:124], v[155:156], v[123:124], v[131:132]
	s_waitcnt vmcnt(17)
	v_fma_f64 v[123:124], v[153:154], v[125:126], v[123:124]
	buffer_load_dword v132, off, s[0:3], 0 offset:404
	buffer_load_dword v147, off, s[0:3], 0 offset:424
	;; [unrolled: 1-line block ×8, first 2 shown]
	s_waitcnt vmcnt(24) lgkmcnt(0)
	v_fma_f64 v[123:124], v[133:134], v[127:128], v[123:124]
	s_waitcnt vmcnt(19)
	v_fma_f64 v[133:134], v[135:136], v[129:130], v[123:124]
	ds_read2_b64 v[123:126], v122 offset0:103 offset1:104
	ds_read2_b64 v[127:130], v122 offset0:105 offset1:106
	s_waitcnt vmcnt(18) lgkmcnt(1)
	v_fma_f64 v[123:124], v[141:142], v[123:124], v[133:134]
	s_waitcnt vmcnt(17)
	v_fma_f64 v[123:124], v[139:140], v[125:126], v[123:124]
	buffer_load_dword v134, off, s[0:3], 0 offset:436
	buffer_load_dword v135, off, s[0:3], 0 offset:456
	;; [unrolled: 1-line block ×7, first 2 shown]
	s_waitcnt vmcnt(23) lgkmcnt(0)
	v_fma_f64 v[123:124], v[137:138], v[127:128], v[123:124]
	s_waitcnt vmcnt(18)
	v_fma_f64 v[136:137], v[143:144], v[129:130], v[123:124]
	ds_read2_b64 v[123:126], v122 offset0:107 offset1:108
	ds_read2_b64 v[127:130], v122 offset0:109 offset1:110
	s_waitcnt vmcnt(17) lgkmcnt(1)
	v_fma_f64 v[123:124], v[151:152], v[123:124], v[136:137]
	buffer_load_dword v136, off, s[0:3], 0 offset:460
	buffer_load_dword v138, off, s[0:3], 0 offset:468
	buffer_load_dword v143, off, s[0:3], 0 offset:472
	buffer_load_dword v137, off, s[0:3], 0 offset:464
	buffer_load_dword v144, off, s[0:3], 0 offset:476
	s_waitcnt vmcnt(21)
	v_fma_f64 v[123:124], v[149:150], v[125:126], v[123:124]
	s_waitcnt vmcnt(20) lgkmcnt(0)
	v_fma_f64 v[123:124], v[145:146], v[127:128], v[123:124]
	buffer_load_dword v145, off, s[0:3], 0 offset:208
	buffer_load_dword v146, off, s[0:3], 0 offset:212
	s_waitcnt vmcnt(17)
	v_fma_f64 v[131:132], v[131:132], v[129:130], v[123:124]
	ds_read2_b64 v[123:126], v122 offset0:111 offset1:112
	ds_read2_b64 v[127:130], v122 offset0:113 offset1:114
	s_waitcnt vmcnt(16) lgkmcnt(1)
	v_fma_f64 v[123:124], v[155:156], v[123:124], v[131:132]
	s_waitcnt vmcnt(15)
	v_fma_f64 v[123:124], v[153:154], v[125:126], v[123:124]
	s_waitcnt vmcnt(14) lgkmcnt(0)
	v_fma_f64 v[123:124], v[147:148], v[127:128], v[123:124]
	s_waitcnt vmcnt(9)
	v_fma_f64 v[131:132], v[133:134], v[129:130], v[123:124]
	ds_read2_b64 v[123:126], v122 offset0:115 offset1:116
	ds_read2_b64 v[127:130], v122 offset0:117 offset1:118
	s_waitcnt vmcnt(8) lgkmcnt(1)
	v_fma_f64 v[123:124], v[141:142], v[123:124], v[131:132]
	s_waitcnt vmcnt(7)
	v_fma_f64 v[123:124], v[139:140], v[125:126], v[123:124]
	ds_read_b64 v[125:126], v122 offset:952
	s_waitcnt vmcnt(6) lgkmcnt(1)
	v_fma_f64 v[123:124], v[135:136], v[127:128], v[123:124]
	s_waitcnt vmcnt(3)
	v_fma_f64 v[123:124], v[137:138], v[129:130], v[123:124]
	s_waitcnt vmcnt(2) lgkmcnt(0)
	v_fma_f64 v[123:124], v[143:144], v[125:126], v[123:124]
	s_waitcnt vmcnt(0)
	v_add_f64 v[123:124], v[145:146], -v[123:124]
	buffer_store_dword v124, off, s[0:3], 0 offset:212
	buffer_store_dword v123, off, s[0:3], 0 offset:208
	s_and_saveexec_b64 s[4:5], vcc
	s_cbranch_execz .LBB59_317
; %bb.316:
	buffer_load_dword v123, off, s[0:3], 0 offset:200
	buffer_load_dword v124, off, s[0:3], 0 offset:204
	s_waitcnt vmcnt(0)
	ds_write_b64 v121, v[123:124]
	buffer_store_dword v122, off, s[0:3], 0 offset:200
	buffer_store_dword v122, off, s[0:3], 0 offset:204
.LBB59_317:
	s_or_b64 exec, exec, s[4:5]
	s_waitcnt lgkmcnt(0)
	; wave barrier
	buffer_load_dword v131, off, s[0:3], 0 offset:208
	buffer_load_dword v132, off, s[0:3], 0 offset:212
	;; [unrolled: 1-line block ×21, first 2 shown]
	ds_read_b128 v[123:126], v122 offset:688
	ds_read_b128 v[127:130], v122 offset:704
	buffer_load_dword v148, off, s[0:3], 0 offset:292
	v_cmp_lt_u32_e32 vcc, 24, v0
	s_waitcnt vmcnt(20) lgkmcnt(1)
	v_fma_f64 v[123:124], v[131:132], v[123:124], 0
	s_waitcnt vmcnt(18)
	v_fma_f64 v[123:124], v[133:134], v[125:126], v[123:124]
	buffer_load_dword v132, off, s[0:3], 0 offset:300
	buffer_load_dword v133, off, s[0:3], 0 offset:320
	;; [unrolled: 1-line block ×7, first 2 shown]
	s_waitcnt vmcnt(23) lgkmcnt(0)
	v_fma_f64 v[123:124], v[135:136], v[127:128], v[123:124]
	s_waitcnt vmcnt(21)
	v_fma_f64 v[134:135], v[137:138], v[129:130], v[123:124]
	ds_read_b128 v[123:126], v122 offset:720
	ds_read_b128 v[127:130], v122 offset:736
	s_waitcnt vmcnt(19) lgkmcnt(1)
	v_fma_f64 v[123:124], v[139:140], v[123:124], v[134:135]
	buffer_load_dword v134, off, s[0:3], 0 offset:324
	s_waitcnt vmcnt(18)
	v_fma_f64 v[123:124], v[141:142], v[125:126], v[123:124]
	buffer_load_dword v136, off, s[0:3], 0 offset:332
	buffer_load_dword v137, off, s[0:3], 0 offset:352
	;; [unrolled: 1-line block ×8, first 2 shown]
	s_waitcnt vmcnt(24) lgkmcnt(0)
	v_fma_f64 v[123:124], v[143:144], v[127:128], v[123:124]
	s_waitcnt vmcnt(19)
	v_fma_f64 v[143:144], v[145:146], v[129:130], v[123:124]
	ds_read_b128 v[123:126], v122 offset:752
	ds_read_b128 v[127:130], v122 offset:768
	s_waitcnt vmcnt(18) lgkmcnt(1)
	v_fma_f64 v[123:124], v[151:152], v[123:124], v[143:144]
	s_waitcnt vmcnt(17)
	v_fma_f64 v[123:124], v[149:150], v[125:126], v[123:124]
	buffer_load_dword v144, off, s[0:3], 0 offset:364
	buffer_load_dword v145, off, s[0:3], 0 offset:384
	buffer_load_dword v149, off, s[0:3], 0 offset:376
	buffer_load_dword v151, off, s[0:3], 0 offset:368
	buffer_load_dword v143, off, s[0:3], 0 offset:360
	buffer_load_dword v152, off, s[0:3], 0 offset:372
	buffer_load_dword v150, off, s[0:3], 0 offset:380
	s_waitcnt vmcnt(23) lgkmcnt(0)
	v_fma_f64 v[123:124], v[147:148], v[127:128], v[123:124]
	s_waitcnt vmcnt(18)
	v_fma_f64 v[131:132], v[131:132], v[129:130], v[123:124]
	ds_read_b128 v[123:126], v122 offset:784
	ds_read_b128 v[127:130], v122 offset:800
	buffer_load_dword v146, off, s[0:3], 0 offset:388
	s_waitcnt vmcnt(18) lgkmcnt(1)
	v_fma_f64 v[123:124], v[155:156], v[123:124], v[131:132]
	s_waitcnt vmcnt(17)
	v_fma_f64 v[123:124], v[153:154], v[125:126], v[123:124]
	buffer_load_dword v132, off, s[0:3], 0 offset:396
	buffer_load_dword v147, off, s[0:3], 0 offset:416
	;; [unrolled: 1-line block ×8, first 2 shown]
	s_waitcnt vmcnt(24) lgkmcnt(0)
	v_fma_f64 v[123:124], v[133:134], v[127:128], v[123:124]
	s_waitcnt vmcnt(19)
	v_fma_f64 v[133:134], v[135:136], v[129:130], v[123:124]
	ds_read_b128 v[123:126], v122 offset:816
	ds_read_b128 v[127:130], v122 offset:832
	s_waitcnt vmcnt(18) lgkmcnt(1)
	v_fma_f64 v[123:124], v[141:142], v[123:124], v[133:134]
	s_waitcnt vmcnt(17)
	v_fma_f64 v[123:124], v[139:140], v[125:126], v[123:124]
	buffer_load_dword v134, off, s[0:3], 0 offset:428
	buffer_load_dword v135, off, s[0:3], 0 offset:448
	;; [unrolled: 1-line block ×7, first 2 shown]
	s_waitcnt vmcnt(23) lgkmcnt(0)
	v_fma_f64 v[123:124], v[137:138], v[127:128], v[123:124]
	s_waitcnt vmcnt(18)
	v_fma_f64 v[136:137], v[143:144], v[129:130], v[123:124]
	ds_read_b128 v[123:126], v122 offset:848
	ds_read_b128 v[127:130], v122 offset:864
	s_waitcnt vmcnt(17) lgkmcnt(1)
	v_fma_f64 v[123:124], v[151:152], v[123:124], v[136:137]
	buffer_load_dword v136, off, s[0:3], 0 offset:452
	s_waitcnt vmcnt(17)
	v_fma_f64 v[123:124], v[149:150], v[125:126], v[123:124]
	buffer_load_dword v138, off, s[0:3], 0 offset:460
	buffer_load_dword v143, off, s[0:3], 0 offset:472
	;; [unrolled: 1-line block ×6, first 2 shown]
	s_waitcnt vmcnt(22) lgkmcnt(0)
	v_fma_f64 v[123:124], v[145:146], v[127:128], v[123:124]
	s_waitcnt vmcnt(17)
	v_fma_f64 v[131:132], v[131:132], v[129:130], v[123:124]
	ds_read_b128 v[123:126], v122 offset:880
	buffer_load_dword v145, off, s[0:3], 0 offset:200
	buffer_load_dword v146, off, s[0:3], 0 offset:204
	ds_read_b128 v[127:130], v122 offset:896
	s_waitcnt vmcnt(18) lgkmcnt(1)
	v_fma_f64 v[123:124], v[155:156], v[123:124], v[131:132]
	s_waitcnt vmcnt(17)
	v_fma_f64 v[123:124], v[153:154], v[125:126], v[123:124]
	s_waitcnt vmcnt(16) lgkmcnt(0)
	v_fma_f64 v[123:124], v[147:148], v[127:128], v[123:124]
	s_waitcnt vmcnt(11)
	v_fma_f64 v[131:132], v[133:134], v[129:130], v[123:124]
	ds_read_b128 v[123:126], v122 offset:912
	ds_read_b128 v[127:130], v122 offset:928
	s_waitcnt vmcnt(10) lgkmcnt(1)
	v_fma_f64 v[123:124], v[141:142], v[123:124], v[131:132]
	s_waitcnt vmcnt(9)
	v_fma_f64 v[123:124], v[139:140], v[125:126], v[123:124]
	s_waitcnt vmcnt(8) lgkmcnt(0)
	v_fma_f64 v[123:124], v[135:136], v[127:128], v[123:124]
	s_waitcnt vmcnt(4)
	v_fma_f64 v[126:127], v[137:138], v[129:130], v[123:124]
	ds_read_b128 v[122:125], v122 offset:944
	s_waitcnt vmcnt(3) lgkmcnt(0)
	v_fma_f64 v[122:123], v[149:150], v[122:123], v[126:127]
	s_waitcnt vmcnt(2)
	v_fma_f64 v[122:123], v[143:144], v[124:125], v[122:123]
	s_waitcnt vmcnt(0)
	v_add_f64 v[122:123], v[145:146], -v[122:123]
	buffer_store_dword v123, off, s[0:3], 0 offset:204
	buffer_store_dword v122, off, s[0:3], 0 offset:200
	s_and_saveexec_b64 s[4:5], vcc
	s_cbranch_execz .LBB59_319
; %bb.318:
	buffer_load_dword v122, off, s[0:3], 0 offset:192
	buffer_load_dword v123, off, s[0:3], 0 offset:196
	v_mov_b32_e32 v124, 0
	buffer_store_dword v124, off, s[0:3], 0 offset:192
	buffer_store_dword v124, off, s[0:3], 0 offset:196
	s_waitcnt vmcnt(2)
	ds_write_b64 v121, v[122:123]
.LBB59_319:
	s_or_b64 exec, exec, s[4:5]
	s_waitcnt lgkmcnt(0)
	; wave barrier
	buffer_load_dword v131, off, s[0:3], 0 offset:200
	buffer_load_dword v132, off, s[0:3], 0 offset:204
	;; [unrolled: 1-line block ×21, first 2 shown]
	v_mov_b32_e32 v122, 0
	ds_read2_b64 v[123:126], v122 offset0:85 offset1:86
	ds_read2_b64 v[127:130], v122 offset0:87 offset1:88
	buffer_load_dword v148, off, s[0:3], 0 offset:284
	v_cmp_lt_u32_e32 vcc, 23, v0
	s_waitcnt vmcnt(20) lgkmcnt(1)
	v_fma_f64 v[123:124], v[131:132], v[123:124], 0
	s_waitcnt vmcnt(18)
	v_fma_f64 v[123:124], v[133:134], v[125:126], v[123:124]
	buffer_load_dword v132, off, s[0:3], 0 offset:292
	buffer_load_dword v133, off, s[0:3], 0 offset:312
	;; [unrolled: 1-line block ×7, first 2 shown]
	s_waitcnt vmcnt(23) lgkmcnt(0)
	v_fma_f64 v[123:124], v[135:136], v[127:128], v[123:124]
	s_waitcnt vmcnt(21)
	v_fma_f64 v[134:135], v[137:138], v[129:130], v[123:124]
	ds_read2_b64 v[123:126], v122 offset0:89 offset1:90
	ds_read2_b64 v[127:130], v122 offset0:91 offset1:92
	s_waitcnt vmcnt(19) lgkmcnt(1)
	v_fma_f64 v[123:124], v[139:140], v[123:124], v[134:135]
	buffer_load_dword v134, off, s[0:3], 0 offset:316
	s_waitcnt vmcnt(18)
	v_fma_f64 v[123:124], v[141:142], v[125:126], v[123:124]
	buffer_load_dword v136, off, s[0:3], 0 offset:324
	buffer_load_dword v137, off, s[0:3], 0 offset:344
	;; [unrolled: 1-line block ×8, first 2 shown]
	s_waitcnt vmcnt(24) lgkmcnt(0)
	v_fma_f64 v[123:124], v[143:144], v[127:128], v[123:124]
	s_waitcnt vmcnt(19)
	v_fma_f64 v[143:144], v[145:146], v[129:130], v[123:124]
	ds_read2_b64 v[123:126], v122 offset0:93 offset1:94
	ds_read2_b64 v[127:130], v122 offset0:95 offset1:96
	s_waitcnt vmcnt(18) lgkmcnt(1)
	v_fma_f64 v[123:124], v[151:152], v[123:124], v[143:144]
	s_waitcnt vmcnt(17)
	v_fma_f64 v[123:124], v[149:150], v[125:126], v[123:124]
	buffer_load_dword v144, off, s[0:3], 0 offset:356
	buffer_load_dword v145, off, s[0:3], 0 offset:376
	;; [unrolled: 1-line block ×7, first 2 shown]
	s_waitcnt vmcnt(23) lgkmcnt(0)
	v_fma_f64 v[123:124], v[147:148], v[127:128], v[123:124]
	s_waitcnt vmcnt(18)
	v_fma_f64 v[131:132], v[131:132], v[129:130], v[123:124]
	ds_read2_b64 v[123:126], v122 offset0:97 offset1:98
	ds_read2_b64 v[127:130], v122 offset0:99 offset1:100
	buffer_load_dword v146, off, s[0:3], 0 offset:380
	s_waitcnt vmcnt(18) lgkmcnt(1)
	v_fma_f64 v[123:124], v[155:156], v[123:124], v[131:132]
	s_waitcnt vmcnt(17)
	v_fma_f64 v[123:124], v[153:154], v[125:126], v[123:124]
	buffer_load_dword v132, off, s[0:3], 0 offset:388
	buffer_load_dword v147, off, s[0:3], 0 offset:408
	;; [unrolled: 1-line block ×8, first 2 shown]
	s_waitcnt vmcnt(24) lgkmcnt(0)
	v_fma_f64 v[123:124], v[133:134], v[127:128], v[123:124]
	s_waitcnt vmcnt(19)
	v_fma_f64 v[133:134], v[135:136], v[129:130], v[123:124]
	ds_read2_b64 v[123:126], v122 offset0:101 offset1:102
	ds_read2_b64 v[127:130], v122 offset0:103 offset1:104
	s_waitcnt vmcnt(18) lgkmcnt(1)
	v_fma_f64 v[123:124], v[141:142], v[123:124], v[133:134]
	s_waitcnt vmcnt(17)
	v_fma_f64 v[123:124], v[139:140], v[125:126], v[123:124]
	buffer_load_dword v134, off, s[0:3], 0 offset:420
	buffer_load_dword v135, off, s[0:3], 0 offset:440
	;; [unrolled: 1-line block ×7, first 2 shown]
	s_waitcnt vmcnt(23) lgkmcnt(0)
	v_fma_f64 v[123:124], v[137:138], v[127:128], v[123:124]
	s_waitcnt vmcnt(18)
	v_fma_f64 v[136:137], v[143:144], v[129:130], v[123:124]
	ds_read2_b64 v[123:126], v122 offset0:105 offset1:106
	ds_read2_b64 v[127:130], v122 offset0:107 offset1:108
	s_waitcnt vmcnt(17) lgkmcnt(1)
	v_fma_f64 v[123:124], v[151:152], v[123:124], v[136:137]
	buffer_load_dword v136, off, s[0:3], 0 offset:444
	s_waitcnt vmcnt(17)
	v_fma_f64 v[123:124], v[149:150], v[125:126], v[123:124]
	buffer_load_dword v138, off, s[0:3], 0 offset:452
	buffer_load_dword v143, off, s[0:3], 0 offset:472
	;; [unrolled: 1-line block ×8, first 2 shown]
	s_waitcnt vmcnt(24) lgkmcnt(0)
	v_fma_f64 v[123:124], v[145:146], v[127:128], v[123:124]
	s_waitcnt vmcnt(19)
	v_fma_f64 v[131:132], v[131:132], v[129:130], v[123:124]
	ds_read2_b64 v[123:126], v122 offset0:109 offset1:110
	ds_read2_b64 v[127:130], v122 offset0:111 offset1:112
	s_waitcnt vmcnt(18) lgkmcnt(1)
	v_fma_f64 v[123:124], v[155:156], v[123:124], v[131:132]
	buffer_load_dword v131, off, s[0:3], 0 offset:192
	buffer_load_dword v132, off, s[0:3], 0 offset:196
	s_waitcnt vmcnt(19)
	v_fma_f64 v[123:124], v[153:154], v[125:126], v[123:124]
	s_waitcnt vmcnt(18) lgkmcnt(0)
	v_fma_f64 v[123:124], v[147:148], v[127:128], v[123:124]
	s_waitcnt vmcnt(13)
	v_fma_f64 v[133:134], v[133:134], v[129:130], v[123:124]
	ds_read2_b64 v[123:126], v122 offset0:113 offset1:114
	ds_read2_b64 v[127:130], v122 offset0:115 offset1:116
	s_waitcnt vmcnt(12) lgkmcnt(1)
	v_fma_f64 v[123:124], v[141:142], v[123:124], v[133:134]
	s_waitcnt vmcnt(11)
	v_fma_f64 v[123:124], v[139:140], v[125:126], v[123:124]
	s_waitcnt vmcnt(10) lgkmcnt(0)
	v_fma_f64 v[123:124], v[135:136], v[127:128], v[123:124]
	s_waitcnt vmcnt(5)
	v_fma_f64 v[127:128], v[137:138], v[129:130], v[123:124]
	ds_read2_b64 v[123:126], v122 offset0:117 offset1:118
	ds_read_b64 v[129:130], v122 offset:952
	s_waitcnt vmcnt(4) lgkmcnt(1)
	v_fma_f64 v[123:124], v[151:152], v[123:124], v[127:128]
	s_waitcnt vmcnt(3)
	v_fma_f64 v[123:124], v[149:150], v[125:126], v[123:124]
	s_waitcnt vmcnt(2) lgkmcnt(0)
	v_fma_f64 v[123:124], v[143:144], v[129:130], v[123:124]
	s_waitcnt vmcnt(0)
	v_add_f64 v[123:124], v[131:132], -v[123:124]
	buffer_store_dword v124, off, s[0:3], 0 offset:196
	buffer_store_dword v123, off, s[0:3], 0 offset:192
	s_and_saveexec_b64 s[4:5], vcc
	s_cbranch_execz .LBB59_321
; %bb.320:
	buffer_load_dword v123, off, s[0:3], 0 offset:184
	buffer_load_dword v124, off, s[0:3], 0 offset:188
	s_waitcnt vmcnt(0)
	ds_write_b64 v121, v[123:124]
	buffer_store_dword v122, off, s[0:3], 0 offset:184
	buffer_store_dword v122, off, s[0:3], 0 offset:188
.LBB59_321:
	s_or_b64 exec, exec, s[4:5]
	s_waitcnt lgkmcnt(0)
	; wave barrier
	buffer_load_dword v131, off, s[0:3], 0 offset:192
	buffer_load_dword v132, off, s[0:3], 0 offset:196
	;; [unrolled: 1-line block ×21, first 2 shown]
	ds_read_b128 v[123:126], v122 offset:672
	ds_read_b128 v[127:130], v122 offset:688
	buffer_load_dword v148, off, s[0:3], 0 offset:276
	v_cmp_lt_u32_e32 vcc, 22, v0
	s_waitcnt vmcnt(20) lgkmcnt(1)
	v_fma_f64 v[123:124], v[131:132], v[123:124], 0
	s_waitcnt vmcnt(18)
	v_fma_f64 v[123:124], v[133:134], v[125:126], v[123:124]
	buffer_load_dword v132, off, s[0:3], 0 offset:284
	buffer_load_dword v133, off, s[0:3], 0 offset:304
	buffer_load_dword v153, off, s[0:3], 0 offset:296
	buffer_load_dword v155, off, s[0:3], 0 offset:288
	buffer_load_dword v131, off, s[0:3], 0 offset:280
	buffer_load_dword v156, off, s[0:3], 0 offset:292
	buffer_load_dword v154, off, s[0:3], 0 offset:300
	s_waitcnt vmcnt(23) lgkmcnt(0)
	v_fma_f64 v[123:124], v[135:136], v[127:128], v[123:124]
	s_waitcnt vmcnt(21)
	v_fma_f64 v[134:135], v[137:138], v[129:130], v[123:124]
	ds_read_b128 v[123:126], v122 offset:704
	ds_read_b128 v[127:130], v122 offset:720
	s_waitcnt vmcnt(19) lgkmcnt(1)
	v_fma_f64 v[123:124], v[139:140], v[123:124], v[134:135]
	buffer_load_dword v134, off, s[0:3], 0 offset:308
	s_waitcnt vmcnt(18)
	v_fma_f64 v[123:124], v[141:142], v[125:126], v[123:124]
	buffer_load_dword v136, off, s[0:3], 0 offset:316
	buffer_load_dword v137, off, s[0:3], 0 offset:336
	;; [unrolled: 1-line block ×8, first 2 shown]
	s_waitcnt vmcnt(24) lgkmcnt(0)
	v_fma_f64 v[123:124], v[143:144], v[127:128], v[123:124]
	s_waitcnt vmcnt(19)
	v_fma_f64 v[143:144], v[145:146], v[129:130], v[123:124]
	ds_read_b128 v[123:126], v122 offset:736
	ds_read_b128 v[127:130], v122 offset:752
	s_waitcnt vmcnt(18) lgkmcnt(1)
	v_fma_f64 v[123:124], v[151:152], v[123:124], v[143:144]
	s_waitcnt vmcnt(17)
	v_fma_f64 v[123:124], v[149:150], v[125:126], v[123:124]
	buffer_load_dword v144, off, s[0:3], 0 offset:348
	buffer_load_dword v145, off, s[0:3], 0 offset:368
	;; [unrolled: 1-line block ×7, first 2 shown]
	s_waitcnt vmcnt(23) lgkmcnt(0)
	v_fma_f64 v[123:124], v[147:148], v[127:128], v[123:124]
	s_waitcnt vmcnt(18)
	v_fma_f64 v[131:132], v[131:132], v[129:130], v[123:124]
	ds_read_b128 v[123:126], v122 offset:768
	ds_read_b128 v[127:130], v122 offset:784
	buffer_load_dword v146, off, s[0:3], 0 offset:372
	s_waitcnt vmcnt(18) lgkmcnt(1)
	v_fma_f64 v[123:124], v[155:156], v[123:124], v[131:132]
	s_waitcnt vmcnt(17)
	v_fma_f64 v[123:124], v[153:154], v[125:126], v[123:124]
	buffer_load_dword v132, off, s[0:3], 0 offset:380
	buffer_load_dword v147, off, s[0:3], 0 offset:400
	;; [unrolled: 1-line block ×8, first 2 shown]
	s_waitcnt vmcnt(24) lgkmcnt(0)
	v_fma_f64 v[123:124], v[133:134], v[127:128], v[123:124]
	s_waitcnt vmcnt(19)
	v_fma_f64 v[133:134], v[135:136], v[129:130], v[123:124]
	ds_read_b128 v[123:126], v122 offset:800
	ds_read_b128 v[127:130], v122 offset:816
	s_waitcnt vmcnt(18) lgkmcnt(1)
	v_fma_f64 v[123:124], v[141:142], v[123:124], v[133:134]
	s_waitcnt vmcnt(17)
	v_fma_f64 v[123:124], v[139:140], v[125:126], v[123:124]
	buffer_load_dword v134, off, s[0:3], 0 offset:412
	buffer_load_dword v135, off, s[0:3], 0 offset:432
	;; [unrolled: 1-line block ×7, first 2 shown]
	s_waitcnt vmcnt(23) lgkmcnt(0)
	v_fma_f64 v[123:124], v[137:138], v[127:128], v[123:124]
	s_waitcnt vmcnt(18)
	v_fma_f64 v[136:137], v[143:144], v[129:130], v[123:124]
	ds_read_b128 v[123:126], v122 offset:832
	ds_read_b128 v[127:130], v122 offset:848
	s_waitcnt vmcnt(17) lgkmcnt(1)
	v_fma_f64 v[123:124], v[151:152], v[123:124], v[136:137]
	buffer_load_dword v136, off, s[0:3], 0 offset:436
	s_waitcnt vmcnt(17)
	v_fma_f64 v[123:124], v[149:150], v[125:126], v[123:124]
	buffer_load_dword v138, off, s[0:3], 0 offset:444
	buffer_load_dword v143, off, s[0:3], 0 offset:464
	;; [unrolled: 1-line block ×8, first 2 shown]
	s_waitcnt vmcnt(24) lgkmcnt(0)
	v_fma_f64 v[123:124], v[145:146], v[127:128], v[123:124]
	s_waitcnt vmcnt(19)
	v_fma_f64 v[131:132], v[131:132], v[129:130], v[123:124]
	ds_read_b128 v[123:126], v122 offset:864
	ds_read_b128 v[127:130], v122 offset:880
	s_waitcnt vmcnt(18) lgkmcnt(1)
	v_fma_f64 v[123:124], v[155:156], v[123:124], v[131:132]
	buffer_load_dword v132, off, s[0:3], 0 offset:476
	buffer_load_dword v131, off, s[0:3], 0 offset:472
	;; [unrolled: 1-line block ×4, first 2 shown]
	s_waitcnt vmcnt(21)
	v_fma_f64 v[123:124], v[153:154], v[125:126], v[123:124]
	s_waitcnt vmcnt(20) lgkmcnt(0)
	v_fma_f64 v[123:124], v[147:148], v[127:128], v[123:124]
	s_waitcnt vmcnt(15)
	v_fma_f64 v[133:134], v[133:134], v[129:130], v[123:124]
	ds_read_b128 v[123:126], v122 offset:896
	ds_read_b128 v[127:130], v122 offset:912
	s_waitcnt vmcnt(14) lgkmcnt(1)
	v_fma_f64 v[123:124], v[141:142], v[123:124], v[133:134]
	s_waitcnt vmcnt(13)
	v_fma_f64 v[123:124], v[139:140], v[125:126], v[123:124]
	s_waitcnt vmcnt(12) lgkmcnt(0)
	v_fma_f64 v[123:124], v[135:136], v[127:128], v[123:124]
	s_waitcnt vmcnt(7)
	v_fma_f64 v[133:134], v[137:138], v[129:130], v[123:124]
	ds_read_b128 v[123:126], v122 offset:928
	ds_read_b128 v[127:130], v122 offset:944
	s_waitcnt vmcnt(6) lgkmcnt(1)
	v_fma_f64 v[122:123], v[151:152], v[123:124], v[133:134]
	s_waitcnt vmcnt(5)
	v_fma_f64 v[122:123], v[149:150], v[125:126], v[122:123]
	s_waitcnt vmcnt(4) lgkmcnt(0)
	v_fma_f64 v[122:123], v[143:144], v[127:128], v[122:123]
	s_waitcnt vmcnt(2)
	v_fma_f64 v[122:123], v[131:132], v[129:130], v[122:123]
	s_waitcnt vmcnt(0)
	v_add_f64 v[122:123], v[145:146], -v[122:123]
	buffer_store_dword v123, off, s[0:3], 0 offset:188
	buffer_store_dword v122, off, s[0:3], 0 offset:184
	s_and_saveexec_b64 s[4:5], vcc
	s_cbranch_execz .LBB59_323
; %bb.322:
	buffer_load_dword v122, off, s[0:3], 0 offset:176
	buffer_load_dword v123, off, s[0:3], 0 offset:180
	v_mov_b32_e32 v124, 0
	buffer_store_dword v124, off, s[0:3], 0 offset:176
	buffer_store_dword v124, off, s[0:3], 0 offset:180
	s_waitcnt vmcnt(2)
	ds_write_b64 v121, v[122:123]
.LBB59_323:
	s_or_b64 exec, exec, s[4:5]
	s_waitcnt lgkmcnt(0)
	; wave barrier
	buffer_load_dword v131, off, s[0:3], 0 offset:184
	buffer_load_dword v132, off, s[0:3], 0 offset:188
	;; [unrolled: 1-line block ×21, first 2 shown]
	v_mov_b32_e32 v122, 0
	ds_read2_b64 v[123:126], v122 offset0:83 offset1:84
	ds_read2_b64 v[127:130], v122 offset0:85 offset1:86
	buffer_load_dword v148, off, s[0:3], 0 offset:268
	v_cmp_lt_u32_e32 vcc, 21, v0
	s_waitcnt vmcnt(20) lgkmcnt(1)
	v_fma_f64 v[123:124], v[131:132], v[123:124], 0
	s_waitcnt vmcnt(18)
	v_fma_f64 v[123:124], v[133:134], v[125:126], v[123:124]
	buffer_load_dword v132, off, s[0:3], 0 offset:276
	buffer_load_dword v133, off, s[0:3], 0 offset:296
	buffer_load_dword v153, off, s[0:3], 0 offset:288
	buffer_load_dword v155, off, s[0:3], 0 offset:280
	buffer_load_dword v131, off, s[0:3], 0 offset:272
	buffer_load_dword v156, off, s[0:3], 0 offset:284
	buffer_load_dword v154, off, s[0:3], 0 offset:292
	s_waitcnt vmcnt(23) lgkmcnt(0)
	v_fma_f64 v[123:124], v[135:136], v[127:128], v[123:124]
	s_waitcnt vmcnt(21)
	v_fma_f64 v[134:135], v[137:138], v[129:130], v[123:124]
	ds_read2_b64 v[123:126], v122 offset0:87 offset1:88
	ds_read2_b64 v[127:130], v122 offset0:89 offset1:90
	s_waitcnt vmcnt(19) lgkmcnt(1)
	v_fma_f64 v[123:124], v[139:140], v[123:124], v[134:135]
	buffer_load_dword v134, off, s[0:3], 0 offset:300
	s_waitcnt vmcnt(18)
	v_fma_f64 v[123:124], v[141:142], v[125:126], v[123:124]
	buffer_load_dword v136, off, s[0:3], 0 offset:308
	buffer_load_dword v137, off, s[0:3], 0 offset:328
	;; [unrolled: 1-line block ×8, first 2 shown]
	s_waitcnt vmcnt(24) lgkmcnt(0)
	v_fma_f64 v[123:124], v[143:144], v[127:128], v[123:124]
	s_waitcnt vmcnt(19)
	v_fma_f64 v[143:144], v[145:146], v[129:130], v[123:124]
	ds_read2_b64 v[123:126], v122 offset0:91 offset1:92
	ds_read2_b64 v[127:130], v122 offset0:93 offset1:94
	s_waitcnt vmcnt(18) lgkmcnt(1)
	v_fma_f64 v[123:124], v[151:152], v[123:124], v[143:144]
	s_waitcnt vmcnt(17)
	v_fma_f64 v[123:124], v[149:150], v[125:126], v[123:124]
	buffer_load_dword v144, off, s[0:3], 0 offset:340
	buffer_load_dword v145, off, s[0:3], 0 offset:360
	;; [unrolled: 1-line block ×7, first 2 shown]
	s_waitcnt vmcnt(23) lgkmcnt(0)
	v_fma_f64 v[123:124], v[147:148], v[127:128], v[123:124]
	s_waitcnt vmcnt(18)
	v_fma_f64 v[131:132], v[131:132], v[129:130], v[123:124]
	ds_read2_b64 v[123:126], v122 offset0:95 offset1:96
	ds_read2_b64 v[127:130], v122 offset0:97 offset1:98
	buffer_load_dword v146, off, s[0:3], 0 offset:364
	s_waitcnt vmcnt(18) lgkmcnt(1)
	v_fma_f64 v[123:124], v[155:156], v[123:124], v[131:132]
	s_waitcnt vmcnt(17)
	v_fma_f64 v[123:124], v[153:154], v[125:126], v[123:124]
	buffer_load_dword v132, off, s[0:3], 0 offset:372
	buffer_load_dword v147, off, s[0:3], 0 offset:392
	;; [unrolled: 1-line block ×7, first 2 shown]
	s_waitcnt vmcnt(23) lgkmcnt(0)
	v_fma_f64 v[123:124], v[133:134], v[127:128], v[123:124]
	s_waitcnt vmcnt(18)
	v_fma_f64 v[133:134], v[135:136], v[129:130], v[123:124]
	ds_read2_b64 v[123:126], v122 offset0:99 offset1:100
	ds_read2_b64 v[127:130], v122 offset0:101 offset1:102
	buffer_load_dword v148, off, s[0:3], 0 offset:396
	s_waitcnt vmcnt(18) lgkmcnt(1)
	v_fma_f64 v[123:124], v[141:142], v[123:124], v[133:134]
	s_waitcnt vmcnt(17)
	v_fma_f64 v[123:124], v[139:140], v[125:126], v[123:124]
	buffer_load_dword v134, off, s[0:3], 0 offset:404
	buffer_load_dword v135, off, s[0:3], 0 offset:424
	buffer_load_dword v139, off, s[0:3], 0 offset:416
	buffer_load_dword v141, off, s[0:3], 0 offset:408
	buffer_load_dword v133, off, s[0:3], 0 offset:400
	buffer_load_dword v142, off, s[0:3], 0 offset:412
	buffer_load_dword v140, off, s[0:3], 0 offset:420
	s_waitcnt vmcnt(23) lgkmcnt(0)
	v_fma_f64 v[123:124], v[137:138], v[127:128], v[123:124]
	s_waitcnt vmcnt(18)
	v_fma_f64 v[136:137], v[143:144], v[129:130], v[123:124]
	ds_read2_b64 v[123:126], v122 offset0:103 offset1:104
	ds_read2_b64 v[127:130], v122 offset0:105 offset1:106
	s_waitcnt vmcnt(17) lgkmcnt(1)
	v_fma_f64 v[123:124], v[151:152], v[123:124], v[136:137]
	buffer_load_dword v136, off, s[0:3], 0 offset:428
	s_waitcnt vmcnt(17)
	v_fma_f64 v[123:124], v[149:150], v[125:126], v[123:124]
	buffer_load_dword v138, off, s[0:3], 0 offset:436
	buffer_load_dword v143, off, s[0:3], 0 offset:456
	;; [unrolled: 1-line block ×7, first 2 shown]
	s_waitcnt vmcnt(23) lgkmcnt(0)
	v_fma_f64 v[123:124], v[145:146], v[127:128], v[123:124]
	s_waitcnt vmcnt(18)
	v_fma_f64 v[131:132], v[131:132], v[129:130], v[123:124]
	ds_read2_b64 v[123:126], v122 offset0:107 offset1:108
	ds_read2_b64 v[127:130], v122 offset0:109 offset1:110
	buffer_load_dword v144, off, s[0:3], 0 offset:460
	s_waitcnt vmcnt(18) lgkmcnt(1)
	v_fma_f64 v[123:124], v[155:156], v[123:124], v[131:132]
	buffer_load_dword v132, off, s[0:3], 0 offset:468
	buffer_load_dword v145, off, s[0:3], 0 offset:472
	;; [unrolled: 1-line block ×4, first 2 shown]
	s_waitcnt vmcnt(21)
	v_fma_f64 v[123:124], v[153:154], v[125:126], v[123:124]
	s_waitcnt vmcnt(20) lgkmcnt(0)
	v_fma_f64 v[123:124], v[147:148], v[127:128], v[123:124]
	buffer_load_dword v147, off, s[0:3], 0 offset:176
	buffer_load_dword v148, off, s[0:3], 0 offset:180
	s_waitcnt vmcnt(17)
	v_fma_f64 v[133:134], v[133:134], v[129:130], v[123:124]
	ds_read2_b64 v[123:126], v122 offset0:111 offset1:112
	ds_read2_b64 v[127:130], v122 offset0:113 offset1:114
	s_waitcnt vmcnt(16) lgkmcnt(1)
	v_fma_f64 v[123:124], v[141:142], v[123:124], v[133:134]
	s_waitcnt vmcnt(15)
	v_fma_f64 v[123:124], v[139:140], v[125:126], v[123:124]
	s_waitcnt vmcnt(14) lgkmcnt(0)
	v_fma_f64 v[123:124], v[135:136], v[127:128], v[123:124]
	s_waitcnt vmcnt(9)
	v_fma_f64 v[133:134], v[137:138], v[129:130], v[123:124]
	ds_read2_b64 v[123:126], v122 offset0:115 offset1:116
	ds_read2_b64 v[127:130], v122 offset0:117 offset1:118
	s_waitcnt vmcnt(8) lgkmcnt(1)
	v_fma_f64 v[123:124], v[151:152], v[123:124], v[133:134]
	s_waitcnt vmcnt(7)
	v_fma_f64 v[123:124], v[149:150], v[125:126], v[123:124]
	ds_read_b64 v[125:126], v122 offset:952
	s_waitcnt vmcnt(6) lgkmcnt(1)
	v_fma_f64 v[123:124], v[143:144], v[127:128], v[123:124]
	s_waitcnt vmcnt(3)
	v_fma_f64 v[123:124], v[131:132], v[129:130], v[123:124]
	s_waitcnt vmcnt(2) lgkmcnt(0)
	v_fma_f64 v[123:124], v[145:146], v[125:126], v[123:124]
	s_waitcnt vmcnt(0)
	v_add_f64 v[123:124], v[147:148], -v[123:124]
	buffer_store_dword v124, off, s[0:3], 0 offset:180
	buffer_store_dword v123, off, s[0:3], 0 offset:176
	s_and_saveexec_b64 s[4:5], vcc
	s_cbranch_execz .LBB59_325
; %bb.324:
	buffer_load_dword v123, off, s[0:3], 0 offset:168
	buffer_load_dword v124, off, s[0:3], 0 offset:172
	s_waitcnt vmcnt(0)
	ds_write_b64 v121, v[123:124]
	buffer_store_dword v122, off, s[0:3], 0 offset:168
	buffer_store_dword v122, off, s[0:3], 0 offset:172
.LBB59_325:
	s_or_b64 exec, exec, s[4:5]
	s_waitcnt lgkmcnt(0)
	; wave barrier
	buffer_load_dword v131, off, s[0:3], 0 offset:176
	buffer_load_dword v132, off, s[0:3], 0 offset:180
	;; [unrolled: 1-line block ×22, first 2 shown]
	ds_read_b128 v[123:126], v122 offset:656
	ds_read_b128 v[127:130], v122 offset:672
	v_cmp_lt_u32_e32 vcc, 20, v0
	s_waitcnt vmcnt(20) lgkmcnt(1)
	v_fma_f64 v[123:124], v[131:132], v[123:124], 0
	s_waitcnt vmcnt(18)
	v_fma_f64 v[123:124], v[133:134], v[125:126], v[123:124]
	buffer_load_dword v132, off, s[0:3], 0 offset:268
	buffer_load_dword v133, off, s[0:3], 0 offset:288
	;; [unrolled: 1-line block ×7, first 2 shown]
	s_waitcnt vmcnt(23) lgkmcnt(0)
	v_fma_f64 v[123:124], v[135:136], v[127:128], v[123:124]
	s_waitcnt vmcnt(21)
	v_fma_f64 v[134:135], v[137:138], v[129:130], v[123:124]
	ds_read_b128 v[123:126], v122 offset:688
	ds_read_b128 v[127:130], v122 offset:704
	s_waitcnt vmcnt(19) lgkmcnt(1)
	v_fma_f64 v[123:124], v[139:140], v[123:124], v[134:135]
	buffer_load_dword v134, off, s[0:3], 0 offset:292
	s_waitcnt vmcnt(18)
	v_fma_f64 v[123:124], v[141:142], v[125:126], v[123:124]
	buffer_load_dword v136, off, s[0:3], 0 offset:300
	buffer_load_dword v137, off, s[0:3], 0 offset:320
	buffer_load_dword v139, off, s[0:3], 0 offset:312
	buffer_load_dword v141, off, s[0:3], 0 offset:304
	buffer_load_dword v135, off, s[0:3], 0 offset:296
	buffer_load_dword v142, off, s[0:3], 0 offset:308
	buffer_load_dword v140, off, s[0:3], 0 offset:316
	buffer_load_dword v138, off, s[0:3], 0 offset:324
	s_waitcnt vmcnt(24) lgkmcnt(0)
	v_fma_f64 v[123:124], v[143:144], v[127:128], v[123:124]
	s_waitcnt vmcnt(19)
	v_fma_f64 v[143:144], v[145:146], v[129:130], v[123:124]
	ds_read_b128 v[123:126], v122 offset:720
	ds_read_b128 v[127:130], v122 offset:736
	s_waitcnt vmcnt(18) lgkmcnt(1)
	v_fma_f64 v[123:124], v[151:152], v[123:124], v[143:144]
	s_waitcnt vmcnt(17)
	v_fma_f64 v[123:124], v[149:150], v[125:126], v[123:124]
	buffer_load_dword v144, off, s[0:3], 0 offset:332
	buffer_load_dword v145, off, s[0:3], 0 offset:352
	;; [unrolled: 1-line block ×8, first 2 shown]
	s_waitcnt vmcnt(24) lgkmcnt(0)
	v_fma_f64 v[123:124], v[147:148], v[127:128], v[123:124]
	s_waitcnt vmcnt(19)
	v_fma_f64 v[131:132], v[131:132], v[129:130], v[123:124]
	ds_read_b128 v[123:126], v122 offset:752
	ds_read_b128 v[127:130], v122 offset:768
	s_waitcnt vmcnt(18) lgkmcnt(1)
	v_fma_f64 v[123:124], v[155:156], v[123:124], v[131:132]
	s_waitcnt vmcnt(17)
	v_fma_f64 v[123:124], v[153:154], v[125:126], v[123:124]
	buffer_load_dword v132, off, s[0:3], 0 offset:364
	buffer_load_dword v147, off, s[0:3], 0 offset:384
	;; [unrolled: 1-line block ×7, first 2 shown]
	s_waitcnt vmcnt(23) lgkmcnt(0)
	v_fma_f64 v[123:124], v[133:134], v[127:128], v[123:124]
	s_waitcnt vmcnt(18)
	v_fma_f64 v[133:134], v[135:136], v[129:130], v[123:124]
	ds_read_b128 v[123:126], v122 offset:784
	ds_read_b128 v[127:130], v122 offset:800
	buffer_load_dword v148, off, s[0:3], 0 offset:388
	s_waitcnt vmcnt(18) lgkmcnt(1)
	v_fma_f64 v[123:124], v[141:142], v[123:124], v[133:134]
	s_waitcnt vmcnt(17)
	v_fma_f64 v[123:124], v[139:140], v[125:126], v[123:124]
	buffer_load_dword v134, off, s[0:3], 0 offset:396
	buffer_load_dword v135, off, s[0:3], 0 offset:416
	buffer_load_dword v139, off, s[0:3], 0 offset:408
	buffer_load_dword v141, off, s[0:3], 0 offset:400
	buffer_load_dword v133, off, s[0:3], 0 offset:392
	buffer_load_dword v142, off, s[0:3], 0 offset:404
	buffer_load_dword v140, off, s[0:3], 0 offset:412
	s_waitcnt vmcnt(23) lgkmcnt(0)
	v_fma_f64 v[123:124], v[137:138], v[127:128], v[123:124]
	s_waitcnt vmcnt(18)
	v_fma_f64 v[136:137], v[143:144], v[129:130], v[123:124]
	ds_read_b128 v[123:126], v122 offset:816
	ds_read_b128 v[127:130], v122 offset:832
	s_waitcnt vmcnt(17) lgkmcnt(1)
	v_fma_f64 v[123:124], v[151:152], v[123:124], v[136:137]
	buffer_load_dword v136, off, s[0:3], 0 offset:420
	s_waitcnt vmcnt(17)
	v_fma_f64 v[123:124], v[149:150], v[125:126], v[123:124]
	buffer_load_dword v138, off, s[0:3], 0 offset:428
	buffer_load_dword v143, off, s[0:3], 0 offset:448
	;; [unrolled: 1-line block ×8, first 2 shown]
	s_waitcnt vmcnt(24) lgkmcnt(0)
	v_fma_f64 v[123:124], v[145:146], v[127:128], v[123:124]
	s_waitcnt vmcnt(19)
	v_fma_f64 v[131:132], v[131:132], v[129:130], v[123:124]
	ds_read_b128 v[123:126], v122 offset:848
	ds_read_b128 v[127:130], v122 offset:864
	s_waitcnt vmcnt(18) lgkmcnt(1)
	v_fma_f64 v[123:124], v[155:156], v[123:124], v[131:132]
	s_waitcnt vmcnt(17)
	v_fma_f64 v[123:124], v[153:154], v[125:126], v[123:124]
	buffer_load_dword v132, off, s[0:3], 0 offset:460
	buffer_load_dword v145, off, s[0:3], 0 offset:472
	;; [unrolled: 1-line block ×6, first 2 shown]
	s_waitcnt vmcnt(22) lgkmcnt(0)
	v_fma_f64 v[123:124], v[147:148], v[127:128], v[123:124]
	s_waitcnt vmcnt(17)
	v_fma_f64 v[133:134], v[133:134], v[129:130], v[123:124]
	ds_read_b128 v[123:126], v122 offset:880
	buffer_load_dword v147, off, s[0:3], 0 offset:168
	buffer_load_dword v148, off, s[0:3], 0 offset:172
	ds_read_b128 v[127:130], v122 offset:896
	s_waitcnt vmcnt(18) lgkmcnt(1)
	v_fma_f64 v[123:124], v[141:142], v[123:124], v[133:134]
	s_waitcnt vmcnt(17)
	v_fma_f64 v[123:124], v[139:140], v[125:126], v[123:124]
	s_waitcnt vmcnt(16) lgkmcnt(0)
	v_fma_f64 v[123:124], v[135:136], v[127:128], v[123:124]
	s_waitcnt vmcnt(11)
	v_fma_f64 v[133:134], v[137:138], v[129:130], v[123:124]
	ds_read_b128 v[123:126], v122 offset:912
	ds_read_b128 v[127:130], v122 offset:928
	s_waitcnt vmcnt(10) lgkmcnt(1)
	v_fma_f64 v[123:124], v[151:152], v[123:124], v[133:134]
	s_waitcnt vmcnt(9)
	v_fma_f64 v[123:124], v[149:150], v[125:126], v[123:124]
	s_waitcnt vmcnt(8) lgkmcnt(0)
	v_fma_f64 v[123:124], v[143:144], v[127:128], v[123:124]
	s_waitcnt vmcnt(4)
	v_fma_f64 v[126:127], v[131:132], v[129:130], v[123:124]
	ds_read_b128 v[122:125], v122 offset:944
	s_waitcnt vmcnt(3) lgkmcnt(0)
	v_fma_f64 v[122:123], v[153:154], v[122:123], v[126:127]
	s_waitcnt vmcnt(2)
	v_fma_f64 v[122:123], v[145:146], v[124:125], v[122:123]
	s_waitcnt vmcnt(0)
	v_add_f64 v[122:123], v[147:148], -v[122:123]
	buffer_store_dword v123, off, s[0:3], 0 offset:172
	buffer_store_dword v122, off, s[0:3], 0 offset:168
	s_and_saveexec_b64 s[4:5], vcc
	s_cbranch_execz .LBB59_327
; %bb.326:
	buffer_load_dword v122, off, s[0:3], 0 offset:160
	buffer_load_dword v123, off, s[0:3], 0 offset:164
	v_mov_b32_e32 v124, 0
	buffer_store_dword v124, off, s[0:3], 0 offset:160
	buffer_store_dword v124, off, s[0:3], 0 offset:164
	s_waitcnt vmcnt(2)
	ds_write_b64 v121, v[122:123]
.LBB59_327:
	s_or_b64 exec, exec, s[4:5]
	s_waitcnt lgkmcnt(0)
	; wave barrier
	buffer_load_dword v131, off, s[0:3], 0 offset:168
	buffer_load_dword v132, off, s[0:3], 0 offset:172
	buffer_load_dword v133, off, s[0:3], 0 offset:176
	buffer_load_dword v134, off, s[0:3], 0 offset:180
	buffer_load_dword v135, off, s[0:3], 0 offset:184
	buffer_load_dword v136, off, s[0:3], 0 offset:188
	buffer_load_dword v137, off, s[0:3], 0 offset:192
	buffer_load_dword v138, off, s[0:3], 0 offset:196
	buffer_load_dword v139, off, s[0:3], 0 offset:200
	buffer_load_dword v140, off, s[0:3], 0 offset:204
	buffer_load_dword v141, off, s[0:3], 0 offset:208
	buffer_load_dword v142, off, s[0:3], 0 offset:212
	buffer_load_dword v143, off, s[0:3], 0 offset:216
	buffer_load_dword v144, off, s[0:3], 0 offset:220
	buffer_load_dword v146, off, s[0:3], 0 offset:228
	buffer_load_dword v147, off, s[0:3], 0 offset:248
	buffer_load_dword v149, off, s[0:3], 0 offset:240
	buffer_load_dword v151, off, s[0:3], 0 offset:232
	buffer_load_dword v145, off, s[0:3], 0 offset:224
	buffer_load_dword v152, off, s[0:3], 0 offset:236
	buffer_load_dword v150, off, s[0:3], 0 offset:244
	buffer_load_dword v148, off, s[0:3], 0 offset:252
	v_mov_b32_e32 v122, 0
	ds_read2_b64 v[123:126], v122 offset0:81 offset1:82
	ds_read2_b64 v[127:130], v122 offset0:83 offset1:84
	v_cmp_lt_u32_e32 vcc, 19, v0
	s_waitcnt vmcnt(20) lgkmcnt(1)
	v_fma_f64 v[123:124], v[131:132], v[123:124], 0
	s_waitcnt vmcnt(18)
	v_fma_f64 v[123:124], v[133:134], v[125:126], v[123:124]
	buffer_load_dword v132, off, s[0:3], 0 offset:260
	buffer_load_dword v133, off, s[0:3], 0 offset:280
	;; [unrolled: 1-line block ×7, first 2 shown]
	s_waitcnt vmcnt(23) lgkmcnt(0)
	v_fma_f64 v[123:124], v[135:136], v[127:128], v[123:124]
	s_waitcnt vmcnt(21)
	v_fma_f64 v[134:135], v[137:138], v[129:130], v[123:124]
	ds_read2_b64 v[123:126], v122 offset0:85 offset1:86
	ds_read2_b64 v[127:130], v122 offset0:87 offset1:88
	s_waitcnt vmcnt(19) lgkmcnt(1)
	v_fma_f64 v[123:124], v[139:140], v[123:124], v[134:135]
	buffer_load_dword v134, off, s[0:3], 0 offset:284
	s_waitcnt vmcnt(18)
	v_fma_f64 v[123:124], v[141:142], v[125:126], v[123:124]
	buffer_load_dword v136, off, s[0:3], 0 offset:292
	buffer_load_dword v137, off, s[0:3], 0 offset:312
	;; [unrolled: 1-line block ×8, first 2 shown]
	s_waitcnt vmcnt(24) lgkmcnt(0)
	v_fma_f64 v[123:124], v[143:144], v[127:128], v[123:124]
	s_waitcnt vmcnt(19)
	v_fma_f64 v[143:144], v[145:146], v[129:130], v[123:124]
	ds_read2_b64 v[123:126], v122 offset0:89 offset1:90
	ds_read2_b64 v[127:130], v122 offset0:91 offset1:92
	s_waitcnt vmcnt(18) lgkmcnt(1)
	v_fma_f64 v[123:124], v[151:152], v[123:124], v[143:144]
	s_waitcnt vmcnt(17)
	v_fma_f64 v[123:124], v[149:150], v[125:126], v[123:124]
	buffer_load_dword v144, off, s[0:3], 0 offset:324
	buffer_load_dword v145, off, s[0:3], 0 offset:344
	buffer_load_dword v149, off, s[0:3], 0 offset:336
	buffer_load_dword v151, off, s[0:3], 0 offset:328
	buffer_load_dword v143, off, s[0:3], 0 offset:320
	buffer_load_dword v152, off, s[0:3], 0 offset:332
	buffer_load_dword v150, off, s[0:3], 0 offset:340
	buffer_load_dword v146, off, s[0:3], 0 offset:348
	s_waitcnt vmcnt(24) lgkmcnt(0)
	v_fma_f64 v[123:124], v[147:148], v[127:128], v[123:124]
	s_waitcnt vmcnt(19)
	v_fma_f64 v[131:132], v[131:132], v[129:130], v[123:124]
	ds_read2_b64 v[123:126], v122 offset0:93 offset1:94
	ds_read2_b64 v[127:130], v122 offset0:95 offset1:96
	s_waitcnt vmcnt(18) lgkmcnt(1)
	v_fma_f64 v[123:124], v[155:156], v[123:124], v[131:132]
	s_waitcnt vmcnt(17)
	v_fma_f64 v[123:124], v[153:154], v[125:126], v[123:124]
	buffer_load_dword v132, off, s[0:3], 0 offset:356
	buffer_load_dword v147, off, s[0:3], 0 offset:376
	;; [unrolled: 1-line block ×7, first 2 shown]
	s_waitcnt vmcnt(23) lgkmcnt(0)
	v_fma_f64 v[123:124], v[133:134], v[127:128], v[123:124]
	s_waitcnt vmcnt(18)
	v_fma_f64 v[133:134], v[135:136], v[129:130], v[123:124]
	ds_read2_b64 v[123:126], v122 offset0:97 offset1:98
	ds_read2_b64 v[127:130], v122 offset0:99 offset1:100
	buffer_load_dword v148, off, s[0:3], 0 offset:380
	s_waitcnt vmcnt(18) lgkmcnt(1)
	v_fma_f64 v[123:124], v[141:142], v[123:124], v[133:134]
	s_waitcnt vmcnt(17)
	v_fma_f64 v[123:124], v[139:140], v[125:126], v[123:124]
	buffer_load_dword v134, off, s[0:3], 0 offset:388
	buffer_load_dword v135, off, s[0:3], 0 offset:408
	;; [unrolled: 1-line block ×7, first 2 shown]
	s_waitcnt vmcnt(23) lgkmcnt(0)
	v_fma_f64 v[123:124], v[137:138], v[127:128], v[123:124]
	s_waitcnt vmcnt(18)
	v_fma_f64 v[136:137], v[143:144], v[129:130], v[123:124]
	ds_read2_b64 v[123:126], v122 offset0:101 offset1:102
	ds_read2_b64 v[127:130], v122 offset0:103 offset1:104
	s_waitcnt vmcnt(17) lgkmcnt(1)
	v_fma_f64 v[123:124], v[151:152], v[123:124], v[136:137]
	buffer_load_dword v136, off, s[0:3], 0 offset:412
	s_waitcnt vmcnt(17)
	v_fma_f64 v[123:124], v[149:150], v[125:126], v[123:124]
	buffer_load_dword v138, off, s[0:3], 0 offset:420
	buffer_load_dword v143, off, s[0:3], 0 offset:440
	;; [unrolled: 1-line block ×8, first 2 shown]
	s_waitcnt vmcnt(24) lgkmcnt(0)
	v_fma_f64 v[123:124], v[145:146], v[127:128], v[123:124]
	s_waitcnt vmcnt(19)
	v_fma_f64 v[131:132], v[131:132], v[129:130], v[123:124]
	ds_read2_b64 v[123:126], v122 offset0:105 offset1:106
	ds_read2_b64 v[127:130], v122 offset0:107 offset1:108
	s_waitcnt vmcnt(18) lgkmcnt(1)
	v_fma_f64 v[123:124], v[155:156], v[123:124], v[131:132]
	s_waitcnt vmcnt(17)
	v_fma_f64 v[123:124], v[153:154], v[125:126], v[123:124]
	buffer_load_dword v132, off, s[0:3], 0 offset:452
	buffer_load_dword v145, off, s[0:3], 0 offset:472
	;; [unrolled: 1-line block ×8, first 2 shown]
	s_waitcnt vmcnt(24) lgkmcnt(0)
	v_fma_f64 v[123:124], v[147:148], v[127:128], v[123:124]
	s_waitcnt vmcnt(19)
	v_fma_f64 v[133:134], v[133:134], v[129:130], v[123:124]
	ds_read2_b64 v[123:126], v122 offset0:109 offset1:110
	ds_read2_b64 v[127:130], v122 offset0:111 offset1:112
	s_waitcnt vmcnt(18) lgkmcnt(1)
	v_fma_f64 v[123:124], v[141:142], v[123:124], v[133:134]
	buffer_load_dword v133, off, s[0:3], 0 offset:160
	buffer_load_dword v134, off, s[0:3], 0 offset:164
	s_waitcnt vmcnt(19)
	v_fma_f64 v[123:124], v[139:140], v[125:126], v[123:124]
	s_waitcnt vmcnt(18) lgkmcnt(0)
	v_fma_f64 v[123:124], v[135:136], v[127:128], v[123:124]
	s_waitcnt vmcnt(13)
	v_fma_f64 v[135:136], v[137:138], v[129:130], v[123:124]
	ds_read2_b64 v[123:126], v122 offset0:113 offset1:114
	ds_read2_b64 v[127:130], v122 offset0:115 offset1:116
	s_waitcnt vmcnt(12) lgkmcnt(1)
	v_fma_f64 v[123:124], v[151:152], v[123:124], v[135:136]
	s_waitcnt vmcnt(11)
	v_fma_f64 v[123:124], v[149:150], v[125:126], v[123:124]
	s_waitcnt vmcnt(10) lgkmcnt(0)
	v_fma_f64 v[123:124], v[143:144], v[127:128], v[123:124]
	s_waitcnt vmcnt(5)
	v_fma_f64 v[127:128], v[131:132], v[129:130], v[123:124]
	ds_read2_b64 v[123:126], v122 offset0:117 offset1:118
	ds_read_b64 v[129:130], v122 offset:952
	s_waitcnt vmcnt(4) lgkmcnt(1)
	v_fma_f64 v[123:124], v[155:156], v[123:124], v[127:128]
	s_waitcnt vmcnt(3)
	v_fma_f64 v[123:124], v[153:154], v[125:126], v[123:124]
	s_waitcnt vmcnt(2) lgkmcnt(0)
	v_fma_f64 v[123:124], v[145:146], v[129:130], v[123:124]
	s_waitcnt vmcnt(0)
	v_add_f64 v[123:124], v[133:134], -v[123:124]
	buffer_store_dword v124, off, s[0:3], 0 offset:164
	buffer_store_dword v123, off, s[0:3], 0 offset:160
	s_and_saveexec_b64 s[4:5], vcc
	s_cbranch_execz .LBB59_329
; %bb.328:
	buffer_load_dword v123, off, s[0:3], 0 offset:152
	buffer_load_dword v124, off, s[0:3], 0 offset:156
	s_waitcnt vmcnt(0)
	ds_write_b64 v121, v[123:124]
	buffer_store_dword v122, off, s[0:3], 0 offset:152
	buffer_store_dword v122, off, s[0:3], 0 offset:156
.LBB59_329:
	s_or_b64 exec, exec, s[4:5]
	s_waitcnt lgkmcnt(0)
	; wave barrier
	buffer_load_dword v131, off, s[0:3], 0 offset:160
	buffer_load_dword v132, off, s[0:3], 0 offset:164
	;; [unrolled: 1-line block ×22, first 2 shown]
	ds_read_b128 v[123:126], v122 offset:640
	ds_read_b128 v[127:130], v122 offset:656
	v_cmp_lt_u32_e32 vcc, 18, v0
	s_waitcnt vmcnt(20) lgkmcnt(1)
	v_fma_f64 v[123:124], v[131:132], v[123:124], 0
	s_waitcnt vmcnt(18)
	v_fma_f64 v[123:124], v[133:134], v[125:126], v[123:124]
	buffer_load_dword v132, off, s[0:3], 0 offset:252
	buffer_load_dword v133, off, s[0:3], 0 offset:272
	;; [unrolled: 1-line block ×7, first 2 shown]
	s_waitcnt vmcnt(23) lgkmcnt(0)
	v_fma_f64 v[123:124], v[135:136], v[127:128], v[123:124]
	s_waitcnt vmcnt(21)
	v_fma_f64 v[134:135], v[137:138], v[129:130], v[123:124]
	ds_read_b128 v[123:126], v122 offset:672
	ds_read_b128 v[127:130], v122 offset:688
	s_waitcnt vmcnt(19) lgkmcnt(1)
	v_fma_f64 v[123:124], v[139:140], v[123:124], v[134:135]
	buffer_load_dword v134, off, s[0:3], 0 offset:276
	s_waitcnt vmcnt(18)
	v_fma_f64 v[123:124], v[141:142], v[125:126], v[123:124]
	buffer_load_dword v136, off, s[0:3], 0 offset:284
	buffer_load_dword v137, off, s[0:3], 0 offset:304
	;; [unrolled: 1-line block ×8, first 2 shown]
	s_waitcnt vmcnt(24) lgkmcnt(0)
	v_fma_f64 v[123:124], v[143:144], v[127:128], v[123:124]
	s_waitcnt vmcnt(19)
	v_fma_f64 v[143:144], v[145:146], v[129:130], v[123:124]
	ds_read_b128 v[123:126], v122 offset:704
	ds_read_b128 v[127:130], v122 offset:720
	s_waitcnt vmcnt(18) lgkmcnt(1)
	v_fma_f64 v[123:124], v[151:152], v[123:124], v[143:144]
	s_waitcnt vmcnt(17)
	v_fma_f64 v[123:124], v[149:150], v[125:126], v[123:124]
	buffer_load_dword v144, off, s[0:3], 0 offset:316
	buffer_load_dword v145, off, s[0:3], 0 offset:336
	;; [unrolled: 1-line block ×8, first 2 shown]
	s_waitcnt vmcnt(24) lgkmcnt(0)
	v_fma_f64 v[123:124], v[147:148], v[127:128], v[123:124]
	s_waitcnt vmcnt(19)
	v_fma_f64 v[131:132], v[131:132], v[129:130], v[123:124]
	ds_read_b128 v[123:126], v122 offset:736
	ds_read_b128 v[127:130], v122 offset:752
	s_waitcnt vmcnt(18) lgkmcnt(1)
	v_fma_f64 v[123:124], v[155:156], v[123:124], v[131:132]
	s_waitcnt vmcnt(17)
	v_fma_f64 v[123:124], v[153:154], v[125:126], v[123:124]
	buffer_load_dword v132, off, s[0:3], 0 offset:348
	buffer_load_dword v147, off, s[0:3], 0 offset:368
	;; [unrolled: 1-line block ×7, first 2 shown]
	s_waitcnt vmcnt(23) lgkmcnt(0)
	v_fma_f64 v[123:124], v[133:134], v[127:128], v[123:124]
	s_waitcnt vmcnt(18)
	v_fma_f64 v[133:134], v[135:136], v[129:130], v[123:124]
	ds_read_b128 v[123:126], v122 offset:768
	ds_read_b128 v[127:130], v122 offset:784
	buffer_load_dword v148, off, s[0:3], 0 offset:372
	s_waitcnt vmcnt(18) lgkmcnt(1)
	v_fma_f64 v[123:124], v[141:142], v[123:124], v[133:134]
	s_waitcnt vmcnt(17)
	v_fma_f64 v[123:124], v[139:140], v[125:126], v[123:124]
	buffer_load_dword v134, off, s[0:3], 0 offset:380
	buffer_load_dword v135, off, s[0:3], 0 offset:400
	;; [unrolled: 1-line block ×7, first 2 shown]
	s_waitcnt vmcnt(23) lgkmcnt(0)
	v_fma_f64 v[123:124], v[137:138], v[127:128], v[123:124]
	s_waitcnt vmcnt(18)
	v_fma_f64 v[136:137], v[143:144], v[129:130], v[123:124]
	ds_read_b128 v[123:126], v122 offset:800
	ds_read_b128 v[127:130], v122 offset:816
	s_waitcnt vmcnt(17) lgkmcnt(1)
	v_fma_f64 v[123:124], v[151:152], v[123:124], v[136:137]
	buffer_load_dword v136, off, s[0:3], 0 offset:404
	s_waitcnt vmcnt(17)
	v_fma_f64 v[123:124], v[149:150], v[125:126], v[123:124]
	buffer_load_dword v138, off, s[0:3], 0 offset:412
	buffer_load_dword v143, off, s[0:3], 0 offset:432
	;; [unrolled: 1-line block ×8, first 2 shown]
	s_waitcnt vmcnt(24) lgkmcnt(0)
	v_fma_f64 v[123:124], v[145:146], v[127:128], v[123:124]
	s_waitcnt vmcnt(19)
	v_fma_f64 v[131:132], v[131:132], v[129:130], v[123:124]
	ds_read_b128 v[123:126], v122 offset:832
	ds_read_b128 v[127:130], v122 offset:848
	s_waitcnt vmcnt(18) lgkmcnt(1)
	v_fma_f64 v[123:124], v[155:156], v[123:124], v[131:132]
	s_waitcnt vmcnt(17)
	v_fma_f64 v[123:124], v[153:154], v[125:126], v[123:124]
	buffer_load_dword v132, off, s[0:3], 0 offset:444
	buffer_load_dword v145, off, s[0:3], 0 offset:464
	;; [unrolled: 1-line block ×8, first 2 shown]
	s_waitcnt vmcnt(24) lgkmcnt(0)
	v_fma_f64 v[123:124], v[147:148], v[127:128], v[123:124]
	s_waitcnt vmcnt(19)
	v_fma_f64 v[133:134], v[133:134], v[129:130], v[123:124]
	ds_read_b128 v[123:126], v122 offset:864
	ds_read_b128 v[127:130], v122 offset:880
	s_waitcnt vmcnt(18) lgkmcnt(1)
	v_fma_f64 v[123:124], v[141:142], v[123:124], v[133:134]
	buffer_load_dword v134, off, s[0:3], 0 offset:476
	buffer_load_dword v133, off, s[0:3], 0 offset:472
	s_waitcnt vmcnt(19)
	v_fma_f64 v[123:124], v[139:140], v[125:126], v[123:124]
	buffer_load_dword v139, off, s[0:3], 0 offset:152
	buffer_load_dword v140, off, s[0:3], 0 offset:156
	s_waitcnt vmcnt(20) lgkmcnt(0)
	v_fma_f64 v[123:124], v[135:136], v[127:128], v[123:124]
	s_waitcnt vmcnt(15)
	v_fma_f64 v[135:136], v[137:138], v[129:130], v[123:124]
	ds_read_b128 v[123:126], v122 offset:896
	ds_read_b128 v[127:130], v122 offset:912
	s_waitcnt vmcnt(14) lgkmcnt(1)
	v_fma_f64 v[123:124], v[151:152], v[123:124], v[135:136]
	s_waitcnt vmcnt(13)
	v_fma_f64 v[123:124], v[149:150], v[125:126], v[123:124]
	s_waitcnt vmcnt(12) lgkmcnt(0)
	v_fma_f64 v[123:124], v[143:144], v[127:128], v[123:124]
	s_waitcnt vmcnt(7)
	v_fma_f64 v[131:132], v[131:132], v[129:130], v[123:124]
	ds_read_b128 v[123:126], v122 offset:928
	ds_read_b128 v[127:130], v122 offset:944
	s_waitcnt vmcnt(6) lgkmcnt(1)
	v_fma_f64 v[122:123], v[155:156], v[123:124], v[131:132]
	s_waitcnt vmcnt(5)
	v_fma_f64 v[122:123], v[153:154], v[125:126], v[122:123]
	s_waitcnt vmcnt(4) lgkmcnt(0)
	v_fma_f64 v[122:123], v[145:146], v[127:128], v[122:123]
	s_waitcnt vmcnt(2)
	v_fma_f64 v[122:123], v[133:134], v[129:130], v[122:123]
	s_waitcnt vmcnt(0)
	v_add_f64 v[122:123], v[139:140], -v[122:123]
	buffer_store_dword v123, off, s[0:3], 0 offset:156
	buffer_store_dword v122, off, s[0:3], 0 offset:152
	s_and_saveexec_b64 s[4:5], vcc
	s_cbranch_execz .LBB59_331
; %bb.330:
	buffer_load_dword v122, off, s[0:3], 0 offset:144
	buffer_load_dword v123, off, s[0:3], 0 offset:148
	v_mov_b32_e32 v124, 0
	buffer_store_dword v124, off, s[0:3], 0 offset:144
	buffer_store_dword v124, off, s[0:3], 0 offset:148
	s_waitcnt vmcnt(2)
	ds_write_b64 v121, v[122:123]
.LBB59_331:
	s_or_b64 exec, exec, s[4:5]
	s_waitcnt lgkmcnt(0)
	; wave barrier
	buffer_load_dword v131, off, s[0:3], 0 offset:152
	buffer_load_dword v132, off, s[0:3], 0 offset:156
	;; [unrolled: 1-line block ×22, first 2 shown]
	v_mov_b32_e32 v122, 0
	ds_read2_b64 v[123:126], v122 offset0:79 offset1:80
	ds_read2_b64 v[127:130], v122 offset0:81 offset1:82
	v_cmp_lt_u32_e32 vcc, 17, v0
	s_waitcnt vmcnt(20) lgkmcnt(1)
	v_fma_f64 v[123:124], v[131:132], v[123:124], 0
	s_waitcnt vmcnt(18)
	v_fma_f64 v[123:124], v[133:134], v[125:126], v[123:124]
	buffer_load_dword v132, off, s[0:3], 0 offset:244
	buffer_load_dword v133, off, s[0:3], 0 offset:264
	;; [unrolled: 1-line block ×7, first 2 shown]
	s_waitcnt vmcnt(23) lgkmcnt(0)
	v_fma_f64 v[123:124], v[135:136], v[127:128], v[123:124]
	s_waitcnt vmcnt(21)
	v_fma_f64 v[134:135], v[137:138], v[129:130], v[123:124]
	ds_read2_b64 v[123:126], v122 offset0:83 offset1:84
	ds_read2_b64 v[127:130], v122 offset0:85 offset1:86
	s_waitcnt vmcnt(19) lgkmcnt(1)
	v_fma_f64 v[123:124], v[139:140], v[123:124], v[134:135]
	buffer_load_dword v134, off, s[0:3], 0 offset:268
	s_waitcnt vmcnt(18)
	v_fma_f64 v[123:124], v[141:142], v[125:126], v[123:124]
	buffer_load_dword v136, off, s[0:3], 0 offset:276
	buffer_load_dword v137, off, s[0:3], 0 offset:296
	;; [unrolled: 1-line block ×7, first 2 shown]
	s_waitcnt vmcnt(23) lgkmcnt(0)
	v_fma_f64 v[123:124], v[143:144], v[127:128], v[123:124]
	s_waitcnt vmcnt(18)
	v_fma_f64 v[143:144], v[145:146], v[129:130], v[123:124]
	ds_read2_b64 v[123:126], v122 offset0:87 offset1:88
	ds_read2_b64 v[127:130], v122 offset0:89 offset1:90
	buffer_load_dword v138, off, s[0:3], 0 offset:300
	s_waitcnt vmcnt(18) lgkmcnt(1)
	v_fma_f64 v[123:124], v[151:152], v[123:124], v[143:144]
	s_waitcnt vmcnt(17)
	v_fma_f64 v[123:124], v[149:150], v[125:126], v[123:124]
	buffer_load_dword v144, off, s[0:3], 0 offset:308
	buffer_load_dword v145, off, s[0:3], 0 offset:328
	;; [unrolled: 1-line block ×8, first 2 shown]
	s_waitcnt vmcnt(24) lgkmcnt(0)
	v_fma_f64 v[123:124], v[147:148], v[127:128], v[123:124]
	s_waitcnt vmcnt(19)
	v_fma_f64 v[131:132], v[131:132], v[129:130], v[123:124]
	ds_read2_b64 v[123:126], v122 offset0:91 offset1:92
	ds_read2_b64 v[127:130], v122 offset0:93 offset1:94
	s_waitcnt vmcnt(18) lgkmcnt(1)
	v_fma_f64 v[123:124], v[155:156], v[123:124], v[131:132]
	s_waitcnt vmcnt(17)
	v_fma_f64 v[123:124], v[153:154], v[125:126], v[123:124]
	buffer_load_dword v132, off, s[0:3], 0 offset:340
	buffer_load_dword v147, off, s[0:3], 0 offset:360
	;; [unrolled: 1-line block ×7, first 2 shown]
	s_waitcnt vmcnt(23) lgkmcnt(0)
	v_fma_f64 v[123:124], v[133:134], v[127:128], v[123:124]
	s_waitcnt vmcnt(18)
	v_fma_f64 v[133:134], v[135:136], v[129:130], v[123:124]
	ds_read2_b64 v[123:126], v122 offset0:95 offset1:96
	ds_read2_b64 v[127:130], v122 offset0:97 offset1:98
	buffer_load_dword v148, off, s[0:3], 0 offset:364
	s_waitcnt vmcnt(18) lgkmcnt(1)
	v_fma_f64 v[123:124], v[141:142], v[123:124], v[133:134]
	s_waitcnt vmcnt(17)
	v_fma_f64 v[123:124], v[139:140], v[125:126], v[123:124]
	buffer_load_dword v134, off, s[0:3], 0 offset:372
	buffer_load_dword v135, off, s[0:3], 0 offset:392
	;; [unrolled: 1-line block ×7, first 2 shown]
	s_waitcnt vmcnt(23) lgkmcnt(0)
	v_fma_f64 v[123:124], v[137:138], v[127:128], v[123:124]
	s_waitcnt vmcnt(18)
	v_fma_f64 v[136:137], v[143:144], v[129:130], v[123:124]
	ds_read2_b64 v[123:126], v122 offset0:99 offset1:100
	ds_read2_b64 v[127:130], v122 offset0:101 offset1:102
	s_waitcnt vmcnt(17) lgkmcnt(1)
	v_fma_f64 v[123:124], v[151:152], v[123:124], v[136:137]
	buffer_load_dword v136, off, s[0:3], 0 offset:396
	s_waitcnt vmcnt(17)
	v_fma_f64 v[123:124], v[149:150], v[125:126], v[123:124]
	buffer_load_dword v138, off, s[0:3], 0 offset:404
	buffer_load_dword v143, off, s[0:3], 0 offset:424
	;; [unrolled: 1-line block ×8, first 2 shown]
	s_waitcnt vmcnt(24) lgkmcnt(0)
	v_fma_f64 v[123:124], v[145:146], v[127:128], v[123:124]
	s_waitcnt vmcnt(19)
	v_fma_f64 v[131:132], v[131:132], v[129:130], v[123:124]
	ds_read2_b64 v[123:126], v122 offset0:103 offset1:104
	ds_read2_b64 v[127:130], v122 offset0:105 offset1:106
	s_waitcnt vmcnt(18) lgkmcnt(1)
	v_fma_f64 v[123:124], v[155:156], v[123:124], v[131:132]
	s_waitcnt vmcnt(17)
	v_fma_f64 v[123:124], v[153:154], v[125:126], v[123:124]
	buffer_load_dword v132, off, s[0:3], 0 offset:436
	buffer_load_dword v145, off, s[0:3], 0 offset:456
	;; [unrolled: 1-line block ×7, first 2 shown]
	s_waitcnt vmcnt(23) lgkmcnt(0)
	v_fma_f64 v[123:124], v[147:148], v[127:128], v[123:124]
	s_waitcnt vmcnt(18)
	v_fma_f64 v[133:134], v[133:134], v[129:130], v[123:124]
	ds_read2_b64 v[123:126], v122 offset0:107 offset1:108
	ds_read2_b64 v[127:130], v122 offset0:109 offset1:110
	buffer_load_dword v146, off, s[0:3], 0 offset:460
	s_waitcnt vmcnt(18) lgkmcnt(1)
	v_fma_f64 v[123:124], v[141:142], v[123:124], v[133:134]
	s_waitcnt vmcnt(17)
	v_fma_f64 v[123:124], v[139:140], v[125:126], v[123:124]
	buffer_load_dword v134, off, s[0:3], 0 offset:468
	buffer_load_dword v139, off, s[0:3], 0 offset:472
	;; [unrolled: 1-line block ×4, first 2 shown]
	s_waitcnt vmcnt(20) lgkmcnt(0)
	v_fma_f64 v[123:124], v[135:136], v[127:128], v[123:124]
	buffer_load_dword v135, off, s[0:3], 0 offset:144
	buffer_load_dword v136, off, s[0:3], 0 offset:148
	s_waitcnt vmcnt(17)
	v_fma_f64 v[137:138], v[137:138], v[129:130], v[123:124]
	ds_read2_b64 v[123:126], v122 offset0:111 offset1:112
	ds_read2_b64 v[127:130], v122 offset0:113 offset1:114
	s_waitcnt vmcnt(16) lgkmcnt(1)
	v_fma_f64 v[123:124], v[151:152], v[123:124], v[137:138]
	s_waitcnt vmcnt(15)
	v_fma_f64 v[123:124], v[149:150], v[125:126], v[123:124]
	s_waitcnt vmcnt(14) lgkmcnt(0)
	v_fma_f64 v[123:124], v[143:144], v[127:128], v[123:124]
	s_waitcnt vmcnt(9)
	v_fma_f64 v[131:132], v[131:132], v[129:130], v[123:124]
	ds_read2_b64 v[123:126], v122 offset0:115 offset1:116
	ds_read2_b64 v[127:130], v122 offset0:117 offset1:118
	s_waitcnt vmcnt(8) lgkmcnt(1)
	v_fma_f64 v[123:124], v[155:156], v[123:124], v[131:132]
	s_waitcnt vmcnt(7)
	v_fma_f64 v[123:124], v[153:154], v[125:126], v[123:124]
	ds_read_b64 v[125:126], v122 offset:952
	s_waitcnt vmcnt(6) lgkmcnt(1)
	v_fma_f64 v[123:124], v[145:146], v[127:128], v[123:124]
	s_waitcnt vmcnt(3)
	v_fma_f64 v[123:124], v[133:134], v[129:130], v[123:124]
	s_waitcnt vmcnt(2) lgkmcnt(0)
	v_fma_f64 v[123:124], v[139:140], v[125:126], v[123:124]
	s_waitcnt vmcnt(0)
	v_add_f64 v[123:124], v[135:136], -v[123:124]
	buffer_store_dword v124, off, s[0:3], 0 offset:148
	buffer_store_dword v123, off, s[0:3], 0 offset:144
	s_and_saveexec_b64 s[4:5], vcc
	s_cbranch_execz .LBB59_333
; %bb.332:
	buffer_load_dword v123, off, s[0:3], 0 offset:136
	buffer_load_dword v124, off, s[0:3], 0 offset:140
	s_waitcnt vmcnt(0)
	ds_write_b64 v121, v[123:124]
	buffer_store_dword v122, off, s[0:3], 0 offset:136
	buffer_store_dword v122, off, s[0:3], 0 offset:140
.LBB59_333:
	s_or_b64 exec, exec, s[4:5]
	s_waitcnt lgkmcnt(0)
	; wave barrier
	buffer_load_dword v131, off, s[0:3], 0 offset:144
	buffer_load_dword v132, off, s[0:3], 0 offset:148
	;; [unrolled: 1-line block ×22, first 2 shown]
	ds_read_b128 v[123:126], v122 offset:624
	ds_read_b128 v[127:130], v122 offset:640
	v_cmp_lt_u32_e32 vcc, 16, v0
	s_waitcnt vmcnt(20) lgkmcnt(1)
	v_fma_f64 v[123:124], v[131:132], v[123:124], 0
	s_waitcnt vmcnt(18)
	v_fma_f64 v[123:124], v[133:134], v[125:126], v[123:124]
	buffer_load_dword v132, off, s[0:3], 0 offset:236
	buffer_load_dword v133, off, s[0:3], 0 offset:256
	buffer_load_dword v153, off, s[0:3], 0 offset:248
	buffer_load_dword v155, off, s[0:3], 0 offset:240
	buffer_load_dword v131, off, s[0:3], 0 offset:232
	buffer_load_dword v156, off, s[0:3], 0 offset:244
	buffer_load_dword v154, off, s[0:3], 0 offset:252
	s_waitcnt vmcnt(23) lgkmcnt(0)
	v_fma_f64 v[123:124], v[135:136], v[127:128], v[123:124]
	s_waitcnt vmcnt(21)
	v_fma_f64 v[134:135], v[137:138], v[129:130], v[123:124]
	ds_read_b128 v[123:126], v122 offset:656
	ds_read_b128 v[127:130], v122 offset:672
	s_waitcnt vmcnt(19) lgkmcnt(1)
	v_fma_f64 v[123:124], v[139:140], v[123:124], v[134:135]
	buffer_load_dword v134, off, s[0:3], 0 offset:260
	s_waitcnt vmcnt(18)
	v_fma_f64 v[123:124], v[141:142], v[125:126], v[123:124]
	buffer_load_dword v136, off, s[0:3], 0 offset:268
	buffer_load_dword v137, off, s[0:3], 0 offset:288
	;; [unrolled: 1-line block ×7, first 2 shown]
	s_waitcnt vmcnt(23) lgkmcnt(0)
	v_fma_f64 v[123:124], v[143:144], v[127:128], v[123:124]
	s_waitcnt vmcnt(18)
	v_fma_f64 v[143:144], v[145:146], v[129:130], v[123:124]
	ds_read_b128 v[123:126], v122 offset:688
	ds_read_b128 v[127:130], v122 offset:704
	buffer_load_dword v138, off, s[0:3], 0 offset:292
	s_waitcnt vmcnt(18) lgkmcnt(1)
	v_fma_f64 v[123:124], v[151:152], v[123:124], v[143:144]
	s_waitcnt vmcnt(17)
	v_fma_f64 v[123:124], v[149:150], v[125:126], v[123:124]
	buffer_load_dword v144, off, s[0:3], 0 offset:300
	buffer_load_dword v145, off, s[0:3], 0 offset:320
	;; [unrolled: 1-line block ×8, first 2 shown]
	s_waitcnt vmcnt(24) lgkmcnt(0)
	v_fma_f64 v[123:124], v[147:148], v[127:128], v[123:124]
	s_waitcnt vmcnt(19)
	v_fma_f64 v[131:132], v[131:132], v[129:130], v[123:124]
	ds_read_b128 v[123:126], v122 offset:720
	ds_read_b128 v[127:130], v122 offset:736
	s_waitcnt vmcnt(18) lgkmcnt(1)
	v_fma_f64 v[123:124], v[155:156], v[123:124], v[131:132]
	s_waitcnt vmcnt(17)
	v_fma_f64 v[123:124], v[153:154], v[125:126], v[123:124]
	buffer_load_dword v132, off, s[0:3], 0 offset:332
	buffer_load_dword v147, off, s[0:3], 0 offset:352
	;; [unrolled: 1-line block ×8, first 2 shown]
	s_waitcnt vmcnt(24) lgkmcnt(0)
	v_fma_f64 v[123:124], v[133:134], v[127:128], v[123:124]
	s_waitcnt vmcnt(19)
	v_fma_f64 v[133:134], v[135:136], v[129:130], v[123:124]
	ds_read_b128 v[123:126], v122 offset:752
	ds_read_b128 v[127:130], v122 offset:768
	s_waitcnt vmcnt(18) lgkmcnt(1)
	v_fma_f64 v[123:124], v[141:142], v[123:124], v[133:134]
	s_waitcnt vmcnt(17)
	v_fma_f64 v[123:124], v[139:140], v[125:126], v[123:124]
	buffer_load_dword v134, off, s[0:3], 0 offset:364
	buffer_load_dword v135, off, s[0:3], 0 offset:384
	;; [unrolled: 1-line block ×7, first 2 shown]
	s_waitcnt vmcnt(23) lgkmcnt(0)
	v_fma_f64 v[123:124], v[137:138], v[127:128], v[123:124]
	s_waitcnt vmcnt(18)
	v_fma_f64 v[136:137], v[143:144], v[129:130], v[123:124]
	ds_read_b128 v[123:126], v122 offset:784
	ds_read_b128 v[127:130], v122 offset:800
	s_waitcnt vmcnt(17) lgkmcnt(1)
	v_fma_f64 v[123:124], v[151:152], v[123:124], v[136:137]
	buffer_load_dword v136, off, s[0:3], 0 offset:388
	s_waitcnt vmcnt(17)
	v_fma_f64 v[123:124], v[149:150], v[125:126], v[123:124]
	buffer_load_dword v138, off, s[0:3], 0 offset:396
	buffer_load_dword v143, off, s[0:3], 0 offset:416
	buffer_load_dword v149, off, s[0:3], 0 offset:408
	buffer_load_dword v151, off, s[0:3], 0 offset:400
	buffer_load_dword v137, off, s[0:3], 0 offset:392
	buffer_load_dword v152, off, s[0:3], 0 offset:404
	buffer_load_dword v150, off, s[0:3], 0 offset:412
	buffer_load_dword v144, off, s[0:3], 0 offset:420
	s_waitcnt vmcnt(24) lgkmcnt(0)
	v_fma_f64 v[123:124], v[145:146], v[127:128], v[123:124]
	s_waitcnt vmcnt(19)
	v_fma_f64 v[131:132], v[131:132], v[129:130], v[123:124]
	ds_read_b128 v[123:126], v122 offset:816
	ds_read_b128 v[127:130], v122 offset:832
	s_waitcnt vmcnt(18) lgkmcnt(1)
	v_fma_f64 v[123:124], v[155:156], v[123:124], v[131:132]
	s_waitcnt vmcnt(17)
	v_fma_f64 v[123:124], v[153:154], v[125:126], v[123:124]
	buffer_load_dword v132, off, s[0:3], 0 offset:428
	buffer_load_dword v145, off, s[0:3], 0 offset:448
	;; [unrolled: 1-line block ×8, first 2 shown]
	s_waitcnt vmcnt(24) lgkmcnt(0)
	v_fma_f64 v[123:124], v[147:148], v[127:128], v[123:124]
	s_waitcnt vmcnt(19)
	v_fma_f64 v[133:134], v[133:134], v[129:130], v[123:124]
	ds_read_b128 v[123:126], v122 offset:848
	ds_read_b128 v[127:130], v122 offset:864
	s_waitcnt vmcnt(18) lgkmcnt(1)
	v_fma_f64 v[123:124], v[141:142], v[123:124], v[133:134]
	s_waitcnt vmcnt(17)
	v_fma_f64 v[123:124], v[139:140], v[125:126], v[123:124]
	buffer_load_dword v134, off, s[0:3], 0 offset:460
	buffer_load_dword v139, off, s[0:3], 0 offset:472
	;; [unrolled: 1-line block ×6, first 2 shown]
	s_waitcnt vmcnt(22) lgkmcnt(0)
	v_fma_f64 v[123:124], v[135:136], v[127:128], v[123:124]
	s_waitcnt vmcnt(17)
	v_fma_f64 v[135:136], v[137:138], v[129:130], v[123:124]
	ds_read_b128 v[123:126], v122 offset:880
	buffer_load_dword v137, off, s[0:3], 0 offset:136
	buffer_load_dword v138, off, s[0:3], 0 offset:140
	ds_read_b128 v[127:130], v122 offset:896
	s_waitcnt vmcnt(18) lgkmcnt(1)
	v_fma_f64 v[123:124], v[151:152], v[123:124], v[135:136]
	s_waitcnt vmcnt(17)
	v_fma_f64 v[123:124], v[149:150], v[125:126], v[123:124]
	s_waitcnt vmcnt(16) lgkmcnt(0)
	v_fma_f64 v[123:124], v[143:144], v[127:128], v[123:124]
	s_waitcnt vmcnt(11)
	v_fma_f64 v[131:132], v[131:132], v[129:130], v[123:124]
	ds_read_b128 v[123:126], v122 offset:912
	ds_read_b128 v[127:130], v122 offset:928
	s_waitcnt vmcnt(10) lgkmcnt(1)
	v_fma_f64 v[123:124], v[155:156], v[123:124], v[131:132]
	s_waitcnt vmcnt(9)
	v_fma_f64 v[123:124], v[153:154], v[125:126], v[123:124]
	s_waitcnt vmcnt(8) lgkmcnt(0)
	v_fma_f64 v[123:124], v[145:146], v[127:128], v[123:124]
	s_waitcnt vmcnt(4)
	v_fma_f64 v[126:127], v[133:134], v[129:130], v[123:124]
	ds_read_b128 v[122:125], v122 offset:944
	s_waitcnt vmcnt(3) lgkmcnt(0)
	v_fma_f64 v[122:123], v[141:142], v[122:123], v[126:127]
	s_waitcnt vmcnt(2)
	v_fma_f64 v[122:123], v[139:140], v[124:125], v[122:123]
	s_waitcnt vmcnt(0)
	v_add_f64 v[122:123], v[137:138], -v[122:123]
	buffer_store_dword v123, off, s[0:3], 0 offset:140
	buffer_store_dword v122, off, s[0:3], 0 offset:136
	s_and_saveexec_b64 s[4:5], vcc
	s_cbranch_execz .LBB59_335
; %bb.334:
	buffer_load_dword v122, off, s[0:3], 0 offset:128
	buffer_load_dword v123, off, s[0:3], 0 offset:132
	v_mov_b32_e32 v124, 0
	buffer_store_dword v124, off, s[0:3], 0 offset:128
	buffer_store_dword v124, off, s[0:3], 0 offset:132
	s_waitcnt vmcnt(2)
	ds_write_b64 v121, v[122:123]
.LBB59_335:
	s_or_b64 exec, exec, s[4:5]
	s_waitcnt lgkmcnt(0)
	; wave barrier
	buffer_load_dword v131, off, s[0:3], 0 offset:136
	buffer_load_dword v132, off, s[0:3], 0 offset:140
	;; [unrolled: 1-line block ×22, first 2 shown]
	v_mov_b32_e32 v122, 0
	ds_read2_b64 v[123:126], v122 offset0:77 offset1:78
	ds_read2_b64 v[127:130], v122 offset0:79 offset1:80
	v_cmp_lt_u32_e32 vcc, 15, v0
	s_waitcnt vmcnt(20) lgkmcnt(1)
	v_fma_f64 v[123:124], v[131:132], v[123:124], 0
	s_waitcnt vmcnt(18)
	v_fma_f64 v[123:124], v[133:134], v[125:126], v[123:124]
	buffer_load_dword v132, off, s[0:3], 0 offset:228
	buffer_load_dword v133, off, s[0:3], 0 offset:248
	;; [unrolled: 1-line block ×7, first 2 shown]
	s_waitcnt vmcnt(23) lgkmcnt(0)
	v_fma_f64 v[123:124], v[135:136], v[127:128], v[123:124]
	s_waitcnt vmcnt(21)
	v_fma_f64 v[134:135], v[137:138], v[129:130], v[123:124]
	ds_read2_b64 v[123:126], v122 offset0:81 offset1:82
	ds_read2_b64 v[127:130], v122 offset0:83 offset1:84
	s_waitcnt vmcnt(19) lgkmcnt(1)
	v_fma_f64 v[123:124], v[139:140], v[123:124], v[134:135]
	buffer_load_dword v134, off, s[0:3], 0 offset:252
	s_waitcnt vmcnt(18)
	v_fma_f64 v[123:124], v[141:142], v[125:126], v[123:124]
	buffer_load_dword v136, off, s[0:3], 0 offset:260
	buffer_load_dword v137, off, s[0:3], 0 offset:280
	;; [unrolled: 1-line block ×7, first 2 shown]
	s_waitcnt vmcnt(23) lgkmcnt(0)
	v_fma_f64 v[123:124], v[143:144], v[127:128], v[123:124]
	s_waitcnt vmcnt(18)
	v_fma_f64 v[143:144], v[145:146], v[129:130], v[123:124]
	ds_read2_b64 v[123:126], v122 offset0:85 offset1:86
	ds_read2_b64 v[127:130], v122 offset0:87 offset1:88
	buffer_load_dword v138, off, s[0:3], 0 offset:284
	s_waitcnt vmcnt(18) lgkmcnt(1)
	v_fma_f64 v[123:124], v[151:152], v[123:124], v[143:144]
	s_waitcnt vmcnt(17)
	v_fma_f64 v[123:124], v[149:150], v[125:126], v[123:124]
	buffer_load_dword v144, off, s[0:3], 0 offset:292
	buffer_load_dword v145, off, s[0:3], 0 offset:312
	;; [unrolled: 1-line block ×8, first 2 shown]
	s_waitcnt vmcnt(24) lgkmcnt(0)
	v_fma_f64 v[123:124], v[147:148], v[127:128], v[123:124]
	s_waitcnt vmcnt(19)
	v_fma_f64 v[131:132], v[131:132], v[129:130], v[123:124]
	ds_read2_b64 v[123:126], v122 offset0:89 offset1:90
	ds_read2_b64 v[127:130], v122 offset0:91 offset1:92
	s_waitcnt vmcnt(18) lgkmcnt(1)
	v_fma_f64 v[123:124], v[155:156], v[123:124], v[131:132]
	s_waitcnt vmcnt(17)
	v_fma_f64 v[123:124], v[153:154], v[125:126], v[123:124]
	buffer_load_dword v132, off, s[0:3], 0 offset:324
	buffer_load_dword v147, off, s[0:3], 0 offset:344
	;; [unrolled: 1-line block ×8, first 2 shown]
	s_waitcnt vmcnt(24) lgkmcnt(0)
	v_fma_f64 v[123:124], v[133:134], v[127:128], v[123:124]
	s_waitcnt vmcnt(19)
	v_fma_f64 v[133:134], v[135:136], v[129:130], v[123:124]
	ds_read2_b64 v[123:126], v122 offset0:93 offset1:94
	ds_read2_b64 v[127:130], v122 offset0:95 offset1:96
	s_waitcnt vmcnt(18) lgkmcnt(1)
	v_fma_f64 v[123:124], v[141:142], v[123:124], v[133:134]
	s_waitcnt vmcnt(17)
	v_fma_f64 v[123:124], v[139:140], v[125:126], v[123:124]
	buffer_load_dword v134, off, s[0:3], 0 offset:356
	buffer_load_dword v135, off, s[0:3], 0 offset:376
	;; [unrolled: 1-line block ×7, first 2 shown]
	s_waitcnt vmcnt(23) lgkmcnt(0)
	v_fma_f64 v[123:124], v[137:138], v[127:128], v[123:124]
	s_waitcnt vmcnt(18)
	v_fma_f64 v[136:137], v[143:144], v[129:130], v[123:124]
	ds_read2_b64 v[123:126], v122 offset0:97 offset1:98
	ds_read2_b64 v[127:130], v122 offset0:99 offset1:100
	s_waitcnt vmcnt(17) lgkmcnt(1)
	v_fma_f64 v[123:124], v[151:152], v[123:124], v[136:137]
	buffer_load_dword v136, off, s[0:3], 0 offset:380
	s_waitcnt vmcnt(17)
	v_fma_f64 v[123:124], v[149:150], v[125:126], v[123:124]
	buffer_load_dword v138, off, s[0:3], 0 offset:388
	buffer_load_dword v143, off, s[0:3], 0 offset:408
	buffer_load_dword v149, off, s[0:3], 0 offset:400
	buffer_load_dword v151, off, s[0:3], 0 offset:392
	buffer_load_dword v137, off, s[0:3], 0 offset:384
	buffer_load_dword v152, off, s[0:3], 0 offset:396
	buffer_load_dword v150, off, s[0:3], 0 offset:404
	buffer_load_dword v144, off, s[0:3], 0 offset:412
	s_waitcnt vmcnt(24) lgkmcnt(0)
	v_fma_f64 v[123:124], v[145:146], v[127:128], v[123:124]
	s_waitcnt vmcnt(19)
	v_fma_f64 v[131:132], v[131:132], v[129:130], v[123:124]
	ds_read2_b64 v[123:126], v122 offset0:101 offset1:102
	ds_read2_b64 v[127:130], v122 offset0:103 offset1:104
	s_waitcnt vmcnt(18) lgkmcnt(1)
	v_fma_f64 v[123:124], v[155:156], v[123:124], v[131:132]
	s_waitcnt vmcnt(17)
	v_fma_f64 v[123:124], v[153:154], v[125:126], v[123:124]
	buffer_load_dword v132, off, s[0:3], 0 offset:420
	buffer_load_dword v145, off, s[0:3], 0 offset:440
	buffer_load_dword v153, off, s[0:3], 0 offset:432
	buffer_load_dword v155, off, s[0:3], 0 offset:424
	buffer_load_dword v131, off, s[0:3], 0 offset:416
	buffer_load_dword v156, off, s[0:3], 0 offset:428
	buffer_load_dword v154, off, s[0:3], 0 offset:436
	buffer_load_dword v146, off, s[0:3], 0 offset:444
	s_waitcnt vmcnt(24) lgkmcnt(0)
	v_fma_f64 v[123:124], v[147:148], v[127:128], v[123:124]
	s_waitcnt vmcnt(19)
	v_fma_f64 v[133:134], v[133:134], v[129:130], v[123:124]
	ds_read2_b64 v[123:126], v122 offset0:105 offset1:106
	ds_read2_b64 v[127:130], v122 offset0:107 offset1:108
	s_waitcnt vmcnt(18) lgkmcnt(1)
	v_fma_f64 v[123:124], v[141:142], v[123:124], v[133:134]
	;; [unrolled: 18-line block ×3, first 2 shown]
	buffer_load_dword v135, off, s[0:3], 0 offset:128
	buffer_load_dword v136, off, s[0:3], 0 offset:132
	s_waitcnt vmcnt(19)
	v_fma_f64 v[123:124], v[149:150], v[125:126], v[123:124]
	s_waitcnt vmcnt(18) lgkmcnt(0)
	v_fma_f64 v[123:124], v[143:144], v[127:128], v[123:124]
	s_waitcnt vmcnt(13)
	v_fma_f64 v[131:132], v[131:132], v[129:130], v[123:124]
	ds_read2_b64 v[123:126], v122 offset0:113 offset1:114
	ds_read2_b64 v[127:130], v122 offset0:115 offset1:116
	s_waitcnt vmcnt(12) lgkmcnt(1)
	v_fma_f64 v[123:124], v[155:156], v[123:124], v[131:132]
	s_waitcnt vmcnt(11)
	v_fma_f64 v[123:124], v[153:154], v[125:126], v[123:124]
	s_waitcnt vmcnt(10) lgkmcnt(0)
	v_fma_f64 v[123:124], v[145:146], v[127:128], v[123:124]
	s_waitcnt vmcnt(5)
	v_fma_f64 v[127:128], v[133:134], v[129:130], v[123:124]
	ds_read2_b64 v[123:126], v122 offset0:117 offset1:118
	ds_read_b64 v[129:130], v122 offset:952
	s_waitcnt vmcnt(4) lgkmcnt(1)
	v_fma_f64 v[123:124], v[147:148], v[123:124], v[127:128]
	s_waitcnt vmcnt(3)
	v_fma_f64 v[123:124], v[141:142], v[125:126], v[123:124]
	s_waitcnt vmcnt(2) lgkmcnt(0)
	v_fma_f64 v[123:124], v[139:140], v[129:130], v[123:124]
	s_waitcnt vmcnt(0)
	v_add_f64 v[123:124], v[135:136], -v[123:124]
	buffer_store_dword v124, off, s[0:3], 0 offset:132
	buffer_store_dword v123, off, s[0:3], 0 offset:128
	s_and_saveexec_b64 s[4:5], vcc
	s_cbranch_execz .LBB59_337
; %bb.336:
	buffer_load_dword v123, off, s[0:3], 0 offset:120
	buffer_load_dword v124, off, s[0:3], 0 offset:124
	s_waitcnt vmcnt(0)
	ds_write_b64 v121, v[123:124]
	buffer_store_dword v122, off, s[0:3], 0 offset:120
	buffer_store_dword v122, off, s[0:3], 0 offset:124
.LBB59_337:
	s_or_b64 exec, exec, s[4:5]
	s_waitcnt lgkmcnt(0)
	; wave barrier
	buffer_load_dword v131, off, s[0:3], 0 offset:128
	buffer_load_dword v132, off, s[0:3], 0 offset:132
	;; [unrolled: 1-line block ×22, first 2 shown]
	ds_read_b128 v[123:126], v122 offset:608
	ds_read_b128 v[127:130], v122 offset:624
	v_cmp_lt_u32_e32 vcc, 14, v0
	s_waitcnt vmcnt(20) lgkmcnt(1)
	v_fma_f64 v[123:124], v[131:132], v[123:124], 0
	s_waitcnt vmcnt(18)
	v_fma_f64 v[123:124], v[133:134], v[125:126], v[123:124]
	buffer_load_dword v132, off, s[0:3], 0 offset:220
	buffer_load_dword v133, off, s[0:3], 0 offset:240
	buffer_load_dword v153, off, s[0:3], 0 offset:232
	buffer_load_dword v155, off, s[0:3], 0 offset:224
	buffer_load_dword v131, off, s[0:3], 0 offset:216
	buffer_load_dword v156, off, s[0:3], 0 offset:228
	buffer_load_dword v154, off, s[0:3], 0 offset:236
	s_waitcnt vmcnt(23) lgkmcnt(0)
	v_fma_f64 v[123:124], v[135:136], v[127:128], v[123:124]
	s_waitcnt vmcnt(21)
	v_fma_f64 v[134:135], v[137:138], v[129:130], v[123:124]
	ds_read_b128 v[123:126], v122 offset:640
	ds_read_b128 v[127:130], v122 offset:656
	s_waitcnt vmcnt(19) lgkmcnt(1)
	v_fma_f64 v[123:124], v[139:140], v[123:124], v[134:135]
	buffer_load_dword v134, off, s[0:3], 0 offset:244
	s_waitcnt vmcnt(18)
	v_fma_f64 v[123:124], v[141:142], v[125:126], v[123:124]
	buffer_load_dword v136, off, s[0:3], 0 offset:252
	buffer_load_dword v137, off, s[0:3], 0 offset:272
	;; [unrolled: 1-line block ×7, first 2 shown]
	s_waitcnt vmcnt(23) lgkmcnt(0)
	v_fma_f64 v[123:124], v[143:144], v[127:128], v[123:124]
	s_waitcnt vmcnt(18)
	v_fma_f64 v[143:144], v[145:146], v[129:130], v[123:124]
	ds_read_b128 v[123:126], v122 offset:672
	ds_read_b128 v[127:130], v122 offset:688
	buffer_load_dword v138, off, s[0:3], 0 offset:276
	s_waitcnt vmcnt(18) lgkmcnt(1)
	v_fma_f64 v[123:124], v[151:152], v[123:124], v[143:144]
	s_waitcnt vmcnt(17)
	v_fma_f64 v[123:124], v[149:150], v[125:126], v[123:124]
	buffer_load_dword v144, off, s[0:3], 0 offset:284
	buffer_load_dword v145, off, s[0:3], 0 offset:304
	;; [unrolled: 1-line block ×8, first 2 shown]
	s_waitcnt vmcnt(24) lgkmcnt(0)
	v_fma_f64 v[123:124], v[147:148], v[127:128], v[123:124]
	s_waitcnt vmcnt(19)
	v_fma_f64 v[131:132], v[131:132], v[129:130], v[123:124]
	ds_read_b128 v[123:126], v122 offset:704
	ds_read_b128 v[127:130], v122 offset:720
	s_waitcnt vmcnt(18) lgkmcnt(1)
	v_fma_f64 v[123:124], v[155:156], v[123:124], v[131:132]
	s_waitcnt vmcnt(17)
	v_fma_f64 v[123:124], v[153:154], v[125:126], v[123:124]
	buffer_load_dword v132, off, s[0:3], 0 offset:316
	buffer_load_dword v147, off, s[0:3], 0 offset:336
	;; [unrolled: 1-line block ×8, first 2 shown]
	s_waitcnt vmcnt(24) lgkmcnt(0)
	v_fma_f64 v[123:124], v[133:134], v[127:128], v[123:124]
	s_waitcnt vmcnt(19)
	v_fma_f64 v[133:134], v[135:136], v[129:130], v[123:124]
	ds_read_b128 v[123:126], v122 offset:736
	ds_read_b128 v[127:130], v122 offset:752
	s_waitcnt vmcnt(18) lgkmcnt(1)
	v_fma_f64 v[123:124], v[141:142], v[123:124], v[133:134]
	s_waitcnt vmcnt(17)
	v_fma_f64 v[123:124], v[139:140], v[125:126], v[123:124]
	buffer_load_dword v134, off, s[0:3], 0 offset:348
	buffer_load_dword v135, off, s[0:3], 0 offset:368
	;; [unrolled: 1-line block ×7, first 2 shown]
	s_waitcnt vmcnt(23) lgkmcnt(0)
	v_fma_f64 v[123:124], v[137:138], v[127:128], v[123:124]
	s_waitcnt vmcnt(18)
	v_fma_f64 v[136:137], v[143:144], v[129:130], v[123:124]
	ds_read_b128 v[123:126], v122 offset:768
	ds_read_b128 v[127:130], v122 offset:784
	s_waitcnt vmcnt(17) lgkmcnt(1)
	v_fma_f64 v[123:124], v[151:152], v[123:124], v[136:137]
	buffer_load_dword v136, off, s[0:3], 0 offset:372
	s_waitcnt vmcnt(17)
	v_fma_f64 v[123:124], v[149:150], v[125:126], v[123:124]
	buffer_load_dword v138, off, s[0:3], 0 offset:380
	buffer_load_dword v143, off, s[0:3], 0 offset:400
	buffer_load_dword v149, off, s[0:3], 0 offset:392
	buffer_load_dword v151, off, s[0:3], 0 offset:384
	buffer_load_dword v137, off, s[0:3], 0 offset:376
	buffer_load_dword v152, off, s[0:3], 0 offset:388
	buffer_load_dword v150, off, s[0:3], 0 offset:396
	buffer_load_dword v144, off, s[0:3], 0 offset:404
	s_waitcnt vmcnt(24) lgkmcnt(0)
	v_fma_f64 v[123:124], v[145:146], v[127:128], v[123:124]
	s_waitcnt vmcnt(19)
	v_fma_f64 v[131:132], v[131:132], v[129:130], v[123:124]
	ds_read_b128 v[123:126], v122 offset:800
	ds_read_b128 v[127:130], v122 offset:816
	s_waitcnt vmcnt(18) lgkmcnt(1)
	v_fma_f64 v[123:124], v[155:156], v[123:124], v[131:132]
	s_waitcnt vmcnt(17)
	v_fma_f64 v[123:124], v[153:154], v[125:126], v[123:124]
	buffer_load_dword v132, off, s[0:3], 0 offset:412
	buffer_load_dword v145, off, s[0:3], 0 offset:432
	buffer_load_dword v153, off, s[0:3], 0 offset:424
	buffer_load_dword v155, off, s[0:3], 0 offset:416
	buffer_load_dword v131, off, s[0:3], 0 offset:408
	buffer_load_dword v156, off, s[0:3], 0 offset:420
	buffer_load_dword v154, off, s[0:3], 0 offset:428
	buffer_load_dword v146, off, s[0:3], 0 offset:436
	s_waitcnt vmcnt(24) lgkmcnt(0)
	v_fma_f64 v[123:124], v[147:148], v[127:128], v[123:124]
	s_waitcnt vmcnt(19)
	v_fma_f64 v[133:134], v[133:134], v[129:130], v[123:124]
	ds_read_b128 v[123:126], v122 offset:832
	ds_read_b128 v[127:130], v122 offset:848
	s_waitcnt vmcnt(18) lgkmcnt(1)
	v_fma_f64 v[123:124], v[141:142], v[123:124], v[133:134]
	;; [unrolled: 18-line block ×3, first 2 shown]
	buffer_load_dword v136, off, s[0:3], 0 offset:476
	buffer_load_dword v135, off, s[0:3], 0 offset:472
	;; [unrolled: 1-line block ×4, first 2 shown]
	s_waitcnt vmcnt(21)
	v_fma_f64 v[123:124], v[149:150], v[125:126], v[123:124]
	s_waitcnt vmcnt(20) lgkmcnt(0)
	v_fma_f64 v[123:124], v[143:144], v[127:128], v[123:124]
	s_waitcnt vmcnt(15)
	v_fma_f64 v[131:132], v[131:132], v[129:130], v[123:124]
	ds_read_b128 v[123:126], v122 offset:896
	ds_read_b128 v[127:130], v122 offset:912
	s_waitcnt vmcnt(14) lgkmcnt(1)
	v_fma_f64 v[123:124], v[155:156], v[123:124], v[131:132]
	s_waitcnt vmcnt(13)
	v_fma_f64 v[123:124], v[153:154], v[125:126], v[123:124]
	s_waitcnt vmcnt(12) lgkmcnt(0)
	v_fma_f64 v[123:124], v[145:146], v[127:128], v[123:124]
	s_waitcnt vmcnt(7)
	v_fma_f64 v[131:132], v[133:134], v[129:130], v[123:124]
	ds_read_b128 v[123:126], v122 offset:928
	ds_read_b128 v[127:130], v122 offset:944
	s_waitcnt vmcnt(6) lgkmcnt(1)
	v_fma_f64 v[122:123], v[147:148], v[123:124], v[131:132]
	s_waitcnt vmcnt(5)
	v_fma_f64 v[122:123], v[141:142], v[125:126], v[122:123]
	s_waitcnt vmcnt(4) lgkmcnt(0)
	v_fma_f64 v[122:123], v[139:140], v[127:128], v[122:123]
	s_waitcnt vmcnt(2)
	v_fma_f64 v[122:123], v[135:136], v[129:130], v[122:123]
	s_waitcnt vmcnt(0)
	v_add_f64 v[122:123], v[137:138], -v[122:123]
	buffer_store_dword v123, off, s[0:3], 0 offset:124
	buffer_store_dword v122, off, s[0:3], 0 offset:120
	s_and_saveexec_b64 s[4:5], vcc
	s_cbranch_execz .LBB59_339
; %bb.338:
	buffer_load_dword v122, off, s[0:3], 0 offset:112
	buffer_load_dword v123, off, s[0:3], 0 offset:116
	v_mov_b32_e32 v124, 0
	buffer_store_dword v124, off, s[0:3], 0 offset:112
	buffer_store_dword v124, off, s[0:3], 0 offset:116
	s_waitcnt vmcnt(2)
	ds_write_b64 v121, v[122:123]
.LBB59_339:
	s_or_b64 exec, exec, s[4:5]
	s_waitcnt lgkmcnt(0)
	; wave barrier
	buffer_load_dword v131, off, s[0:3], 0 offset:120
	buffer_load_dword v132, off, s[0:3], 0 offset:124
	;; [unrolled: 1-line block ×21, first 2 shown]
	v_mov_b32_e32 v122, 0
	ds_read2_b64 v[123:126], v122 offset0:75 offset1:76
	ds_read2_b64 v[127:130], v122 offset0:77 offset1:78
	buffer_load_dword v148, off, s[0:3], 0 offset:204
	v_cmp_lt_u32_e32 vcc, 13, v0
	s_waitcnt vmcnt(20) lgkmcnt(1)
	v_fma_f64 v[123:124], v[131:132], v[123:124], 0
	s_waitcnt vmcnt(18)
	v_fma_f64 v[123:124], v[133:134], v[125:126], v[123:124]
	buffer_load_dword v132, off, s[0:3], 0 offset:212
	buffer_load_dword v133, off, s[0:3], 0 offset:232
	;; [unrolled: 1-line block ×7, first 2 shown]
	s_waitcnt vmcnt(23) lgkmcnt(0)
	v_fma_f64 v[123:124], v[135:136], v[127:128], v[123:124]
	s_waitcnt vmcnt(21)
	v_fma_f64 v[134:135], v[137:138], v[129:130], v[123:124]
	ds_read2_b64 v[123:126], v122 offset0:79 offset1:80
	ds_read2_b64 v[127:130], v122 offset0:81 offset1:82
	s_waitcnt vmcnt(19) lgkmcnt(1)
	v_fma_f64 v[123:124], v[139:140], v[123:124], v[134:135]
	buffer_load_dword v134, off, s[0:3], 0 offset:236
	s_waitcnt vmcnt(18)
	v_fma_f64 v[123:124], v[141:142], v[125:126], v[123:124]
	buffer_load_dword v136, off, s[0:3], 0 offset:244
	buffer_load_dword v137, off, s[0:3], 0 offset:264
	;; [unrolled: 1-line block ×7, first 2 shown]
	s_waitcnt vmcnt(23) lgkmcnt(0)
	v_fma_f64 v[123:124], v[143:144], v[127:128], v[123:124]
	s_waitcnt vmcnt(18)
	v_fma_f64 v[143:144], v[145:146], v[129:130], v[123:124]
	ds_read2_b64 v[123:126], v122 offset0:83 offset1:84
	ds_read2_b64 v[127:130], v122 offset0:85 offset1:86
	buffer_load_dword v138, off, s[0:3], 0 offset:268
	s_waitcnt vmcnt(18) lgkmcnt(1)
	v_fma_f64 v[123:124], v[151:152], v[123:124], v[143:144]
	s_waitcnt vmcnt(17)
	v_fma_f64 v[123:124], v[149:150], v[125:126], v[123:124]
	buffer_load_dword v144, off, s[0:3], 0 offset:276
	buffer_load_dword v145, off, s[0:3], 0 offset:296
	;; [unrolled: 1-line block ×7, first 2 shown]
	s_waitcnt vmcnt(23) lgkmcnt(0)
	v_fma_f64 v[123:124], v[147:148], v[127:128], v[123:124]
	s_waitcnt vmcnt(18)
	v_fma_f64 v[131:132], v[131:132], v[129:130], v[123:124]
	ds_read2_b64 v[123:126], v122 offset0:87 offset1:88
	ds_read2_b64 v[127:130], v122 offset0:89 offset1:90
	buffer_load_dword v146, off, s[0:3], 0 offset:300
	s_waitcnt vmcnt(18) lgkmcnt(1)
	v_fma_f64 v[123:124], v[155:156], v[123:124], v[131:132]
	s_waitcnt vmcnt(17)
	v_fma_f64 v[123:124], v[153:154], v[125:126], v[123:124]
	buffer_load_dword v132, off, s[0:3], 0 offset:308
	buffer_load_dword v147, off, s[0:3], 0 offset:328
	;; [unrolled: 1-line block ×8, first 2 shown]
	s_waitcnt vmcnt(24) lgkmcnt(0)
	v_fma_f64 v[123:124], v[133:134], v[127:128], v[123:124]
	s_waitcnt vmcnt(19)
	v_fma_f64 v[133:134], v[135:136], v[129:130], v[123:124]
	ds_read2_b64 v[123:126], v122 offset0:91 offset1:92
	ds_read2_b64 v[127:130], v122 offset0:93 offset1:94
	s_waitcnt vmcnt(18) lgkmcnt(1)
	v_fma_f64 v[123:124], v[141:142], v[123:124], v[133:134]
	s_waitcnt vmcnt(17)
	v_fma_f64 v[123:124], v[139:140], v[125:126], v[123:124]
	buffer_load_dword v134, off, s[0:3], 0 offset:340
	buffer_load_dword v135, off, s[0:3], 0 offset:360
	;; [unrolled: 1-line block ×7, first 2 shown]
	s_waitcnt vmcnt(23) lgkmcnt(0)
	v_fma_f64 v[123:124], v[137:138], v[127:128], v[123:124]
	s_waitcnt vmcnt(18)
	v_fma_f64 v[136:137], v[143:144], v[129:130], v[123:124]
	ds_read2_b64 v[123:126], v122 offset0:95 offset1:96
	ds_read2_b64 v[127:130], v122 offset0:97 offset1:98
	s_waitcnt vmcnt(17) lgkmcnt(1)
	v_fma_f64 v[123:124], v[151:152], v[123:124], v[136:137]
	buffer_load_dword v136, off, s[0:3], 0 offset:364
	s_waitcnt vmcnt(17)
	v_fma_f64 v[123:124], v[149:150], v[125:126], v[123:124]
	buffer_load_dword v138, off, s[0:3], 0 offset:372
	buffer_load_dword v143, off, s[0:3], 0 offset:392
	;; [unrolled: 1-line block ×7, first 2 shown]
	s_waitcnt vmcnt(23) lgkmcnt(0)
	v_fma_f64 v[123:124], v[145:146], v[127:128], v[123:124]
	s_waitcnt vmcnt(18)
	v_fma_f64 v[131:132], v[131:132], v[129:130], v[123:124]
	ds_read2_b64 v[123:126], v122 offset0:99 offset1:100
	ds_read2_b64 v[127:130], v122 offset0:101 offset1:102
	buffer_load_dword v144, off, s[0:3], 0 offset:396
	s_waitcnt vmcnt(18) lgkmcnt(1)
	v_fma_f64 v[123:124], v[155:156], v[123:124], v[131:132]
	s_waitcnt vmcnt(17)
	v_fma_f64 v[123:124], v[153:154], v[125:126], v[123:124]
	buffer_load_dword v132, off, s[0:3], 0 offset:404
	buffer_load_dword v145, off, s[0:3], 0 offset:424
	;; [unrolled: 1-line block ×8, first 2 shown]
	s_waitcnt vmcnt(24) lgkmcnt(0)
	v_fma_f64 v[123:124], v[147:148], v[127:128], v[123:124]
	s_waitcnt vmcnt(19)
	v_fma_f64 v[133:134], v[133:134], v[129:130], v[123:124]
	ds_read2_b64 v[123:126], v122 offset0:103 offset1:104
	ds_read2_b64 v[127:130], v122 offset0:105 offset1:106
	s_waitcnt vmcnt(18) lgkmcnt(1)
	v_fma_f64 v[123:124], v[141:142], v[123:124], v[133:134]
	s_waitcnt vmcnt(17)
	v_fma_f64 v[123:124], v[139:140], v[125:126], v[123:124]
	buffer_load_dword v134, off, s[0:3], 0 offset:436
	buffer_load_dword v139, off, s[0:3], 0 offset:456
	;; [unrolled: 1-line block ×7, first 2 shown]
	s_waitcnt vmcnt(23) lgkmcnt(0)
	v_fma_f64 v[123:124], v[135:136], v[127:128], v[123:124]
	s_waitcnt vmcnt(18)
	v_fma_f64 v[135:136], v[137:138], v[129:130], v[123:124]
	ds_read2_b64 v[123:126], v122 offset0:107 offset1:108
	ds_read2_b64 v[127:130], v122 offset0:109 offset1:110
	buffer_load_dword v140, off, s[0:3], 0 offset:460
	s_waitcnt vmcnt(18) lgkmcnt(1)
	v_fma_f64 v[123:124], v[151:152], v[123:124], v[135:136]
	buffer_load_dword v136, off, s[0:3], 0 offset:468
	buffer_load_dword v137, off, s[0:3], 0 offset:472
	;; [unrolled: 1-line block ×4, first 2 shown]
	s_waitcnt vmcnt(21)
	v_fma_f64 v[123:124], v[149:150], v[125:126], v[123:124]
	s_waitcnt vmcnt(20) lgkmcnt(0)
	v_fma_f64 v[123:124], v[143:144], v[127:128], v[123:124]
	buffer_load_dword v143, off, s[0:3], 0 offset:112
	buffer_load_dword v144, off, s[0:3], 0 offset:116
	s_waitcnt vmcnt(17)
	v_fma_f64 v[131:132], v[131:132], v[129:130], v[123:124]
	ds_read2_b64 v[123:126], v122 offset0:111 offset1:112
	ds_read2_b64 v[127:130], v122 offset0:113 offset1:114
	s_waitcnt vmcnt(16) lgkmcnt(1)
	v_fma_f64 v[123:124], v[155:156], v[123:124], v[131:132]
	s_waitcnt vmcnt(15)
	v_fma_f64 v[123:124], v[153:154], v[125:126], v[123:124]
	s_waitcnt vmcnt(14) lgkmcnt(0)
	v_fma_f64 v[123:124], v[145:146], v[127:128], v[123:124]
	s_waitcnt vmcnt(9)
	v_fma_f64 v[131:132], v[133:134], v[129:130], v[123:124]
	ds_read2_b64 v[123:126], v122 offset0:115 offset1:116
	ds_read2_b64 v[127:130], v122 offset0:117 offset1:118
	s_waitcnt vmcnt(8) lgkmcnt(1)
	v_fma_f64 v[123:124], v[147:148], v[123:124], v[131:132]
	s_waitcnt vmcnt(7)
	v_fma_f64 v[123:124], v[141:142], v[125:126], v[123:124]
	ds_read_b64 v[125:126], v122 offset:952
	s_waitcnt vmcnt(6) lgkmcnt(1)
	v_fma_f64 v[123:124], v[139:140], v[127:128], v[123:124]
	s_waitcnt vmcnt(3)
	v_fma_f64 v[123:124], v[135:136], v[129:130], v[123:124]
	s_waitcnt vmcnt(2) lgkmcnt(0)
	v_fma_f64 v[123:124], v[137:138], v[125:126], v[123:124]
	s_waitcnt vmcnt(0)
	v_add_f64 v[123:124], v[143:144], -v[123:124]
	buffer_store_dword v124, off, s[0:3], 0 offset:116
	buffer_store_dword v123, off, s[0:3], 0 offset:112
	s_and_saveexec_b64 s[4:5], vcc
	s_cbranch_execz .LBB59_341
; %bb.340:
	buffer_load_dword v123, off, s[0:3], 0 offset:104
	buffer_load_dword v124, off, s[0:3], 0 offset:108
	s_waitcnt vmcnt(0)
	ds_write_b64 v121, v[123:124]
	buffer_store_dword v122, off, s[0:3], 0 offset:104
	buffer_store_dword v122, off, s[0:3], 0 offset:108
.LBB59_341:
	s_or_b64 exec, exec, s[4:5]
	s_waitcnt lgkmcnt(0)
	; wave barrier
	buffer_load_dword v131, off, s[0:3], 0 offset:112
	buffer_load_dword v132, off, s[0:3], 0 offset:116
	;; [unrolled: 1-line block ×21, first 2 shown]
	ds_read_b128 v[123:126], v122 offset:592
	ds_read_b128 v[127:130], v122 offset:608
	buffer_load_dword v148, off, s[0:3], 0 offset:196
	v_cmp_lt_u32_e32 vcc, 12, v0
	s_waitcnt vmcnt(20) lgkmcnt(1)
	v_fma_f64 v[123:124], v[131:132], v[123:124], 0
	s_waitcnt vmcnt(18)
	v_fma_f64 v[123:124], v[133:134], v[125:126], v[123:124]
	buffer_load_dword v132, off, s[0:3], 0 offset:204
	buffer_load_dword v133, off, s[0:3], 0 offset:224
	;; [unrolled: 1-line block ×7, first 2 shown]
	s_waitcnt vmcnt(23) lgkmcnt(0)
	v_fma_f64 v[123:124], v[135:136], v[127:128], v[123:124]
	s_waitcnt vmcnt(21)
	v_fma_f64 v[134:135], v[137:138], v[129:130], v[123:124]
	ds_read_b128 v[123:126], v122 offset:624
	ds_read_b128 v[127:130], v122 offset:640
	s_waitcnt vmcnt(19) lgkmcnt(1)
	v_fma_f64 v[123:124], v[139:140], v[123:124], v[134:135]
	buffer_load_dword v134, off, s[0:3], 0 offset:228
	s_waitcnt vmcnt(18)
	v_fma_f64 v[123:124], v[141:142], v[125:126], v[123:124]
	buffer_load_dword v136, off, s[0:3], 0 offset:236
	buffer_load_dword v137, off, s[0:3], 0 offset:256
	;; [unrolled: 1-line block ×8, first 2 shown]
	s_waitcnt vmcnt(24) lgkmcnt(0)
	v_fma_f64 v[123:124], v[143:144], v[127:128], v[123:124]
	s_waitcnt vmcnt(19)
	v_fma_f64 v[143:144], v[145:146], v[129:130], v[123:124]
	ds_read_b128 v[123:126], v122 offset:656
	ds_read_b128 v[127:130], v122 offset:672
	s_waitcnt vmcnt(18) lgkmcnt(1)
	v_fma_f64 v[123:124], v[151:152], v[123:124], v[143:144]
	s_waitcnt vmcnt(17)
	v_fma_f64 v[123:124], v[149:150], v[125:126], v[123:124]
	buffer_load_dword v144, off, s[0:3], 0 offset:268
	buffer_load_dword v145, off, s[0:3], 0 offset:288
	;; [unrolled: 1-line block ×7, first 2 shown]
	s_waitcnt vmcnt(23) lgkmcnt(0)
	v_fma_f64 v[123:124], v[147:148], v[127:128], v[123:124]
	s_waitcnt vmcnt(18)
	v_fma_f64 v[131:132], v[131:132], v[129:130], v[123:124]
	ds_read_b128 v[123:126], v122 offset:688
	ds_read_b128 v[127:130], v122 offset:704
	buffer_load_dword v146, off, s[0:3], 0 offset:292
	s_waitcnt vmcnt(18) lgkmcnt(1)
	v_fma_f64 v[123:124], v[155:156], v[123:124], v[131:132]
	s_waitcnt vmcnt(17)
	v_fma_f64 v[123:124], v[153:154], v[125:126], v[123:124]
	buffer_load_dword v132, off, s[0:3], 0 offset:300
	buffer_load_dword v147, off, s[0:3], 0 offset:320
	;; [unrolled: 1-line block ×8, first 2 shown]
	s_waitcnt vmcnt(24) lgkmcnt(0)
	v_fma_f64 v[123:124], v[133:134], v[127:128], v[123:124]
	s_waitcnt vmcnt(19)
	v_fma_f64 v[133:134], v[135:136], v[129:130], v[123:124]
	ds_read_b128 v[123:126], v122 offset:720
	ds_read_b128 v[127:130], v122 offset:736
	s_waitcnt vmcnt(18) lgkmcnt(1)
	v_fma_f64 v[123:124], v[141:142], v[123:124], v[133:134]
	s_waitcnt vmcnt(17)
	v_fma_f64 v[123:124], v[139:140], v[125:126], v[123:124]
	buffer_load_dword v134, off, s[0:3], 0 offset:332
	buffer_load_dword v135, off, s[0:3], 0 offset:352
	;; [unrolled: 1-line block ×7, first 2 shown]
	s_waitcnt vmcnt(23) lgkmcnt(0)
	v_fma_f64 v[123:124], v[137:138], v[127:128], v[123:124]
	s_waitcnt vmcnt(18)
	v_fma_f64 v[136:137], v[143:144], v[129:130], v[123:124]
	ds_read_b128 v[123:126], v122 offset:752
	ds_read_b128 v[127:130], v122 offset:768
	s_waitcnt vmcnt(17) lgkmcnt(1)
	v_fma_f64 v[123:124], v[151:152], v[123:124], v[136:137]
	buffer_load_dword v136, off, s[0:3], 0 offset:356
	s_waitcnt vmcnt(17)
	v_fma_f64 v[123:124], v[149:150], v[125:126], v[123:124]
	buffer_load_dword v138, off, s[0:3], 0 offset:364
	buffer_load_dword v143, off, s[0:3], 0 offset:384
	;; [unrolled: 1-line block ×7, first 2 shown]
	s_waitcnt vmcnt(23) lgkmcnt(0)
	v_fma_f64 v[123:124], v[145:146], v[127:128], v[123:124]
	s_waitcnt vmcnt(18)
	v_fma_f64 v[131:132], v[131:132], v[129:130], v[123:124]
	ds_read_b128 v[123:126], v122 offset:784
	ds_read_b128 v[127:130], v122 offset:800
	buffer_load_dword v144, off, s[0:3], 0 offset:388
	s_waitcnt vmcnt(18) lgkmcnt(1)
	v_fma_f64 v[123:124], v[155:156], v[123:124], v[131:132]
	s_waitcnt vmcnt(17)
	v_fma_f64 v[123:124], v[153:154], v[125:126], v[123:124]
	buffer_load_dword v132, off, s[0:3], 0 offset:396
	buffer_load_dword v145, off, s[0:3], 0 offset:416
	;; [unrolled: 1-line block ×8, first 2 shown]
	s_waitcnt vmcnt(24) lgkmcnt(0)
	v_fma_f64 v[123:124], v[147:148], v[127:128], v[123:124]
	s_waitcnt vmcnt(19)
	v_fma_f64 v[133:134], v[133:134], v[129:130], v[123:124]
	ds_read_b128 v[123:126], v122 offset:816
	ds_read_b128 v[127:130], v122 offset:832
	s_waitcnt vmcnt(18) lgkmcnt(1)
	v_fma_f64 v[123:124], v[141:142], v[123:124], v[133:134]
	s_waitcnt vmcnt(17)
	v_fma_f64 v[123:124], v[139:140], v[125:126], v[123:124]
	buffer_load_dword v134, off, s[0:3], 0 offset:428
	buffer_load_dword v139, off, s[0:3], 0 offset:448
	buffer_load_dword v141, off, s[0:3], 0 offset:440
	buffer_load_dword v147, off, s[0:3], 0 offset:432
	buffer_load_dword v133, off, s[0:3], 0 offset:424
	buffer_load_dword v148, off, s[0:3], 0 offset:436
	buffer_load_dword v142, off, s[0:3], 0 offset:444
	buffer_load_dword v140, off, s[0:3], 0 offset:452
	s_waitcnt vmcnt(24) lgkmcnt(0)
	v_fma_f64 v[123:124], v[135:136], v[127:128], v[123:124]
	s_waitcnt vmcnt(19)
	v_fma_f64 v[135:136], v[137:138], v[129:130], v[123:124]
	ds_read_b128 v[123:126], v122 offset:848
	ds_read_b128 v[127:130], v122 offset:864
	s_waitcnt vmcnt(18) lgkmcnt(1)
	v_fma_f64 v[123:124], v[151:152], v[123:124], v[135:136]
	s_waitcnt vmcnt(17)
	v_fma_f64 v[123:124], v[149:150], v[125:126], v[123:124]
	buffer_load_dword v136, off, s[0:3], 0 offset:460
	buffer_load_dword v137, off, s[0:3], 0 offset:472
	;; [unrolled: 1-line block ×6, first 2 shown]
	s_waitcnt vmcnt(22) lgkmcnt(0)
	v_fma_f64 v[123:124], v[143:144], v[127:128], v[123:124]
	s_waitcnt vmcnt(17)
	v_fma_f64 v[131:132], v[131:132], v[129:130], v[123:124]
	ds_read_b128 v[123:126], v122 offset:880
	buffer_load_dword v143, off, s[0:3], 0 offset:104
	buffer_load_dword v144, off, s[0:3], 0 offset:108
	ds_read_b128 v[127:130], v122 offset:896
	s_waitcnt vmcnt(18) lgkmcnt(1)
	v_fma_f64 v[123:124], v[155:156], v[123:124], v[131:132]
	s_waitcnt vmcnt(17)
	v_fma_f64 v[123:124], v[153:154], v[125:126], v[123:124]
	s_waitcnt vmcnt(16) lgkmcnt(0)
	v_fma_f64 v[123:124], v[145:146], v[127:128], v[123:124]
	s_waitcnt vmcnt(11)
	v_fma_f64 v[131:132], v[133:134], v[129:130], v[123:124]
	ds_read_b128 v[123:126], v122 offset:912
	ds_read_b128 v[127:130], v122 offset:928
	s_waitcnt vmcnt(10) lgkmcnt(1)
	v_fma_f64 v[123:124], v[147:148], v[123:124], v[131:132]
	s_waitcnt vmcnt(9)
	v_fma_f64 v[123:124], v[141:142], v[125:126], v[123:124]
	s_waitcnt vmcnt(8) lgkmcnt(0)
	v_fma_f64 v[123:124], v[139:140], v[127:128], v[123:124]
	s_waitcnt vmcnt(4)
	v_fma_f64 v[126:127], v[135:136], v[129:130], v[123:124]
	ds_read_b128 v[122:125], v122 offset:944
	s_waitcnt vmcnt(3) lgkmcnt(0)
	v_fma_f64 v[122:123], v[149:150], v[122:123], v[126:127]
	s_waitcnt vmcnt(2)
	v_fma_f64 v[122:123], v[137:138], v[124:125], v[122:123]
	s_waitcnt vmcnt(0)
	v_add_f64 v[122:123], v[143:144], -v[122:123]
	buffer_store_dword v123, off, s[0:3], 0 offset:108
	buffer_store_dword v122, off, s[0:3], 0 offset:104
	s_and_saveexec_b64 s[4:5], vcc
	s_cbranch_execz .LBB59_343
; %bb.342:
	buffer_load_dword v122, off, s[0:3], 0 offset:96
	buffer_load_dword v123, off, s[0:3], 0 offset:100
	v_mov_b32_e32 v124, 0
	buffer_store_dword v124, off, s[0:3], 0 offset:96
	buffer_store_dword v124, off, s[0:3], 0 offset:100
	s_waitcnt vmcnt(2)
	ds_write_b64 v121, v[122:123]
.LBB59_343:
	s_or_b64 exec, exec, s[4:5]
	s_waitcnt lgkmcnt(0)
	; wave barrier
	buffer_load_dword v131, off, s[0:3], 0 offset:104
	buffer_load_dword v132, off, s[0:3], 0 offset:108
	;; [unrolled: 1-line block ×21, first 2 shown]
	v_mov_b32_e32 v122, 0
	ds_read2_b64 v[123:126], v122 offset0:73 offset1:74
	ds_read2_b64 v[127:130], v122 offset0:75 offset1:76
	buffer_load_dword v148, off, s[0:3], 0 offset:188
	v_cmp_lt_u32_e32 vcc, 11, v0
	s_waitcnt vmcnt(20) lgkmcnt(1)
	v_fma_f64 v[123:124], v[131:132], v[123:124], 0
	s_waitcnt vmcnt(18)
	v_fma_f64 v[123:124], v[133:134], v[125:126], v[123:124]
	buffer_load_dword v132, off, s[0:3], 0 offset:196
	buffer_load_dword v133, off, s[0:3], 0 offset:216
	;; [unrolled: 1-line block ×7, first 2 shown]
	s_waitcnt vmcnt(23) lgkmcnt(0)
	v_fma_f64 v[123:124], v[135:136], v[127:128], v[123:124]
	s_waitcnt vmcnt(21)
	v_fma_f64 v[134:135], v[137:138], v[129:130], v[123:124]
	ds_read2_b64 v[123:126], v122 offset0:77 offset1:78
	ds_read2_b64 v[127:130], v122 offset0:79 offset1:80
	s_waitcnt vmcnt(19) lgkmcnt(1)
	v_fma_f64 v[123:124], v[139:140], v[123:124], v[134:135]
	buffer_load_dword v134, off, s[0:3], 0 offset:220
	s_waitcnt vmcnt(18)
	v_fma_f64 v[123:124], v[141:142], v[125:126], v[123:124]
	buffer_load_dword v136, off, s[0:3], 0 offset:228
	buffer_load_dword v137, off, s[0:3], 0 offset:248
	;; [unrolled: 1-line block ×8, first 2 shown]
	s_waitcnt vmcnt(24) lgkmcnt(0)
	v_fma_f64 v[123:124], v[143:144], v[127:128], v[123:124]
	s_waitcnt vmcnt(19)
	v_fma_f64 v[143:144], v[145:146], v[129:130], v[123:124]
	ds_read2_b64 v[123:126], v122 offset0:81 offset1:82
	ds_read2_b64 v[127:130], v122 offset0:83 offset1:84
	s_waitcnt vmcnt(18) lgkmcnt(1)
	v_fma_f64 v[123:124], v[151:152], v[123:124], v[143:144]
	s_waitcnt vmcnt(17)
	v_fma_f64 v[123:124], v[149:150], v[125:126], v[123:124]
	buffer_load_dword v144, off, s[0:3], 0 offset:260
	buffer_load_dword v145, off, s[0:3], 0 offset:280
	;; [unrolled: 1-line block ×7, first 2 shown]
	s_waitcnt vmcnt(23) lgkmcnt(0)
	v_fma_f64 v[123:124], v[147:148], v[127:128], v[123:124]
	s_waitcnt vmcnt(18)
	v_fma_f64 v[131:132], v[131:132], v[129:130], v[123:124]
	ds_read2_b64 v[123:126], v122 offset0:85 offset1:86
	ds_read2_b64 v[127:130], v122 offset0:87 offset1:88
	buffer_load_dword v146, off, s[0:3], 0 offset:284
	s_waitcnt vmcnt(18) lgkmcnt(1)
	v_fma_f64 v[123:124], v[155:156], v[123:124], v[131:132]
	s_waitcnt vmcnt(17)
	v_fma_f64 v[123:124], v[153:154], v[125:126], v[123:124]
	buffer_load_dword v132, off, s[0:3], 0 offset:292
	buffer_load_dword v147, off, s[0:3], 0 offset:312
	;; [unrolled: 1-line block ×8, first 2 shown]
	s_waitcnt vmcnt(24) lgkmcnt(0)
	v_fma_f64 v[123:124], v[133:134], v[127:128], v[123:124]
	s_waitcnt vmcnt(19)
	v_fma_f64 v[133:134], v[135:136], v[129:130], v[123:124]
	ds_read2_b64 v[123:126], v122 offset0:89 offset1:90
	ds_read2_b64 v[127:130], v122 offset0:91 offset1:92
	s_waitcnt vmcnt(18) lgkmcnt(1)
	v_fma_f64 v[123:124], v[141:142], v[123:124], v[133:134]
	s_waitcnt vmcnt(17)
	v_fma_f64 v[123:124], v[139:140], v[125:126], v[123:124]
	buffer_load_dword v134, off, s[0:3], 0 offset:324
	buffer_load_dword v135, off, s[0:3], 0 offset:344
	;; [unrolled: 1-line block ×7, first 2 shown]
	s_waitcnt vmcnt(23) lgkmcnt(0)
	v_fma_f64 v[123:124], v[137:138], v[127:128], v[123:124]
	s_waitcnt vmcnt(18)
	v_fma_f64 v[136:137], v[143:144], v[129:130], v[123:124]
	ds_read2_b64 v[123:126], v122 offset0:93 offset1:94
	ds_read2_b64 v[127:130], v122 offset0:95 offset1:96
	s_waitcnt vmcnt(17) lgkmcnt(1)
	v_fma_f64 v[123:124], v[151:152], v[123:124], v[136:137]
	buffer_load_dword v136, off, s[0:3], 0 offset:348
	s_waitcnt vmcnt(17)
	v_fma_f64 v[123:124], v[149:150], v[125:126], v[123:124]
	buffer_load_dword v138, off, s[0:3], 0 offset:356
	buffer_load_dword v143, off, s[0:3], 0 offset:376
	;; [unrolled: 1-line block ×7, first 2 shown]
	s_waitcnt vmcnt(23) lgkmcnt(0)
	v_fma_f64 v[123:124], v[145:146], v[127:128], v[123:124]
	s_waitcnt vmcnt(18)
	v_fma_f64 v[131:132], v[131:132], v[129:130], v[123:124]
	ds_read2_b64 v[123:126], v122 offset0:97 offset1:98
	ds_read2_b64 v[127:130], v122 offset0:99 offset1:100
	buffer_load_dword v144, off, s[0:3], 0 offset:380
	s_waitcnt vmcnt(18) lgkmcnt(1)
	v_fma_f64 v[123:124], v[155:156], v[123:124], v[131:132]
	s_waitcnt vmcnt(17)
	v_fma_f64 v[123:124], v[153:154], v[125:126], v[123:124]
	buffer_load_dword v132, off, s[0:3], 0 offset:388
	buffer_load_dword v145, off, s[0:3], 0 offset:408
	buffer_load_dword v153, off, s[0:3], 0 offset:400
	buffer_load_dword v155, off, s[0:3], 0 offset:392
	buffer_load_dword v131, off, s[0:3], 0 offset:384
	buffer_load_dword v156, off, s[0:3], 0 offset:396
	buffer_load_dword v154, off, s[0:3], 0 offset:404
	buffer_load_dword v146, off, s[0:3], 0 offset:412
	s_waitcnt vmcnt(24) lgkmcnt(0)
	v_fma_f64 v[123:124], v[147:148], v[127:128], v[123:124]
	s_waitcnt vmcnt(19)
	v_fma_f64 v[133:134], v[133:134], v[129:130], v[123:124]
	ds_read2_b64 v[123:126], v122 offset0:101 offset1:102
	ds_read2_b64 v[127:130], v122 offset0:103 offset1:104
	s_waitcnt vmcnt(18) lgkmcnt(1)
	v_fma_f64 v[123:124], v[141:142], v[123:124], v[133:134]
	s_waitcnt vmcnt(17)
	v_fma_f64 v[123:124], v[139:140], v[125:126], v[123:124]
	buffer_load_dword v134, off, s[0:3], 0 offset:420
	buffer_load_dword v139, off, s[0:3], 0 offset:440
	buffer_load_dword v141, off, s[0:3], 0 offset:432
	buffer_load_dword v147, off, s[0:3], 0 offset:424
	buffer_load_dword v133, off, s[0:3], 0 offset:416
	buffer_load_dword v148, off, s[0:3], 0 offset:428
	buffer_load_dword v142, off, s[0:3], 0 offset:436
	buffer_load_dword v140, off, s[0:3], 0 offset:444
	s_waitcnt vmcnt(24) lgkmcnt(0)
	v_fma_f64 v[123:124], v[135:136], v[127:128], v[123:124]
	s_waitcnt vmcnt(19)
	v_fma_f64 v[135:136], v[137:138], v[129:130], v[123:124]
	ds_read2_b64 v[123:126], v122 offset0:105 offset1:106
	ds_read2_b64 v[127:130], v122 offset0:107 offset1:108
	;; [unrolled: 18-line block ×3, first 2 shown]
	s_waitcnt vmcnt(18) lgkmcnt(1)
	v_fma_f64 v[123:124], v[155:156], v[123:124], v[131:132]
	buffer_load_dword v131, off, s[0:3], 0 offset:96
	buffer_load_dword v132, off, s[0:3], 0 offset:100
	s_waitcnt vmcnt(19)
	v_fma_f64 v[123:124], v[153:154], v[125:126], v[123:124]
	s_waitcnt vmcnt(18) lgkmcnt(0)
	v_fma_f64 v[123:124], v[145:146], v[127:128], v[123:124]
	s_waitcnt vmcnt(13)
	v_fma_f64 v[133:134], v[133:134], v[129:130], v[123:124]
	ds_read2_b64 v[123:126], v122 offset0:113 offset1:114
	ds_read2_b64 v[127:130], v122 offset0:115 offset1:116
	s_waitcnt vmcnt(12) lgkmcnt(1)
	v_fma_f64 v[123:124], v[147:148], v[123:124], v[133:134]
	s_waitcnt vmcnt(11)
	v_fma_f64 v[123:124], v[141:142], v[125:126], v[123:124]
	s_waitcnt vmcnt(10) lgkmcnt(0)
	v_fma_f64 v[123:124], v[139:140], v[127:128], v[123:124]
	s_waitcnt vmcnt(5)
	v_fma_f64 v[127:128], v[135:136], v[129:130], v[123:124]
	ds_read2_b64 v[123:126], v122 offset0:117 offset1:118
	ds_read_b64 v[129:130], v122 offset:952
	s_waitcnt vmcnt(4) lgkmcnt(1)
	v_fma_f64 v[123:124], v[151:152], v[123:124], v[127:128]
	s_waitcnt vmcnt(3)
	v_fma_f64 v[123:124], v[149:150], v[125:126], v[123:124]
	s_waitcnt vmcnt(2) lgkmcnt(0)
	v_fma_f64 v[123:124], v[137:138], v[129:130], v[123:124]
	s_waitcnt vmcnt(0)
	v_add_f64 v[123:124], v[131:132], -v[123:124]
	buffer_store_dword v124, off, s[0:3], 0 offset:100
	buffer_store_dword v123, off, s[0:3], 0 offset:96
	s_and_saveexec_b64 s[4:5], vcc
	s_cbranch_execz .LBB59_345
; %bb.344:
	buffer_load_dword v123, off, s[0:3], 0 offset:88
	buffer_load_dword v124, off, s[0:3], 0 offset:92
	s_waitcnt vmcnt(0)
	ds_write_b64 v121, v[123:124]
	buffer_store_dword v122, off, s[0:3], 0 offset:88
	buffer_store_dword v122, off, s[0:3], 0 offset:92
.LBB59_345:
	s_or_b64 exec, exec, s[4:5]
	s_waitcnt lgkmcnt(0)
	; wave barrier
	buffer_load_dword v131, off, s[0:3], 0 offset:96
	buffer_load_dword v132, off, s[0:3], 0 offset:100
	buffer_load_dword v133, off, s[0:3], 0 offset:104
	buffer_load_dword v134, off, s[0:3], 0 offset:108
	buffer_load_dword v135, off, s[0:3], 0 offset:112
	buffer_load_dword v136, off, s[0:3], 0 offset:116
	buffer_load_dword v137, off, s[0:3], 0 offset:120
	buffer_load_dword v138, off, s[0:3], 0 offset:124
	buffer_load_dword v139, off, s[0:3], 0 offset:128
	buffer_load_dword v140, off, s[0:3], 0 offset:132
	buffer_load_dword v141, off, s[0:3], 0 offset:136
	buffer_load_dword v142, off, s[0:3], 0 offset:140
	buffer_load_dword v143, off, s[0:3], 0 offset:144
	buffer_load_dword v144, off, s[0:3], 0 offset:148
	buffer_load_dword v146, off, s[0:3], 0 offset:156
	buffer_load_dword v147, off, s[0:3], 0 offset:176
	buffer_load_dword v149, off, s[0:3], 0 offset:168
	buffer_load_dword v151, off, s[0:3], 0 offset:160
	buffer_load_dword v145, off, s[0:3], 0 offset:152
	buffer_load_dword v152, off, s[0:3], 0 offset:164
	buffer_load_dword v150, off, s[0:3], 0 offset:172
	ds_read_b128 v[123:126], v122 offset:576
	ds_read_b128 v[127:130], v122 offset:592
	buffer_load_dword v148, off, s[0:3], 0 offset:180
	v_cmp_lt_u32_e32 vcc, 10, v0
	s_waitcnt vmcnt(20) lgkmcnt(1)
	v_fma_f64 v[123:124], v[131:132], v[123:124], 0
	s_waitcnt vmcnt(18)
	v_fma_f64 v[123:124], v[133:134], v[125:126], v[123:124]
	buffer_load_dword v132, off, s[0:3], 0 offset:188
	buffer_load_dword v133, off, s[0:3], 0 offset:208
	;; [unrolled: 1-line block ×7, first 2 shown]
	s_waitcnt vmcnt(23) lgkmcnt(0)
	v_fma_f64 v[123:124], v[135:136], v[127:128], v[123:124]
	s_waitcnt vmcnt(21)
	v_fma_f64 v[134:135], v[137:138], v[129:130], v[123:124]
	ds_read_b128 v[123:126], v122 offset:608
	ds_read_b128 v[127:130], v122 offset:624
	s_waitcnt vmcnt(19) lgkmcnt(1)
	v_fma_f64 v[123:124], v[139:140], v[123:124], v[134:135]
	buffer_load_dword v134, off, s[0:3], 0 offset:212
	s_waitcnt vmcnt(18)
	v_fma_f64 v[123:124], v[141:142], v[125:126], v[123:124]
	buffer_load_dword v136, off, s[0:3], 0 offset:220
	buffer_load_dword v137, off, s[0:3], 0 offset:240
	;; [unrolled: 1-line block ×8, first 2 shown]
	s_waitcnt vmcnt(24) lgkmcnt(0)
	v_fma_f64 v[123:124], v[143:144], v[127:128], v[123:124]
	s_waitcnt vmcnt(19)
	v_fma_f64 v[143:144], v[145:146], v[129:130], v[123:124]
	ds_read_b128 v[123:126], v122 offset:640
	ds_read_b128 v[127:130], v122 offset:656
	s_waitcnt vmcnt(18) lgkmcnt(1)
	v_fma_f64 v[123:124], v[151:152], v[123:124], v[143:144]
	s_waitcnt vmcnt(17)
	v_fma_f64 v[123:124], v[149:150], v[125:126], v[123:124]
	buffer_load_dword v144, off, s[0:3], 0 offset:252
	buffer_load_dword v145, off, s[0:3], 0 offset:272
	;; [unrolled: 1-line block ×7, first 2 shown]
	s_waitcnt vmcnt(23) lgkmcnt(0)
	v_fma_f64 v[123:124], v[147:148], v[127:128], v[123:124]
	s_waitcnt vmcnt(18)
	v_fma_f64 v[131:132], v[131:132], v[129:130], v[123:124]
	ds_read_b128 v[123:126], v122 offset:672
	ds_read_b128 v[127:130], v122 offset:688
	buffer_load_dword v146, off, s[0:3], 0 offset:276
	s_waitcnt vmcnt(18) lgkmcnt(1)
	v_fma_f64 v[123:124], v[155:156], v[123:124], v[131:132]
	s_waitcnt vmcnt(17)
	v_fma_f64 v[123:124], v[153:154], v[125:126], v[123:124]
	buffer_load_dword v132, off, s[0:3], 0 offset:284
	buffer_load_dword v147, off, s[0:3], 0 offset:304
	;; [unrolled: 1-line block ×8, first 2 shown]
	s_waitcnt vmcnt(24) lgkmcnt(0)
	v_fma_f64 v[123:124], v[133:134], v[127:128], v[123:124]
	s_waitcnt vmcnt(19)
	v_fma_f64 v[133:134], v[135:136], v[129:130], v[123:124]
	ds_read_b128 v[123:126], v122 offset:704
	ds_read_b128 v[127:130], v122 offset:720
	s_waitcnt vmcnt(18) lgkmcnt(1)
	v_fma_f64 v[123:124], v[141:142], v[123:124], v[133:134]
	s_waitcnt vmcnt(17)
	v_fma_f64 v[123:124], v[139:140], v[125:126], v[123:124]
	buffer_load_dword v134, off, s[0:3], 0 offset:316
	buffer_load_dword v135, off, s[0:3], 0 offset:336
	;; [unrolled: 1-line block ×7, first 2 shown]
	s_waitcnt vmcnt(23) lgkmcnt(0)
	v_fma_f64 v[123:124], v[137:138], v[127:128], v[123:124]
	s_waitcnt vmcnt(18)
	v_fma_f64 v[136:137], v[143:144], v[129:130], v[123:124]
	ds_read_b128 v[123:126], v122 offset:736
	ds_read_b128 v[127:130], v122 offset:752
	s_waitcnt vmcnt(17) lgkmcnt(1)
	v_fma_f64 v[123:124], v[151:152], v[123:124], v[136:137]
	buffer_load_dword v136, off, s[0:3], 0 offset:340
	s_waitcnt vmcnt(17)
	v_fma_f64 v[123:124], v[149:150], v[125:126], v[123:124]
	buffer_load_dword v138, off, s[0:3], 0 offset:348
	buffer_load_dword v143, off, s[0:3], 0 offset:368
	;; [unrolled: 1-line block ×7, first 2 shown]
	s_waitcnt vmcnt(23) lgkmcnt(0)
	v_fma_f64 v[123:124], v[145:146], v[127:128], v[123:124]
	s_waitcnt vmcnt(18)
	v_fma_f64 v[131:132], v[131:132], v[129:130], v[123:124]
	ds_read_b128 v[123:126], v122 offset:768
	ds_read_b128 v[127:130], v122 offset:784
	buffer_load_dword v144, off, s[0:3], 0 offset:372
	s_waitcnt vmcnt(18) lgkmcnt(1)
	v_fma_f64 v[123:124], v[155:156], v[123:124], v[131:132]
	s_waitcnt vmcnt(17)
	v_fma_f64 v[123:124], v[153:154], v[125:126], v[123:124]
	buffer_load_dword v132, off, s[0:3], 0 offset:380
	buffer_load_dword v145, off, s[0:3], 0 offset:400
	buffer_load_dword v153, off, s[0:3], 0 offset:392
	buffer_load_dword v155, off, s[0:3], 0 offset:384
	buffer_load_dword v131, off, s[0:3], 0 offset:376
	buffer_load_dword v156, off, s[0:3], 0 offset:388
	buffer_load_dword v154, off, s[0:3], 0 offset:396
	buffer_load_dword v146, off, s[0:3], 0 offset:404
	s_waitcnt vmcnt(24) lgkmcnt(0)
	v_fma_f64 v[123:124], v[147:148], v[127:128], v[123:124]
	s_waitcnt vmcnt(19)
	v_fma_f64 v[133:134], v[133:134], v[129:130], v[123:124]
	ds_read_b128 v[123:126], v122 offset:800
	ds_read_b128 v[127:130], v122 offset:816
	s_waitcnt vmcnt(18) lgkmcnt(1)
	v_fma_f64 v[123:124], v[141:142], v[123:124], v[133:134]
	s_waitcnt vmcnt(17)
	v_fma_f64 v[123:124], v[139:140], v[125:126], v[123:124]
	buffer_load_dword v134, off, s[0:3], 0 offset:412
	buffer_load_dword v139, off, s[0:3], 0 offset:432
	buffer_load_dword v141, off, s[0:3], 0 offset:424
	buffer_load_dword v147, off, s[0:3], 0 offset:416
	buffer_load_dword v133, off, s[0:3], 0 offset:408
	buffer_load_dword v148, off, s[0:3], 0 offset:420
	buffer_load_dword v142, off, s[0:3], 0 offset:428
	buffer_load_dword v140, off, s[0:3], 0 offset:436
	s_waitcnt vmcnt(24) lgkmcnt(0)
	v_fma_f64 v[123:124], v[135:136], v[127:128], v[123:124]
	s_waitcnt vmcnt(19)
	v_fma_f64 v[135:136], v[137:138], v[129:130], v[123:124]
	ds_read_b128 v[123:126], v122 offset:832
	ds_read_b128 v[127:130], v122 offset:848
	;; [unrolled: 18-line block ×3, first 2 shown]
	s_waitcnt vmcnt(18) lgkmcnt(1)
	v_fma_f64 v[123:124], v[155:156], v[123:124], v[131:132]
	buffer_load_dword v132, off, s[0:3], 0 offset:476
	buffer_load_dword v131, off, s[0:3], 0 offset:472
	;; [unrolled: 1-line block ×4, first 2 shown]
	s_waitcnt vmcnt(21)
	v_fma_f64 v[123:124], v[153:154], v[125:126], v[123:124]
	s_waitcnt vmcnt(20) lgkmcnt(0)
	v_fma_f64 v[123:124], v[145:146], v[127:128], v[123:124]
	s_waitcnt vmcnt(15)
	v_fma_f64 v[133:134], v[133:134], v[129:130], v[123:124]
	ds_read_b128 v[123:126], v122 offset:896
	ds_read_b128 v[127:130], v122 offset:912
	s_waitcnt vmcnt(14) lgkmcnt(1)
	v_fma_f64 v[123:124], v[147:148], v[123:124], v[133:134]
	s_waitcnt vmcnt(13)
	v_fma_f64 v[123:124], v[141:142], v[125:126], v[123:124]
	s_waitcnt vmcnt(12) lgkmcnt(0)
	v_fma_f64 v[123:124], v[139:140], v[127:128], v[123:124]
	s_waitcnt vmcnt(7)
	v_fma_f64 v[133:134], v[135:136], v[129:130], v[123:124]
	ds_read_b128 v[123:126], v122 offset:928
	ds_read_b128 v[127:130], v122 offset:944
	s_waitcnt vmcnt(6) lgkmcnt(1)
	v_fma_f64 v[122:123], v[151:152], v[123:124], v[133:134]
	s_waitcnt vmcnt(5)
	v_fma_f64 v[122:123], v[149:150], v[125:126], v[122:123]
	s_waitcnt vmcnt(4) lgkmcnt(0)
	v_fma_f64 v[122:123], v[137:138], v[127:128], v[122:123]
	s_waitcnt vmcnt(2)
	v_fma_f64 v[122:123], v[131:132], v[129:130], v[122:123]
	s_waitcnt vmcnt(0)
	v_add_f64 v[122:123], v[143:144], -v[122:123]
	buffer_store_dword v123, off, s[0:3], 0 offset:92
	buffer_store_dword v122, off, s[0:3], 0 offset:88
	s_and_saveexec_b64 s[4:5], vcc
	s_cbranch_execz .LBB59_347
; %bb.346:
	buffer_load_dword v122, off, s[0:3], 0 offset:80
	buffer_load_dword v123, off, s[0:3], 0 offset:84
	v_mov_b32_e32 v124, 0
	buffer_store_dword v124, off, s[0:3], 0 offset:80
	buffer_store_dword v124, off, s[0:3], 0 offset:84
	s_waitcnt vmcnt(2)
	ds_write_b64 v121, v[122:123]
.LBB59_347:
	s_or_b64 exec, exec, s[4:5]
	s_waitcnt lgkmcnt(0)
	; wave barrier
	buffer_load_dword v131, off, s[0:3], 0 offset:88
	buffer_load_dword v132, off, s[0:3], 0 offset:92
	;; [unrolled: 1-line block ×21, first 2 shown]
	v_mov_b32_e32 v122, 0
	ds_read2_b64 v[123:126], v122 offset0:71 offset1:72
	ds_read2_b64 v[127:130], v122 offset0:73 offset1:74
	buffer_load_dword v148, off, s[0:3], 0 offset:172
	v_cmp_lt_u32_e32 vcc, 9, v0
	s_waitcnt vmcnt(20) lgkmcnt(1)
	v_fma_f64 v[123:124], v[131:132], v[123:124], 0
	s_waitcnt vmcnt(18)
	v_fma_f64 v[123:124], v[133:134], v[125:126], v[123:124]
	buffer_load_dword v132, off, s[0:3], 0 offset:180
	buffer_load_dword v133, off, s[0:3], 0 offset:200
	buffer_load_dword v153, off, s[0:3], 0 offset:192
	buffer_load_dword v155, off, s[0:3], 0 offset:184
	buffer_load_dword v131, off, s[0:3], 0 offset:176
	buffer_load_dword v156, off, s[0:3], 0 offset:188
	buffer_load_dword v154, off, s[0:3], 0 offset:196
	s_waitcnt vmcnt(23) lgkmcnt(0)
	v_fma_f64 v[123:124], v[135:136], v[127:128], v[123:124]
	s_waitcnt vmcnt(21)
	v_fma_f64 v[134:135], v[137:138], v[129:130], v[123:124]
	ds_read2_b64 v[123:126], v122 offset0:75 offset1:76
	ds_read2_b64 v[127:130], v122 offset0:77 offset1:78
	s_waitcnt vmcnt(19) lgkmcnt(1)
	v_fma_f64 v[123:124], v[139:140], v[123:124], v[134:135]
	buffer_load_dword v134, off, s[0:3], 0 offset:204
	s_waitcnt vmcnt(18)
	v_fma_f64 v[123:124], v[141:142], v[125:126], v[123:124]
	buffer_load_dword v136, off, s[0:3], 0 offset:212
	buffer_load_dword v137, off, s[0:3], 0 offset:232
	;; [unrolled: 1-line block ×8, first 2 shown]
	s_waitcnt vmcnt(24) lgkmcnt(0)
	v_fma_f64 v[123:124], v[143:144], v[127:128], v[123:124]
	s_waitcnt vmcnt(19)
	v_fma_f64 v[143:144], v[145:146], v[129:130], v[123:124]
	ds_read2_b64 v[123:126], v122 offset0:79 offset1:80
	ds_read2_b64 v[127:130], v122 offset0:81 offset1:82
	s_waitcnt vmcnt(18) lgkmcnt(1)
	v_fma_f64 v[123:124], v[151:152], v[123:124], v[143:144]
	s_waitcnt vmcnt(17)
	v_fma_f64 v[123:124], v[149:150], v[125:126], v[123:124]
	buffer_load_dword v144, off, s[0:3], 0 offset:244
	buffer_load_dword v145, off, s[0:3], 0 offset:264
	;; [unrolled: 1-line block ×7, first 2 shown]
	s_waitcnt vmcnt(23) lgkmcnt(0)
	v_fma_f64 v[123:124], v[147:148], v[127:128], v[123:124]
	s_waitcnt vmcnt(18)
	v_fma_f64 v[131:132], v[131:132], v[129:130], v[123:124]
	ds_read2_b64 v[123:126], v122 offset0:83 offset1:84
	ds_read2_b64 v[127:130], v122 offset0:85 offset1:86
	buffer_load_dword v146, off, s[0:3], 0 offset:268
	s_waitcnt vmcnt(18) lgkmcnt(1)
	v_fma_f64 v[123:124], v[155:156], v[123:124], v[131:132]
	s_waitcnt vmcnt(17)
	v_fma_f64 v[123:124], v[153:154], v[125:126], v[123:124]
	buffer_load_dword v132, off, s[0:3], 0 offset:276
	buffer_load_dword v147, off, s[0:3], 0 offset:296
	;; [unrolled: 1-line block ×7, first 2 shown]
	s_waitcnt vmcnt(23) lgkmcnt(0)
	v_fma_f64 v[123:124], v[133:134], v[127:128], v[123:124]
	s_waitcnt vmcnt(18)
	v_fma_f64 v[133:134], v[135:136], v[129:130], v[123:124]
	ds_read2_b64 v[123:126], v122 offset0:87 offset1:88
	ds_read2_b64 v[127:130], v122 offset0:89 offset1:90
	buffer_load_dword v148, off, s[0:3], 0 offset:300
	s_waitcnt vmcnt(18) lgkmcnt(1)
	v_fma_f64 v[123:124], v[141:142], v[123:124], v[133:134]
	s_waitcnt vmcnt(17)
	v_fma_f64 v[123:124], v[139:140], v[125:126], v[123:124]
	buffer_load_dword v134, off, s[0:3], 0 offset:308
	buffer_load_dword v135, off, s[0:3], 0 offset:328
	;; [unrolled: 1-line block ×7, first 2 shown]
	s_waitcnt vmcnt(23) lgkmcnt(0)
	v_fma_f64 v[123:124], v[137:138], v[127:128], v[123:124]
	s_waitcnt vmcnt(18)
	v_fma_f64 v[136:137], v[143:144], v[129:130], v[123:124]
	ds_read2_b64 v[123:126], v122 offset0:91 offset1:92
	ds_read2_b64 v[127:130], v122 offset0:93 offset1:94
	s_waitcnt vmcnt(17) lgkmcnt(1)
	v_fma_f64 v[123:124], v[151:152], v[123:124], v[136:137]
	buffer_load_dword v136, off, s[0:3], 0 offset:332
	s_waitcnt vmcnt(17)
	v_fma_f64 v[123:124], v[149:150], v[125:126], v[123:124]
	buffer_load_dword v138, off, s[0:3], 0 offset:340
	buffer_load_dword v143, off, s[0:3], 0 offset:360
	;; [unrolled: 1-line block ×7, first 2 shown]
	s_waitcnt vmcnt(23) lgkmcnt(0)
	v_fma_f64 v[123:124], v[145:146], v[127:128], v[123:124]
	s_waitcnt vmcnt(18)
	v_fma_f64 v[131:132], v[131:132], v[129:130], v[123:124]
	ds_read2_b64 v[123:126], v122 offset0:95 offset1:96
	ds_read2_b64 v[127:130], v122 offset0:97 offset1:98
	buffer_load_dword v144, off, s[0:3], 0 offset:364
	s_waitcnt vmcnt(18) lgkmcnt(1)
	v_fma_f64 v[123:124], v[155:156], v[123:124], v[131:132]
	s_waitcnt vmcnt(17)
	v_fma_f64 v[123:124], v[153:154], v[125:126], v[123:124]
	buffer_load_dword v132, off, s[0:3], 0 offset:372
	buffer_load_dword v145, off, s[0:3], 0 offset:392
	;; [unrolled: 1-line block ×7, first 2 shown]
	s_waitcnt vmcnt(23) lgkmcnt(0)
	v_fma_f64 v[123:124], v[147:148], v[127:128], v[123:124]
	s_waitcnt vmcnt(18)
	v_fma_f64 v[133:134], v[133:134], v[129:130], v[123:124]
	ds_read2_b64 v[123:126], v122 offset0:99 offset1:100
	ds_read2_b64 v[127:130], v122 offset0:101 offset1:102
	buffer_load_dword v146, off, s[0:3], 0 offset:396
	s_waitcnt vmcnt(18) lgkmcnt(1)
	v_fma_f64 v[123:124], v[141:142], v[123:124], v[133:134]
	s_waitcnt vmcnt(17)
	v_fma_f64 v[123:124], v[139:140], v[125:126], v[123:124]
	buffer_load_dword v134, off, s[0:3], 0 offset:404
	buffer_load_dword v139, off, s[0:3], 0 offset:424
	;; [unrolled: 1-line block ×8, first 2 shown]
	s_waitcnt vmcnt(24) lgkmcnt(0)
	v_fma_f64 v[123:124], v[135:136], v[127:128], v[123:124]
	s_waitcnt vmcnt(19)
	v_fma_f64 v[135:136], v[137:138], v[129:130], v[123:124]
	ds_read2_b64 v[123:126], v122 offset0:103 offset1:104
	ds_read2_b64 v[127:130], v122 offset0:105 offset1:106
	s_waitcnt vmcnt(18) lgkmcnt(1)
	v_fma_f64 v[123:124], v[151:152], v[123:124], v[135:136]
	s_waitcnt vmcnt(17)
	v_fma_f64 v[123:124], v[149:150], v[125:126], v[123:124]
	buffer_load_dword v136, off, s[0:3], 0 offset:436
	buffer_load_dword v137, off, s[0:3], 0 offset:456
	;; [unrolled: 1-line block ×7, first 2 shown]
	s_waitcnt vmcnt(23) lgkmcnt(0)
	v_fma_f64 v[123:124], v[143:144], v[127:128], v[123:124]
	s_waitcnt vmcnt(18)
	v_fma_f64 v[131:132], v[131:132], v[129:130], v[123:124]
	ds_read2_b64 v[123:126], v122 offset0:107 offset1:108
	ds_read2_b64 v[127:130], v122 offset0:109 offset1:110
	buffer_load_dword v138, off, s[0:3], 0 offset:460
	s_waitcnt vmcnt(18) lgkmcnt(1)
	v_fma_f64 v[123:124], v[155:156], v[123:124], v[131:132]
	buffer_load_dword v132, off, s[0:3], 0 offset:468
	buffer_load_dword v143, off, s[0:3], 0 offset:472
	;; [unrolled: 1-line block ×4, first 2 shown]
	s_waitcnt vmcnt(21)
	v_fma_f64 v[123:124], v[153:154], v[125:126], v[123:124]
	s_waitcnt vmcnt(20) lgkmcnt(0)
	v_fma_f64 v[123:124], v[145:146], v[127:128], v[123:124]
	buffer_load_dword v145, off, s[0:3], 0 offset:80
	buffer_load_dword v146, off, s[0:3], 0 offset:84
	s_waitcnt vmcnt(17)
	v_fma_f64 v[133:134], v[133:134], v[129:130], v[123:124]
	ds_read2_b64 v[123:126], v122 offset0:111 offset1:112
	ds_read2_b64 v[127:130], v122 offset0:113 offset1:114
	s_waitcnt vmcnt(16) lgkmcnt(1)
	v_fma_f64 v[123:124], v[147:148], v[123:124], v[133:134]
	s_waitcnt vmcnt(15)
	v_fma_f64 v[123:124], v[141:142], v[125:126], v[123:124]
	s_waitcnt vmcnt(14) lgkmcnt(0)
	v_fma_f64 v[123:124], v[139:140], v[127:128], v[123:124]
	s_waitcnt vmcnt(9)
	v_fma_f64 v[133:134], v[135:136], v[129:130], v[123:124]
	ds_read2_b64 v[123:126], v122 offset0:115 offset1:116
	ds_read2_b64 v[127:130], v122 offset0:117 offset1:118
	s_waitcnt vmcnt(8) lgkmcnt(1)
	v_fma_f64 v[123:124], v[151:152], v[123:124], v[133:134]
	s_waitcnt vmcnt(7)
	v_fma_f64 v[123:124], v[149:150], v[125:126], v[123:124]
	ds_read_b64 v[125:126], v122 offset:952
	s_waitcnt vmcnt(6) lgkmcnt(1)
	v_fma_f64 v[123:124], v[137:138], v[127:128], v[123:124]
	s_waitcnt vmcnt(3)
	v_fma_f64 v[123:124], v[131:132], v[129:130], v[123:124]
	s_waitcnt vmcnt(2) lgkmcnt(0)
	v_fma_f64 v[123:124], v[143:144], v[125:126], v[123:124]
	s_waitcnt vmcnt(0)
	v_add_f64 v[123:124], v[145:146], -v[123:124]
	buffer_store_dword v124, off, s[0:3], 0 offset:84
	buffer_store_dword v123, off, s[0:3], 0 offset:80
	s_and_saveexec_b64 s[4:5], vcc
	s_cbranch_execz .LBB59_349
; %bb.348:
	buffer_load_dword v123, off, s[0:3], 0 offset:72
	buffer_load_dword v124, off, s[0:3], 0 offset:76
	s_waitcnt vmcnt(0)
	ds_write_b64 v121, v[123:124]
	buffer_store_dword v122, off, s[0:3], 0 offset:72
	buffer_store_dword v122, off, s[0:3], 0 offset:76
.LBB59_349:
	s_or_b64 exec, exec, s[4:5]
	s_waitcnt lgkmcnt(0)
	; wave barrier
	buffer_load_dword v131, off, s[0:3], 0 offset:80
	buffer_load_dword v132, off, s[0:3], 0 offset:84
	;; [unrolled: 1-line block ×22, first 2 shown]
	ds_read_b128 v[123:126], v122 offset:560
	ds_read_b128 v[127:130], v122 offset:576
	v_cmp_lt_u32_e32 vcc, 8, v0
	s_waitcnt vmcnt(20) lgkmcnt(1)
	v_fma_f64 v[123:124], v[131:132], v[123:124], 0
	s_waitcnt vmcnt(18)
	v_fma_f64 v[123:124], v[133:134], v[125:126], v[123:124]
	buffer_load_dword v132, off, s[0:3], 0 offset:172
	buffer_load_dword v133, off, s[0:3], 0 offset:192
	;; [unrolled: 1-line block ×7, first 2 shown]
	s_waitcnt vmcnt(23) lgkmcnt(0)
	v_fma_f64 v[123:124], v[135:136], v[127:128], v[123:124]
	s_waitcnt vmcnt(21)
	v_fma_f64 v[134:135], v[137:138], v[129:130], v[123:124]
	ds_read_b128 v[123:126], v122 offset:592
	ds_read_b128 v[127:130], v122 offset:608
	s_waitcnt vmcnt(19) lgkmcnt(1)
	v_fma_f64 v[123:124], v[139:140], v[123:124], v[134:135]
	buffer_load_dword v134, off, s[0:3], 0 offset:196
	s_waitcnt vmcnt(18)
	v_fma_f64 v[123:124], v[141:142], v[125:126], v[123:124]
	buffer_load_dword v136, off, s[0:3], 0 offset:204
	buffer_load_dword v137, off, s[0:3], 0 offset:224
	;; [unrolled: 1-line block ×8, first 2 shown]
	s_waitcnt vmcnt(24) lgkmcnt(0)
	v_fma_f64 v[123:124], v[143:144], v[127:128], v[123:124]
	s_waitcnt vmcnt(19)
	v_fma_f64 v[143:144], v[145:146], v[129:130], v[123:124]
	ds_read_b128 v[123:126], v122 offset:624
	ds_read_b128 v[127:130], v122 offset:640
	s_waitcnt vmcnt(18) lgkmcnt(1)
	v_fma_f64 v[123:124], v[151:152], v[123:124], v[143:144]
	s_waitcnt vmcnt(17)
	v_fma_f64 v[123:124], v[149:150], v[125:126], v[123:124]
	buffer_load_dword v144, off, s[0:3], 0 offset:236
	buffer_load_dword v145, off, s[0:3], 0 offset:256
	;; [unrolled: 1-line block ×8, first 2 shown]
	s_waitcnt vmcnt(24) lgkmcnt(0)
	v_fma_f64 v[123:124], v[147:148], v[127:128], v[123:124]
	s_waitcnt vmcnt(19)
	v_fma_f64 v[131:132], v[131:132], v[129:130], v[123:124]
	ds_read_b128 v[123:126], v122 offset:656
	ds_read_b128 v[127:130], v122 offset:672
	s_waitcnt vmcnt(18) lgkmcnt(1)
	v_fma_f64 v[123:124], v[155:156], v[123:124], v[131:132]
	s_waitcnt vmcnt(17)
	v_fma_f64 v[123:124], v[153:154], v[125:126], v[123:124]
	buffer_load_dword v132, off, s[0:3], 0 offset:268
	buffer_load_dword v147, off, s[0:3], 0 offset:288
	;; [unrolled: 1-line block ×7, first 2 shown]
	s_waitcnt vmcnt(23) lgkmcnt(0)
	v_fma_f64 v[123:124], v[133:134], v[127:128], v[123:124]
	s_waitcnt vmcnt(18)
	v_fma_f64 v[133:134], v[135:136], v[129:130], v[123:124]
	ds_read_b128 v[123:126], v122 offset:688
	ds_read_b128 v[127:130], v122 offset:704
	buffer_load_dword v148, off, s[0:3], 0 offset:292
	s_waitcnt vmcnt(18) lgkmcnt(1)
	v_fma_f64 v[123:124], v[141:142], v[123:124], v[133:134]
	s_waitcnt vmcnt(17)
	v_fma_f64 v[123:124], v[139:140], v[125:126], v[123:124]
	buffer_load_dword v134, off, s[0:3], 0 offset:300
	buffer_load_dword v135, off, s[0:3], 0 offset:320
	;; [unrolled: 1-line block ×7, first 2 shown]
	s_waitcnt vmcnt(23) lgkmcnt(0)
	v_fma_f64 v[123:124], v[137:138], v[127:128], v[123:124]
	s_waitcnt vmcnt(18)
	v_fma_f64 v[136:137], v[143:144], v[129:130], v[123:124]
	ds_read_b128 v[123:126], v122 offset:720
	ds_read_b128 v[127:130], v122 offset:736
	s_waitcnt vmcnt(17) lgkmcnt(1)
	v_fma_f64 v[123:124], v[151:152], v[123:124], v[136:137]
	buffer_load_dword v136, off, s[0:3], 0 offset:324
	s_waitcnt vmcnt(17)
	v_fma_f64 v[123:124], v[149:150], v[125:126], v[123:124]
	buffer_load_dword v138, off, s[0:3], 0 offset:332
	buffer_load_dword v143, off, s[0:3], 0 offset:352
	;; [unrolled: 1-line block ×8, first 2 shown]
	s_waitcnt vmcnt(24) lgkmcnt(0)
	v_fma_f64 v[123:124], v[145:146], v[127:128], v[123:124]
	s_waitcnt vmcnt(19)
	v_fma_f64 v[131:132], v[131:132], v[129:130], v[123:124]
	ds_read_b128 v[123:126], v122 offset:752
	ds_read_b128 v[127:130], v122 offset:768
	s_waitcnt vmcnt(18) lgkmcnt(1)
	v_fma_f64 v[123:124], v[155:156], v[123:124], v[131:132]
	s_waitcnt vmcnt(17)
	v_fma_f64 v[123:124], v[153:154], v[125:126], v[123:124]
	buffer_load_dword v132, off, s[0:3], 0 offset:364
	buffer_load_dword v145, off, s[0:3], 0 offset:384
	buffer_load_dword v153, off, s[0:3], 0 offset:376
	buffer_load_dword v155, off, s[0:3], 0 offset:368
	buffer_load_dword v131, off, s[0:3], 0 offset:360
	buffer_load_dword v156, off, s[0:3], 0 offset:372
	buffer_load_dword v154, off, s[0:3], 0 offset:380
	s_waitcnt vmcnt(23) lgkmcnt(0)
	v_fma_f64 v[123:124], v[147:148], v[127:128], v[123:124]
	s_waitcnt vmcnt(18)
	v_fma_f64 v[133:134], v[133:134], v[129:130], v[123:124]
	ds_read_b128 v[123:126], v122 offset:784
	ds_read_b128 v[127:130], v122 offset:800
	buffer_load_dword v146, off, s[0:3], 0 offset:388
	s_waitcnt vmcnt(18) lgkmcnt(1)
	v_fma_f64 v[123:124], v[141:142], v[123:124], v[133:134]
	s_waitcnt vmcnt(17)
	v_fma_f64 v[123:124], v[139:140], v[125:126], v[123:124]
	buffer_load_dword v134, off, s[0:3], 0 offset:396
	buffer_load_dword v139, off, s[0:3], 0 offset:416
	;; [unrolled: 1-line block ×8, first 2 shown]
	s_waitcnt vmcnt(24) lgkmcnt(0)
	v_fma_f64 v[123:124], v[135:136], v[127:128], v[123:124]
	s_waitcnt vmcnt(19)
	v_fma_f64 v[135:136], v[137:138], v[129:130], v[123:124]
	ds_read_b128 v[123:126], v122 offset:816
	ds_read_b128 v[127:130], v122 offset:832
	s_waitcnt vmcnt(18) lgkmcnt(1)
	v_fma_f64 v[123:124], v[151:152], v[123:124], v[135:136]
	s_waitcnt vmcnt(17)
	v_fma_f64 v[123:124], v[149:150], v[125:126], v[123:124]
	buffer_load_dword v136, off, s[0:3], 0 offset:428
	buffer_load_dword v137, off, s[0:3], 0 offset:448
	;; [unrolled: 1-line block ×8, first 2 shown]
	s_waitcnt vmcnt(24) lgkmcnt(0)
	v_fma_f64 v[123:124], v[143:144], v[127:128], v[123:124]
	s_waitcnt vmcnt(19)
	v_fma_f64 v[131:132], v[131:132], v[129:130], v[123:124]
	ds_read_b128 v[123:126], v122 offset:848
	ds_read_b128 v[127:130], v122 offset:864
	s_waitcnt vmcnt(18) lgkmcnt(1)
	v_fma_f64 v[123:124], v[155:156], v[123:124], v[131:132]
	s_waitcnt vmcnt(17)
	v_fma_f64 v[123:124], v[153:154], v[125:126], v[123:124]
	buffer_load_dword v132, off, s[0:3], 0 offset:460
	buffer_load_dword v143, off, s[0:3], 0 offset:472
	buffer_load_dword v153, off, s[0:3], 0 offset:464
	buffer_load_dword v131, off, s[0:3], 0 offset:456
	buffer_load_dword v154, off, s[0:3], 0 offset:468
	buffer_load_dword v144, off, s[0:3], 0 offset:476
	s_waitcnt vmcnt(22) lgkmcnt(0)
	v_fma_f64 v[123:124], v[145:146], v[127:128], v[123:124]
	s_waitcnt vmcnt(17)
	v_fma_f64 v[133:134], v[133:134], v[129:130], v[123:124]
	ds_read_b128 v[123:126], v122 offset:880
	buffer_load_dword v145, off, s[0:3], 0 offset:72
	buffer_load_dword v146, off, s[0:3], 0 offset:76
	ds_read_b128 v[127:130], v122 offset:896
	s_waitcnt vmcnt(18) lgkmcnt(1)
	v_fma_f64 v[123:124], v[147:148], v[123:124], v[133:134]
	s_waitcnt vmcnt(17)
	v_fma_f64 v[123:124], v[141:142], v[125:126], v[123:124]
	s_waitcnt vmcnt(16) lgkmcnt(0)
	v_fma_f64 v[123:124], v[139:140], v[127:128], v[123:124]
	s_waitcnt vmcnt(11)
	v_fma_f64 v[133:134], v[135:136], v[129:130], v[123:124]
	ds_read_b128 v[123:126], v122 offset:912
	ds_read_b128 v[127:130], v122 offset:928
	s_waitcnt vmcnt(10) lgkmcnt(1)
	v_fma_f64 v[123:124], v[151:152], v[123:124], v[133:134]
	s_waitcnt vmcnt(9)
	v_fma_f64 v[123:124], v[149:150], v[125:126], v[123:124]
	s_waitcnt vmcnt(8) lgkmcnt(0)
	v_fma_f64 v[123:124], v[137:138], v[127:128], v[123:124]
	s_waitcnt vmcnt(4)
	v_fma_f64 v[126:127], v[131:132], v[129:130], v[123:124]
	ds_read_b128 v[122:125], v122 offset:944
	s_waitcnt vmcnt(3) lgkmcnt(0)
	v_fma_f64 v[122:123], v[153:154], v[122:123], v[126:127]
	s_waitcnt vmcnt(2)
	v_fma_f64 v[122:123], v[143:144], v[124:125], v[122:123]
	s_waitcnt vmcnt(0)
	v_add_f64 v[122:123], v[145:146], -v[122:123]
	buffer_store_dword v123, off, s[0:3], 0 offset:76
	buffer_store_dword v122, off, s[0:3], 0 offset:72
	s_and_saveexec_b64 s[4:5], vcc
	s_cbranch_execz .LBB59_351
; %bb.350:
	buffer_load_dword v122, off, s[0:3], 0 offset:64
	buffer_load_dword v123, off, s[0:3], 0 offset:68
	v_mov_b32_e32 v124, 0
	buffer_store_dword v124, off, s[0:3], 0 offset:64
	buffer_store_dword v124, off, s[0:3], 0 offset:68
	s_waitcnt vmcnt(2)
	ds_write_b64 v121, v[122:123]
.LBB59_351:
	s_or_b64 exec, exec, s[4:5]
	s_waitcnt lgkmcnt(0)
	; wave barrier
	buffer_load_dword v131, off, s[0:3], 0 offset:72
	buffer_load_dword v132, off, s[0:3], 0 offset:76
	buffer_load_dword v133, off, s[0:3], 0 offset:80
	buffer_load_dword v134, off, s[0:3], 0 offset:84
	buffer_load_dword v135, off, s[0:3], 0 offset:88
	buffer_load_dword v136, off, s[0:3], 0 offset:92
	buffer_load_dword v137, off, s[0:3], 0 offset:96
	buffer_load_dword v138, off, s[0:3], 0 offset:100
	buffer_load_dword v139, off, s[0:3], 0 offset:104
	buffer_load_dword v140, off, s[0:3], 0 offset:108
	buffer_load_dword v141, off, s[0:3], 0 offset:112
	buffer_load_dword v142, off, s[0:3], 0 offset:116
	buffer_load_dword v143, off, s[0:3], 0 offset:120
	buffer_load_dword v144, off, s[0:3], 0 offset:124
	buffer_load_dword v146, off, s[0:3], 0 offset:132
	buffer_load_dword v147, off, s[0:3], 0 offset:152
	buffer_load_dword v149, off, s[0:3], 0 offset:144
	buffer_load_dword v151, off, s[0:3], 0 offset:136
	buffer_load_dword v145, off, s[0:3], 0 offset:128
	buffer_load_dword v152, off, s[0:3], 0 offset:140
	buffer_load_dword v150, off, s[0:3], 0 offset:148
	buffer_load_dword v148, off, s[0:3], 0 offset:156
	v_mov_b32_e32 v122, 0
	ds_read2_b64 v[123:126], v122 offset0:69 offset1:70
	ds_read2_b64 v[127:130], v122 offset0:71 offset1:72
	v_cmp_lt_u32_e32 vcc, 7, v0
	s_waitcnt vmcnt(20) lgkmcnt(1)
	v_fma_f64 v[123:124], v[131:132], v[123:124], 0
	s_waitcnt vmcnt(18)
	v_fma_f64 v[123:124], v[133:134], v[125:126], v[123:124]
	buffer_load_dword v132, off, s[0:3], 0 offset:164
	buffer_load_dword v133, off, s[0:3], 0 offset:184
	;; [unrolled: 1-line block ×7, first 2 shown]
	s_waitcnt vmcnt(23) lgkmcnt(0)
	v_fma_f64 v[123:124], v[135:136], v[127:128], v[123:124]
	s_waitcnt vmcnt(21)
	v_fma_f64 v[134:135], v[137:138], v[129:130], v[123:124]
	ds_read2_b64 v[123:126], v122 offset0:73 offset1:74
	ds_read2_b64 v[127:130], v122 offset0:75 offset1:76
	s_waitcnt vmcnt(19) lgkmcnt(1)
	v_fma_f64 v[123:124], v[139:140], v[123:124], v[134:135]
	buffer_load_dword v134, off, s[0:3], 0 offset:188
	s_waitcnt vmcnt(18)
	v_fma_f64 v[123:124], v[141:142], v[125:126], v[123:124]
	buffer_load_dword v136, off, s[0:3], 0 offset:196
	buffer_load_dword v137, off, s[0:3], 0 offset:216
	;; [unrolled: 1-line block ×8, first 2 shown]
	s_waitcnt vmcnt(24) lgkmcnt(0)
	v_fma_f64 v[123:124], v[143:144], v[127:128], v[123:124]
	s_waitcnt vmcnt(19)
	v_fma_f64 v[143:144], v[145:146], v[129:130], v[123:124]
	ds_read2_b64 v[123:126], v122 offset0:77 offset1:78
	ds_read2_b64 v[127:130], v122 offset0:79 offset1:80
	s_waitcnt vmcnt(18) lgkmcnt(1)
	v_fma_f64 v[123:124], v[151:152], v[123:124], v[143:144]
	s_waitcnt vmcnt(17)
	v_fma_f64 v[123:124], v[149:150], v[125:126], v[123:124]
	buffer_load_dword v144, off, s[0:3], 0 offset:228
	buffer_load_dword v145, off, s[0:3], 0 offset:248
	;; [unrolled: 1-line block ×8, first 2 shown]
	s_waitcnt vmcnt(24) lgkmcnt(0)
	v_fma_f64 v[123:124], v[147:148], v[127:128], v[123:124]
	s_waitcnt vmcnt(19)
	v_fma_f64 v[131:132], v[131:132], v[129:130], v[123:124]
	ds_read2_b64 v[123:126], v122 offset0:81 offset1:82
	ds_read2_b64 v[127:130], v122 offset0:83 offset1:84
	s_waitcnt vmcnt(18) lgkmcnt(1)
	v_fma_f64 v[123:124], v[155:156], v[123:124], v[131:132]
	s_waitcnt vmcnt(17)
	v_fma_f64 v[123:124], v[153:154], v[125:126], v[123:124]
	buffer_load_dword v132, off, s[0:3], 0 offset:260
	buffer_load_dword v147, off, s[0:3], 0 offset:280
	;; [unrolled: 1-line block ×7, first 2 shown]
	s_waitcnt vmcnt(23) lgkmcnt(0)
	v_fma_f64 v[123:124], v[133:134], v[127:128], v[123:124]
	s_waitcnt vmcnt(18)
	v_fma_f64 v[133:134], v[135:136], v[129:130], v[123:124]
	ds_read2_b64 v[123:126], v122 offset0:85 offset1:86
	ds_read2_b64 v[127:130], v122 offset0:87 offset1:88
	buffer_load_dword v148, off, s[0:3], 0 offset:284
	s_waitcnt vmcnt(18) lgkmcnt(1)
	v_fma_f64 v[123:124], v[141:142], v[123:124], v[133:134]
	s_waitcnt vmcnt(17)
	v_fma_f64 v[123:124], v[139:140], v[125:126], v[123:124]
	buffer_load_dword v134, off, s[0:3], 0 offset:292
	buffer_load_dword v135, off, s[0:3], 0 offset:312
	;; [unrolled: 1-line block ×7, first 2 shown]
	s_waitcnt vmcnt(23) lgkmcnt(0)
	v_fma_f64 v[123:124], v[137:138], v[127:128], v[123:124]
	s_waitcnt vmcnt(18)
	v_fma_f64 v[136:137], v[143:144], v[129:130], v[123:124]
	ds_read2_b64 v[123:126], v122 offset0:89 offset1:90
	ds_read2_b64 v[127:130], v122 offset0:91 offset1:92
	s_waitcnt vmcnt(17) lgkmcnt(1)
	v_fma_f64 v[123:124], v[151:152], v[123:124], v[136:137]
	buffer_load_dword v136, off, s[0:3], 0 offset:316
	s_waitcnt vmcnt(17)
	v_fma_f64 v[123:124], v[149:150], v[125:126], v[123:124]
	buffer_load_dword v138, off, s[0:3], 0 offset:324
	buffer_load_dword v143, off, s[0:3], 0 offset:344
	;; [unrolled: 1-line block ×8, first 2 shown]
	s_waitcnt vmcnt(24) lgkmcnt(0)
	v_fma_f64 v[123:124], v[145:146], v[127:128], v[123:124]
	s_waitcnt vmcnt(19)
	v_fma_f64 v[131:132], v[131:132], v[129:130], v[123:124]
	ds_read2_b64 v[123:126], v122 offset0:93 offset1:94
	ds_read2_b64 v[127:130], v122 offset0:95 offset1:96
	s_waitcnt vmcnt(18) lgkmcnt(1)
	v_fma_f64 v[123:124], v[155:156], v[123:124], v[131:132]
	s_waitcnt vmcnt(17)
	v_fma_f64 v[123:124], v[153:154], v[125:126], v[123:124]
	buffer_load_dword v132, off, s[0:3], 0 offset:356
	buffer_load_dword v145, off, s[0:3], 0 offset:376
	;; [unrolled: 1-line block ×7, first 2 shown]
	s_waitcnt vmcnt(23) lgkmcnt(0)
	v_fma_f64 v[123:124], v[147:148], v[127:128], v[123:124]
	s_waitcnt vmcnt(18)
	v_fma_f64 v[133:134], v[133:134], v[129:130], v[123:124]
	ds_read2_b64 v[123:126], v122 offset0:97 offset1:98
	ds_read2_b64 v[127:130], v122 offset0:99 offset1:100
	buffer_load_dword v146, off, s[0:3], 0 offset:380
	s_waitcnt vmcnt(18) lgkmcnt(1)
	v_fma_f64 v[123:124], v[141:142], v[123:124], v[133:134]
	s_waitcnt vmcnt(17)
	v_fma_f64 v[123:124], v[139:140], v[125:126], v[123:124]
	buffer_load_dword v134, off, s[0:3], 0 offset:388
	buffer_load_dword v139, off, s[0:3], 0 offset:408
	buffer_load_dword v141, off, s[0:3], 0 offset:400
	buffer_load_dword v147, off, s[0:3], 0 offset:392
	buffer_load_dword v133, off, s[0:3], 0 offset:384
	buffer_load_dword v148, off, s[0:3], 0 offset:396
	buffer_load_dword v142, off, s[0:3], 0 offset:404
	buffer_load_dword v140, off, s[0:3], 0 offset:412
	s_waitcnt vmcnt(24) lgkmcnt(0)
	v_fma_f64 v[123:124], v[135:136], v[127:128], v[123:124]
	s_waitcnt vmcnt(19)
	v_fma_f64 v[135:136], v[137:138], v[129:130], v[123:124]
	ds_read2_b64 v[123:126], v122 offset0:101 offset1:102
	ds_read2_b64 v[127:130], v122 offset0:103 offset1:104
	s_waitcnt vmcnt(18) lgkmcnt(1)
	v_fma_f64 v[123:124], v[151:152], v[123:124], v[135:136]
	s_waitcnt vmcnt(17)
	v_fma_f64 v[123:124], v[149:150], v[125:126], v[123:124]
	buffer_load_dword v136, off, s[0:3], 0 offset:420
	buffer_load_dword v137, off, s[0:3], 0 offset:440
	buffer_load_dword v149, off, s[0:3], 0 offset:432
	buffer_load_dword v151, off, s[0:3], 0 offset:424
	buffer_load_dword v135, off, s[0:3], 0 offset:416
	buffer_load_dword v152, off, s[0:3], 0 offset:428
	buffer_load_dword v150, off, s[0:3], 0 offset:436
	buffer_load_dword v138, off, s[0:3], 0 offset:444
	s_waitcnt vmcnt(24) lgkmcnt(0)
	v_fma_f64 v[123:124], v[143:144], v[127:128], v[123:124]
	s_waitcnt vmcnt(19)
	v_fma_f64 v[131:132], v[131:132], v[129:130], v[123:124]
	ds_read2_b64 v[123:126], v122 offset0:105 offset1:106
	ds_read2_b64 v[127:130], v122 offset0:107 offset1:108
	;; [unrolled: 18-line block ×3, first 2 shown]
	s_waitcnt vmcnt(18) lgkmcnt(1)
	v_fma_f64 v[123:124], v[147:148], v[123:124], v[133:134]
	buffer_load_dword v133, off, s[0:3], 0 offset:64
	buffer_load_dword v134, off, s[0:3], 0 offset:68
	s_waitcnt vmcnt(19)
	v_fma_f64 v[123:124], v[141:142], v[125:126], v[123:124]
	s_waitcnt vmcnt(18) lgkmcnt(0)
	v_fma_f64 v[123:124], v[139:140], v[127:128], v[123:124]
	s_waitcnt vmcnt(13)
	v_fma_f64 v[135:136], v[135:136], v[129:130], v[123:124]
	ds_read2_b64 v[123:126], v122 offset0:113 offset1:114
	ds_read2_b64 v[127:130], v122 offset0:115 offset1:116
	s_waitcnt vmcnt(12) lgkmcnt(1)
	v_fma_f64 v[123:124], v[151:152], v[123:124], v[135:136]
	s_waitcnt vmcnt(11)
	v_fma_f64 v[123:124], v[149:150], v[125:126], v[123:124]
	s_waitcnt vmcnt(10) lgkmcnt(0)
	v_fma_f64 v[123:124], v[137:138], v[127:128], v[123:124]
	s_waitcnt vmcnt(5)
	v_fma_f64 v[127:128], v[131:132], v[129:130], v[123:124]
	ds_read2_b64 v[123:126], v122 offset0:117 offset1:118
	ds_read_b64 v[129:130], v122 offset:952
	s_waitcnt vmcnt(4) lgkmcnt(1)
	v_fma_f64 v[123:124], v[155:156], v[123:124], v[127:128]
	s_waitcnt vmcnt(3)
	v_fma_f64 v[123:124], v[153:154], v[125:126], v[123:124]
	s_waitcnt vmcnt(2) lgkmcnt(0)
	v_fma_f64 v[123:124], v[143:144], v[129:130], v[123:124]
	s_waitcnt vmcnt(0)
	v_add_f64 v[123:124], v[133:134], -v[123:124]
	buffer_store_dword v124, off, s[0:3], 0 offset:68
	buffer_store_dword v123, off, s[0:3], 0 offset:64
	s_and_saveexec_b64 s[4:5], vcc
	s_cbranch_execz .LBB59_353
; %bb.352:
	buffer_load_dword v123, off, s[0:3], 0 offset:56
	buffer_load_dword v124, off, s[0:3], 0 offset:60
	s_waitcnt vmcnt(0)
	ds_write_b64 v121, v[123:124]
	buffer_store_dword v122, off, s[0:3], 0 offset:56
	buffer_store_dword v122, off, s[0:3], 0 offset:60
.LBB59_353:
	s_or_b64 exec, exec, s[4:5]
	s_waitcnt lgkmcnt(0)
	; wave barrier
	buffer_load_dword v131, off, s[0:3], 0 offset:64
	buffer_load_dword v132, off, s[0:3], 0 offset:68
	;; [unrolled: 1-line block ×22, first 2 shown]
	ds_read_b128 v[123:126], v122 offset:544
	ds_read_b128 v[127:130], v122 offset:560
	v_cmp_lt_u32_e32 vcc, 6, v0
	s_waitcnt vmcnt(20) lgkmcnt(1)
	v_fma_f64 v[123:124], v[131:132], v[123:124], 0
	s_waitcnt vmcnt(18)
	v_fma_f64 v[123:124], v[133:134], v[125:126], v[123:124]
	buffer_load_dword v132, off, s[0:3], 0 offset:156
	buffer_load_dword v133, off, s[0:3], 0 offset:176
	;; [unrolled: 1-line block ×7, first 2 shown]
	s_waitcnt vmcnt(23) lgkmcnt(0)
	v_fma_f64 v[123:124], v[135:136], v[127:128], v[123:124]
	s_waitcnt vmcnt(21)
	v_fma_f64 v[134:135], v[137:138], v[129:130], v[123:124]
	ds_read_b128 v[123:126], v122 offset:576
	ds_read_b128 v[127:130], v122 offset:592
	s_waitcnt vmcnt(19) lgkmcnt(1)
	v_fma_f64 v[123:124], v[139:140], v[123:124], v[134:135]
	buffer_load_dword v134, off, s[0:3], 0 offset:180
	s_waitcnt vmcnt(18)
	v_fma_f64 v[123:124], v[141:142], v[125:126], v[123:124]
	buffer_load_dword v136, off, s[0:3], 0 offset:188
	buffer_load_dword v137, off, s[0:3], 0 offset:208
	;; [unrolled: 1-line block ×8, first 2 shown]
	s_waitcnt vmcnt(24) lgkmcnt(0)
	v_fma_f64 v[123:124], v[143:144], v[127:128], v[123:124]
	s_waitcnt vmcnt(19)
	v_fma_f64 v[143:144], v[145:146], v[129:130], v[123:124]
	ds_read_b128 v[123:126], v122 offset:608
	ds_read_b128 v[127:130], v122 offset:624
	s_waitcnt vmcnt(18) lgkmcnt(1)
	v_fma_f64 v[123:124], v[151:152], v[123:124], v[143:144]
	s_waitcnt vmcnt(17)
	v_fma_f64 v[123:124], v[149:150], v[125:126], v[123:124]
	buffer_load_dword v144, off, s[0:3], 0 offset:220
	buffer_load_dword v145, off, s[0:3], 0 offset:240
	;; [unrolled: 1-line block ×8, first 2 shown]
	s_waitcnt vmcnt(24) lgkmcnt(0)
	v_fma_f64 v[123:124], v[147:148], v[127:128], v[123:124]
	s_waitcnt vmcnt(19)
	v_fma_f64 v[131:132], v[131:132], v[129:130], v[123:124]
	ds_read_b128 v[123:126], v122 offset:640
	ds_read_b128 v[127:130], v122 offset:656
	s_waitcnt vmcnt(18) lgkmcnt(1)
	v_fma_f64 v[123:124], v[155:156], v[123:124], v[131:132]
	s_waitcnt vmcnt(17)
	v_fma_f64 v[123:124], v[153:154], v[125:126], v[123:124]
	buffer_load_dword v132, off, s[0:3], 0 offset:252
	buffer_load_dword v147, off, s[0:3], 0 offset:272
	;; [unrolled: 1-line block ×7, first 2 shown]
	s_waitcnt vmcnt(23) lgkmcnt(0)
	v_fma_f64 v[123:124], v[133:134], v[127:128], v[123:124]
	s_waitcnt vmcnt(18)
	v_fma_f64 v[133:134], v[135:136], v[129:130], v[123:124]
	ds_read_b128 v[123:126], v122 offset:672
	ds_read_b128 v[127:130], v122 offset:688
	buffer_load_dword v148, off, s[0:3], 0 offset:276
	s_waitcnt vmcnt(18) lgkmcnt(1)
	v_fma_f64 v[123:124], v[141:142], v[123:124], v[133:134]
	s_waitcnt vmcnt(17)
	v_fma_f64 v[123:124], v[139:140], v[125:126], v[123:124]
	buffer_load_dword v134, off, s[0:3], 0 offset:284
	buffer_load_dword v135, off, s[0:3], 0 offset:304
	;; [unrolled: 1-line block ×7, first 2 shown]
	s_waitcnt vmcnt(23) lgkmcnt(0)
	v_fma_f64 v[123:124], v[137:138], v[127:128], v[123:124]
	s_waitcnt vmcnt(18)
	v_fma_f64 v[136:137], v[143:144], v[129:130], v[123:124]
	ds_read_b128 v[123:126], v122 offset:704
	ds_read_b128 v[127:130], v122 offset:720
	s_waitcnt vmcnt(17) lgkmcnt(1)
	v_fma_f64 v[123:124], v[151:152], v[123:124], v[136:137]
	buffer_load_dword v136, off, s[0:3], 0 offset:308
	s_waitcnt vmcnt(17)
	v_fma_f64 v[123:124], v[149:150], v[125:126], v[123:124]
	buffer_load_dword v138, off, s[0:3], 0 offset:316
	buffer_load_dword v143, off, s[0:3], 0 offset:336
	;; [unrolled: 1-line block ×8, first 2 shown]
	s_waitcnt vmcnt(24) lgkmcnt(0)
	v_fma_f64 v[123:124], v[145:146], v[127:128], v[123:124]
	s_waitcnt vmcnt(19)
	v_fma_f64 v[131:132], v[131:132], v[129:130], v[123:124]
	ds_read_b128 v[123:126], v122 offset:736
	ds_read_b128 v[127:130], v122 offset:752
	s_waitcnt vmcnt(18) lgkmcnt(1)
	v_fma_f64 v[123:124], v[155:156], v[123:124], v[131:132]
	s_waitcnt vmcnt(17)
	v_fma_f64 v[123:124], v[153:154], v[125:126], v[123:124]
	buffer_load_dword v132, off, s[0:3], 0 offset:348
	buffer_load_dword v145, off, s[0:3], 0 offset:368
	;; [unrolled: 1-line block ×7, first 2 shown]
	s_waitcnt vmcnt(23) lgkmcnt(0)
	v_fma_f64 v[123:124], v[147:148], v[127:128], v[123:124]
	s_waitcnt vmcnt(18)
	v_fma_f64 v[133:134], v[133:134], v[129:130], v[123:124]
	ds_read_b128 v[123:126], v122 offset:768
	ds_read_b128 v[127:130], v122 offset:784
	buffer_load_dword v146, off, s[0:3], 0 offset:372
	s_waitcnt vmcnt(18) lgkmcnt(1)
	v_fma_f64 v[123:124], v[141:142], v[123:124], v[133:134]
	s_waitcnt vmcnt(17)
	v_fma_f64 v[123:124], v[139:140], v[125:126], v[123:124]
	buffer_load_dword v134, off, s[0:3], 0 offset:380
	buffer_load_dword v139, off, s[0:3], 0 offset:400
	buffer_load_dword v141, off, s[0:3], 0 offset:392
	buffer_load_dword v147, off, s[0:3], 0 offset:384
	buffer_load_dword v133, off, s[0:3], 0 offset:376
	buffer_load_dword v148, off, s[0:3], 0 offset:388
	buffer_load_dword v142, off, s[0:3], 0 offset:396
	buffer_load_dword v140, off, s[0:3], 0 offset:404
	s_waitcnt vmcnt(24) lgkmcnt(0)
	v_fma_f64 v[123:124], v[135:136], v[127:128], v[123:124]
	s_waitcnt vmcnt(19)
	v_fma_f64 v[135:136], v[137:138], v[129:130], v[123:124]
	ds_read_b128 v[123:126], v122 offset:800
	ds_read_b128 v[127:130], v122 offset:816
	s_waitcnt vmcnt(18) lgkmcnt(1)
	v_fma_f64 v[123:124], v[151:152], v[123:124], v[135:136]
	s_waitcnt vmcnt(17)
	v_fma_f64 v[123:124], v[149:150], v[125:126], v[123:124]
	buffer_load_dword v136, off, s[0:3], 0 offset:412
	buffer_load_dword v137, off, s[0:3], 0 offset:432
	buffer_load_dword v149, off, s[0:3], 0 offset:424
	buffer_load_dword v151, off, s[0:3], 0 offset:416
	buffer_load_dword v135, off, s[0:3], 0 offset:408
	buffer_load_dword v152, off, s[0:3], 0 offset:420
	buffer_load_dword v150, off, s[0:3], 0 offset:428
	buffer_load_dword v138, off, s[0:3], 0 offset:436
	s_waitcnt vmcnt(24) lgkmcnt(0)
	v_fma_f64 v[123:124], v[143:144], v[127:128], v[123:124]
	s_waitcnt vmcnt(19)
	v_fma_f64 v[131:132], v[131:132], v[129:130], v[123:124]
	ds_read_b128 v[123:126], v122 offset:832
	ds_read_b128 v[127:130], v122 offset:848
	;; [unrolled: 18-line block ×3, first 2 shown]
	s_waitcnt vmcnt(18) lgkmcnt(1)
	v_fma_f64 v[123:124], v[147:148], v[123:124], v[133:134]
	buffer_load_dword v134, off, s[0:3], 0 offset:476
	buffer_load_dword v133, off, s[0:3], 0 offset:472
	s_waitcnt vmcnt(19)
	v_fma_f64 v[123:124], v[141:142], v[125:126], v[123:124]
	buffer_load_dword v141, off, s[0:3], 0 offset:56
	buffer_load_dword v142, off, s[0:3], 0 offset:60
	s_waitcnt vmcnt(20) lgkmcnt(0)
	v_fma_f64 v[123:124], v[139:140], v[127:128], v[123:124]
	s_waitcnt vmcnt(15)
	v_fma_f64 v[135:136], v[135:136], v[129:130], v[123:124]
	ds_read_b128 v[123:126], v122 offset:896
	ds_read_b128 v[127:130], v122 offset:912
	s_waitcnt vmcnt(14) lgkmcnt(1)
	v_fma_f64 v[123:124], v[151:152], v[123:124], v[135:136]
	s_waitcnt vmcnt(13)
	v_fma_f64 v[123:124], v[149:150], v[125:126], v[123:124]
	s_waitcnt vmcnt(12) lgkmcnt(0)
	v_fma_f64 v[123:124], v[137:138], v[127:128], v[123:124]
	s_waitcnt vmcnt(7)
	v_fma_f64 v[131:132], v[131:132], v[129:130], v[123:124]
	ds_read_b128 v[123:126], v122 offset:928
	ds_read_b128 v[127:130], v122 offset:944
	s_waitcnt vmcnt(6) lgkmcnt(1)
	v_fma_f64 v[122:123], v[155:156], v[123:124], v[131:132]
	s_waitcnt vmcnt(5)
	v_fma_f64 v[122:123], v[153:154], v[125:126], v[122:123]
	s_waitcnt vmcnt(4) lgkmcnt(0)
	v_fma_f64 v[122:123], v[143:144], v[127:128], v[122:123]
	s_waitcnt vmcnt(2)
	v_fma_f64 v[122:123], v[133:134], v[129:130], v[122:123]
	s_waitcnt vmcnt(0)
	v_add_f64 v[122:123], v[141:142], -v[122:123]
	buffer_store_dword v123, off, s[0:3], 0 offset:60
	buffer_store_dword v122, off, s[0:3], 0 offset:56
	s_and_saveexec_b64 s[4:5], vcc
	s_cbranch_execz .LBB59_355
; %bb.354:
	buffer_load_dword v122, off, s[0:3], 0 offset:48
	buffer_load_dword v123, off, s[0:3], 0 offset:52
	v_mov_b32_e32 v124, 0
	buffer_store_dword v124, off, s[0:3], 0 offset:48
	buffer_store_dword v124, off, s[0:3], 0 offset:52
	s_waitcnt vmcnt(2)
	ds_write_b64 v121, v[122:123]
.LBB59_355:
	s_or_b64 exec, exec, s[4:5]
	s_waitcnt lgkmcnt(0)
	; wave barrier
	buffer_load_dword v131, off, s[0:3], 0 offset:56
	buffer_load_dword v132, off, s[0:3], 0 offset:60
	;; [unrolled: 1-line block ×22, first 2 shown]
	v_mov_b32_e32 v122, 0
	ds_read2_b64 v[123:126], v122 offset0:67 offset1:68
	ds_read2_b64 v[127:130], v122 offset0:69 offset1:70
	v_cmp_lt_u32_e32 vcc, 5, v0
	s_waitcnt vmcnt(20) lgkmcnt(1)
	v_fma_f64 v[123:124], v[131:132], v[123:124], 0
	s_waitcnt vmcnt(18)
	v_fma_f64 v[123:124], v[133:134], v[125:126], v[123:124]
	buffer_load_dword v132, off, s[0:3], 0 offset:148
	buffer_load_dword v133, off, s[0:3], 0 offset:168
	;; [unrolled: 1-line block ×7, first 2 shown]
	s_waitcnt vmcnt(23) lgkmcnt(0)
	v_fma_f64 v[123:124], v[135:136], v[127:128], v[123:124]
	s_waitcnt vmcnt(21)
	v_fma_f64 v[134:135], v[137:138], v[129:130], v[123:124]
	ds_read2_b64 v[123:126], v122 offset0:71 offset1:72
	ds_read2_b64 v[127:130], v122 offset0:73 offset1:74
	s_waitcnt vmcnt(19) lgkmcnt(1)
	v_fma_f64 v[123:124], v[139:140], v[123:124], v[134:135]
	buffer_load_dword v134, off, s[0:3], 0 offset:172
	s_waitcnt vmcnt(18)
	v_fma_f64 v[123:124], v[141:142], v[125:126], v[123:124]
	buffer_load_dword v136, off, s[0:3], 0 offset:180
	buffer_load_dword v137, off, s[0:3], 0 offset:200
	;; [unrolled: 1-line block ×7, first 2 shown]
	s_waitcnt vmcnt(23) lgkmcnt(0)
	v_fma_f64 v[123:124], v[143:144], v[127:128], v[123:124]
	s_waitcnt vmcnt(18)
	v_fma_f64 v[143:144], v[145:146], v[129:130], v[123:124]
	ds_read2_b64 v[123:126], v122 offset0:75 offset1:76
	ds_read2_b64 v[127:130], v122 offset0:77 offset1:78
	buffer_load_dword v138, off, s[0:3], 0 offset:204
	s_waitcnt vmcnt(18) lgkmcnt(1)
	v_fma_f64 v[123:124], v[151:152], v[123:124], v[143:144]
	s_waitcnt vmcnt(17)
	v_fma_f64 v[123:124], v[149:150], v[125:126], v[123:124]
	buffer_load_dword v144, off, s[0:3], 0 offset:212
	buffer_load_dword v145, off, s[0:3], 0 offset:232
	;; [unrolled: 1-line block ×8, first 2 shown]
	s_waitcnt vmcnt(24) lgkmcnt(0)
	v_fma_f64 v[123:124], v[147:148], v[127:128], v[123:124]
	s_waitcnt vmcnt(19)
	v_fma_f64 v[131:132], v[131:132], v[129:130], v[123:124]
	ds_read2_b64 v[123:126], v122 offset0:79 offset1:80
	ds_read2_b64 v[127:130], v122 offset0:81 offset1:82
	s_waitcnt vmcnt(18) lgkmcnt(1)
	v_fma_f64 v[123:124], v[155:156], v[123:124], v[131:132]
	s_waitcnt vmcnt(17)
	v_fma_f64 v[123:124], v[153:154], v[125:126], v[123:124]
	buffer_load_dword v132, off, s[0:3], 0 offset:244
	buffer_load_dword v147, off, s[0:3], 0 offset:264
	;; [unrolled: 1-line block ×7, first 2 shown]
	s_waitcnt vmcnt(23) lgkmcnt(0)
	v_fma_f64 v[123:124], v[133:134], v[127:128], v[123:124]
	s_waitcnt vmcnt(18)
	v_fma_f64 v[133:134], v[135:136], v[129:130], v[123:124]
	ds_read2_b64 v[123:126], v122 offset0:83 offset1:84
	ds_read2_b64 v[127:130], v122 offset0:85 offset1:86
	buffer_load_dword v148, off, s[0:3], 0 offset:268
	s_waitcnt vmcnt(18) lgkmcnt(1)
	v_fma_f64 v[123:124], v[141:142], v[123:124], v[133:134]
	s_waitcnt vmcnt(17)
	v_fma_f64 v[123:124], v[139:140], v[125:126], v[123:124]
	buffer_load_dword v134, off, s[0:3], 0 offset:276
	buffer_load_dword v135, off, s[0:3], 0 offset:296
	buffer_load_dword v139, off, s[0:3], 0 offset:288
	buffer_load_dword v141, off, s[0:3], 0 offset:280
	buffer_load_dword v133, off, s[0:3], 0 offset:272
	buffer_load_dword v142, off, s[0:3], 0 offset:284
	buffer_load_dword v140, off, s[0:3], 0 offset:292
	s_waitcnt vmcnt(23) lgkmcnt(0)
	v_fma_f64 v[123:124], v[137:138], v[127:128], v[123:124]
	s_waitcnt vmcnt(18)
	v_fma_f64 v[136:137], v[143:144], v[129:130], v[123:124]
	ds_read2_b64 v[123:126], v122 offset0:87 offset1:88
	ds_read2_b64 v[127:130], v122 offset0:89 offset1:90
	s_waitcnt vmcnt(17) lgkmcnt(1)
	v_fma_f64 v[123:124], v[151:152], v[123:124], v[136:137]
	buffer_load_dword v136, off, s[0:3], 0 offset:300
	s_waitcnt vmcnt(17)
	v_fma_f64 v[123:124], v[149:150], v[125:126], v[123:124]
	buffer_load_dword v138, off, s[0:3], 0 offset:308
	buffer_load_dword v143, off, s[0:3], 0 offset:328
	;; [unrolled: 1-line block ×8, first 2 shown]
	s_waitcnt vmcnt(24) lgkmcnt(0)
	v_fma_f64 v[123:124], v[145:146], v[127:128], v[123:124]
	s_waitcnt vmcnt(19)
	v_fma_f64 v[131:132], v[131:132], v[129:130], v[123:124]
	ds_read2_b64 v[123:126], v122 offset0:91 offset1:92
	ds_read2_b64 v[127:130], v122 offset0:93 offset1:94
	s_waitcnt vmcnt(18) lgkmcnt(1)
	v_fma_f64 v[123:124], v[155:156], v[123:124], v[131:132]
	s_waitcnt vmcnt(17)
	v_fma_f64 v[123:124], v[153:154], v[125:126], v[123:124]
	buffer_load_dword v132, off, s[0:3], 0 offset:340
	buffer_load_dword v145, off, s[0:3], 0 offset:360
	;; [unrolled: 1-line block ×7, first 2 shown]
	s_waitcnt vmcnt(23) lgkmcnt(0)
	v_fma_f64 v[123:124], v[147:148], v[127:128], v[123:124]
	s_waitcnt vmcnt(18)
	v_fma_f64 v[133:134], v[133:134], v[129:130], v[123:124]
	ds_read2_b64 v[123:126], v122 offset0:95 offset1:96
	ds_read2_b64 v[127:130], v122 offset0:97 offset1:98
	buffer_load_dword v146, off, s[0:3], 0 offset:364
	s_waitcnt vmcnt(18) lgkmcnt(1)
	v_fma_f64 v[123:124], v[141:142], v[123:124], v[133:134]
	s_waitcnt vmcnt(17)
	v_fma_f64 v[123:124], v[139:140], v[125:126], v[123:124]
	buffer_load_dword v134, off, s[0:3], 0 offset:372
	buffer_load_dword v139, off, s[0:3], 0 offset:392
	;; [unrolled: 1-line block ×7, first 2 shown]
	s_waitcnt vmcnt(23) lgkmcnt(0)
	v_fma_f64 v[123:124], v[135:136], v[127:128], v[123:124]
	s_waitcnt vmcnt(18)
	v_fma_f64 v[135:136], v[137:138], v[129:130], v[123:124]
	ds_read2_b64 v[123:126], v122 offset0:99 offset1:100
	ds_read2_b64 v[127:130], v122 offset0:101 offset1:102
	buffer_load_dword v140, off, s[0:3], 0 offset:396
	s_waitcnt vmcnt(18) lgkmcnt(1)
	v_fma_f64 v[123:124], v[151:152], v[123:124], v[135:136]
	s_waitcnt vmcnt(17)
	v_fma_f64 v[123:124], v[149:150], v[125:126], v[123:124]
	buffer_load_dword v136, off, s[0:3], 0 offset:404
	buffer_load_dword v137, off, s[0:3], 0 offset:424
	;; [unrolled: 1-line block ×8, first 2 shown]
	s_waitcnt vmcnt(24) lgkmcnt(0)
	v_fma_f64 v[123:124], v[143:144], v[127:128], v[123:124]
	s_waitcnt vmcnt(19)
	v_fma_f64 v[131:132], v[131:132], v[129:130], v[123:124]
	ds_read2_b64 v[123:126], v122 offset0:103 offset1:104
	ds_read2_b64 v[127:130], v122 offset0:105 offset1:106
	s_waitcnt vmcnt(18) lgkmcnt(1)
	v_fma_f64 v[123:124], v[155:156], v[123:124], v[131:132]
	s_waitcnt vmcnt(17)
	v_fma_f64 v[123:124], v[153:154], v[125:126], v[123:124]
	buffer_load_dword v132, off, s[0:3], 0 offset:436
	buffer_load_dword v143, off, s[0:3], 0 offset:456
	;; [unrolled: 1-line block ×7, first 2 shown]
	s_waitcnt vmcnt(23) lgkmcnt(0)
	v_fma_f64 v[123:124], v[145:146], v[127:128], v[123:124]
	s_waitcnt vmcnt(18)
	v_fma_f64 v[133:134], v[133:134], v[129:130], v[123:124]
	ds_read2_b64 v[123:126], v122 offset0:107 offset1:108
	ds_read2_b64 v[127:130], v122 offset0:109 offset1:110
	buffer_load_dword v144, off, s[0:3], 0 offset:460
	s_waitcnt vmcnt(18) lgkmcnt(1)
	v_fma_f64 v[123:124], v[147:148], v[123:124], v[133:134]
	s_waitcnt vmcnt(17)
	v_fma_f64 v[123:124], v[141:142], v[125:126], v[123:124]
	buffer_load_dword v134, off, s[0:3], 0 offset:468
	buffer_load_dword v141, off, s[0:3], 0 offset:472
	;; [unrolled: 1-line block ×4, first 2 shown]
	s_waitcnt vmcnt(20) lgkmcnt(0)
	v_fma_f64 v[123:124], v[139:140], v[127:128], v[123:124]
	buffer_load_dword v139, off, s[0:3], 0 offset:48
	buffer_load_dword v140, off, s[0:3], 0 offset:52
	s_waitcnt vmcnt(17)
	v_fma_f64 v[135:136], v[135:136], v[129:130], v[123:124]
	ds_read2_b64 v[123:126], v122 offset0:111 offset1:112
	ds_read2_b64 v[127:130], v122 offset0:113 offset1:114
	s_waitcnt vmcnt(16) lgkmcnt(1)
	v_fma_f64 v[123:124], v[151:152], v[123:124], v[135:136]
	s_waitcnt vmcnt(15)
	v_fma_f64 v[123:124], v[149:150], v[125:126], v[123:124]
	s_waitcnt vmcnt(14) lgkmcnt(0)
	v_fma_f64 v[123:124], v[137:138], v[127:128], v[123:124]
	s_waitcnt vmcnt(9)
	v_fma_f64 v[131:132], v[131:132], v[129:130], v[123:124]
	ds_read2_b64 v[123:126], v122 offset0:115 offset1:116
	ds_read2_b64 v[127:130], v122 offset0:117 offset1:118
	s_waitcnt vmcnt(8) lgkmcnt(1)
	v_fma_f64 v[123:124], v[155:156], v[123:124], v[131:132]
	s_waitcnt vmcnt(7)
	v_fma_f64 v[123:124], v[153:154], v[125:126], v[123:124]
	ds_read_b64 v[125:126], v122 offset:952
	s_waitcnt vmcnt(6) lgkmcnt(1)
	v_fma_f64 v[123:124], v[143:144], v[127:128], v[123:124]
	s_waitcnt vmcnt(3)
	v_fma_f64 v[123:124], v[133:134], v[129:130], v[123:124]
	s_waitcnt vmcnt(2) lgkmcnt(0)
	v_fma_f64 v[123:124], v[141:142], v[125:126], v[123:124]
	s_waitcnt vmcnt(0)
	v_add_f64 v[123:124], v[139:140], -v[123:124]
	buffer_store_dword v124, off, s[0:3], 0 offset:52
	buffer_store_dword v123, off, s[0:3], 0 offset:48
	s_and_saveexec_b64 s[4:5], vcc
	s_cbranch_execz .LBB59_357
; %bb.356:
	buffer_load_dword v123, off, s[0:3], 0 offset:40
	buffer_load_dword v124, off, s[0:3], 0 offset:44
	s_waitcnt vmcnt(0)
	ds_write_b64 v121, v[123:124]
	buffer_store_dword v122, off, s[0:3], 0 offset:40
	buffer_store_dword v122, off, s[0:3], 0 offset:44
.LBB59_357:
	s_or_b64 exec, exec, s[4:5]
	s_waitcnt lgkmcnt(0)
	; wave barrier
	buffer_load_dword v131, off, s[0:3], 0 offset:48
	buffer_load_dword v132, off, s[0:3], 0 offset:52
	;; [unrolled: 1-line block ×22, first 2 shown]
	ds_read_b128 v[123:126], v122 offset:528
	ds_read_b128 v[127:130], v122 offset:544
	v_cmp_lt_u32_e32 vcc, 4, v0
	s_waitcnt vmcnt(20) lgkmcnt(1)
	v_fma_f64 v[123:124], v[131:132], v[123:124], 0
	s_waitcnt vmcnt(18)
	v_fma_f64 v[123:124], v[133:134], v[125:126], v[123:124]
	buffer_load_dword v132, off, s[0:3], 0 offset:140
	buffer_load_dword v133, off, s[0:3], 0 offset:160
	;; [unrolled: 1-line block ×7, first 2 shown]
	s_waitcnt vmcnt(23) lgkmcnt(0)
	v_fma_f64 v[123:124], v[135:136], v[127:128], v[123:124]
	s_waitcnt vmcnt(21)
	v_fma_f64 v[134:135], v[137:138], v[129:130], v[123:124]
	ds_read_b128 v[123:126], v122 offset:560
	ds_read_b128 v[127:130], v122 offset:576
	s_waitcnt vmcnt(19) lgkmcnt(1)
	v_fma_f64 v[123:124], v[139:140], v[123:124], v[134:135]
	buffer_load_dword v134, off, s[0:3], 0 offset:164
	s_waitcnt vmcnt(18)
	v_fma_f64 v[123:124], v[141:142], v[125:126], v[123:124]
	buffer_load_dword v136, off, s[0:3], 0 offset:172
	buffer_load_dword v137, off, s[0:3], 0 offset:192
	;; [unrolled: 1-line block ×7, first 2 shown]
	s_waitcnt vmcnt(23) lgkmcnt(0)
	v_fma_f64 v[123:124], v[143:144], v[127:128], v[123:124]
	s_waitcnt vmcnt(18)
	v_fma_f64 v[143:144], v[145:146], v[129:130], v[123:124]
	ds_read_b128 v[123:126], v122 offset:592
	ds_read_b128 v[127:130], v122 offset:608
	buffer_load_dword v138, off, s[0:3], 0 offset:196
	s_waitcnt vmcnt(18) lgkmcnt(1)
	v_fma_f64 v[123:124], v[151:152], v[123:124], v[143:144]
	s_waitcnt vmcnt(17)
	v_fma_f64 v[123:124], v[149:150], v[125:126], v[123:124]
	buffer_load_dword v144, off, s[0:3], 0 offset:204
	buffer_load_dword v145, off, s[0:3], 0 offset:224
	;; [unrolled: 1-line block ×8, first 2 shown]
	s_waitcnt vmcnt(24) lgkmcnt(0)
	v_fma_f64 v[123:124], v[147:148], v[127:128], v[123:124]
	s_waitcnt vmcnt(19)
	v_fma_f64 v[131:132], v[131:132], v[129:130], v[123:124]
	ds_read_b128 v[123:126], v122 offset:624
	ds_read_b128 v[127:130], v122 offset:640
	s_waitcnt vmcnt(18) lgkmcnt(1)
	v_fma_f64 v[123:124], v[155:156], v[123:124], v[131:132]
	s_waitcnt vmcnt(17)
	v_fma_f64 v[123:124], v[153:154], v[125:126], v[123:124]
	buffer_load_dword v132, off, s[0:3], 0 offset:236
	buffer_load_dword v147, off, s[0:3], 0 offset:256
	;; [unrolled: 1-line block ×8, first 2 shown]
	s_waitcnt vmcnt(24) lgkmcnt(0)
	v_fma_f64 v[123:124], v[133:134], v[127:128], v[123:124]
	s_waitcnt vmcnt(19)
	v_fma_f64 v[133:134], v[135:136], v[129:130], v[123:124]
	ds_read_b128 v[123:126], v122 offset:656
	ds_read_b128 v[127:130], v122 offset:672
	s_waitcnt vmcnt(18) lgkmcnt(1)
	v_fma_f64 v[123:124], v[141:142], v[123:124], v[133:134]
	s_waitcnt vmcnt(17)
	v_fma_f64 v[123:124], v[139:140], v[125:126], v[123:124]
	buffer_load_dword v134, off, s[0:3], 0 offset:268
	buffer_load_dword v135, off, s[0:3], 0 offset:288
	;; [unrolled: 1-line block ×7, first 2 shown]
	s_waitcnt vmcnt(23) lgkmcnt(0)
	v_fma_f64 v[123:124], v[137:138], v[127:128], v[123:124]
	s_waitcnt vmcnt(18)
	v_fma_f64 v[136:137], v[143:144], v[129:130], v[123:124]
	ds_read_b128 v[123:126], v122 offset:688
	ds_read_b128 v[127:130], v122 offset:704
	s_waitcnt vmcnt(17) lgkmcnt(1)
	v_fma_f64 v[123:124], v[151:152], v[123:124], v[136:137]
	buffer_load_dword v136, off, s[0:3], 0 offset:292
	s_waitcnt vmcnt(17)
	v_fma_f64 v[123:124], v[149:150], v[125:126], v[123:124]
	buffer_load_dword v138, off, s[0:3], 0 offset:300
	buffer_load_dword v143, off, s[0:3], 0 offset:320
	;; [unrolled: 1-line block ×8, first 2 shown]
	s_waitcnt vmcnt(24) lgkmcnt(0)
	v_fma_f64 v[123:124], v[145:146], v[127:128], v[123:124]
	s_waitcnt vmcnt(19)
	v_fma_f64 v[131:132], v[131:132], v[129:130], v[123:124]
	ds_read_b128 v[123:126], v122 offset:720
	ds_read_b128 v[127:130], v122 offset:736
	s_waitcnt vmcnt(18) lgkmcnt(1)
	v_fma_f64 v[123:124], v[155:156], v[123:124], v[131:132]
	s_waitcnt vmcnt(17)
	v_fma_f64 v[123:124], v[153:154], v[125:126], v[123:124]
	buffer_load_dword v132, off, s[0:3], 0 offset:332
	buffer_load_dword v145, off, s[0:3], 0 offset:352
	;; [unrolled: 1-line block ×8, first 2 shown]
	s_waitcnt vmcnt(24) lgkmcnt(0)
	v_fma_f64 v[123:124], v[147:148], v[127:128], v[123:124]
	s_waitcnt vmcnt(19)
	v_fma_f64 v[133:134], v[133:134], v[129:130], v[123:124]
	ds_read_b128 v[123:126], v122 offset:752
	ds_read_b128 v[127:130], v122 offset:768
	s_waitcnt vmcnt(18) lgkmcnt(1)
	v_fma_f64 v[123:124], v[141:142], v[123:124], v[133:134]
	s_waitcnt vmcnt(17)
	v_fma_f64 v[123:124], v[139:140], v[125:126], v[123:124]
	buffer_load_dword v134, off, s[0:3], 0 offset:364
	buffer_load_dword v139, off, s[0:3], 0 offset:384
	;; [unrolled: 1-line block ×7, first 2 shown]
	s_waitcnt vmcnt(23) lgkmcnt(0)
	v_fma_f64 v[123:124], v[135:136], v[127:128], v[123:124]
	s_waitcnt vmcnt(18)
	v_fma_f64 v[135:136], v[137:138], v[129:130], v[123:124]
	ds_read_b128 v[123:126], v122 offset:784
	ds_read_b128 v[127:130], v122 offset:800
	buffer_load_dword v140, off, s[0:3], 0 offset:388
	s_waitcnt vmcnt(18) lgkmcnt(1)
	v_fma_f64 v[123:124], v[151:152], v[123:124], v[135:136]
	s_waitcnt vmcnt(17)
	v_fma_f64 v[123:124], v[149:150], v[125:126], v[123:124]
	buffer_load_dword v136, off, s[0:3], 0 offset:396
	buffer_load_dword v137, off, s[0:3], 0 offset:416
	;; [unrolled: 1-line block ×8, first 2 shown]
	s_waitcnt vmcnt(24) lgkmcnt(0)
	v_fma_f64 v[123:124], v[143:144], v[127:128], v[123:124]
	s_waitcnt vmcnt(19)
	v_fma_f64 v[131:132], v[131:132], v[129:130], v[123:124]
	ds_read_b128 v[123:126], v122 offset:816
	ds_read_b128 v[127:130], v122 offset:832
	s_waitcnt vmcnt(18) lgkmcnt(1)
	v_fma_f64 v[123:124], v[155:156], v[123:124], v[131:132]
	s_waitcnt vmcnt(17)
	v_fma_f64 v[123:124], v[153:154], v[125:126], v[123:124]
	buffer_load_dword v132, off, s[0:3], 0 offset:428
	buffer_load_dword v143, off, s[0:3], 0 offset:448
	;; [unrolled: 1-line block ×8, first 2 shown]
	s_waitcnt vmcnt(24) lgkmcnt(0)
	v_fma_f64 v[123:124], v[145:146], v[127:128], v[123:124]
	s_waitcnt vmcnt(19)
	v_fma_f64 v[133:134], v[133:134], v[129:130], v[123:124]
	ds_read_b128 v[123:126], v122 offset:848
	ds_read_b128 v[127:130], v122 offset:864
	s_waitcnt vmcnt(18) lgkmcnt(1)
	v_fma_f64 v[123:124], v[147:148], v[123:124], v[133:134]
	s_waitcnt vmcnt(17)
	v_fma_f64 v[123:124], v[141:142], v[125:126], v[123:124]
	buffer_load_dword v134, off, s[0:3], 0 offset:460
	buffer_load_dword v141, off, s[0:3], 0 offset:472
	;; [unrolled: 1-line block ×6, first 2 shown]
	s_waitcnt vmcnt(22) lgkmcnt(0)
	v_fma_f64 v[123:124], v[139:140], v[127:128], v[123:124]
	s_waitcnt vmcnt(17)
	v_fma_f64 v[135:136], v[135:136], v[129:130], v[123:124]
	ds_read_b128 v[123:126], v122 offset:880
	buffer_load_dword v139, off, s[0:3], 0 offset:40
	buffer_load_dword v140, off, s[0:3], 0 offset:44
	ds_read_b128 v[127:130], v122 offset:896
	s_waitcnt vmcnt(18) lgkmcnt(1)
	v_fma_f64 v[123:124], v[151:152], v[123:124], v[135:136]
	s_waitcnt vmcnt(17)
	v_fma_f64 v[123:124], v[149:150], v[125:126], v[123:124]
	s_waitcnt vmcnt(16) lgkmcnt(0)
	v_fma_f64 v[123:124], v[137:138], v[127:128], v[123:124]
	s_waitcnt vmcnt(11)
	v_fma_f64 v[131:132], v[131:132], v[129:130], v[123:124]
	ds_read_b128 v[123:126], v122 offset:912
	ds_read_b128 v[127:130], v122 offset:928
	s_waitcnt vmcnt(10) lgkmcnt(1)
	v_fma_f64 v[123:124], v[155:156], v[123:124], v[131:132]
	s_waitcnt vmcnt(9)
	v_fma_f64 v[123:124], v[153:154], v[125:126], v[123:124]
	s_waitcnt vmcnt(8) lgkmcnt(0)
	v_fma_f64 v[123:124], v[143:144], v[127:128], v[123:124]
	s_waitcnt vmcnt(4)
	v_fma_f64 v[126:127], v[133:134], v[129:130], v[123:124]
	ds_read_b128 v[122:125], v122 offset:944
	s_waitcnt vmcnt(3) lgkmcnt(0)
	v_fma_f64 v[122:123], v[145:146], v[122:123], v[126:127]
	s_waitcnt vmcnt(2)
	v_fma_f64 v[122:123], v[141:142], v[124:125], v[122:123]
	s_waitcnt vmcnt(0)
	v_add_f64 v[122:123], v[139:140], -v[122:123]
	buffer_store_dword v123, off, s[0:3], 0 offset:44
	buffer_store_dword v122, off, s[0:3], 0 offset:40
	s_and_saveexec_b64 s[4:5], vcc
	s_cbranch_execz .LBB59_359
; %bb.358:
	buffer_load_dword v122, off, s[0:3], 0 offset:32
	buffer_load_dword v123, off, s[0:3], 0 offset:36
	v_mov_b32_e32 v124, 0
	buffer_store_dword v124, off, s[0:3], 0 offset:32
	buffer_store_dword v124, off, s[0:3], 0 offset:36
	s_waitcnt vmcnt(2)
	ds_write_b64 v121, v[122:123]
.LBB59_359:
	s_or_b64 exec, exec, s[4:5]
	s_waitcnt lgkmcnt(0)
	; wave barrier
	buffer_load_dword v131, off, s[0:3], 0 offset:40
	buffer_load_dword v132, off, s[0:3], 0 offset:44
	buffer_load_dword v133, off, s[0:3], 0 offset:48
	buffer_load_dword v134, off, s[0:3], 0 offset:52
	buffer_load_dword v135, off, s[0:3], 0 offset:56
	buffer_load_dword v136, off, s[0:3], 0 offset:60
	buffer_load_dword v137, off, s[0:3], 0 offset:64
	buffer_load_dword v138, off, s[0:3], 0 offset:68
	buffer_load_dword v139, off, s[0:3], 0 offset:72
	buffer_load_dword v140, off, s[0:3], 0 offset:76
	buffer_load_dword v141, off, s[0:3], 0 offset:80
	buffer_load_dword v142, off, s[0:3], 0 offset:84
	buffer_load_dword v143, off, s[0:3], 0 offset:88
	buffer_load_dword v144, off, s[0:3], 0 offset:92
	buffer_load_dword v146, off, s[0:3], 0 offset:100
	buffer_load_dword v147, off, s[0:3], 0 offset:120
	buffer_load_dword v149, off, s[0:3], 0 offset:112
	buffer_load_dword v151, off, s[0:3], 0 offset:104
	buffer_load_dword v145, off, s[0:3], 0 offset:96
	buffer_load_dword v152, off, s[0:3], 0 offset:108
	buffer_load_dword v150, off, s[0:3], 0 offset:116
	buffer_load_dword v148, off, s[0:3], 0 offset:124
	v_mov_b32_e32 v122, 0
	ds_read2_b64 v[123:126], v122 offset0:65 offset1:66
	ds_read2_b64 v[127:130], v122 offset0:67 offset1:68
	v_cmp_lt_u32_e32 vcc, 3, v0
	s_waitcnt vmcnt(20) lgkmcnt(1)
	v_fma_f64 v[123:124], v[131:132], v[123:124], 0
	s_waitcnt vmcnt(18)
	v_fma_f64 v[123:124], v[133:134], v[125:126], v[123:124]
	buffer_load_dword v132, off, s[0:3], 0 offset:132
	buffer_load_dword v133, off, s[0:3], 0 offset:152
	;; [unrolled: 1-line block ×7, first 2 shown]
	s_waitcnt vmcnt(23) lgkmcnt(0)
	v_fma_f64 v[123:124], v[135:136], v[127:128], v[123:124]
	s_waitcnt vmcnt(21)
	v_fma_f64 v[134:135], v[137:138], v[129:130], v[123:124]
	ds_read2_b64 v[123:126], v122 offset0:69 offset1:70
	ds_read2_b64 v[127:130], v122 offset0:71 offset1:72
	s_waitcnt vmcnt(19) lgkmcnt(1)
	v_fma_f64 v[123:124], v[139:140], v[123:124], v[134:135]
	buffer_load_dword v134, off, s[0:3], 0 offset:156
	s_waitcnt vmcnt(18)
	v_fma_f64 v[123:124], v[141:142], v[125:126], v[123:124]
	buffer_load_dword v136, off, s[0:3], 0 offset:164
	buffer_load_dword v137, off, s[0:3], 0 offset:184
	;; [unrolled: 1-line block ×7, first 2 shown]
	s_waitcnt vmcnt(23) lgkmcnt(0)
	v_fma_f64 v[123:124], v[143:144], v[127:128], v[123:124]
	s_waitcnt vmcnt(18)
	v_fma_f64 v[143:144], v[145:146], v[129:130], v[123:124]
	ds_read2_b64 v[123:126], v122 offset0:73 offset1:74
	ds_read2_b64 v[127:130], v122 offset0:75 offset1:76
	buffer_load_dword v138, off, s[0:3], 0 offset:188
	s_waitcnt vmcnt(18) lgkmcnt(1)
	v_fma_f64 v[123:124], v[151:152], v[123:124], v[143:144]
	s_waitcnt vmcnt(17)
	v_fma_f64 v[123:124], v[149:150], v[125:126], v[123:124]
	buffer_load_dword v144, off, s[0:3], 0 offset:196
	buffer_load_dword v145, off, s[0:3], 0 offset:216
	;; [unrolled: 1-line block ×8, first 2 shown]
	s_waitcnt vmcnt(24) lgkmcnt(0)
	v_fma_f64 v[123:124], v[147:148], v[127:128], v[123:124]
	s_waitcnt vmcnt(19)
	v_fma_f64 v[131:132], v[131:132], v[129:130], v[123:124]
	ds_read2_b64 v[123:126], v122 offset0:77 offset1:78
	ds_read2_b64 v[127:130], v122 offset0:79 offset1:80
	s_waitcnt vmcnt(18) lgkmcnt(1)
	v_fma_f64 v[123:124], v[155:156], v[123:124], v[131:132]
	s_waitcnt vmcnt(17)
	v_fma_f64 v[123:124], v[153:154], v[125:126], v[123:124]
	buffer_load_dword v132, off, s[0:3], 0 offset:228
	buffer_load_dword v147, off, s[0:3], 0 offset:248
	;; [unrolled: 1-line block ×8, first 2 shown]
	s_waitcnt vmcnt(24) lgkmcnt(0)
	v_fma_f64 v[123:124], v[133:134], v[127:128], v[123:124]
	s_waitcnt vmcnt(19)
	v_fma_f64 v[133:134], v[135:136], v[129:130], v[123:124]
	ds_read2_b64 v[123:126], v122 offset0:81 offset1:82
	ds_read2_b64 v[127:130], v122 offset0:83 offset1:84
	s_waitcnt vmcnt(18) lgkmcnt(1)
	v_fma_f64 v[123:124], v[141:142], v[123:124], v[133:134]
	s_waitcnt vmcnt(17)
	v_fma_f64 v[123:124], v[139:140], v[125:126], v[123:124]
	buffer_load_dword v134, off, s[0:3], 0 offset:260
	buffer_load_dword v135, off, s[0:3], 0 offset:280
	;; [unrolled: 1-line block ×7, first 2 shown]
	s_waitcnt vmcnt(23) lgkmcnt(0)
	v_fma_f64 v[123:124], v[137:138], v[127:128], v[123:124]
	s_waitcnt vmcnt(18)
	v_fma_f64 v[136:137], v[143:144], v[129:130], v[123:124]
	ds_read2_b64 v[123:126], v122 offset0:85 offset1:86
	ds_read2_b64 v[127:130], v122 offset0:87 offset1:88
	s_waitcnt vmcnt(17) lgkmcnt(1)
	v_fma_f64 v[123:124], v[151:152], v[123:124], v[136:137]
	buffer_load_dword v136, off, s[0:3], 0 offset:284
	s_waitcnt vmcnt(17)
	v_fma_f64 v[123:124], v[149:150], v[125:126], v[123:124]
	buffer_load_dword v138, off, s[0:3], 0 offset:292
	buffer_load_dword v143, off, s[0:3], 0 offset:312
	;; [unrolled: 1-line block ×8, first 2 shown]
	s_waitcnt vmcnt(24) lgkmcnt(0)
	v_fma_f64 v[123:124], v[145:146], v[127:128], v[123:124]
	s_waitcnt vmcnt(19)
	v_fma_f64 v[131:132], v[131:132], v[129:130], v[123:124]
	ds_read2_b64 v[123:126], v122 offset0:89 offset1:90
	ds_read2_b64 v[127:130], v122 offset0:91 offset1:92
	s_waitcnt vmcnt(18) lgkmcnt(1)
	v_fma_f64 v[123:124], v[155:156], v[123:124], v[131:132]
	s_waitcnt vmcnt(17)
	v_fma_f64 v[123:124], v[153:154], v[125:126], v[123:124]
	buffer_load_dword v132, off, s[0:3], 0 offset:324
	buffer_load_dword v145, off, s[0:3], 0 offset:344
	;; [unrolled: 1-line block ×8, first 2 shown]
	s_waitcnt vmcnt(24) lgkmcnt(0)
	v_fma_f64 v[123:124], v[147:148], v[127:128], v[123:124]
	s_waitcnt vmcnt(19)
	v_fma_f64 v[133:134], v[133:134], v[129:130], v[123:124]
	ds_read2_b64 v[123:126], v122 offset0:93 offset1:94
	ds_read2_b64 v[127:130], v122 offset0:95 offset1:96
	s_waitcnt vmcnt(18) lgkmcnt(1)
	v_fma_f64 v[123:124], v[141:142], v[123:124], v[133:134]
	s_waitcnt vmcnt(17)
	v_fma_f64 v[123:124], v[139:140], v[125:126], v[123:124]
	buffer_load_dword v134, off, s[0:3], 0 offset:356
	buffer_load_dword v139, off, s[0:3], 0 offset:376
	;; [unrolled: 1-line block ×7, first 2 shown]
	s_waitcnt vmcnt(23) lgkmcnt(0)
	v_fma_f64 v[123:124], v[135:136], v[127:128], v[123:124]
	s_waitcnt vmcnt(18)
	v_fma_f64 v[135:136], v[137:138], v[129:130], v[123:124]
	ds_read2_b64 v[123:126], v122 offset0:97 offset1:98
	ds_read2_b64 v[127:130], v122 offset0:99 offset1:100
	buffer_load_dword v140, off, s[0:3], 0 offset:380
	s_waitcnt vmcnt(18) lgkmcnt(1)
	v_fma_f64 v[123:124], v[151:152], v[123:124], v[135:136]
	s_waitcnt vmcnt(17)
	v_fma_f64 v[123:124], v[149:150], v[125:126], v[123:124]
	buffer_load_dword v136, off, s[0:3], 0 offset:388
	buffer_load_dword v137, off, s[0:3], 0 offset:408
	buffer_load_dword v149, off, s[0:3], 0 offset:400
	buffer_load_dword v151, off, s[0:3], 0 offset:392
	buffer_load_dword v135, off, s[0:3], 0 offset:384
	buffer_load_dword v152, off, s[0:3], 0 offset:396
	buffer_load_dword v150, off, s[0:3], 0 offset:404
	buffer_load_dword v138, off, s[0:3], 0 offset:412
	s_waitcnt vmcnt(24) lgkmcnt(0)
	v_fma_f64 v[123:124], v[143:144], v[127:128], v[123:124]
	s_waitcnt vmcnt(19)
	v_fma_f64 v[131:132], v[131:132], v[129:130], v[123:124]
	ds_read2_b64 v[123:126], v122 offset0:101 offset1:102
	ds_read2_b64 v[127:130], v122 offset0:103 offset1:104
	s_waitcnt vmcnt(18) lgkmcnt(1)
	v_fma_f64 v[123:124], v[155:156], v[123:124], v[131:132]
	s_waitcnt vmcnt(17)
	v_fma_f64 v[123:124], v[153:154], v[125:126], v[123:124]
	buffer_load_dword v132, off, s[0:3], 0 offset:420
	buffer_load_dword v143, off, s[0:3], 0 offset:440
	buffer_load_dword v153, off, s[0:3], 0 offset:432
	buffer_load_dword v155, off, s[0:3], 0 offset:424
	buffer_load_dword v131, off, s[0:3], 0 offset:416
	buffer_load_dword v156, off, s[0:3], 0 offset:428
	buffer_load_dword v154, off, s[0:3], 0 offset:436
	buffer_load_dword v144, off, s[0:3], 0 offset:444
	s_waitcnt vmcnt(24) lgkmcnt(0)
	v_fma_f64 v[123:124], v[145:146], v[127:128], v[123:124]
	s_waitcnt vmcnt(19)
	v_fma_f64 v[133:134], v[133:134], v[129:130], v[123:124]
	ds_read2_b64 v[123:126], v122 offset0:105 offset1:106
	ds_read2_b64 v[127:130], v122 offset0:107 offset1:108
	;; [unrolled: 18-line block ×3, first 2 shown]
	s_waitcnt vmcnt(18) lgkmcnt(1)
	v_fma_f64 v[123:124], v[151:152], v[123:124], v[135:136]
	buffer_load_dword v135, off, s[0:3], 0 offset:32
	buffer_load_dword v136, off, s[0:3], 0 offset:36
	s_waitcnt vmcnt(19)
	v_fma_f64 v[123:124], v[149:150], v[125:126], v[123:124]
	s_waitcnt vmcnt(18) lgkmcnt(0)
	v_fma_f64 v[123:124], v[137:138], v[127:128], v[123:124]
	s_waitcnt vmcnt(13)
	v_fma_f64 v[131:132], v[131:132], v[129:130], v[123:124]
	ds_read2_b64 v[123:126], v122 offset0:113 offset1:114
	ds_read2_b64 v[127:130], v122 offset0:115 offset1:116
	s_waitcnt vmcnt(12) lgkmcnt(1)
	v_fma_f64 v[123:124], v[155:156], v[123:124], v[131:132]
	s_waitcnt vmcnt(11)
	v_fma_f64 v[123:124], v[153:154], v[125:126], v[123:124]
	s_waitcnt vmcnt(10) lgkmcnt(0)
	v_fma_f64 v[123:124], v[143:144], v[127:128], v[123:124]
	s_waitcnt vmcnt(5)
	v_fma_f64 v[127:128], v[133:134], v[129:130], v[123:124]
	ds_read2_b64 v[123:126], v122 offset0:117 offset1:118
	ds_read_b64 v[129:130], v122 offset:952
	s_waitcnt vmcnt(4) lgkmcnt(1)
	v_fma_f64 v[123:124], v[147:148], v[123:124], v[127:128]
	s_waitcnt vmcnt(3)
	v_fma_f64 v[123:124], v[145:146], v[125:126], v[123:124]
	s_waitcnt vmcnt(2) lgkmcnt(0)
	v_fma_f64 v[123:124], v[141:142], v[129:130], v[123:124]
	s_waitcnt vmcnt(0)
	v_add_f64 v[123:124], v[135:136], -v[123:124]
	buffer_store_dword v124, off, s[0:3], 0 offset:36
	buffer_store_dword v123, off, s[0:3], 0 offset:32
	s_and_saveexec_b64 s[4:5], vcc
	s_cbranch_execz .LBB59_361
; %bb.360:
	buffer_load_dword v123, off, s[0:3], 0 offset:24
	buffer_load_dword v124, off, s[0:3], 0 offset:28
	s_waitcnt vmcnt(0)
	ds_write_b64 v121, v[123:124]
	buffer_store_dword v122, off, s[0:3], 0 offset:24
	buffer_store_dword v122, off, s[0:3], 0 offset:28
.LBB59_361:
	s_or_b64 exec, exec, s[4:5]
	s_waitcnt lgkmcnt(0)
	; wave barrier
	buffer_load_dword v131, off, s[0:3], 0 offset:32
	buffer_load_dword v132, off, s[0:3], 0 offset:36
	;; [unrolled: 1-line block ×22, first 2 shown]
	ds_read_b128 v[123:126], v122 offset:512
	ds_read_b128 v[127:130], v122 offset:528
	v_cmp_lt_u32_e32 vcc, 2, v0
	s_waitcnt vmcnt(20) lgkmcnt(1)
	v_fma_f64 v[123:124], v[131:132], v[123:124], 0
	s_waitcnt vmcnt(18)
	v_fma_f64 v[123:124], v[133:134], v[125:126], v[123:124]
	buffer_load_dword v132, off, s[0:3], 0 offset:124
	buffer_load_dword v133, off, s[0:3], 0 offset:144
	buffer_load_dword v153, off, s[0:3], 0 offset:136
	buffer_load_dword v155, off, s[0:3], 0 offset:128
	buffer_load_dword v131, off, s[0:3], 0 offset:120
	buffer_load_dword v156, off, s[0:3], 0 offset:132
	buffer_load_dword v154, off, s[0:3], 0 offset:140
	s_waitcnt vmcnt(23) lgkmcnt(0)
	v_fma_f64 v[123:124], v[135:136], v[127:128], v[123:124]
	s_waitcnt vmcnt(21)
	v_fma_f64 v[134:135], v[137:138], v[129:130], v[123:124]
	ds_read_b128 v[123:126], v122 offset:544
	ds_read_b128 v[127:130], v122 offset:560
	s_waitcnt vmcnt(19) lgkmcnt(1)
	v_fma_f64 v[123:124], v[139:140], v[123:124], v[134:135]
	buffer_load_dword v134, off, s[0:3], 0 offset:148
	s_waitcnt vmcnt(18)
	v_fma_f64 v[123:124], v[141:142], v[125:126], v[123:124]
	buffer_load_dword v136, off, s[0:3], 0 offset:156
	buffer_load_dword v137, off, s[0:3], 0 offset:176
	;; [unrolled: 1-line block ×7, first 2 shown]
	s_waitcnt vmcnt(23) lgkmcnt(0)
	v_fma_f64 v[123:124], v[143:144], v[127:128], v[123:124]
	s_waitcnt vmcnt(18)
	v_fma_f64 v[143:144], v[145:146], v[129:130], v[123:124]
	ds_read_b128 v[123:126], v122 offset:576
	ds_read_b128 v[127:130], v122 offset:592
	buffer_load_dword v138, off, s[0:3], 0 offset:180
	s_waitcnt vmcnt(18) lgkmcnt(1)
	v_fma_f64 v[123:124], v[151:152], v[123:124], v[143:144]
	s_waitcnt vmcnt(17)
	v_fma_f64 v[123:124], v[149:150], v[125:126], v[123:124]
	buffer_load_dword v144, off, s[0:3], 0 offset:188
	buffer_load_dword v145, off, s[0:3], 0 offset:208
	;; [unrolled: 1-line block ×8, first 2 shown]
	s_waitcnt vmcnt(24) lgkmcnt(0)
	v_fma_f64 v[123:124], v[147:148], v[127:128], v[123:124]
	s_waitcnt vmcnt(19)
	v_fma_f64 v[131:132], v[131:132], v[129:130], v[123:124]
	ds_read_b128 v[123:126], v122 offset:608
	ds_read_b128 v[127:130], v122 offset:624
	s_waitcnt vmcnt(18) lgkmcnt(1)
	v_fma_f64 v[123:124], v[155:156], v[123:124], v[131:132]
	s_waitcnt vmcnt(17)
	v_fma_f64 v[123:124], v[153:154], v[125:126], v[123:124]
	buffer_load_dword v132, off, s[0:3], 0 offset:220
	buffer_load_dword v147, off, s[0:3], 0 offset:240
	;; [unrolled: 1-line block ×8, first 2 shown]
	s_waitcnt vmcnt(24) lgkmcnt(0)
	v_fma_f64 v[123:124], v[133:134], v[127:128], v[123:124]
	s_waitcnt vmcnt(19)
	v_fma_f64 v[133:134], v[135:136], v[129:130], v[123:124]
	ds_read_b128 v[123:126], v122 offset:640
	ds_read_b128 v[127:130], v122 offset:656
	s_waitcnt vmcnt(18) lgkmcnt(1)
	v_fma_f64 v[123:124], v[141:142], v[123:124], v[133:134]
	s_waitcnt vmcnt(17)
	v_fma_f64 v[123:124], v[139:140], v[125:126], v[123:124]
	buffer_load_dword v134, off, s[0:3], 0 offset:252
	buffer_load_dword v135, off, s[0:3], 0 offset:272
	;; [unrolled: 1-line block ×7, first 2 shown]
	s_waitcnt vmcnt(23) lgkmcnt(0)
	v_fma_f64 v[123:124], v[137:138], v[127:128], v[123:124]
	s_waitcnt vmcnt(18)
	v_fma_f64 v[136:137], v[143:144], v[129:130], v[123:124]
	ds_read_b128 v[123:126], v122 offset:672
	ds_read_b128 v[127:130], v122 offset:688
	s_waitcnt vmcnt(17) lgkmcnt(1)
	v_fma_f64 v[123:124], v[151:152], v[123:124], v[136:137]
	buffer_load_dword v136, off, s[0:3], 0 offset:276
	s_waitcnt vmcnt(17)
	v_fma_f64 v[123:124], v[149:150], v[125:126], v[123:124]
	buffer_load_dword v138, off, s[0:3], 0 offset:284
	buffer_load_dword v143, off, s[0:3], 0 offset:304
	;; [unrolled: 1-line block ×8, first 2 shown]
	s_waitcnt vmcnt(24) lgkmcnt(0)
	v_fma_f64 v[123:124], v[145:146], v[127:128], v[123:124]
	s_waitcnt vmcnt(19)
	v_fma_f64 v[131:132], v[131:132], v[129:130], v[123:124]
	ds_read_b128 v[123:126], v122 offset:704
	ds_read_b128 v[127:130], v122 offset:720
	s_waitcnt vmcnt(18) lgkmcnt(1)
	v_fma_f64 v[123:124], v[155:156], v[123:124], v[131:132]
	s_waitcnt vmcnt(17)
	v_fma_f64 v[123:124], v[153:154], v[125:126], v[123:124]
	buffer_load_dword v132, off, s[0:3], 0 offset:316
	buffer_load_dword v145, off, s[0:3], 0 offset:336
	;; [unrolled: 1-line block ×8, first 2 shown]
	s_waitcnt vmcnt(24) lgkmcnt(0)
	v_fma_f64 v[123:124], v[147:148], v[127:128], v[123:124]
	s_waitcnt vmcnt(19)
	v_fma_f64 v[133:134], v[133:134], v[129:130], v[123:124]
	ds_read_b128 v[123:126], v122 offset:736
	ds_read_b128 v[127:130], v122 offset:752
	s_waitcnt vmcnt(18) lgkmcnt(1)
	v_fma_f64 v[123:124], v[141:142], v[123:124], v[133:134]
	s_waitcnt vmcnt(17)
	v_fma_f64 v[123:124], v[139:140], v[125:126], v[123:124]
	buffer_load_dword v134, off, s[0:3], 0 offset:348
	buffer_load_dword v139, off, s[0:3], 0 offset:368
	;; [unrolled: 1-line block ×7, first 2 shown]
	s_waitcnt vmcnt(23) lgkmcnt(0)
	v_fma_f64 v[123:124], v[135:136], v[127:128], v[123:124]
	s_waitcnt vmcnt(18)
	v_fma_f64 v[135:136], v[137:138], v[129:130], v[123:124]
	ds_read_b128 v[123:126], v122 offset:768
	ds_read_b128 v[127:130], v122 offset:784
	buffer_load_dword v140, off, s[0:3], 0 offset:372
	s_waitcnt vmcnt(18) lgkmcnt(1)
	v_fma_f64 v[123:124], v[151:152], v[123:124], v[135:136]
	s_waitcnt vmcnt(17)
	v_fma_f64 v[123:124], v[149:150], v[125:126], v[123:124]
	buffer_load_dword v136, off, s[0:3], 0 offset:380
	buffer_load_dword v137, off, s[0:3], 0 offset:400
	buffer_load_dword v149, off, s[0:3], 0 offset:392
	buffer_load_dword v151, off, s[0:3], 0 offset:384
	buffer_load_dword v135, off, s[0:3], 0 offset:376
	buffer_load_dword v152, off, s[0:3], 0 offset:388
	buffer_load_dword v150, off, s[0:3], 0 offset:396
	buffer_load_dword v138, off, s[0:3], 0 offset:404
	s_waitcnt vmcnt(24) lgkmcnt(0)
	v_fma_f64 v[123:124], v[143:144], v[127:128], v[123:124]
	s_waitcnt vmcnt(19)
	v_fma_f64 v[131:132], v[131:132], v[129:130], v[123:124]
	ds_read_b128 v[123:126], v122 offset:800
	ds_read_b128 v[127:130], v122 offset:816
	s_waitcnt vmcnt(18) lgkmcnt(1)
	v_fma_f64 v[123:124], v[155:156], v[123:124], v[131:132]
	s_waitcnt vmcnt(17)
	v_fma_f64 v[123:124], v[153:154], v[125:126], v[123:124]
	buffer_load_dword v132, off, s[0:3], 0 offset:412
	buffer_load_dword v143, off, s[0:3], 0 offset:432
	buffer_load_dword v153, off, s[0:3], 0 offset:424
	buffer_load_dword v155, off, s[0:3], 0 offset:416
	buffer_load_dword v131, off, s[0:3], 0 offset:408
	buffer_load_dword v156, off, s[0:3], 0 offset:420
	buffer_load_dword v154, off, s[0:3], 0 offset:428
	buffer_load_dword v144, off, s[0:3], 0 offset:436
	s_waitcnt vmcnt(24) lgkmcnt(0)
	v_fma_f64 v[123:124], v[145:146], v[127:128], v[123:124]
	s_waitcnt vmcnt(19)
	v_fma_f64 v[133:134], v[133:134], v[129:130], v[123:124]
	ds_read_b128 v[123:126], v122 offset:832
	ds_read_b128 v[127:130], v122 offset:848
	;; [unrolled: 18-line block ×3, first 2 shown]
	s_waitcnt vmcnt(18) lgkmcnt(1)
	v_fma_f64 v[123:124], v[151:152], v[123:124], v[135:136]
	buffer_load_dword v136, off, s[0:3], 0 offset:476
	buffer_load_dword v135, off, s[0:3], 0 offset:472
	;; [unrolled: 1-line block ×4, first 2 shown]
	s_waitcnt vmcnt(21)
	v_fma_f64 v[123:124], v[149:150], v[125:126], v[123:124]
	s_waitcnt vmcnt(20) lgkmcnt(0)
	v_fma_f64 v[123:124], v[137:138], v[127:128], v[123:124]
	s_waitcnt vmcnt(15)
	v_fma_f64 v[131:132], v[131:132], v[129:130], v[123:124]
	ds_read_b128 v[123:126], v122 offset:896
	ds_read_b128 v[127:130], v122 offset:912
	s_waitcnt vmcnt(14) lgkmcnt(1)
	v_fma_f64 v[123:124], v[155:156], v[123:124], v[131:132]
	s_waitcnt vmcnt(13)
	v_fma_f64 v[123:124], v[153:154], v[125:126], v[123:124]
	s_waitcnt vmcnt(12) lgkmcnt(0)
	v_fma_f64 v[123:124], v[143:144], v[127:128], v[123:124]
	s_waitcnt vmcnt(7)
	v_fma_f64 v[131:132], v[133:134], v[129:130], v[123:124]
	ds_read_b128 v[123:126], v122 offset:928
	ds_read_b128 v[127:130], v122 offset:944
	s_waitcnt vmcnt(6) lgkmcnt(1)
	v_fma_f64 v[122:123], v[147:148], v[123:124], v[131:132]
	s_waitcnt vmcnt(5)
	v_fma_f64 v[122:123], v[145:146], v[125:126], v[122:123]
	s_waitcnt vmcnt(4) lgkmcnt(0)
	v_fma_f64 v[122:123], v[141:142], v[127:128], v[122:123]
	s_waitcnt vmcnt(2)
	v_fma_f64 v[122:123], v[135:136], v[129:130], v[122:123]
	s_waitcnt vmcnt(0)
	v_add_f64 v[122:123], v[139:140], -v[122:123]
	buffer_store_dword v123, off, s[0:3], 0 offset:28
	buffer_store_dword v122, off, s[0:3], 0 offset:24
	s_and_saveexec_b64 s[4:5], vcc
	s_cbranch_execz .LBB59_363
; %bb.362:
	buffer_load_dword v122, off, s[0:3], 0 offset:16
	buffer_load_dword v123, off, s[0:3], 0 offset:20
	v_mov_b32_e32 v124, 0
	buffer_store_dword v124, off, s[0:3], 0 offset:16
	buffer_store_dword v124, off, s[0:3], 0 offset:20
	s_waitcnt vmcnt(2)
	ds_write_b64 v121, v[122:123]
.LBB59_363:
	s_or_b64 exec, exec, s[4:5]
	s_waitcnt lgkmcnt(0)
	; wave barrier
	buffer_load_dword v131, off, s[0:3], 0 offset:24
	buffer_load_dword v132, off, s[0:3], 0 offset:28
	;; [unrolled: 1-line block ×21, first 2 shown]
	v_mov_b32_e32 v122, 0
	ds_read2_b64 v[123:126], v122 offset0:63 offset1:64
	ds_read2_b64 v[127:130], v122 offset0:65 offset1:66
	buffer_load_dword v148, off, s[0:3], 0 offset:108
	v_cmp_lt_u32_e32 vcc, 1, v0
	s_waitcnt vmcnt(20) lgkmcnt(1)
	v_fma_f64 v[123:124], v[131:132], v[123:124], 0
	s_waitcnt vmcnt(18)
	v_fma_f64 v[123:124], v[133:134], v[125:126], v[123:124]
	buffer_load_dword v132, off, s[0:3], 0 offset:116
	buffer_load_dword v133, off, s[0:3], 0 offset:136
	;; [unrolled: 1-line block ×7, first 2 shown]
	s_waitcnt vmcnt(23) lgkmcnt(0)
	v_fma_f64 v[123:124], v[135:136], v[127:128], v[123:124]
	s_waitcnt vmcnt(21)
	v_fma_f64 v[134:135], v[137:138], v[129:130], v[123:124]
	ds_read2_b64 v[123:126], v122 offset0:67 offset1:68
	ds_read2_b64 v[127:130], v122 offset0:69 offset1:70
	s_waitcnt vmcnt(19) lgkmcnt(1)
	v_fma_f64 v[123:124], v[139:140], v[123:124], v[134:135]
	buffer_load_dword v134, off, s[0:3], 0 offset:140
	s_waitcnt vmcnt(18)
	v_fma_f64 v[123:124], v[141:142], v[125:126], v[123:124]
	buffer_load_dword v136, off, s[0:3], 0 offset:148
	buffer_load_dword v137, off, s[0:3], 0 offset:168
	;; [unrolled: 1-line block ×7, first 2 shown]
	s_waitcnt vmcnt(23) lgkmcnt(0)
	v_fma_f64 v[123:124], v[143:144], v[127:128], v[123:124]
	s_waitcnt vmcnt(18)
	v_fma_f64 v[143:144], v[145:146], v[129:130], v[123:124]
	ds_read2_b64 v[123:126], v122 offset0:71 offset1:72
	ds_read2_b64 v[127:130], v122 offset0:73 offset1:74
	buffer_load_dword v138, off, s[0:3], 0 offset:172
	s_waitcnt vmcnt(18) lgkmcnt(1)
	v_fma_f64 v[123:124], v[151:152], v[123:124], v[143:144]
	s_waitcnt vmcnt(17)
	v_fma_f64 v[123:124], v[149:150], v[125:126], v[123:124]
	buffer_load_dword v144, off, s[0:3], 0 offset:180
	buffer_load_dword v145, off, s[0:3], 0 offset:200
	;; [unrolled: 1-line block ×7, first 2 shown]
	s_waitcnt vmcnt(23) lgkmcnt(0)
	v_fma_f64 v[123:124], v[147:148], v[127:128], v[123:124]
	s_waitcnt vmcnt(18)
	v_fma_f64 v[131:132], v[131:132], v[129:130], v[123:124]
	ds_read2_b64 v[123:126], v122 offset0:75 offset1:76
	ds_read2_b64 v[127:130], v122 offset0:77 offset1:78
	buffer_load_dword v146, off, s[0:3], 0 offset:204
	s_waitcnt vmcnt(18) lgkmcnt(1)
	v_fma_f64 v[123:124], v[155:156], v[123:124], v[131:132]
	s_waitcnt vmcnt(17)
	v_fma_f64 v[123:124], v[153:154], v[125:126], v[123:124]
	buffer_load_dword v132, off, s[0:3], 0 offset:212
	buffer_load_dword v147, off, s[0:3], 0 offset:232
	;; [unrolled: 1-line block ×8, first 2 shown]
	s_waitcnt vmcnt(24) lgkmcnt(0)
	v_fma_f64 v[123:124], v[133:134], v[127:128], v[123:124]
	s_waitcnt vmcnt(19)
	v_fma_f64 v[133:134], v[135:136], v[129:130], v[123:124]
	ds_read2_b64 v[123:126], v122 offset0:79 offset1:80
	ds_read2_b64 v[127:130], v122 offset0:81 offset1:82
	s_waitcnt vmcnt(18) lgkmcnt(1)
	v_fma_f64 v[123:124], v[141:142], v[123:124], v[133:134]
	s_waitcnt vmcnt(17)
	v_fma_f64 v[123:124], v[139:140], v[125:126], v[123:124]
	buffer_load_dword v134, off, s[0:3], 0 offset:244
	buffer_load_dword v135, off, s[0:3], 0 offset:264
	;; [unrolled: 1-line block ×7, first 2 shown]
	s_waitcnt vmcnt(23) lgkmcnt(0)
	v_fma_f64 v[123:124], v[137:138], v[127:128], v[123:124]
	s_waitcnt vmcnt(18)
	v_fma_f64 v[136:137], v[143:144], v[129:130], v[123:124]
	ds_read2_b64 v[123:126], v122 offset0:83 offset1:84
	ds_read2_b64 v[127:130], v122 offset0:85 offset1:86
	s_waitcnt vmcnt(17) lgkmcnt(1)
	v_fma_f64 v[123:124], v[151:152], v[123:124], v[136:137]
	buffer_load_dword v136, off, s[0:3], 0 offset:268
	s_waitcnt vmcnt(17)
	v_fma_f64 v[123:124], v[149:150], v[125:126], v[123:124]
	buffer_load_dword v138, off, s[0:3], 0 offset:276
	buffer_load_dword v143, off, s[0:3], 0 offset:296
	;; [unrolled: 1-line block ×7, first 2 shown]
	s_waitcnt vmcnt(23) lgkmcnt(0)
	v_fma_f64 v[123:124], v[145:146], v[127:128], v[123:124]
	s_waitcnt vmcnt(18)
	v_fma_f64 v[131:132], v[131:132], v[129:130], v[123:124]
	ds_read2_b64 v[123:126], v122 offset0:87 offset1:88
	ds_read2_b64 v[127:130], v122 offset0:89 offset1:90
	buffer_load_dword v144, off, s[0:3], 0 offset:300
	s_waitcnt vmcnt(18) lgkmcnt(1)
	v_fma_f64 v[123:124], v[155:156], v[123:124], v[131:132]
	s_waitcnt vmcnt(17)
	v_fma_f64 v[123:124], v[153:154], v[125:126], v[123:124]
	buffer_load_dword v132, off, s[0:3], 0 offset:308
	buffer_load_dword v145, off, s[0:3], 0 offset:328
	;; [unrolled: 1-line block ×8, first 2 shown]
	s_waitcnt vmcnt(24) lgkmcnt(0)
	v_fma_f64 v[123:124], v[147:148], v[127:128], v[123:124]
	s_waitcnt vmcnt(19)
	v_fma_f64 v[133:134], v[133:134], v[129:130], v[123:124]
	ds_read2_b64 v[123:126], v122 offset0:91 offset1:92
	ds_read2_b64 v[127:130], v122 offset0:93 offset1:94
	s_waitcnt vmcnt(18) lgkmcnt(1)
	v_fma_f64 v[123:124], v[141:142], v[123:124], v[133:134]
	s_waitcnt vmcnt(17)
	v_fma_f64 v[123:124], v[139:140], v[125:126], v[123:124]
	buffer_load_dword v134, off, s[0:3], 0 offset:340
	buffer_load_dword v139, off, s[0:3], 0 offset:360
	buffer_load_dword v141, off, s[0:3], 0 offset:352
	buffer_load_dword v147, off, s[0:3], 0 offset:344
	buffer_load_dword v133, off, s[0:3], 0 offset:336
	buffer_load_dword v148, off, s[0:3], 0 offset:348
	buffer_load_dword v142, off, s[0:3], 0 offset:356
	s_waitcnt vmcnt(23) lgkmcnt(0)
	v_fma_f64 v[123:124], v[135:136], v[127:128], v[123:124]
	s_waitcnt vmcnt(18)
	v_fma_f64 v[135:136], v[137:138], v[129:130], v[123:124]
	ds_read2_b64 v[123:126], v122 offset0:95 offset1:96
	ds_read2_b64 v[127:130], v122 offset0:97 offset1:98
	buffer_load_dword v140, off, s[0:3], 0 offset:364
	s_waitcnt vmcnt(18) lgkmcnt(1)
	v_fma_f64 v[123:124], v[151:152], v[123:124], v[135:136]
	s_waitcnt vmcnt(17)
	v_fma_f64 v[123:124], v[149:150], v[125:126], v[123:124]
	buffer_load_dword v136, off, s[0:3], 0 offset:372
	buffer_load_dword v137, off, s[0:3], 0 offset:392
	;; [unrolled: 1-line block ×7, first 2 shown]
	s_waitcnt vmcnt(23) lgkmcnt(0)
	v_fma_f64 v[123:124], v[143:144], v[127:128], v[123:124]
	s_waitcnt vmcnt(18)
	v_fma_f64 v[131:132], v[131:132], v[129:130], v[123:124]
	ds_read2_b64 v[123:126], v122 offset0:99 offset1:100
	ds_read2_b64 v[127:130], v122 offset0:101 offset1:102
	buffer_load_dword v138, off, s[0:3], 0 offset:396
	s_waitcnt vmcnt(18) lgkmcnt(1)
	v_fma_f64 v[123:124], v[155:156], v[123:124], v[131:132]
	s_waitcnt vmcnt(17)
	v_fma_f64 v[123:124], v[153:154], v[125:126], v[123:124]
	buffer_load_dword v132, off, s[0:3], 0 offset:404
	buffer_load_dword v143, off, s[0:3], 0 offset:424
	;; [unrolled: 1-line block ×8, first 2 shown]
	s_waitcnt vmcnt(24) lgkmcnt(0)
	v_fma_f64 v[123:124], v[145:146], v[127:128], v[123:124]
	s_waitcnt vmcnt(19)
	v_fma_f64 v[133:134], v[133:134], v[129:130], v[123:124]
	ds_read2_b64 v[123:126], v122 offset0:103 offset1:104
	ds_read2_b64 v[127:130], v122 offset0:105 offset1:106
	s_waitcnt vmcnt(18) lgkmcnt(1)
	v_fma_f64 v[123:124], v[147:148], v[123:124], v[133:134]
	s_waitcnt vmcnt(17)
	v_fma_f64 v[123:124], v[141:142], v[125:126], v[123:124]
	buffer_load_dword v134, off, s[0:3], 0 offset:436
	buffer_load_dword v141, off, s[0:3], 0 offset:456
	;; [unrolled: 1-line block ×7, first 2 shown]
	s_waitcnt vmcnt(23) lgkmcnt(0)
	v_fma_f64 v[123:124], v[139:140], v[127:128], v[123:124]
	s_waitcnt vmcnt(18)
	v_fma_f64 v[135:136], v[135:136], v[129:130], v[123:124]
	ds_read2_b64 v[123:126], v122 offset0:107 offset1:108
	ds_read2_b64 v[127:130], v122 offset0:109 offset1:110
	buffer_load_dword v142, off, s[0:3], 0 offset:460
	s_waitcnt vmcnt(18) lgkmcnt(1)
	v_fma_f64 v[123:124], v[151:152], v[123:124], v[135:136]
	buffer_load_dword v136, off, s[0:3], 0 offset:468
	buffer_load_dword v139, off, s[0:3], 0 offset:472
	;; [unrolled: 1-line block ×4, first 2 shown]
	s_waitcnt vmcnt(21)
	v_fma_f64 v[123:124], v[149:150], v[125:126], v[123:124]
	s_waitcnt vmcnt(20) lgkmcnt(0)
	v_fma_f64 v[123:124], v[137:138], v[127:128], v[123:124]
	buffer_load_dword v137, off, s[0:3], 0 offset:16
	buffer_load_dword v138, off, s[0:3], 0 offset:20
	s_waitcnt vmcnt(17)
	v_fma_f64 v[131:132], v[131:132], v[129:130], v[123:124]
	ds_read2_b64 v[123:126], v122 offset0:111 offset1:112
	ds_read2_b64 v[127:130], v122 offset0:113 offset1:114
	s_waitcnt vmcnt(16) lgkmcnt(1)
	v_fma_f64 v[123:124], v[155:156], v[123:124], v[131:132]
	s_waitcnt vmcnt(15)
	v_fma_f64 v[123:124], v[153:154], v[125:126], v[123:124]
	s_waitcnt vmcnt(14) lgkmcnt(0)
	v_fma_f64 v[123:124], v[143:144], v[127:128], v[123:124]
	s_waitcnt vmcnt(9)
	v_fma_f64 v[131:132], v[133:134], v[129:130], v[123:124]
	ds_read2_b64 v[123:126], v122 offset0:115 offset1:116
	ds_read2_b64 v[127:130], v122 offset0:117 offset1:118
	s_waitcnt vmcnt(8) lgkmcnt(1)
	v_fma_f64 v[123:124], v[147:148], v[123:124], v[131:132]
	s_waitcnt vmcnt(7)
	v_fma_f64 v[123:124], v[145:146], v[125:126], v[123:124]
	ds_read_b64 v[125:126], v122 offset:952
	s_waitcnt vmcnt(6) lgkmcnt(1)
	v_fma_f64 v[123:124], v[141:142], v[127:128], v[123:124]
	s_waitcnt vmcnt(3)
	v_fma_f64 v[123:124], v[135:136], v[129:130], v[123:124]
	s_waitcnt vmcnt(2) lgkmcnt(0)
	v_fma_f64 v[123:124], v[139:140], v[125:126], v[123:124]
	s_waitcnt vmcnt(0)
	v_add_f64 v[123:124], v[137:138], -v[123:124]
	buffer_store_dword v124, off, s[0:3], 0 offset:20
	buffer_store_dword v123, off, s[0:3], 0 offset:16
	s_and_saveexec_b64 s[4:5], vcc
	s_cbranch_execz .LBB59_365
; %bb.364:
	buffer_load_dword v123, off, s[0:3], 0 offset:8
	buffer_load_dword v124, off, s[0:3], 0 offset:12
	s_waitcnt vmcnt(0)
	ds_write_b64 v121, v[123:124]
	buffer_store_dword v122, off, s[0:3], 0 offset:8
	buffer_store_dword v122, off, s[0:3], 0 offset:12
.LBB59_365:
	s_or_b64 exec, exec, s[4:5]
	s_waitcnt lgkmcnt(0)
	; wave barrier
	buffer_load_dword v131, off, s[0:3], 0 offset:16
	buffer_load_dword v132, off, s[0:3], 0 offset:20
	;; [unrolled: 1-line block ×21, first 2 shown]
	ds_read_b128 v[123:126], v122 offset:496
	ds_read_b128 v[127:130], v122 offset:512
	buffer_load_dword v148, off, s[0:3], 0 offset:100
	v_cmp_ne_u32_e32 vcc, 0, v0
	s_waitcnt vmcnt(20) lgkmcnt(1)
	v_fma_f64 v[123:124], v[131:132], v[123:124], 0
	s_waitcnt vmcnt(18)
	v_fma_f64 v[123:124], v[133:134], v[125:126], v[123:124]
	buffer_load_dword v132, off, s[0:3], 0 offset:108
	buffer_load_dword v133, off, s[0:3], 0 offset:128
	;; [unrolled: 1-line block ×7, first 2 shown]
	s_waitcnt vmcnt(23) lgkmcnt(0)
	v_fma_f64 v[123:124], v[135:136], v[127:128], v[123:124]
	s_waitcnt vmcnt(21)
	v_fma_f64 v[134:135], v[137:138], v[129:130], v[123:124]
	ds_read_b128 v[123:126], v122 offset:528
	ds_read_b128 v[127:130], v122 offset:544
	s_waitcnt vmcnt(19) lgkmcnt(1)
	v_fma_f64 v[123:124], v[139:140], v[123:124], v[134:135]
	buffer_load_dword v134, off, s[0:3], 0 offset:132
	s_waitcnt vmcnt(18)
	v_fma_f64 v[123:124], v[141:142], v[125:126], v[123:124]
	buffer_load_dword v136, off, s[0:3], 0 offset:140
	buffer_load_dword v137, off, s[0:3], 0 offset:160
	buffer_load_dword v139, off, s[0:3], 0 offset:152
	buffer_load_dword v141, off, s[0:3], 0 offset:144
	buffer_load_dword v135, off, s[0:3], 0 offset:136
	buffer_load_dword v142, off, s[0:3], 0 offset:148
	buffer_load_dword v140, off, s[0:3], 0 offset:156
	buffer_load_dword v138, off, s[0:3], 0 offset:164
	s_waitcnt vmcnt(24) lgkmcnt(0)
	v_fma_f64 v[123:124], v[143:144], v[127:128], v[123:124]
	s_waitcnt vmcnt(19)
	v_fma_f64 v[143:144], v[145:146], v[129:130], v[123:124]
	ds_read_b128 v[123:126], v122 offset:560
	ds_read_b128 v[127:130], v122 offset:576
	s_waitcnt vmcnt(18) lgkmcnt(1)
	v_fma_f64 v[123:124], v[151:152], v[123:124], v[143:144]
	s_waitcnt vmcnt(17)
	v_fma_f64 v[123:124], v[149:150], v[125:126], v[123:124]
	buffer_load_dword v144, off, s[0:3], 0 offset:172
	buffer_load_dword v145, off, s[0:3], 0 offset:192
	;; [unrolled: 1-line block ×7, first 2 shown]
	s_waitcnt vmcnt(23) lgkmcnt(0)
	v_fma_f64 v[123:124], v[147:148], v[127:128], v[123:124]
	s_waitcnt vmcnt(18)
	v_fma_f64 v[131:132], v[131:132], v[129:130], v[123:124]
	ds_read_b128 v[123:126], v122 offset:592
	ds_read_b128 v[127:130], v122 offset:608
	buffer_load_dword v146, off, s[0:3], 0 offset:196
	s_waitcnt vmcnt(18) lgkmcnt(1)
	v_fma_f64 v[123:124], v[155:156], v[123:124], v[131:132]
	s_waitcnt vmcnt(17)
	v_fma_f64 v[123:124], v[153:154], v[125:126], v[123:124]
	buffer_load_dword v132, off, s[0:3], 0 offset:204
	buffer_load_dword v147, off, s[0:3], 0 offset:224
	;; [unrolled: 1-line block ×8, first 2 shown]
	s_waitcnt vmcnt(24) lgkmcnt(0)
	v_fma_f64 v[123:124], v[133:134], v[127:128], v[123:124]
	s_waitcnt vmcnt(19)
	v_fma_f64 v[133:134], v[135:136], v[129:130], v[123:124]
	ds_read_b128 v[123:126], v122 offset:624
	ds_read_b128 v[127:130], v122 offset:640
	s_waitcnt vmcnt(18) lgkmcnt(1)
	v_fma_f64 v[123:124], v[141:142], v[123:124], v[133:134]
	s_waitcnt vmcnt(17)
	v_fma_f64 v[123:124], v[139:140], v[125:126], v[123:124]
	buffer_load_dword v134, off, s[0:3], 0 offset:236
	buffer_load_dword v135, off, s[0:3], 0 offset:256
	;; [unrolled: 1-line block ×7, first 2 shown]
	s_waitcnt vmcnt(23) lgkmcnt(0)
	v_fma_f64 v[123:124], v[137:138], v[127:128], v[123:124]
	s_waitcnt vmcnt(18)
	v_fma_f64 v[136:137], v[143:144], v[129:130], v[123:124]
	ds_read_b128 v[123:126], v122 offset:656
	ds_read_b128 v[127:130], v122 offset:672
	s_waitcnt vmcnt(17) lgkmcnt(1)
	v_fma_f64 v[123:124], v[151:152], v[123:124], v[136:137]
	buffer_load_dword v136, off, s[0:3], 0 offset:260
	s_waitcnt vmcnt(17)
	v_fma_f64 v[123:124], v[149:150], v[125:126], v[123:124]
	buffer_load_dword v138, off, s[0:3], 0 offset:268
	buffer_load_dword v143, off, s[0:3], 0 offset:288
	;; [unrolled: 1-line block ×7, first 2 shown]
	s_waitcnt vmcnt(23) lgkmcnt(0)
	v_fma_f64 v[123:124], v[145:146], v[127:128], v[123:124]
	s_waitcnt vmcnt(18)
	v_fma_f64 v[131:132], v[131:132], v[129:130], v[123:124]
	ds_read_b128 v[123:126], v122 offset:688
	ds_read_b128 v[127:130], v122 offset:704
	buffer_load_dword v144, off, s[0:3], 0 offset:292
	s_waitcnt vmcnt(18) lgkmcnt(1)
	v_fma_f64 v[123:124], v[155:156], v[123:124], v[131:132]
	s_waitcnt vmcnt(17)
	v_fma_f64 v[123:124], v[153:154], v[125:126], v[123:124]
	buffer_load_dword v132, off, s[0:3], 0 offset:300
	buffer_load_dword v145, off, s[0:3], 0 offset:320
	;; [unrolled: 1-line block ×8, first 2 shown]
	s_waitcnt vmcnt(24) lgkmcnt(0)
	v_fma_f64 v[123:124], v[147:148], v[127:128], v[123:124]
	s_waitcnt vmcnt(19)
	v_fma_f64 v[133:134], v[133:134], v[129:130], v[123:124]
	ds_read_b128 v[123:126], v122 offset:720
	ds_read_b128 v[127:130], v122 offset:736
	s_waitcnt vmcnt(18) lgkmcnt(1)
	v_fma_f64 v[123:124], v[141:142], v[123:124], v[133:134]
	s_waitcnt vmcnt(17)
	v_fma_f64 v[123:124], v[139:140], v[125:126], v[123:124]
	buffer_load_dword v134, off, s[0:3], 0 offset:332
	buffer_load_dword v139, off, s[0:3], 0 offset:352
	;; [unrolled: 1-line block ×8, first 2 shown]
	s_waitcnt vmcnt(24) lgkmcnt(0)
	v_fma_f64 v[123:124], v[135:136], v[127:128], v[123:124]
	s_waitcnt vmcnt(19)
	v_fma_f64 v[135:136], v[137:138], v[129:130], v[123:124]
	ds_read_b128 v[123:126], v122 offset:752
	ds_read_b128 v[127:130], v122 offset:768
	s_waitcnt vmcnt(18) lgkmcnt(1)
	v_fma_f64 v[123:124], v[151:152], v[123:124], v[135:136]
	s_waitcnt vmcnt(17)
	v_fma_f64 v[123:124], v[149:150], v[125:126], v[123:124]
	buffer_load_dword v136, off, s[0:3], 0 offset:364
	buffer_load_dword v137, off, s[0:3], 0 offset:384
	;; [unrolled: 1-line block ×7, first 2 shown]
	s_waitcnt vmcnt(23) lgkmcnt(0)
	v_fma_f64 v[123:124], v[143:144], v[127:128], v[123:124]
	s_waitcnt vmcnt(18)
	v_fma_f64 v[131:132], v[131:132], v[129:130], v[123:124]
	ds_read_b128 v[123:126], v122 offset:784
	ds_read_b128 v[127:130], v122 offset:800
	buffer_load_dword v138, off, s[0:3], 0 offset:388
	s_waitcnt vmcnt(18) lgkmcnt(1)
	v_fma_f64 v[123:124], v[155:156], v[123:124], v[131:132]
	s_waitcnt vmcnt(17)
	v_fma_f64 v[123:124], v[153:154], v[125:126], v[123:124]
	buffer_load_dword v132, off, s[0:3], 0 offset:396
	buffer_load_dword v143, off, s[0:3], 0 offset:416
	;; [unrolled: 1-line block ×8, first 2 shown]
	s_waitcnt vmcnt(24) lgkmcnt(0)
	v_fma_f64 v[123:124], v[145:146], v[127:128], v[123:124]
	s_waitcnt vmcnt(19)
	v_fma_f64 v[133:134], v[133:134], v[129:130], v[123:124]
	ds_read_b128 v[123:126], v122 offset:816
	ds_read_b128 v[127:130], v122 offset:832
	s_waitcnt vmcnt(18) lgkmcnt(1)
	v_fma_f64 v[123:124], v[147:148], v[123:124], v[133:134]
	s_waitcnt vmcnt(17)
	v_fma_f64 v[123:124], v[141:142], v[125:126], v[123:124]
	buffer_load_dword v134, off, s[0:3], 0 offset:428
	buffer_load_dword v141, off, s[0:3], 0 offset:448
	;; [unrolled: 1-line block ×8, first 2 shown]
	s_waitcnt vmcnt(24) lgkmcnt(0)
	v_fma_f64 v[123:124], v[139:140], v[127:128], v[123:124]
	s_waitcnt vmcnt(19)
	v_fma_f64 v[135:136], v[135:136], v[129:130], v[123:124]
	ds_read_b128 v[123:126], v122 offset:848
	ds_read_b128 v[127:130], v122 offset:864
	s_waitcnt vmcnt(18) lgkmcnt(1)
	v_fma_f64 v[123:124], v[151:152], v[123:124], v[135:136]
	s_waitcnt vmcnt(17)
	v_fma_f64 v[123:124], v[149:150], v[125:126], v[123:124]
	buffer_load_dword v136, off, s[0:3], 0 offset:460
	buffer_load_dword v139, off, s[0:3], 0 offset:472
	;; [unrolled: 1-line block ×6, first 2 shown]
	s_waitcnt vmcnt(22) lgkmcnt(0)
	v_fma_f64 v[123:124], v[137:138], v[127:128], v[123:124]
	s_waitcnt vmcnt(17)
	v_fma_f64 v[131:132], v[131:132], v[129:130], v[123:124]
	ds_read_b128 v[123:126], v122 offset:880
	buffer_load_dword v137, off, s[0:3], 0 offset:8
	buffer_load_dword v138, off, s[0:3], 0 offset:12
	ds_read_b128 v[127:130], v122 offset:896
	s_waitcnt vmcnt(18) lgkmcnt(1)
	v_fma_f64 v[123:124], v[155:156], v[123:124], v[131:132]
	s_waitcnt vmcnt(17)
	v_fma_f64 v[123:124], v[153:154], v[125:126], v[123:124]
	s_waitcnt vmcnt(16) lgkmcnt(0)
	v_fma_f64 v[123:124], v[143:144], v[127:128], v[123:124]
	s_waitcnt vmcnt(11)
	v_fma_f64 v[131:132], v[133:134], v[129:130], v[123:124]
	ds_read_b128 v[123:126], v122 offset:912
	ds_read_b128 v[127:130], v122 offset:928
	s_waitcnt vmcnt(10) lgkmcnt(1)
	v_fma_f64 v[123:124], v[147:148], v[123:124], v[131:132]
	s_waitcnt vmcnt(9)
	v_fma_f64 v[123:124], v[145:146], v[125:126], v[123:124]
	s_waitcnt vmcnt(8) lgkmcnt(0)
	v_fma_f64 v[123:124], v[141:142], v[127:128], v[123:124]
	s_waitcnt vmcnt(4)
	v_fma_f64 v[126:127], v[135:136], v[129:130], v[123:124]
	ds_read_b128 v[122:125], v122 offset:944
	s_waitcnt vmcnt(3) lgkmcnt(0)
	v_fma_f64 v[122:123], v[149:150], v[122:123], v[126:127]
	s_waitcnt vmcnt(2)
	v_fma_f64 v[122:123], v[139:140], v[124:125], v[122:123]
	s_waitcnt vmcnt(0)
	v_add_f64 v[122:123], v[137:138], -v[122:123]
	buffer_store_dword v123, off, s[0:3], 0 offset:12
	buffer_store_dword v122, off, s[0:3], 0 offset:8
	s_and_saveexec_b64 s[4:5], vcc
	s_cbranch_execz .LBB59_367
; %bb.366:
	buffer_load_dword v122, off, s[0:3], 0
	buffer_load_dword v123, off, s[0:3], 0 offset:4
	v_mov_b32_e32 v0, 0
	buffer_store_dword v0, off, s[0:3], 0
	buffer_store_dword v0, off, s[0:3], 0 offset:4
	s_waitcnt vmcnt(2)
	ds_write_b64 v121, v[122:123]
.LBB59_367:
	s_or_b64 exec, exec, s[4:5]
	s_waitcnt lgkmcnt(0)
	; wave barrier
	buffer_load_dword v129, off, s[0:3], 0 offset:8
	buffer_load_dword v130, off, s[0:3], 0 offset:12
	;; [unrolled: 1-line block ×21, first 2 shown]
	v_mov_b32_e32 v0, 0
	ds_read2_b64 v[121:124], v0 offset0:61 offset1:62
	ds_read2_b64 v[125:128], v0 offset0:63 offset1:64
	buffer_load_dword v146, off, s[0:3], 0 offset:92
	s_and_b64 vcc, exec, s[22:23]
	s_waitcnt vmcnt(20) lgkmcnt(1)
	v_fma_f64 v[121:122], v[129:130], v[121:122], 0
	s_waitcnt vmcnt(18)
	v_fma_f64 v[121:122], v[131:132], v[123:124], v[121:122]
	buffer_load_dword v130, off, s[0:3], 0 offset:100
	buffer_load_dword v131, off, s[0:3], 0 offset:120
	;; [unrolled: 1-line block ×7, first 2 shown]
	s_waitcnt vmcnt(23) lgkmcnt(0)
	v_fma_f64 v[121:122], v[133:134], v[125:126], v[121:122]
	s_waitcnt vmcnt(21)
	v_fma_f64 v[132:133], v[135:136], v[127:128], v[121:122]
	ds_read2_b64 v[121:124], v0 offset0:65 offset1:66
	ds_read2_b64 v[125:128], v0 offset0:67 offset1:68
	s_waitcnt vmcnt(19) lgkmcnt(1)
	v_fma_f64 v[121:122], v[137:138], v[121:122], v[132:133]
	buffer_load_dword v132, off, s[0:3], 0 offset:124
	s_waitcnt vmcnt(18)
	v_fma_f64 v[121:122], v[139:140], v[123:124], v[121:122]
	buffer_load_dword v134, off, s[0:3], 0 offset:132
	buffer_load_dword v135, off, s[0:3], 0 offset:152
	;; [unrolled: 1-line block ×8, first 2 shown]
	s_waitcnt vmcnt(24) lgkmcnt(0)
	v_fma_f64 v[121:122], v[141:142], v[125:126], v[121:122]
	s_waitcnt vmcnt(19)
	v_fma_f64 v[141:142], v[143:144], v[127:128], v[121:122]
	ds_read2_b64 v[121:124], v0 offset0:69 offset1:70
	ds_read2_b64 v[125:128], v0 offset0:71 offset1:72
	s_waitcnt vmcnt(18) lgkmcnt(1)
	v_fma_f64 v[121:122], v[149:150], v[121:122], v[141:142]
	s_waitcnt vmcnt(17)
	v_fma_f64 v[121:122], v[147:148], v[123:124], v[121:122]
	buffer_load_dword v142, off, s[0:3], 0 offset:164
	buffer_load_dword v143, off, s[0:3], 0 offset:184
	;; [unrolled: 1-line block ×7, first 2 shown]
	s_waitcnt vmcnt(23) lgkmcnt(0)
	v_fma_f64 v[121:122], v[145:146], v[125:126], v[121:122]
	s_waitcnt vmcnt(18)
	v_fma_f64 v[129:130], v[129:130], v[127:128], v[121:122]
	ds_read2_b64 v[121:124], v0 offset0:73 offset1:74
	ds_read2_b64 v[125:128], v0 offset0:75 offset1:76
	buffer_load_dword v144, off, s[0:3], 0 offset:188
	s_waitcnt vmcnt(18) lgkmcnt(1)
	v_fma_f64 v[121:122], v[153:154], v[121:122], v[129:130]
	s_waitcnt vmcnt(17)
	v_fma_f64 v[121:122], v[151:152], v[123:124], v[121:122]
	buffer_load_dword v130, off, s[0:3], 0 offset:196
	buffer_load_dword v145, off, s[0:3], 0 offset:216
	;; [unrolled: 1-line block ×8, first 2 shown]
	s_waitcnt vmcnt(24) lgkmcnt(0)
	v_fma_f64 v[121:122], v[131:132], v[125:126], v[121:122]
	s_waitcnt vmcnt(19)
	v_fma_f64 v[131:132], v[133:134], v[127:128], v[121:122]
	ds_read2_b64 v[121:124], v0 offset0:77 offset1:78
	ds_read2_b64 v[125:128], v0 offset0:79 offset1:80
	s_waitcnt vmcnt(18) lgkmcnt(1)
	v_fma_f64 v[121:122], v[139:140], v[121:122], v[131:132]
	s_waitcnt vmcnt(17)
	v_fma_f64 v[121:122], v[137:138], v[123:124], v[121:122]
	buffer_load_dword v132, off, s[0:3], 0 offset:228
	buffer_load_dword v133, off, s[0:3], 0 offset:248
	;; [unrolled: 1-line block ×7, first 2 shown]
	s_waitcnt vmcnt(23) lgkmcnt(0)
	v_fma_f64 v[121:122], v[135:136], v[125:126], v[121:122]
	s_waitcnt vmcnt(18)
	v_fma_f64 v[134:135], v[141:142], v[127:128], v[121:122]
	ds_read2_b64 v[121:124], v0 offset0:81 offset1:82
	ds_read2_b64 v[125:128], v0 offset0:83 offset1:84
	s_waitcnt vmcnt(17) lgkmcnt(1)
	v_fma_f64 v[121:122], v[149:150], v[121:122], v[134:135]
	buffer_load_dword v134, off, s[0:3], 0 offset:252
	s_waitcnt vmcnt(17)
	v_fma_f64 v[121:122], v[147:148], v[123:124], v[121:122]
	buffer_load_dword v136, off, s[0:3], 0 offset:260
	buffer_load_dword v141, off, s[0:3], 0 offset:280
	;; [unrolled: 1-line block ×7, first 2 shown]
	s_waitcnt vmcnt(23) lgkmcnt(0)
	v_fma_f64 v[121:122], v[143:144], v[125:126], v[121:122]
	s_waitcnt vmcnt(18)
	v_fma_f64 v[129:130], v[129:130], v[127:128], v[121:122]
	ds_read2_b64 v[121:124], v0 offset0:85 offset1:86
	ds_read2_b64 v[125:128], v0 offset0:87 offset1:88
	buffer_load_dword v142, off, s[0:3], 0 offset:284
	s_waitcnt vmcnt(18) lgkmcnt(1)
	v_fma_f64 v[121:122], v[153:154], v[121:122], v[129:130]
	s_waitcnt vmcnt(17)
	v_fma_f64 v[121:122], v[151:152], v[123:124], v[121:122]
	buffer_load_dword v130, off, s[0:3], 0 offset:292
	buffer_load_dword v143, off, s[0:3], 0 offset:312
	;; [unrolled: 1-line block ×8, first 2 shown]
	s_waitcnt vmcnt(24) lgkmcnt(0)
	v_fma_f64 v[121:122], v[145:146], v[125:126], v[121:122]
	s_waitcnt vmcnt(19)
	v_fma_f64 v[131:132], v[131:132], v[127:128], v[121:122]
	ds_read2_b64 v[121:124], v0 offset0:89 offset1:90
	ds_read2_b64 v[125:128], v0 offset0:91 offset1:92
	s_waitcnt vmcnt(18) lgkmcnt(1)
	v_fma_f64 v[121:122], v[139:140], v[121:122], v[131:132]
	s_waitcnt vmcnt(17)
	v_fma_f64 v[121:122], v[137:138], v[123:124], v[121:122]
	buffer_load_dword v132, off, s[0:3], 0 offset:324
	buffer_load_dword v137, off, s[0:3], 0 offset:344
	buffer_load_dword v139, off, s[0:3], 0 offset:336
	buffer_load_dword v145, off, s[0:3], 0 offset:328
	buffer_load_dword v131, off, s[0:3], 0 offset:320
	buffer_load_dword v146, off, s[0:3], 0 offset:332
	buffer_load_dword v140, off, s[0:3], 0 offset:340
	buffer_load_dword v138, off, s[0:3], 0 offset:348
	s_waitcnt vmcnt(24) lgkmcnt(0)
	v_fma_f64 v[121:122], v[133:134], v[125:126], v[121:122]
	s_waitcnt vmcnt(19)
	v_fma_f64 v[133:134], v[135:136], v[127:128], v[121:122]
	ds_read2_b64 v[121:124], v0 offset0:93 offset1:94
	ds_read2_b64 v[125:128], v0 offset0:95 offset1:96
	s_waitcnt vmcnt(18) lgkmcnt(1)
	v_fma_f64 v[121:122], v[149:150], v[121:122], v[133:134]
	s_waitcnt vmcnt(17)
	v_fma_f64 v[121:122], v[147:148], v[123:124], v[121:122]
	buffer_load_dword v134, off, s[0:3], 0 offset:356
	buffer_load_dword v135, off, s[0:3], 0 offset:376
	buffer_load_dword v147, off, s[0:3], 0 offset:368
	buffer_load_dword v149, off, s[0:3], 0 offset:360
	buffer_load_dword v133, off, s[0:3], 0 offset:352
	buffer_load_dword v150, off, s[0:3], 0 offset:364
	buffer_load_dword v148, off, s[0:3], 0 offset:372
	s_waitcnt vmcnt(23) lgkmcnt(0)
	v_fma_f64 v[121:122], v[141:142], v[125:126], v[121:122]
	s_waitcnt vmcnt(18)
	v_fma_f64 v[129:130], v[129:130], v[127:128], v[121:122]
	ds_read2_b64 v[121:124], v0 offset0:97 offset1:98
	ds_read2_b64 v[125:128], v0 offset0:99 offset1:100
	buffer_load_dword v136, off, s[0:3], 0 offset:380
	s_waitcnt vmcnt(18) lgkmcnt(1)
	v_fma_f64 v[121:122], v[153:154], v[121:122], v[129:130]
	s_waitcnt vmcnt(17)
	v_fma_f64 v[121:122], v[151:152], v[123:124], v[121:122]
	buffer_load_dword v130, off, s[0:3], 0 offset:388
	buffer_load_dword v141, off, s[0:3], 0 offset:408
	buffer_load_dword v151, off, s[0:3], 0 offset:400
	buffer_load_dword v153, off, s[0:3], 0 offset:392
	buffer_load_dword v129, off, s[0:3], 0 offset:384
	buffer_load_dword v154, off, s[0:3], 0 offset:396
	buffer_load_dword v152, off, s[0:3], 0 offset:404
	buffer_load_dword v142, off, s[0:3], 0 offset:412
	s_waitcnt vmcnt(24) lgkmcnt(0)
	v_fma_f64 v[121:122], v[143:144], v[125:126], v[121:122]
	s_waitcnt vmcnt(19)
	v_fma_f64 v[131:132], v[131:132], v[127:128], v[121:122]
	ds_read2_b64 v[121:124], v0 offset0:101 offset1:102
	ds_read2_b64 v[125:128], v0 offset0:103 offset1:104
	s_waitcnt vmcnt(18) lgkmcnt(1)
	v_fma_f64 v[121:122], v[145:146], v[121:122], v[131:132]
	s_waitcnt vmcnt(17)
	v_fma_f64 v[121:122], v[139:140], v[123:124], v[121:122]
	buffer_load_dword v140, off, s[0:3], 0 offset:420
	buffer_load_dword v143, off, s[0:3], 0 offset:440
	buffer_load_dword v145, off, s[0:3], 0 offset:432
	buffer_load_dword v155, off, s[0:3], 0 offset:424
	buffer_load_dword v139, off, s[0:3], 0 offset:416
	buffer_load_dword v156, off, s[0:3], 0 offset:428
	buffer_load_dword v146, off, s[0:3], 0 offset:436
	buffer_load_dword v144, off, s[0:3], 0 offset:444
	s_waitcnt vmcnt(24) lgkmcnt(0)
	v_fma_f64 v[121:122], v[137:138], v[125:126], v[121:122]
	s_waitcnt vmcnt(19)
	v_fma_f64 v[131:132], v[133:134], v[127:128], v[121:122]
	ds_read2_b64 v[121:124], v0 offset0:105 offset1:106
	ds_read2_b64 v[125:128], v0 offset0:107 offset1:108
	;; [unrolled: 18-line block ×3, first 2 shown]
	buffer_load_dword v135, off, s[0:3], 0
	buffer_load_dword v136, off, s[0:3], 0 offset:4
	s_waitcnt vmcnt(20) lgkmcnt(1)
	v_fma_f64 v[121:122], v[153:154], v[125:126], v[121:122]
	s_waitcnt vmcnt(19)
	v_fma_f64 v[121:122], v[151:152], v[127:128], v[121:122]
	s_waitcnt vmcnt(18) lgkmcnt(0)
	v_fma_f64 v[121:122], v[141:142], v[129:130], v[121:122]
	s_waitcnt vmcnt(13)
	v_fma_f64 v[121:122], v[139:140], v[131:132], v[121:122]
	ds_read2_b64 v[125:128], v0 offset0:113 offset1:114
	ds_read2_b64 v[129:132], v0 offset0:115 offset1:116
	s_waitcnt vmcnt(12) lgkmcnt(1)
	v_fma_f64 v[121:122], v[155:156], v[125:126], v[121:122]
	s_waitcnt vmcnt(11)
	v_fma_f64 v[121:122], v[145:146], v[127:128], v[121:122]
	s_waitcnt vmcnt(10) lgkmcnt(0)
	v_fma_f64 v[121:122], v[143:144], v[129:130], v[121:122]
	ds_read2_b64 v[125:128], v0 offset0:117 offset1:118
	ds_read_b64 v[129:130], v0 offset:952
	s_waitcnt vmcnt(5)
	v_fma_f64 v[121:122], v[133:134], v[131:132], v[121:122]
	s_waitcnt vmcnt(4) lgkmcnt(1)
	v_fma_f64 v[121:122], v[147:148], v[125:126], v[121:122]
	s_waitcnt vmcnt(3)
	v_fma_f64 v[121:122], v[123:124], v[127:128], v[121:122]
	s_waitcnt vmcnt(2) lgkmcnt(0)
	v_fma_f64 v[121:122], v[137:138], v[129:130], v[121:122]
	s_waitcnt vmcnt(0)
	v_add_f64 v[121:122], v[135:136], -v[121:122]
	buffer_store_dword v122, off, s[0:3], 0 offset:4
	buffer_store_dword v121, off, s[0:3], 0
	s_cbranch_vccz .LBB59_486
; %bb.368:
	global_load_dword v0, v0, s[20:21] offset:232
	s_waitcnt vmcnt(0)
	v_add_u32_e32 v0, -1, v0
	v_cmp_ne_u32_e32 vcc, 58, v0
	s_cbranch_vccz .LBB59_370
; %bb.369:
	v_lshlrev_b32_e32 v0, 3, v0
	buffer_load_dword v121, v0, s[0:3], 0 offen offset:4
	buffer_load_dword v122, v0, s[0:3], 0 offen
	s_waitcnt vmcnt(1)
	buffer_store_dword v121, off, s[0:3], 0 offset:468
	s_waitcnt vmcnt(1)
	buffer_store_dword v122, off, s[0:3], 0 offset:464
	buffer_store_dword v124, v0, s[0:3], 0 offen offset:4
	buffer_store_dword v123, v0, s[0:3], 0 offen
.LBB59_370:
	v_mov_b32_e32 v0, 0
	global_load_dword v121, v0, s[20:21] offset:228
	s_waitcnt vmcnt(0)
	v_add_u32_e32 v121, -1, v121
	v_cmp_eq_u32_e32 vcc, 57, v121
	s_cbranch_vccnz .LBB59_372
; %bb.371:
	v_lshlrev_b32_e32 v121, 3, v121
	buffer_load_dword v122, v121, s[0:3], 0 offen
	buffer_load_dword v123, v121, s[0:3], 0 offen offset:4
	buffer_load_dword v124, off, s[0:3], 0 offset:456
	buffer_load_dword v125, off, s[0:3], 0 offset:460
	s_waitcnt vmcnt(3)
	buffer_store_dword v122, off, s[0:3], 0 offset:456
	s_waitcnt vmcnt(3)
	buffer_store_dword v123, off, s[0:3], 0 offset:460
	s_waitcnt vmcnt(3)
	buffer_store_dword v124, v121, s[0:3], 0 offen
	s_waitcnt vmcnt(3)
	buffer_store_dword v125, v121, s[0:3], 0 offen offset:4
.LBB59_372:
	global_load_dword v0, v0, s[20:21] offset:224
	s_waitcnt vmcnt(0)
	v_add_u32_e32 v0, -1, v0
	v_cmp_eq_u32_e32 vcc, 56, v0
	s_cbranch_vccnz .LBB59_374
; %bb.373:
	v_lshlrev_b32_e32 v0, 3, v0
	buffer_load_dword v121, v0, s[0:3], 0 offen
	buffer_load_dword v122, v0, s[0:3], 0 offen offset:4
	buffer_load_dword v123, off, s[0:3], 0 offset:452
	buffer_load_dword v124, off, s[0:3], 0 offset:448
	s_waitcnt vmcnt(3)
	buffer_store_dword v121, off, s[0:3], 0 offset:448
	s_waitcnt vmcnt(3)
	buffer_store_dword v122, off, s[0:3], 0 offset:452
	s_waitcnt vmcnt(3)
	buffer_store_dword v123, v0, s[0:3], 0 offen offset:4
	s_waitcnt vmcnt(3)
	buffer_store_dword v124, v0, s[0:3], 0 offen
.LBB59_374:
	v_mov_b32_e32 v0, 0
	global_load_dword v121, v0, s[20:21] offset:220
	s_waitcnt vmcnt(0)
	v_add_u32_e32 v121, -1, v121
	v_cmp_eq_u32_e32 vcc, 55, v121
	s_cbranch_vccnz .LBB59_376
; %bb.375:
	v_lshlrev_b32_e32 v121, 3, v121
	buffer_load_dword v122, v121, s[0:3], 0 offen
	buffer_load_dword v123, v121, s[0:3], 0 offen offset:4
	buffer_load_dword v124, off, s[0:3], 0 offset:440
	buffer_load_dword v125, off, s[0:3], 0 offset:444
	s_waitcnt vmcnt(3)
	buffer_store_dword v122, off, s[0:3], 0 offset:440
	s_waitcnt vmcnt(3)
	buffer_store_dword v123, off, s[0:3], 0 offset:444
	s_waitcnt vmcnt(3)
	buffer_store_dword v124, v121, s[0:3], 0 offen
	s_waitcnt vmcnt(3)
	buffer_store_dword v125, v121, s[0:3], 0 offen offset:4
.LBB59_376:
	global_load_dword v0, v0, s[20:21] offset:216
	s_waitcnt vmcnt(0)
	v_add_u32_e32 v0, -1, v0
	v_cmp_eq_u32_e32 vcc, 54, v0
	s_cbranch_vccnz .LBB59_378
; %bb.377:
	v_lshlrev_b32_e32 v0, 3, v0
	buffer_load_dword v121, v0, s[0:3], 0 offen
	buffer_load_dword v122, v0, s[0:3], 0 offen offset:4
	buffer_load_dword v123, off, s[0:3], 0 offset:436
	buffer_load_dword v124, off, s[0:3], 0 offset:432
	s_waitcnt vmcnt(3)
	buffer_store_dword v121, off, s[0:3], 0 offset:432
	s_waitcnt vmcnt(3)
	buffer_store_dword v122, off, s[0:3], 0 offset:436
	s_waitcnt vmcnt(3)
	buffer_store_dword v123, v0, s[0:3], 0 offen offset:4
	s_waitcnt vmcnt(3)
	buffer_store_dword v124, v0, s[0:3], 0 offen
.LBB59_378:
	;; [unrolled: 41-line block ×28, first 2 shown]
	v_mov_b32_e32 v0, 0
	global_load_dword v121, v0, s[20:21] offset:4
	s_waitcnt vmcnt(0)
	v_add_u32_e32 v121, -1, v121
	v_cmp_eq_u32_e32 vcc, 1, v121
	s_cbranch_vccnz .LBB59_484
; %bb.483:
	v_lshlrev_b32_e32 v121, 3, v121
	buffer_load_dword v122, v121, s[0:3], 0 offen
	buffer_load_dword v123, v121, s[0:3], 0 offen offset:4
	buffer_load_dword v124, off, s[0:3], 0 offset:8
	buffer_load_dword v125, off, s[0:3], 0 offset:12
	s_waitcnt vmcnt(3)
	buffer_store_dword v122, off, s[0:3], 0 offset:8
	s_waitcnt vmcnt(3)
	buffer_store_dword v123, off, s[0:3], 0 offset:12
	s_waitcnt vmcnt(3)
	buffer_store_dword v124, v121, s[0:3], 0 offen
	s_waitcnt vmcnt(3)
	buffer_store_dword v125, v121, s[0:3], 0 offen offset:4
.LBB59_484:
	global_load_dword v0, v0, s[20:21]
	s_nop 0
	buffer_load_dword v121, off, s[0:3], 0
	buffer_load_dword v122, off, s[0:3], 0 offset:4
	s_waitcnt vmcnt(2)
	v_add_u32_e32 v0, -1, v0
	v_cmp_eq_u32_e32 vcc, 0, v0
	s_cbranch_vccnz .LBB59_486
; %bb.485:
	v_lshlrev_b32_e32 v0, 3, v0
	buffer_load_dword v123, v0, s[0:3], 0 offen offset:4
	buffer_load_dword v124, v0, s[0:3], 0 offen
	s_waitcnt vmcnt(1)
	buffer_store_dword v123, off, s[0:3], 0 offset:4
	s_waitcnt vmcnt(1)
	buffer_store_dword v124, off, s[0:3], 0
	buffer_store_dword v122, v0, s[0:3], 0 offen offset:4
	buffer_store_dword v121, v0, s[0:3], 0 offen
	buffer_load_dword v121, off, s[0:3], 0
	s_nop 0
	buffer_load_dword v122, off, s[0:3], 0 offset:4
.LBB59_486:
	buffer_load_dword v123, off, s[0:3], 0 offset:8
	buffer_load_dword v124, off, s[0:3], 0 offset:12
	;; [unrolled: 1-line block ×118, first 2 shown]
	s_waitcnt vmcnt(62)
	global_store_dwordx2 v[1:2], v[121:122], off
	global_store_dwordx2 v[3:4], v[123:124], off
	;; [unrolled: 1-line block ×29, first 2 shown]
	s_waitcnt vmcnt(62)
	global_store_dwordx2 v[59:60], v[179:180], off
	global_store_dwordx2 v[61:62], v[181:182], off
	;; [unrolled: 1-line block ×14, first 2 shown]
	s_waitcnt vmcnt(62)
	global_store_dwordx2 v[87:88], v[207:208], off
	global_store_dwordx2 v[89:90], v[209:210], off
	;; [unrolled: 1-line block ×7, first 2 shown]
	s_waitcnt vmcnt(62)
	global_store_dwordx2 v[101:102], v[221:222], off
	global_store_dwordx2 v[103:104], v[223:224], off
	;; [unrolled: 1-line block ×4, first 2 shown]
	s_waitcnt vmcnt(62)
	global_store_dwordx2 v[109:110], v[229:230], off
	global_store_dwordx2 v[111:112], v[231:232], off
	s_waitcnt vmcnt(62)
	global_store_dwordx2 v[113:114], v[233:234], off
	s_waitcnt vmcnt(61)
	global_store_dwordx2 v[115:116], v[235:236], off
	s_waitcnt vmcnt(60)
	global_store_dwordx2 v[117:118], v[237:238], off
	s_waitcnt vmcnt(59)
	global_store_dwordx2 v[119:120], v[239:240], off
	s_endpgm
	.section	.rodata,"a",@progbits
	.p2align	6, 0x0
	.amdhsa_kernel _ZN9rocsolver6v33100L18getri_kernel_smallILi60EdPdEEvT1_iilPiilS4_bb
		.amdhsa_group_segment_fixed_size 968
		.amdhsa_private_segment_fixed_size 496
		.amdhsa_kernarg_size 60
		.amdhsa_user_sgpr_count 6
		.amdhsa_user_sgpr_private_segment_buffer 1
		.amdhsa_user_sgpr_dispatch_ptr 0
		.amdhsa_user_sgpr_queue_ptr 0
		.amdhsa_user_sgpr_kernarg_segment_ptr 1
		.amdhsa_user_sgpr_dispatch_id 0
		.amdhsa_user_sgpr_flat_scratch_init 0
		.amdhsa_user_sgpr_private_segment_size 0
		.amdhsa_uses_dynamic_stack 0
		.amdhsa_system_sgpr_private_segment_wavefront_offset 1
		.amdhsa_system_sgpr_workgroup_id_x 1
		.amdhsa_system_sgpr_workgroup_id_y 0
		.amdhsa_system_sgpr_workgroup_id_z 0
		.amdhsa_system_sgpr_workgroup_info 0
		.amdhsa_system_vgpr_workitem_id 0
		.amdhsa_next_free_vgpr 241
		.amdhsa_next_free_sgpr 24
		.amdhsa_reserve_vcc 1
		.amdhsa_reserve_flat_scratch 0
		.amdhsa_float_round_mode_32 0
		.amdhsa_float_round_mode_16_64 0
		.amdhsa_float_denorm_mode_32 3
		.amdhsa_float_denorm_mode_16_64 3
		.amdhsa_dx10_clamp 1
		.amdhsa_ieee_mode 1
		.amdhsa_fp16_overflow 0
		.amdhsa_exception_fp_ieee_invalid_op 0
		.amdhsa_exception_fp_denorm_src 0
		.amdhsa_exception_fp_ieee_div_zero 0
		.amdhsa_exception_fp_ieee_overflow 0
		.amdhsa_exception_fp_ieee_underflow 0
		.amdhsa_exception_fp_ieee_inexact 0
		.amdhsa_exception_int_div_zero 0
	.end_amdhsa_kernel
	.section	.text._ZN9rocsolver6v33100L18getri_kernel_smallILi60EdPdEEvT1_iilPiilS4_bb,"axG",@progbits,_ZN9rocsolver6v33100L18getri_kernel_smallILi60EdPdEEvT1_iilPiilS4_bb,comdat
.Lfunc_end59:
	.size	_ZN9rocsolver6v33100L18getri_kernel_smallILi60EdPdEEvT1_iilPiilS4_bb, .Lfunc_end59-_ZN9rocsolver6v33100L18getri_kernel_smallILi60EdPdEEvT1_iilPiilS4_bb
                                        ; -- End function
	.set _ZN9rocsolver6v33100L18getri_kernel_smallILi60EdPdEEvT1_iilPiilS4_bb.num_vgpr, 241
	.set _ZN9rocsolver6v33100L18getri_kernel_smallILi60EdPdEEvT1_iilPiilS4_bb.num_agpr, 0
	.set _ZN9rocsolver6v33100L18getri_kernel_smallILi60EdPdEEvT1_iilPiilS4_bb.numbered_sgpr, 24
	.set _ZN9rocsolver6v33100L18getri_kernel_smallILi60EdPdEEvT1_iilPiilS4_bb.num_named_barrier, 0
	.set _ZN9rocsolver6v33100L18getri_kernel_smallILi60EdPdEEvT1_iilPiilS4_bb.private_seg_size, 496
	.set _ZN9rocsolver6v33100L18getri_kernel_smallILi60EdPdEEvT1_iilPiilS4_bb.uses_vcc, 1
	.set _ZN9rocsolver6v33100L18getri_kernel_smallILi60EdPdEEvT1_iilPiilS4_bb.uses_flat_scratch, 0
	.set _ZN9rocsolver6v33100L18getri_kernel_smallILi60EdPdEEvT1_iilPiilS4_bb.has_dyn_sized_stack, 0
	.set _ZN9rocsolver6v33100L18getri_kernel_smallILi60EdPdEEvT1_iilPiilS4_bb.has_recursion, 0
	.set _ZN9rocsolver6v33100L18getri_kernel_smallILi60EdPdEEvT1_iilPiilS4_bb.has_indirect_call, 0
	.section	.AMDGPU.csdata,"",@progbits
; Kernel info:
; codeLenInByte = 86072
; TotalNumSgprs: 28
; NumVgprs: 241
; ScratchSize: 496
; MemoryBound: 1
; FloatMode: 240
; IeeeMode: 1
; LDSByteSize: 968 bytes/workgroup (compile time only)
; SGPRBlocks: 3
; VGPRBlocks: 60
; NumSGPRsForWavesPerEU: 28
; NumVGPRsForWavesPerEU: 241
; Occupancy: 1
; WaveLimiterHint : 1
; COMPUTE_PGM_RSRC2:SCRATCH_EN: 1
; COMPUTE_PGM_RSRC2:USER_SGPR: 6
; COMPUTE_PGM_RSRC2:TRAP_HANDLER: 0
; COMPUTE_PGM_RSRC2:TGID_X_EN: 1
; COMPUTE_PGM_RSRC2:TGID_Y_EN: 0
; COMPUTE_PGM_RSRC2:TGID_Z_EN: 0
; COMPUTE_PGM_RSRC2:TIDIG_COMP_CNT: 0
	.section	.text._ZN9rocsolver6v33100L18getri_kernel_smallILi61EdPdEEvT1_iilPiilS4_bb,"axG",@progbits,_ZN9rocsolver6v33100L18getri_kernel_smallILi61EdPdEEvT1_iilPiilS4_bb,comdat
	.globl	_ZN9rocsolver6v33100L18getri_kernel_smallILi61EdPdEEvT1_iilPiilS4_bb ; -- Begin function _ZN9rocsolver6v33100L18getri_kernel_smallILi61EdPdEEvT1_iilPiilS4_bb
	.p2align	8
	.type	_ZN9rocsolver6v33100L18getri_kernel_smallILi61EdPdEEvT1_iilPiilS4_bb,@function
_ZN9rocsolver6v33100L18getri_kernel_smallILi61EdPdEEvT1_iilPiilS4_bb: ; @_ZN9rocsolver6v33100L18getri_kernel_smallILi61EdPdEEvT1_iilPiilS4_bb
; %bb.0:
	s_add_u32 s0, s0, s7
	s_addc_u32 s1, s1, 0
	v_cmp_gt_u32_e32 vcc, 61, v0
	s_and_saveexec_b64 s[8:9], vcc
	s_cbranch_execz .LBB60_252
; %bb.1:
	s_load_dword s12, s[4:5], 0x38
	s_load_dwordx4 s[16:19], s[4:5], 0x10
	s_load_dwordx4 s[8:11], s[4:5], 0x28
                                        ; implicit-def: $sgpr20_sgpr21
	s_waitcnt lgkmcnt(0)
	s_bitcmp1_b32 s12, 8
	s_cselect_b64 s[22:23], -1, 0
	s_ashr_i32 s7, s6, 31
	s_bfe_u32 s12, s12, 0x10008
	s_cmp_eq_u32 s12, 0
	s_cbranch_scc1 .LBB60_3
; %bb.2:
	s_load_dword s12, s[4:5], 0x20
	s_mul_i32 s13, s8, s7
	s_mul_hi_u32 s14, s8, s6
	s_mul_i32 s9, s9, s6
	s_add_i32 s14, s14, s13
	s_add_i32 s9, s14, s9
	s_mul_i32 s8, s8, s6
	s_waitcnt lgkmcnt(0)
	s_ashr_i32 s13, s12, 31
	s_lshl_b64 s[8:9], s[8:9], 2
	s_add_u32 s14, s18, s8
	s_addc_u32 s15, s19, s9
	s_lshl_b64 s[8:9], s[12:13], 2
	s_add_u32 s20, s14, s8
	s_addc_u32 s21, s15, s9
.LBB60_3:
	s_load_dwordx4 s[12:15], s[4:5], 0x0
	s_load_dword s8, s[4:5], 0x38
	s_mul_i32 s9, s16, s7
	s_mul_hi_u32 s18, s16, s6
	s_add_i32 s9, s18, s9
	s_waitcnt lgkmcnt(0)
	s_ashr_i32 s5, s14, 31
	s_mov_b32 s4, s14
	s_mul_i32 s14, s17, s6
	s_add_i32 s17, s9, s14
	s_mul_i32 s16, s16, s6
	s_lshl_b64 s[16:17], s[16:17], 3
	s_add_u32 s9, s12, s16
	s_addc_u32 s12, s13, s17
	s_lshl_b64 s[4:5], s[4:5], 3
	s_add_u32 s4, s9, s4
	s_addc_u32 s5, s12, s5
	v_lshlrev_b32_e32 v172, 3, v0
	s_add_i32 s9, s15, s15
	v_mov_b32_e32 v2, s5
	v_add_co_u32_e32 v1, vcc, s4, v172
	s_ashr_i32 s13, s15, 31
	s_mov_b32 s12, s15
	v_add_u32_e32 v7, s9, v0
	v_addc_co_u32_e32 v2, vcc, 0, v2, vcc
	s_lshl_b64 s[12:13], s[12:13], 3
	v_ashrrev_i32_e32 v8, 31, v7
	v_mov_b32_e32 v4, s13
	v_add_co_u32_e32 v3, vcc, s12, v1
	v_lshlrev_b64 v[5:6], 3, v[7:8]
	v_addc_co_u32_e32 v4, vcc, v2, v4, vcc
	v_add_u32_e32 v9, s15, v7
	v_mov_b32_e32 v8, s5
	v_add_co_u32_e32 v5, vcc, s4, v5
	v_ashrrev_i32_e32 v10, 31, v9
	v_addc_co_u32_e32 v6, vcc, v8, v6, vcc
	v_lshlrev_b64 v[7:8], 3, v[9:10]
	v_add_u32_e32 v11, s15, v9
	v_mov_b32_e32 v10, s5
	v_add_co_u32_e32 v7, vcc, s4, v7
	v_ashrrev_i32_e32 v12, 31, v11
	v_addc_co_u32_e32 v8, vcc, v10, v8, vcc
	v_lshlrev_b64 v[9:10], 3, v[11:12]
	;; [unrolled: 6-line block ×17, first 2 shown]
	v_mov_b32_e32 v42, s5
	v_add_co_u32_e32 v39, vcc, s4, v39
	global_load_dwordx2 v[43:44], v172, s[4:5]
	global_load_dwordx2 v[45:46], v[3:4], off
	global_load_dwordx2 v[47:48], v[5:6], off
	global_load_dwordx2 v[49:50], v[7:8], off
	global_load_dwordx2 v[51:52], v[9:10], off
	global_load_dwordx2 v[53:54], v[11:12], off
	global_load_dwordx2 v[55:56], v[13:14], off
	global_load_dwordx2 v[57:58], v[15:16], off
	global_load_dwordx2 v[59:60], v[17:18], off
	global_load_dwordx2 v[61:62], v[19:20], off
	global_load_dwordx2 v[63:64], v[21:22], off
	global_load_dwordx2 v[65:66], v[23:24], off
	global_load_dwordx2 v[67:68], v[25:26], off
	global_load_dwordx2 v[69:70], v[27:28], off
	global_load_dwordx2 v[71:72], v[29:30], off
	global_load_dwordx2 v[73:74], v[31:32], off
	global_load_dwordx2 v[75:76], v[33:34], off
	v_addc_co_u32_e32 v40, vcc, v42, v40, vcc
	global_load_dwordx2 v[77:78], v[35:36], off
	global_load_dwordx2 v[79:80], v[37:38], off
	;; [unrolled: 1-line block ×3, first 2 shown]
	v_add_u32_e32 v83, s15, v41
	v_ashrrev_i32_e32 v84, 31, v83
	v_lshlrev_b64 v[41:42], 3, v[83:84]
	v_mov_b32_e32 v84, s5
	v_add_co_u32_e32 v41, vcc, s4, v41
	v_addc_co_u32_e32 v42, vcc, v84, v42, vcc
	global_load_dwordx2 v[123:124], v[41:42], off
	s_waitcnt vmcnt(20)
	buffer_store_dword v44, off, s[0:3], 0 offset:4
	buffer_store_dword v43, off, s[0:3], 0
	s_waitcnt vmcnt(21)
	buffer_store_dword v46, off, s[0:3], 0 offset:12
	buffer_store_dword v45, off, s[0:3], 0 offset:8
	s_waitcnt vmcnt(22)
	buffer_store_dword v48, off, s[0:3], 0 offset:20
	buffer_store_dword v47, off, s[0:3], 0 offset:16
	;; [unrolled: 3-line block ×19, first 2 shown]
	s_waitcnt vmcnt(40)
	buffer_store_dword v124, off, s[0:3], 0 offset:164
	v_add_u32_e32 v45, s15, v83
	v_ashrrev_i32_e32 v46, 31, v45
	v_lshlrev_b64 v[43:44], 3, v[45:46]
	v_add_u32_e32 v47, s15, v45
	v_mov_b32_e32 v46, s5
	v_add_co_u32_e32 v43, vcc, s4, v43
	v_ashrrev_i32_e32 v48, 31, v47
	v_addc_co_u32_e32 v44, vcc, v46, v44, vcc
	v_lshlrev_b64 v[45:46], 3, v[47:48]
	v_add_u32_e32 v49, s15, v47
	v_mov_b32_e32 v48, s5
	v_add_co_u32_e32 v45, vcc, s4, v45
	v_ashrrev_i32_e32 v50, 31, v49
	v_addc_co_u32_e32 v46, vcc, v48, v46, vcc
	;; [unrolled: 6-line block ×38, first 2 shown]
	v_lshlrev_b64 v[119:120], 3, v[121:122]
	v_mov_b32_e32 v122, s5
	v_add_co_u32_e32 v119, vcc, s4, v119
	global_load_dwordx2 v[130:131], v[43:44], off
	global_load_dwordx2 v[128:129], v[45:46], off
	;; [unrolled: 1-line block ×36, first 2 shown]
	v_addc_co_u32_e32 v120, vcc, v122, v120, vcc
	global_load_dwordx2 v[197:198], v[115:116], off
	global_load_dwordx2 v[199:200], v[117:118], off
	;; [unrolled: 1-line block ×3, first 2 shown]
	v_add_u32_e32 v121, s15, v121
	v_ashrrev_i32_e32 v122, 31, v121
	v_lshlrev_b64 v[121:122], 3, v[121:122]
	v_mov_b32_e32 v203, s5
	v_add_co_u32_e32 v121, vcc, s4, v121
	v_addc_co_u32_e32 v122, vcc, v203, v122, vcc
	global_load_dwordx2 v[203:204], v[121:122], off
	s_bitcmp0_b32 s8, 0
	s_mov_b64 s[8:9], -1
	buffer_store_dword v123, off, s[0:3], 0 offset:160
	s_waitcnt vmcnt(40)
	buffer_store_dword v130, off, s[0:3], 0 offset:168
	buffer_store_dword v131, off, s[0:3], 0 offset:172
	s_waitcnt vmcnt(41)
	buffer_store_dword v128, off, s[0:3], 0 offset:176
	;; [unrolled: 3-line block ×24, first 2 shown]
	buffer_store_dword v164, off, s[0:3], 0 offset:352
	buffer_store_dword v173, off, s[0:3], 0 offset:360
	;; [unrolled: 1-line block ×3, first 2 shown]
	s_waitcnt vmcnt(62)
	buffer_store_dword v175, off, s[0:3], 0 offset:368
	buffer_store_dword v176, off, s[0:3], 0 offset:372
	;; [unrolled: 1-line block ×8, first 2 shown]
	s_waitcnt vmcnt(62)
	buffer_store_dword v184, off, s[0:3], 0 offset:404
	buffer_store_dword v183, off, s[0:3], 0 offset:400
	;; [unrolled: 1-line block ×16, first 2 shown]
	s_waitcnt vmcnt(62)
	buffer_store_dword v199, off, s[0:3], 0 offset:464
	buffer_store_dword v200, off, s[0:3], 0 offset:468
	;; [unrolled: 1-line block ×6, first 2 shown]
	s_cbranch_scc1 .LBB60_250
; %bb.4:
	v_cmp_eq_u32_e64 s[4:5], 0, v0
	s_and_saveexec_b64 s[8:9], s[4:5]
; %bb.5:
	v_mov_b32_e32 v123, 0
	ds_write_b32 v123, v123 offset:488
; %bb.6:
	s_or_b64 exec, exec, s[8:9]
	v_mov_b32_e32 v123, 0
	v_lshl_add_u32 v123, v0, 3, v123
	s_waitcnt lgkmcnt(0)
	; wave barrier
	buffer_load_dword v124, v123, s[0:3], 0 offen
	buffer_load_dword v125, v123, s[0:3], 0 offen offset:4
	s_waitcnt vmcnt(0)
	v_cmp_eq_f64_e32 vcc, 0, v[124:125]
	s_and_saveexec_b64 s[12:13], vcc
	s_cbranch_execz .LBB60_10
; %bb.7:
	v_mov_b32_e32 v124, 0
	ds_read_b32 v126, v124 offset:488
	v_add_u32_e32 v125, 1, v0
	s_waitcnt lgkmcnt(0)
	v_readfirstlane_b32 s8, v126
	s_cmp_eq_u32 s8, 0
	s_cselect_b64 s[14:15], -1, 0
	v_cmp_gt_i32_e32 vcc, s8, v125
	s_or_b64 s[14:15], s[14:15], vcc
	s_and_b64 exec, exec, s[14:15]
	s_cbranch_execz .LBB60_10
; %bb.8:
	s_mov_b64 s[14:15], 0
	v_mov_b32_e32 v126, s8
.LBB60_9:                               ; =>This Inner Loop Header: Depth=1
	ds_cmpst_rtn_b32 v126, v124, v126, v125 offset:488
	s_waitcnt lgkmcnt(0)
	v_cmp_ne_u32_e32 vcc, 0, v126
	v_cmp_le_i32_e64 s[8:9], v126, v125
	s_and_b64 s[8:9], vcc, s[8:9]
	s_and_b64 s[8:9], exec, s[8:9]
	s_or_b64 s[14:15], s[8:9], s[14:15]
	s_andn2_b64 exec, exec, s[14:15]
	s_cbranch_execnz .LBB60_9
.LBB60_10:
	s_or_b64 exec, exec, s[12:13]
	v_mov_b32_e32 v125, 0
	; wave barrier
	ds_read_b32 v124, v125 offset:488
	s_and_saveexec_b64 s[8:9], s[4:5]
	s_cbranch_execz .LBB60_12
; %bb.11:
	s_lshl_b64 s[12:13], s[6:7], 2
	s_add_u32 s12, s10, s12
	s_addc_u32 s13, s11, s13
	s_waitcnt lgkmcnt(0)
	global_store_dword v125, v124, s[12:13]
.LBB60_12:
	s_or_b64 exec, exec, s[8:9]
	s_waitcnt lgkmcnt(0)
	v_cmp_ne_u32_e32 vcc, 0, v124
	s_mov_b64 s[8:9], 0
	s_cbranch_vccnz .LBB60_250
; %bb.13:
	buffer_load_dword v124, v123, s[0:3], 0 offen
	buffer_load_dword v125, v123, s[0:3], 0 offen offset:4
	s_waitcnt vmcnt(0)
	v_div_scale_f64 v[126:127], s[8:9], v[124:125], v[124:125], 1.0
	v_rcp_f64_e32 v[128:129], v[126:127]
	v_fma_f64 v[130:131], -v[126:127], v[128:129], 1.0
	v_fma_f64 v[128:129], v[128:129], v[130:131], v[128:129]
	v_div_scale_f64 v[130:131], vcc, 1.0, v[124:125], 1.0
	v_fma_f64 v[132:133], -v[126:127], v[128:129], 1.0
	v_fma_f64 v[128:129], v[128:129], v[132:133], v[128:129]
	v_mul_f64 v[132:133], v[130:131], v[128:129]
	v_fma_f64 v[126:127], -v[126:127], v[132:133], v[130:131]
	v_div_fmas_f64 v[126:127], v[126:127], v[128:129], v[132:133]
	v_div_fixup_f64 v[126:127], v[126:127], v[124:125], 1.0
	v_add_u32_e32 v125, 0x1f0, v172
	buffer_store_dword v127, v123, s[0:3], 0 offen offset:4
	buffer_store_dword v126, v123, s[0:3], 0 offen
	buffer_load_dword v129, off, s[0:3], 0 offset:12
	buffer_load_dword v128, off, s[0:3], 0 offset:8
	v_xor_b32_e32 v127, 0x80000000, v127
	s_waitcnt vmcnt(0)
	ds_write2_b64 v172, v[126:127], v[128:129] offset1:62
	s_waitcnt lgkmcnt(0)
	; wave barrier
	s_and_saveexec_b64 s[8:9], s[4:5]
	s_cbranch_execz .LBB60_15
; %bb.14:
	buffer_load_dword v126, v123, s[0:3], 0 offen
	buffer_load_dword v127, v123, s[0:3], 0 offen offset:4
	ds_read_b64 v[128:129], v125
	v_mov_b32_e32 v124, 0
	ds_read_b64 v[130:131], v124 offset:8
	s_waitcnt vmcnt(0) lgkmcnt(1)
	v_fma_f64 v[126:127], v[126:127], v[128:129], 0
	s_waitcnt lgkmcnt(0)
	v_mul_f64 v[126:127], v[126:127], v[130:131]
	buffer_store_dword v126, off, s[0:3], 0 offset:8
	buffer_store_dword v127, off, s[0:3], 0 offset:12
.LBB60_15:
	s_or_b64 exec, exec, s[8:9]
	; wave barrier
	buffer_load_dword v126, off, s[0:3], 0 offset:16
	buffer_load_dword v127, off, s[0:3], 0 offset:20
	v_cmp_gt_u32_e32 vcc, 2, v0
	s_waitcnt vmcnt(0)
	ds_write_b64 v125, v[126:127]
	s_waitcnt lgkmcnt(0)
	; wave barrier
	s_and_saveexec_b64 s[8:9], vcc
	s_cbranch_execz .LBB60_17
; %bb.16:
	buffer_load_dword v126, v123, s[0:3], 0 offen
	buffer_load_dword v127, v123, s[0:3], 0 offen offset:4
                                        ; kill: killed $vgpr123
	s_nop 0
	buffer_load_dword v123, off, s[0:3], 0 offset:8
	buffer_load_dword v124, off, s[0:3], 0 offset:12
	ds_read_b64 v[128:129], v125
	s_waitcnt vmcnt(2) lgkmcnt(0)
	v_fma_f64 v[130:131], v[126:127], v[128:129], 0
	v_mov_b32_e32 v126, 0
	ds_read2_b64 v[126:129], v126 offset0:2 offset1:63
	s_waitcnt vmcnt(0) lgkmcnt(0)
	v_fma_f64 v[123:124], v[123:124], v[128:129], v[130:131]
	v_cndmask_b32_e64 v124, v131, v124, s[4:5]
	v_cndmask_b32_e64 v123, v130, v123, s[4:5]
	v_mul_f64 v[123:124], v[123:124], v[126:127]
	buffer_store_dword v124, off, s[0:3], 0 offset:20
	buffer_store_dword v123, off, s[0:3], 0 offset:16
.LBB60_17:
	s_or_b64 exec, exec, s[8:9]
	; wave barrier
	buffer_load_dword v123, off, s[0:3], 0 offset:24
	buffer_load_dword v124, off, s[0:3], 0 offset:28
	v_cmp_gt_u32_e32 vcc, 3, v0
	v_add_u32_e32 v126, -1, v0
	s_waitcnt vmcnt(0)
	ds_write_b64 v125, v[123:124]
	s_waitcnt lgkmcnt(0)
	; wave barrier
	s_and_saveexec_b64 s[4:5], vcc
	s_cbranch_execz .LBB60_21
; %bb.18:
	v_mov_b32_e32 v123, 0
	v_add_u32_e32 v127, -1, v0
	v_add_u32_e32 v128, 0x1f0, v172
	v_mov_b32_e32 v129, v172
	v_mov_b32_e32 v124, 0
	s_mov_b64 s[8:9], 0
.LBB60_19:                              ; =>This Inner Loop Header: Depth=1
	buffer_load_dword v130, v129, s[0:3], 0 offen
	buffer_load_dword v131, v129, s[0:3], 0 offen offset:4
	ds_read_b64 v[132:133], v128
	v_add_u32_e32 v127, 1, v127
	v_cmp_lt_u32_e32 vcc, 1, v127
	v_add_u32_e32 v128, 8, v128
	s_or_b64 s[8:9], vcc, s[8:9]
	v_add_u32_e32 v129, 8, v129
	s_waitcnt vmcnt(0) lgkmcnt(0)
	v_fma_f64 v[123:124], v[130:131], v[132:133], v[123:124]
	s_andn2_b64 exec, exec, s[8:9]
	s_cbranch_execnz .LBB60_19
; %bb.20:
	s_or_b64 exec, exec, s[8:9]
	v_mov_b32_e32 v127, 0
	ds_read_b64 v[127:128], v127 offset:24
	s_waitcnt lgkmcnt(0)
	v_mul_f64 v[123:124], v[123:124], v[127:128]
	buffer_store_dword v124, off, s[0:3], 0 offset:28
	buffer_store_dword v123, off, s[0:3], 0 offset:24
.LBB60_21:
	s_or_b64 exec, exec, s[4:5]
	; wave barrier
	buffer_load_dword v123, off, s[0:3], 0 offset:32
	buffer_load_dword v124, off, s[0:3], 0 offset:36
	v_cmp_gt_u32_e32 vcc, 4, v0
	s_waitcnt vmcnt(0)
	ds_write_b64 v125, v[123:124]
	s_waitcnt lgkmcnt(0)
	; wave barrier
	s_and_saveexec_b64 s[4:5], vcc
	s_cbranch_execz .LBB60_25
; %bb.22:
	v_mov_b32_e32 v123, 0
	v_add_u32_e32 v127, -1, v0
	v_add_u32_e32 v128, 0x1f0, v172
	v_mov_b32_e32 v129, v172
	v_mov_b32_e32 v124, 0
	s_mov_b64 s[8:9], 0
.LBB60_23:                              ; =>This Inner Loop Header: Depth=1
	buffer_load_dword v130, v129, s[0:3], 0 offen
	buffer_load_dword v131, v129, s[0:3], 0 offen offset:4
	ds_read_b64 v[132:133], v128
	v_add_u32_e32 v127, 1, v127
	v_cmp_lt_u32_e32 vcc, 2, v127
	v_add_u32_e32 v128, 8, v128
	s_or_b64 s[8:9], vcc, s[8:9]
	v_add_u32_e32 v129, 8, v129
	s_waitcnt vmcnt(0) lgkmcnt(0)
	v_fma_f64 v[123:124], v[130:131], v[132:133], v[123:124]
	s_andn2_b64 exec, exec, s[8:9]
	s_cbranch_execnz .LBB60_23
; %bb.24:
	s_or_b64 exec, exec, s[8:9]
	v_mov_b32_e32 v127, 0
	ds_read_b64 v[127:128], v127 offset:32
	s_waitcnt lgkmcnt(0)
	v_mul_f64 v[123:124], v[123:124], v[127:128]
	buffer_store_dword v124, off, s[0:3], 0 offset:36
	buffer_store_dword v123, off, s[0:3], 0 offset:32
.LBB60_25:
	s_or_b64 exec, exec, s[4:5]
	; wave barrier
	buffer_load_dword v123, off, s[0:3], 0 offset:40
	buffer_load_dword v124, off, s[0:3], 0 offset:44
	v_cmp_gt_u32_e32 vcc, 5, v0
	;; [unrolled: 40-line block ×21, first 2 shown]
	s_waitcnt vmcnt(0)
	ds_write_b64 v125, v[123:124]
	s_waitcnt lgkmcnt(0)
	; wave barrier
	s_and_saveexec_b64 s[4:5], vcc
	s_cbranch_execz .LBB60_105
; %bb.102:
	v_mov_b32_e32 v123, 0
	v_add_u32_e32 v127, -1, v0
	v_add_u32_e32 v128, 0x1f0, v172
	v_mov_b32_e32 v129, v172
	v_mov_b32_e32 v124, 0
	s_mov_b64 s[8:9], 0
.LBB60_103:                             ; =>This Inner Loop Header: Depth=1
	buffer_load_dword v130, v129, s[0:3], 0 offen
	buffer_load_dword v131, v129, s[0:3], 0 offen offset:4
	ds_read_b64 v[132:133], v128
	v_add_u32_e32 v127, 1, v127
	v_cmp_lt_u32_e32 vcc, 22, v127
	v_add_u32_e32 v128, 8, v128
	s_or_b64 s[8:9], vcc, s[8:9]
	v_add_u32_e32 v129, 8, v129
	s_waitcnt vmcnt(0) lgkmcnt(0)
	v_fma_f64 v[123:124], v[130:131], v[132:133], v[123:124]
	s_andn2_b64 exec, exec, s[8:9]
	s_cbranch_execnz .LBB60_103
; %bb.104:
	s_or_b64 exec, exec, s[8:9]
	v_mov_b32_e32 v127, 0
	ds_read_b64 v[127:128], v127 offset:192
	s_waitcnt lgkmcnt(0)
	v_mul_f64 v[123:124], v[123:124], v[127:128]
	buffer_store_dword v124, off, s[0:3], 0 offset:196
	buffer_store_dword v123, off, s[0:3], 0 offset:192
.LBB60_105:
	s_or_b64 exec, exec, s[4:5]
	; wave barrier
	buffer_load_dword v123, off, s[0:3], 0 offset:200
	buffer_load_dword v124, off, s[0:3], 0 offset:204
	v_cmp_gt_u32_e32 vcc, 25, v0
	s_waitcnt vmcnt(0)
	ds_write_b64 v125, v[123:124]
	s_waitcnt lgkmcnt(0)
	; wave barrier
	s_and_saveexec_b64 s[4:5], vcc
	s_cbranch_execz .LBB60_109
; %bb.106:
	v_mov_b32_e32 v123, 0
	v_add_u32_e32 v127, -1, v0
	v_add_u32_e32 v128, 0x1f0, v172
	v_mov_b32_e32 v129, v172
	v_mov_b32_e32 v124, 0
	s_mov_b64 s[8:9], 0
.LBB60_107:                             ; =>This Inner Loop Header: Depth=1
	buffer_load_dword v130, v129, s[0:3], 0 offen
	buffer_load_dword v131, v129, s[0:3], 0 offen offset:4
	ds_read_b64 v[132:133], v128
	v_add_u32_e32 v127, 1, v127
	v_cmp_lt_u32_e32 vcc, 23, v127
	v_add_u32_e32 v128, 8, v128
	s_or_b64 s[8:9], vcc, s[8:9]
	v_add_u32_e32 v129, 8, v129
	s_waitcnt vmcnt(0) lgkmcnt(0)
	v_fma_f64 v[123:124], v[130:131], v[132:133], v[123:124]
	s_andn2_b64 exec, exec, s[8:9]
	s_cbranch_execnz .LBB60_107
; %bb.108:
	s_or_b64 exec, exec, s[8:9]
	v_mov_b32_e32 v127, 0
	ds_read_b64 v[127:128], v127 offset:200
	s_waitcnt lgkmcnt(0)
	v_mul_f64 v[123:124], v[123:124], v[127:128]
	buffer_store_dword v124, off, s[0:3], 0 offset:204
	buffer_store_dword v123, off, s[0:3], 0 offset:200
.LBB60_109:
	s_or_b64 exec, exec, s[4:5]
	; wave barrier
	buffer_load_dword v123, off, s[0:3], 0 offset:208
	buffer_load_dword v124, off, s[0:3], 0 offset:212
	v_cmp_gt_u32_e32 vcc, 26, v0
	;; [unrolled: 40-line block ×35, first 2 shown]
	s_waitcnt vmcnt(0)
	ds_write_b64 v125, v[123:124]
	s_waitcnt lgkmcnt(0)
	; wave barrier
	s_and_saveexec_b64 s[4:5], vcc
	s_cbranch_execz .LBB60_245
; %bb.242:
	v_mov_b32_e32 v123, 0
	v_add_u32_e32 v127, -1, v0
	v_add_u32_e32 v128, 0x1f0, v172
	v_mov_b32_e32 v129, v172
	v_mov_b32_e32 v124, 0
	s_mov_b64 s[8:9], 0
.LBB60_243:                             ; =>This Inner Loop Header: Depth=1
	buffer_load_dword v130, v129, s[0:3], 0 offen
	buffer_load_dword v131, v129, s[0:3], 0 offen offset:4
	ds_read_b64 v[132:133], v128
	v_add_u32_e32 v127, 1, v127
	v_cmp_lt_u32_e32 vcc, 57, v127
	v_add_u32_e32 v128, 8, v128
	s_or_b64 s[8:9], vcc, s[8:9]
	v_add_u32_e32 v129, 8, v129
	s_waitcnt vmcnt(0) lgkmcnt(0)
	v_fma_f64 v[123:124], v[130:131], v[132:133], v[123:124]
	s_andn2_b64 exec, exec, s[8:9]
	s_cbranch_execnz .LBB60_243
; %bb.244:
	s_or_b64 exec, exec, s[8:9]
	v_mov_b32_e32 v127, 0
	ds_read_b64 v[127:128], v127 offset:472
	s_waitcnt lgkmcnt(0)
	v_mul_f64 v[123:124], v[123:124], v[127:128]
	buffer_store_dword v124, off, s[0:3], 0 offset:476
	buffer_store_dword v123, off, s[0:3], 0 offset:472
.LBB60_245:
	s_or_b64 exec, exec, s[4:5]
	; wave barrier
	buffer_load_dword v123, off, s[0:3], 0 offset:480
	buffer_load_dword v124, off, s[0:3], 0 offset:484
	v_cmp_ne_u32_e32 vcc, 60, v0
	s_waitcnt vmcnt(0)
	ds_write_b64 v125, v[123:124]
	s_waitcnt lgkmcnt(0)
	; wave barrier
	s_and_saveexec_b64 s[4:5], vcc
	s_cbranch_execz .LBB60_249
; %bb.246:
	v_mov_b32_e32 v123, 0
	v_add_u32_e32 v125, 0x1f0, v172
	v_mov_b32_e32 v127, v172
	v_mov_b32_e32 v124, 0
	s_mov_b64 s[8:9], 0
.LBB60_247:                             ; =>This Inner Loop Header: Depth=1
	buffer_load_dword v128, v127, s[0:3], 0 offen
	buffer_load_dword v129, v127, s[0:3], 0 offen offset:4
	ds_read_b64 v[130:131], v125
	v_add_u32_e32 v126, 1, v126
	v_cmp_lt_u32_e32 vcc, 58, v126
	v_add_u32_e32 v125, 8, v125
	s_or_b64 s[8:9], vcc, s[8:9]
	v_add_u32_e32 v127, 8, v127
	s_waitcnt vmcnt(0) lgkmcnt(0)
	v_fma_f64 v[123:124], v[128:129], v[130:131], v[123:124]
	s_andn2_b64 exec, exec, s[8:9]
	s_cbranch_execnz .LBB60_247
; %bb.248:
	s_or_b64 exec, exec, s[8:9]
	v_mov_b32_e32 v125, 0
	ds_read_b64 v[125:126], v125 offset:480
	s_waitcnt lgkmcnt(0)
	v_mul_f64 v[123:124], v[123:124], v[125:126]
	buffer_store_dword v124, off, s[0:3], 0 offset:484
	buffer_store_dword v123, off, s[0:3], 0 offset:480
.LBB60_249:
	s_or_b64 exec, exec, s[4:5]
	s_mov_b64 s[8:9], -1
	; wave barrier
.LBB60_250:
	s_and_b64 vcc, exec, s[8:9]
	s_cbranch_vccz .LBB60_252
; %bb.251:
	s_lshl_b64 s[4:5], s[6:7], 2
	s_add_u32 s4, s10, s4
	s_addc_u32 s5, s11, s5
	v_mov_b32_e32 v123, 0
	global_load_dword v123, v123, s[4:5]
	s_waitcnt vmcnt(0)
	v_cmp_ne_u32_e32 vcc, 0, v123
	s_cbranch_vccz .LBB60_253
.LBB60_252:
	s_endpgm
.LBB60_253:
	v_mov_b32_e32 v123, 0x1f0
	v_lshl_add_u32 v123, v0, 3, v123
	v_cmp_eq_u32_e32 vcc, 60, v0
	s_and_saveexec_b64 s[4:5], vcc
	s_cbranch_execz .LBB60_255
; %bb.254:
	buffer_load_dword v124, off, s[0:3], 0 offset:472
	buffer_load_dword v125, off, s[0:3], 0 offset:476
	v_mov_b32_e32 v126, 0
	buffer_store_dword v126, off, s[0:3], 0 offset:472
	buffer_store_dword v126, off, s[0:3], 0 offset:476
	s_waitcnt vmcnt(2)
	ds_write_b64 v123, v[124:125]
.LBB60_255:
	s_or_b64 exec, exec, s[4:5]
	s_waitcnt lgkmcnt(0)
	; wave barrier
	buffer_load_dword v125, off, s[0:3], 0 offset:480
	buffer_load_dword v126, off, s[0:3], 0 offset:484
	;; [unrolled: 1-line block ×4, first 2 shown]
	v_mov_b32_e32 v124, 0
	ds_read_b64 v[129:130], v124 offset:976
	v_cmp_lt_u32_e32 vcc, 58, v0
	s_waitcnt vmcnt(2) lgkmcnt(0)
	v_fma_f64 v[125:126], v[125:126], v[129:130], 0
	s_waitcnt vmcnt(0)
	v_add_f64 v[125:126], v[127:128], -v[125:126]
	buffer_store_dword v125, off, s[0:3], 0 offset:472
	buffer_store_dword v126, off, s[0:3], 0 offset:476
	s_and_saveexec_b64 s[4:5], vcc
	s_cbranch_execz .LBB60_257
; %bb.256:
	buffer_load_dword v125, off, s[0:3], 0 offset:464
	buffer_load_dword v126, off, s[0:3], 0 offset:468
	s_waitcnt vmcnt(0)
	ds_write_b64 v123, v[125:126]
	buffer_store_dword v124, off, s[0:3], 0 offset:464
	buffer_store_dword v124, off, s[0:3], 0 offset:468
.LBB60_257:
	s_or_b64 exec, exec, s[4:5]
	s_waitcnt lgkmcnt(0)
	; wave barrier
	buffer_load_dword v128, off, s[0:3], 0 offset:472
	buffer_load_dword v129, off, s[0:3], 0 offset:476
	;; [unrolled: 1-line block ×6, first 2 shown]
	ds_read2_b64 v[124:127], v124 offset0:121 offset1:122
	v_cmp_lt_u32_e32 vcc, 57, v0
	s_waitcnt vmcnt(4) lgkmcnt(0)
	v_fma_f64 v[124:125], v[128:129], v[124:125], 0
	s_waitcnt vmcnt(2)
	v_fma_f64 v[124:125], v[130:131], v[126:127], v[124:125]
	s_waitcnt vmcnt(0)
	v_add_f64 v[124:125], v[132:133], -v[124:125]
	buffer_store_dword v124, off, s[0:3], 0 offset:464
	buffer_store_dword v125, off, s[0:3], 0 offset:468
	s_and_saveexec_b64 s[4:5], vcc
	s_cbranch_execz .LBB60_259
; %bb.258:
	buffer_load_dword v124, off, s[0:3], 0 offset:456
	buffer_load_dword v125, off, s[0:3], 0 offset:460
	v_mov_b32_e32 v126, 0
	buffer_store_dword v126, off, s[0:3], 0 offset:456
	buffer_store_dword v126, off, s[0:3], 0 offset:460
	s_waitcnt vmcnt(2)
	ds_write_b64 v123, v[124:125]
.LBB60_259:
	s_or_b64 exec, exec, s[4:5]
	s_waitcnt lgkmcnt(0)
	; wave barrier
	buffer_load_dword v129, off, s[0:3], 0 offset:464
	buffer_load_dword v130, off, s[0:3], 0 offset:468
	;; [unrolled: 1-line block ×8, first 2 shown]
	v_mov_b32_e32 v124, 0
	ds_read_b128 v[125:128], v124 offset:960
	ds_read_b64 v[137:138], v124 offset:976
	v_cmp_lt_u32_e32 vcc, 56, v0
	s_waitcnt vmcnt(6) lgkmcnt(1)
	v_fma_f64 v[125:126], v[129:130], v[125:126], 0
	s_waitcnt vmcnt(4)
	v_fma_f64 v[125:126], v[131:132], v[127:128], v[125:126]
	s_waitcnt vmcnt(2) lgkmcnt(0)
	v_fma_f64 v[125:126], v[133:134], v[137:138], v[125:126]
	s_waitcnt vmcnt(0)
	v_add_f64 v[125:126], v[135:136], -v[125:126]
	buffer_store_dword v125, off, s[0:3], 0 offset:456
	buffer_store_dword v126, off, s[0:3], 0 offset:460
	s_and_saveexec_b64 s[4:5], vcc
	s_cbranch_execz .LBB60_261
; %bb.260:
	buffer_load_dword v125, off, s[0:3], 0 offset:448
	buffer_load_dword v126, off, s[0:3], 0 offset:452
	s_waitcnt vmcnt(0)
	ds_write_b64 v123, v[125:126]
	buffer_store_dword v124, off, s[0:3], 0 offset:448
	buffer_store_dword v124, off, s[0:3], 0 offset:452
.LBB60_261:
	s_or_b64 exec, exec, s[4:5]
	s_waitcnt lgkmcnt(0)
	; wave barrier
	buffer_load_dword v133, off, s[0:3], 0 offset:456
	buffer_load_dword v134, off, s[0:3], 0 offset:460
	;; [unrolled: 1-line block ×10, first 2 shown]
	ds_read2_b64 v[125:128], v124 offset0:119 offset1:120
	ds_read2_b64 v[129:132], v124 offset0:121 offset1:122
	v_cmp_lt_u32_e32 vcc, 55, v0
	s_waitcnt vmcnt(8) lgkmcnt(1)
	v_fma_f64 v[124:125], v[133:134], v[125:126], 0
	s_waitcnt vmcnt(6)
	v_fma_f64 v[124:125], v[135:136], v[127:128], v[124:125]
	s_waitcnt vmcnt(4) lgkmcnt(0)
	v_fma_f64 v[124:125], v[137:138], v[129:130], v[124:125]
	s_waitcnt vmcnt(2)
	v_fma_f64 v[124:125], v[139:140], v[131:132], v[124:125]
	s_waitcnt vmcnt(0)
	v_add_f64 v[124:125], v[141:142], -v[124:125]
	buffer_store_dword v124, off, s[0:3], 0 offset:448
	buffer_store_dword v125, off, s[0:3], 0 offset:452
	s_and_saveexec_b64 s[4:5], vcc
	s_cbranch_execz .LBB60_263
; %bb.262:
	buffer_load_dword v124, off, s[0:3], 0 offset:440
	buffer_load_dword v125, off, s[0:3], 0 offset:444
	v_mov_b32_e32 v126, 0
	buffer_store_dword v126, off, s[0:3], 0 offset:440
	buffer_store_dword v126, off, s[0:3], 0 offset:444
	s_waitcnt vmcnt(2)
	ds_write_b64 v123, v[124:125]
.LBB60_263:
	s_or_b64 exec, exec, s[4:5]
	s_waitcnt lgkmcnt(0)
	; wave barrier
	buffer_load_dword v133, off, s[0:3], 0 offset:448
	buffer_load_dword v134, off, s[0:3], 0 offset:452
	;; [unrolled: 1-line block ×12, first 2 shown]
	v_mov_b32_e32 v124, 0
	ds_read_b128 v[125:128], v124 offset:944
	ds_read_b128 v[129:132], v124 offset:960
	v_cmp_lt_u32_e32 vcc, 54, v0
	s_waitcnt vmcnt(10) lgkmcnt(1)
	v_fma_f64 v[125:126], v[133:134], v[125:126], 0
	s_waitcnt vmcnt(8)
	v_fma_f64 v[125:126], v[135:136], v[127:128], v[125:126]
	ds_read_b64 v[127:128], v124 offset:976
	s_waitcnt vmcnt(6) lgkmcnt(1)
	v_fma_f64 v[125:126], v[137:138], v[129:130], v[125:126]
	s_waitcnt vmcnt(4)
	v_fma_f64 v[125:126], v[139:140], v[131:132], v[125:126]
	s_waitcnt vmcnt(2) lgkmcnt(0)
	v_fma_f64 v[125:126], v[141:142], v[127:128], v[125:126]
	s_waitcnt vmcnt(0)
	v_add_f64 v[125:126], v[143:144], -v[125:126]
	buffer_store_dword v125, off, s[0:3], 0 offset:440
	buffer_store_dword v126, off, s[0:3], 0 offset:444
	s_and_saveexec_b64 s[4:5], vcc
	s_cbranch_execz .LBB60_265
; %bb.264:
	buffer_load_dword v125, off, s[0:3], 0 offset:432
	buffer_load_dword v126, off, s[0:3], 0 offset:436
	s_waitcnt vmcnt(0)
	ds_write_b64 v123, v[125:126]
	buffer_store_dword v124, off, s[0:3], 0 offset:432
	buffer_store_dword v124, off, s[0:3], 0 offset:436
.LBB60_265:
	s_or_b64 exec, exec, s[4:5]
	s_waitcnt lgkmcnt(0)
	; wave barrier
	buffer_load_dword v133, off, s[0:3], 0 offset:440
	buffer_load_dword v134, off, s[0:3], 0 offset:444
	;; [unrolled: 1-line block ×14, first 2 shown]
	ds_read2_b64 v[125:128], v124 offset0:117 offset1:118
	ds_read2_b64 v[129:132], v124 offset0:119 offset1:120
	v_cmp_lt_u32_e32 vcc, 53, v0
	s_waitcnt vmcnt(12) lgkmcnt(1)
	v_fma_f64 v[125:126], v[133:134], v[125:126], 0
	s_waitcnt vmcnt(10)
	v_fma_f64 v[125:126], v[135:136], v[127:128], v[125:126]
	s_waitcnt vmcnt(8) lgkmcnt(0)
	v_fma_f64 v[125:126], v[137:138], v[129:130], v[125:126]
	s_waitcnt vmcnt(6)
	v_fma_f64 v[128:129], v[139:140], v[131:132], v[125:126]
	ds_read2_b64 v[124:127], v124 offset0:121 offset1:122
	s_waitcnt vmcnt(4) lgkmcnt(0)
	v_fma_f64 v[124:125], v[141:142], v[124:125], v[128:129]
	s_waitcnt vmcnt(2)
	v_fma_f64 v[124:125], v[143:144], v[126:127], v[124:125]
	s_waitcnt vmcnt(0)
	v_add_f64 v[124:125], v[145:146], -v[124:125]
	buffer_store_dword v124, off, s[0:3], 0 offset:432
	buffer_store_dword v125, off, s[0:3], 0 offset:436
	s_and_saveexec_b64 s[4:5], vcc
	s_cbranch_execz .LBB60_267
; %bb.266:
	buffer_load_dword v124, off, s[0:3], 0 offset:424
	buffer_load_dword v125, off, s[0:3], 0 offset:428
	v_mov_b32_e32 v126, 0
	buffer_store_dword v126, off, s[0:3], 0 offset:424
	buffer_store_dword v126, off, s[0:3], 0 offset:428
	s_waitcnt vmcnt(2)
	ds_write_b64 v123, v[124:125]
.LBB60_267:
	s_or_b64 exec, exec, s[4:5]
	s_waitcnt lgkmcnt(0)
	; wave barrier
	buffer_load_dword v133, off, s[0:3], 0 offset:432
	buffer_load_dword v134, off, s[0:3], 0 offset:436
	;; [unrolled: 1-line block ×16, first 2 shown]
	v_mov_b32_e32 v124, 0
	ds_read_b128 v[125:128], v124 offset:928
	ds_read_b128 v[129:132], v124 offset:944
	v_cmp_lt_u32_e32 vcc, 52, v0
	s_waitcnt vmcnt(14) lgkmcnt(1)
	v_fma_f64 v[125:126], v[133:134], v[125:126], 0
	s_waitcnt vmcnt(12)
	v_fma_f64 v[125:126], v[135:136], v[127:128], v[125:126]
	s_waitcnt vmcnt(10) lgkmcnt(0)
	v_fma_f64 v[125:126], v[137:138], v[129:130], v[125:126]
	s_waitcnt vmcnt(8)
	v_fma_f64 v[129:130], v[139:140], v[131:132], v[125:126]
	ds_read_b128 v[125:128], v124 offset:960
	ds_read_b64 v[131:132], v124 offset:976
	s_waitcnt vmcnt(6) lgkmcnt(1)
	v_fma_f64 v[125:126], v[141:142], v[125:126], v[129:130]
	s_waitcnt vmcnt(4)
	v_fma_f64 v[125:126], v[143:144], v[127:128], v[125:126]
	s_waitcnt vmcnt(2) lgkmcnt(0)
	v_fma_f64 v[125:126], v[145:146], v[131:132], v[125:126]
	s_waitcnt vmcnt(0)
	v_add_f64 v[125:126], v[147:148], -v[125:126]
	buffer_store_dword v125, off, s[0:3], 0 offset:424
	buffer_store_dword v126, off, s[0:3], 0 offset:428
	s_and_saveexec_b64 s[4:5], vcc
	s_cbranch_execz .LBB60_269
; %bb.268:
	buffer_load_dword v125, off, s[0:3], 0 offset:416
	buffer_load_dword v126, off, s[0:3], 0 offset:420
	s_waitcnt vmcnt(0)
	ds_write_b64 v123, v[125:126]
	buffer_store_dword v124, off, s[0:3], 0 offset:416
	buffer_store_dword v124, off, s[0:3], 0 offset:420
.LBB60_269:
	s_or_b64 exec, exec, s[4:5]
	s_waitcnt lgkmcnt(0)
	; wave barrier
	buffer_load_dword v133, off, s[0:3], 0 offset:424
	buffer_load_dword v134, off, s[0:3], 0 offset:428
	;; [unrolled: 1-line block ×18, first 2 shown]
	ds_read2_b64 v[125:128], v124 offset0:115 offset1:116
	ds_read2_b64 v[129:132], v124 offset0:117 offset1:118
	v_cmp_lt_u32_e32 vcc, 51, v0
	s_waitcnt vmcnt(16) lgkmcnt(1)
	v_fma_f64 v[125:126], v[133:134], v[125:126], 0
	s_waitcnt vmcnt(14)
	v_fma_f64 v[125:126], v[135:136], v[127:128], v[125:126]
	s_waitcnt vmcnt(12) lgkmcnt(0)
	v_fma_f64 v[125:126], v[137:138], v[129:130], v[125:126]
	s_waitcnt vmcnt(10)
	v_fma_f64 v[133:134], v[139:140], v[131:132], v[125:126]
	ds_read2_b64 v[125:128], v124 offset0:119 offset1:120
	ds_read2_b64 v[129:132], v124 offset0:121 offset1:122
	s_waitcnt vmcnt(8) lgkmcnt(1)
	v_fma_f64 v[124:125], v[141:142], v[125:126], v[133:134]
	s_waitcnt vmcnt(6)
	v_fma_f64 v[124:125], v[143:144], v[127:128], v[124:125]
	s_waitcnt vmcnt(4) lgkmcnt(0)
	v_fma_f64 v[124:125], v[145:146], v[129:130], v[124:125]
	s_waitcnt vmcnt(2)
	v_fma_f64 v[124:125], v[147:148], v[131:132], v[124:125]
	s_waitcnt vmcnt(0)
	v_add_f64 v[124:125], v[149:150], -v[124:125]
	buffer_store_dword v124, off, s[0:3], 0 offset:416
	buffer_store_dword v125, off, s[0:3], 0 offset:420
	s_and_saveexec_b64 s[4:5], vcc
	s_cbranch_execz .LBB60_271
; %bb.270:
	buffer_load_dword v124, off, s[0:3], 0 offset:408
	buffer_load_dword v125, off, s[0:3], 0 offset:412
	v_mov_b32_e32 v126, 0
	buffer_store_dword v126, off, s[0:3], 0 offset:408
	buffer_store_dword v126, off, s[0:3], 0 offset:412
	s_waitcnt vmcnt(2)
	ds_write_b64 v123, v[124:125]
.LBB60_271:
	s_or_b64 exec, exec, s[4:5]
	s_waitcnt lgkmcnt(0)
	; wave barrier
	buffer_load_dword v133, off, s[0:3], 0 offset:416
	buffer_load_dword v134, off, s[0:3], 0 offset:420
	buffer_load_dword v135, off, s[0:3], 0 offset:424
	buffer_load_dword v136, off, s[0:3], 0 offset:428
	buffer_load_dword v137, off, s[0:3], 0 offset:432
	buffer_load_dword v138, off, s[0:3], 0 offset:436
	buffer_load_dword v139, off, s[0:3], 0 offset:440
	buffer_load_dword v140, off, s[0:3], 0 offset:444
	buffer_load_dword v141, off, s[0:3], 0 offset:448
	buffer_load_dword v142, off, s[0:3], 0 offset:452
	buffer_load_dword v143, off, s[0:3], 0 offset:456
	buffer_load_dword v144, off, s[0:3], 0 offset:460
	buffer_load_dword v145, off, s[0:3], 0 offset:464
	buffer_load_dword v146, off, s[0:3], 0 offset:468
	buffer_load_dword v148, off, s[0:3], 0 offset:476
	buffer_load_dword v149, off, s[0:3], 0 offset:480
	buffer_load_dword v147, off, s[0:3], 0 offset:472
	buffer_load_dword v150, off, s[0:3], 0 offset:484
	buffer_load_dword v151, off, s[0:3], 0 offset:408
	buffer_load_dword v152, off, s[0:3], 0 offset:412
	v_mov_b32_e32 v124, 0
	ds_read_b128 v[125:128], v124 offset:912
	ds_read_b128 v[129:132], v124 offset:928
	v_cmp_lt_u32_e32 vcc, 50, v0
	s_waitcnt vmcnt(18) lgkmcnt(1)
	v_fma_f64 v[125:126], v[133:134], v[125:126], 0
	s_waitcnt vmcnt(16)
	v_fma_f64 v[125:126], v[135:136], v[127:128], v[125:126]
	s_waitcnt vmcnt(14) lgkmcnt(0)
	v_fma_f64 v[125:126], v[137:138], v[129:130], v[125:126]
	s_waitcnt vmcnt(12)
	v_fma_f64 v[133:134], v[139:140], v[131:132], v[125:126]
	ds_read_b128 v[125:128], v124 offset:944
	ds_read_b128 v[129:132], v124 offset:960
	s_waitcnt vmcnt(10) lgkmcnt(1)
	v_fma_f64 v[125:126], v[141:142], v[125:126], v[133:134]
	s_waitcnt vmcnt(8)
	v_fma_f64 v[125:126], v[143:144], v[127:128], v[125:126]
	ds_read_b64 v[127:128], v124 offset:976
	s_waitcnt vmcnt(6) lgkmcnt(1)
	v_fma_f64 v[125:126], v[145:146], v[129:130], v[125:126]
	s_waitcnt vmcnt(3)
	v_fma_f64 v[125:126], v[147:148], v[131:132], v[125:126]
	s_waitcnt vmcnt(2) lgkmcnt(0)
	v_fma_f64 v[125:126], v[149:150], v[127:128], v[125:126]
	s_waitcnt vmcnt(0)
	v_add_f64 v[125:126], v[151:152], -v[125:126]
	buffer_store_dword v125, off, s[0:3], 0 offset:408
	buffer_store_dword v126, off, s[0:3], 0 offset:412
	s_and_saveexec_b64 s[4:5], vcc
	s_cbranch_execz .LBB60_273
; %bb.272:
	buffer_load_dword v125, off, s[0:3], 0 offset:400
	buffer_load_dword v126, off, s[0:3], 0 offset:404
	s_waitcnt vmcnt(0)
	ds_write_b64 v123, v[125:126]
	buffer_store_dword v124, off, s[0:3], 0 offset:400
	buffer_store_dword v124, off, s[0:3], 0 offset:404
.LBB60_273:
	s_or_b64 exec, exec, s[4:5]
	s_waitcnt lgkmcnt(0)
	; wave barrier
	buffer_load_dword v133, off, s[0:3], 0 offset:408
	buffer_load_dword v134, off, s[0:3], 0 offset:412
	;; [unrolled: 1-line block ×20, first 2 shown]
	ds_read2_b64 v[125:128], v124 offset0:113 offset1:114
	buffer_load_dword v153, off, s[0:3], 0 offset:400
	buffer_load_dword v154, off, s[0:3], 0 offset:404
	ds_read2_b64 v[129:132], v124 offset0:115 offset1:116
	v_cmp_lt_u32_e32 vcc, 49, v0
	s_waitcnt vmcnt(20) lgkmcnt(1)
	v_fma_f64 v[125:126], v[133:134], v[125:126], 0
	s_waitcnt vmcnt(18)
	v_fma_f64 v[125:126], v[135:136], v[127:128], v[125:126]
	s_waitcnt vmcnt(16) lgkmcnt(0)
	v_fma_f64 v[125:126], v[137:138], v[129:130], v[125:126]
	s_waitcnt vmcnt(14)
	v_fma_f64 v[133:134], v[139:140], v[131:132], v[125:126]
	ds_read2_b64 v[125:128], v124 offset0:117 offset1:118
	ds_read2_b64 v[129:132], v124 offset0:119 offset1:120
	s_waitcnt vmcnt(12) lgkmcnt(1)
	v_fma_f64 v[125:126], v[141:142], v[125:126], v[133:134]
	s_waitcnt vmcnt(10)
	v_fma_f64 v[125:126], v[143:144], v[127:128], v[125:126]
	s_waitcnt vmcnt(8) lgkmcnt(0)
	v_fma_f64 v[125:126], v[145:146], v[129:130], v[125:126]
	s_waitcnt vmcnt(4)
	v_fma_f64 v[128:129], v[147:148], v[131:132], v[125:126]
	ds_read2_b64 v[124:127], v124 offset0:121 offset1:122
	s_waitcnt vmcnt(3) lgkmcnt(0)
	v_fma_f64 v[124:125], v[151:152], v[124:125], v[128:129]
	s_waitcnt vmcnt(2)
	v_fma_f64 v[124:125], v[149:150], v[126:127], v[124:125]
	s_waitcnt vmcnt(0)
	v_add_f64 v[124:125], v[153:154], -v[124:125]
	buffer_store_dword v124, off, s[0:3], 0 offset:400
	buffer_store_dword v125, off, s[0:3], 0 offset:404
	s_and_saveexec_b64 s[4:5], vcc
	s_cbranch_execz .LBB60_275
; %bb.274:
	buffer_load_dword v124, off, s[0:3], 0 offset:392
	buffer_load_dword v125, off, s[0:3], 0 offset:396
	v_mov_b32_e32 v126, 0
	buffer_store_dword v126, off, s[0:3], 0 offset:392
	buffer_store_dword v126, off, s[0:3], 0 offset:396
	s_waitcnt vmcnt(2)
	ds_write_b64 v123, v[124:125]
.LBB60_275:
	s_or_b64 exec, exec, s[4:5]
	s_waitcnt lgkmcnt(0)
	; wave barrier
	buffer_load_dword v133, off, s[0:3], 0 offset:400
	buffer_load_dword v134, off, s[0:3], 0 offset:404
	;; [unrolled: 1-line block ×21, first 2 shown]
	v_mov_b32_e32 v124, 0
	ds_read_b128 v[125:128], v124 offset:896
	ds_read_b128 v[129:132], v124 offset:912
	buffer_load_dword v150, off, s[0:3], 0 offset:484
	v_cmp_lt_u32_e32 vcc, 48, v0
	s_waitcnt vmcnt(20) lgkmcnt(1)
	v_fma_f64 v[125:126], v[133:134], v[125:126], 0
	buffer_load_dword v133, off, s[0:3], 0 offset:392
	buffer_load_dword v134, off, s[0:3], 0 offset:396
	s_waitcnt vmcnt(20)
	v_fma_f64 v[125:126], v[135:136], v[127:128], v[125:126]
	s_waitcnt vmcnt(18) lgkmcnt(0)
	v_fma_f64 v[125:126], v[137:138], v[129:130], v[125:126]
	s_waitcnt vmcnt(16)
	v_fma_f64 v[135:136], v[139:140], v[131:132], v[125:126]
	ds_read_b128 v[125:128], v124 offset:928
	ds_read_b128 v[129:132], v124 offset:944
	s_waitcnt vmcnt(14) lgkmcnt(1)
	v_fma_f64 v[125:126], v[141:142], v[125:126], v[135:136]
	s_waitcnt vmcnt(12)
	v_fma_f64 v[125:126], v[143:144], v[127:128], v[125:126]
	s_waitcnt vmcnt(10) lgkmcnt(0)
	v_fma_f64 v[125:126], v[145:146], v[129:130], v[125:126]
	s_waitcnt vmcnt(5)
	v_fma_f64 v[129:130], v[147:148], v[131:132], v[125:126]
	ds_read_b128 v[125:128], v124 offset:960
	ds_read_b64 v[131:132], v124 offset:976
	s_waitcnt vmcnt(4) lgkmcnt(1)
	v_fma_f64 v[125:126], v[153:154], v[125:126], v[129:130]
	s_waitcnt vmcnt(3)
	v_fma_f64 v[125:126], v[151:152], v[127:128], v[125:126]
	s_waitcnt vmcnt(2) lgkmcnt(0)
	v_fma_f64 v[125:126], v[149:150], v[131:132], v[125:126]
	s_waitcnt vmcnt(0)
	v_add_f64 v[125:126], v[133:134], -v[125:126]
	buffer_store_dword v126, off, s[0:3], 0 offset:396
	buffer_store_dword v125, off, s[0:3], 0 offset:392
	s_and_saveexec_b64 s[4:5], vcc
	s_cbranch_execz .LBB60_277
; %bb.276:
	buffer_load_dword v125, off, s[0:3], 0 offset:384
	buffer_load_dword v126, off, s[0:3], 0 offset:388
	s_waitcnt vmcnt(0)
	ds_write_b64 v123, v[125:126]
	buffer_store_dword v124, off, s[0:3], 0 offset:384
	buffer_store_dword v124, off, s[0:3], 0 offset:388
.LBB60_277:
	s_or_b64 exec, exec, s[4:5]
	s_waitcnt lgkmcnt(0)
	; wave barrier
	buffer_load_dword v133, off, s[0:3], 0 offset:392
	buffer_load_dword v134, off, s[0:3], 0 offset:396
	;; [unrolled: 1-line block ×21, first 2 shown]
	ds_read2_b64 v[125:128], v124 offset0:111 offset1:112
	ds_read2_b64 v[129:132], v124 offset0:113 offset1:114
	buffer_load_dword v150, off, s[0:3], 0 offset:476
	v_cmp_lt_u32_e32 vcc, 47, v0
	s_waitcnt vmcnt(20) lgkmcnt(1)
	v_fma_f64 v[125:126], v[133:134], v[125:126], 0
	buffer_load_dword v134, off, s[0:3], 0 offset:484
	buffer_load_dword v133, off, s[0:3], 0 offset:480
	s_waitcnt vmcnt(20)
	v_fma_f64 v[125:126], v[135:136], v[127:128], v[125:126]
	buffer_load_dword v135, off, s[0:3], 0 offset:384
	buffer_load_dword v136, off, s[0:3], 0 offset:388
	s_waitcnt vmcnt(20) lgkmcnt(0)
	v_fma_f64 v[125:126], v[137:138], v[129:130], v[125:126]
	s_waitcnt vmcnt(18)
	v_fma_f64 v[137:138], v[139:140], v[131:132], v[125:126]
	ds_read2_b64 v[125:128], v124 offset0:115 offset1:116
	ds_read2_b64 v[129:132], v124 offset0:117 offset1:118
	s_waitcnt vmcnt(16) lgkmcnt(1)
	v_fma_f64 v[125:126], v[141:142], v[125:126], v[137:138]
	s_waitcnt vmcnt(14)
	v_fma_f64 v[125:126], v[143:144], v[127:128], v[125:126]
	s_waitcnt vmcnt(12) lgkmcnt(0)
	v_fma_f64 v[125:126], v[145:146], v[129:130], v[125:126]
	s_waitcnt vmcnt(7)
	v_fma_f64 v[137:138], v[147:148], v[131:132], v[125:126]
	ds_read2_b64 v[125:128], v124 offset0:119 offset1:120
	ds_read2_b64 v[129:132], v124 offset0:121 offset1:122
	s_waitcnt vmcnt(6) lgkmcnt(1)
	v_fma_f64 v[124:125], v[153:154], v[125:126], v[137:138]
	s_waitcnt vmcnt(5)
	v_fma_f64 v[124:125], v[151:152], v[127:128], v[124:125]
	s_waitcnt vmcnt(4) lgkmcnt(0)
	v_fma_f64 v[124:125], v[149:150], v[129:130], v[124:125]
	s_waitcnt vmcnt(2)
	v_fma_f64 v[124:125], v[133:134], v[131:132], v[124:125]
	s_waitcnt vmcnt(0)
	v_add_f64 v[124:125], v[135:136], -v[124:125]
	buffer_store_dword v125, off, s[0:3], 0 offset:388
	buffer_store_dword v124, off, s[0:3], 0 offset:384
	s_and_saveexec_b64 s[4:5], vcc
	s_cbranch_execz .LBB60_279
; %bb.278:
	buffer_load_dword v124, off, s[0:3], 0 offset:376
	buffer_load_dword v125, off, s[0:3], 0 offset:380
	v_mov_b32_e32 v126, 0
	buffer_store_dword v126, off, s[0:3], 0 offset:376
	buffer_store_dword v126, off, s[0:3], 0 offset:380
	s_waitcnt vmcnt(2)
	ds_write_b64 v123, v[124:125]
.LBB60_279:
	s_or_b64 exec, exec, s[4:5]
	s_waitcnt lgkmcnt(0)
	; wave barrier
	buffer_load_dword v133, off, s[0:3], 0 offset:384
	buffer_load_dword v134, off, s[0:3], 0 offset:388
	;; [unrolled: 1-line block ×21, first 2 shown]
	v_mov_b32_e32 v124, 0
	ds_read_b128 v[125:128], v124 offset:880
	ds_read_b128 v[129:132], v124 offset:896
	buffer_load_dword v150, off, s[0:3], 0 offset:468
	v_cmp_lt_u32_e32 vcc, 46, v0
	s_waitcnt vmcnt(20) lgkmcnt(1)
	v_fma_f64 v[125:126], v[133:134], v[125:126], 0
	s_waitcnt vmcnt(18)
	v_fma_f64 v[125:126], v[135:136], v[127:128], v[125:126]
	buffer_load_dword v134, off, s[0:3], 0 offset:476
	buffer_load_dword v135, off, s[0:3], 0 offset:480
	;; [unrolled: 1-line block ×4, first 2 shown]
	s_waitcnt vmcnt(20) lgkmcnt(0)
	v_fma_f64 v[125:126], v[137:138], v[129:130], v[125:126]
	buffer_load_dword v137, off, s[0:3], 0 offset:376
	buffer_load_dword v138, off, s[0:3], 0 offset:380
	s_waitcnt vmcnt(20)
	v_fma_f64 v[139:140], v[139:140], v[131:132], v[125:126]
	ds_read_b128 v[125:128], v124 offset:912
	ds_read_b128 v[129:132], v124 offset:928
	s_waitcnt vmcnt(18) lgkmcnt(1)
	v_fma_f64 v[125:126], v[141:142], v[125:126], v[139:140]
	s_waitcnt vmcnt(16)
	v_fma_f64 v[125:126], v[143:144], v[127:128], v[125:126]
	s_waitcnt vmcnt(14) lgkmcnt(0)
	v_fma_f64 v[125:126], v[145:146], v[129:130], v[125:126]
	s_waitcnt vmcnt(9)
	v_fma_f64 v[139:140], v[147:148], v[131:132], v[125:126]
	ds_read_b128 v[125:128], v124 offset:944
	ds_read_b128 v[129:132], v124 offset:960
	s_waitcnt vmcnt(8) lgkmcnt(1)
	v_fma_f64 v[125:126], v[153:154], v[125:126], v[139:140]
	s_waitcnt vmcnt(7)
	v_fma_f64 v[125:126], v[151:152], v[127:128], v[125:126]
	ds_read_b64 v[127:128], v124 offset:976
	s_waitcnt vmcnt(6) lgkmcnt(1)
	v_fma_f64 v[125:126], v[149:150], v[129:130], v[125:126]
	s_waitcnt vmcnt(3)
	v_fma_f64 v[125:126], v[133:134], v[131:132], v[125:126]
	s_waitcnt vmcnt(2) lgkmcnt(0)
	v_fma_f64 v[125:126], v[135:136], v[127:128], v[125:126]
	s_waitcnt vmcnt(0)
	v_add_f64 v[125:126], v[137:138], -v[125:126]
	buffer_store_dword v126, off, s[0:3], 0 offset:380
	buffer_store_dword v125, off, s[0:3], 0 offset:376
	s_and_saveexec_b64 s[4:5], vcc
	s_cbranch_execz .LBB60_281
; %bb.280:
	buffer_load_dword v125, off, s[0:3], 0 offset:368
	buffer_load_dword v126, off, s[0:3], 0 offset:372
	s_waitcnt vmcnt(0)
	ds_write_b64 v123, v[125:126]
	buffer_store_dword v124, off, s[0:3], 0 offset:368
	buffer_store_dword v124, off, s[0:3], 0 offset:372
.LBB60_281:
	s_or_b64 exec, exec, s[4:5]
	s_waitcnt lgkmcnt(0)
	; wave barrier
	buffer_load_dword v133, off, s[0:3], 0 offset:376
	buffer_load_dword v134, off, s[0:3], 0 offset:380
	;; [unrolled: 1-line block ×22, first 2 shown]
	ds_read2_b64 v[125:128], v124 offset0:109 offset1:110
	ds_read2_b64 v[129:132], v124 offset0:111 offset1:112
	v_cmp_lt_u32_e32 vcc, 45, v0
	s_waitcnt vmcnt(20) lgkmcnt(1)
	v_fma_f64 v[125:126], v[133:134], v[125:126], 0
	s_waitcnt vmcnt(18)
	v_fma_f64 v[125:126], v[135:136], v[127:128], v[125:126]
	buffer_load_dword v134, off, s[0:3], 0 offset:468
	buffer_load_dword v135, off, s[0:3], 0 offset:480
	;; [unrolled: 1-line block ×6, first 2 shown]
	s_waitcnt vmcnt(22) lgkmcnt(0)
	v_fma_f64 v[125:126], v[137:138], v[129:130], v[125:126]
	s_waitcnt vmcnt(20)
	v_fma_f64 v[137:138], v[139:140], v[131:132], v[125:126]
	ds_read2_b64 v[125:128], v124 offset0:113 offset1:114
	buffer_load_dword v139, off, s[0:3], 0 offset:368
	buffer_load_dword v140, off, s[0:3], 0 offset:372
	ds_read2_b64 v[129:132], v124 offset0:115 offset1:116
	s_waitcnt vmcnt(20) lgkmcnt(1)
	v_fma_f64 v[125:126], v[141:142], v[125:126], v[137:138]
	s_waitcnt vmcnt(18)
	v_fma_f64 v[125:126], v[143:144], v[127:128], v[125:126]
	s_waitcnt vmcnt(16) lgkmcnt(0)
	v_fma_f64 v[125:126], v[145:146], v[129:130], v[125:126]
	s_waitcnt vmcnt(11)
	v_fma_f64 v[137:138], v[147:148], v[131:132], v[125:126]
	ds_read2_b64 v[125:128], v124 offset0:117 offset1:118
	ds_read2_b64 v[129:132], v124 offset0:119 offset1:120
	s_waitcnt vmcnt(10) lgkmcnt(1)
	v_fma_f64 v[125:126], v[153:154], v[125:126], v[137:138]
	s_waitcnt vmcnt(9)
	v_fma_f64 v[125:126], v[151:152], v[127:128], v[125:126]
	s_waitcnt vmcnt(8) lgkmcnt(0)
	v_fma_f64 v[125:126], v[149:150], v[129:130], v[125:126]
	s_waitcnt vmcnt(4)
	v_fma_f64 v[128:129], v[133:134], v[131:132], v[125:126]
	ds_read2_b64 v[124:127], v124 offset0:121 offset1:122
	s_waitcnt vmcnt(3) lgkmcnt(0)
	v_fma_f64 v[124:125], v[155:156], v[124:125], v[128:129]
	s_waitcnt vmcnt(2)
	v_fma_f64 v[124:125], v[135:136], v[126:127], v[124:125]
	s_waitcnt vmcnt(0)
	v_add_f64 v[124:125], v[139:140], -v[124:125]
	buffer_store_dword v125, off, s[0:3], 0 offset:372
	buffer_store_dword v124, off, s[0:3], 0 offset:368
	s_and_saveexec_b64 s[4:5], vcc
	s_cbranch_execz .LBB60_283
; %bb.282:
	buffer_load_dword v124, off, s[0:3], 0 offset:360
	buffer_load_dword v125, off, s[0:3], 0 offset:364
	v_mov_b32_e32 v126, 0
	buffer_store_dword v126, off, s[0:3], 0 offset:360
	buffer_store_dword v126, off, s[0:3], 0 offset:364
	s_waitcnt vmcnt(2)
	ds_write_b64 v123, v[124:125]
.LBB60_283:
	s_or_b64 exec, exec, s[4:5]
	s_waitcnt lgkmcnt(0)
	; wave barrier
	buffer_load_dword v133, off, s[0:3], 0 offset:368
	buffer_load_dword v134, off, s[0:3], 0 offset:372
	;; [unrolled: 1-line block ×22, first 2 shown]
	v_mov_b32_e32 v124, 0
	ds_read_b128 v[125:128], v124 offset:864
	ds_read_b128 v[129:132], v124 offset:880
	v_cmp_lt_u32_e32 vcc, 44, v0
	s_waitcnt vmcnt(20) lgkmcnt(1)
	v_fma_f64 v[125:126], v[133:134], v[125:126], 0
	s_waitcnt vmcnt(18)
	v_fma_f64 v[125:126], v[135:136], v[127:128], v[125:126]
	buffer_load_dword v134, off, s[0:3], 0 offset:460
	buffer_load_dword v135, off, s[0:3], 0 offset:480
	;; [unrolled: 1-line block ×8, first 2 shown]
	s_waitcnt vmcnt(24) lgkmcnt(0)
	v_fma_f64 v[125:126], v[137:138], v[129:130], v[125:126]
	s_waitcnt vmcnt(22)
	v_fma_f64 v[137:138], v[139:140], v[131:132], v[125:126]
	ds_read_b128 v[125:128], v124 offset:896
	ds_read_b128 v[129:132], v124 offset:912
	s_waitcnt vmcnt(20) lgkmcnt(1)
	v_fma_f64 v[125:126], v[141:142], v[125:126], v[137:138]
	buffer_load_dword v137, off, s[0:3], 0 offset:360
	buffer_load_dword v138, off, s[0:3], 0 offset:364
	s_waitcnt vmcnt(20)
	v_fma_f64 v[125:126], v[143:144], v[127:128], v[125:126]
	s_waitcnt vmcnt(18) lgkmcnt(0)
	v_fma_f64 v[125:126], v[145:146], v[129:130], v[125:126]
	s_waitcnt vmcnt(13)
	v_fma_f64 v[139:140], v[147:148], v[131:132], v[125:126]
	ds_read_b128 v[125:128], v124 offset:928
	ds_read_b128 v[129:132], v124 offset:944
	s_waitcnt vmcnt(12) lgkmcnt(1)
	v_fma_f64 v[125:126], v[153:154], v[125:126], v[139:140]
	s_waitcnt vmcnt(11)
	v_fma_f64 v[125:126], v[151:152], v[127:128], v[125:126]
	s_waitcnt vmcnt(10) lgkmcnt(0)
	v_fma_f64 v[125:126], v[149:150], v[129:130], v[125:126]
	s_waitcnt vmcnt(5)
	v_fma_f64 v[129:130], v[133:134], v[131:132], v[125:126]
	ds_read_b128 v[125:128], v124 offset:960
	ds_read_b64 v[131:132], v124 offset:976
	s_waitcnt vmcnt(4) lgkmcnt(1)
	v_fma_f64 v[125:126], v[157:158], v[125:126], v[129:130]
	s_waitcnt vmcnt(3)
	v_fma_f64 v[125:126], v[155:156], v[127:128], v[125:126]
	s_waitcnt vmcnt(2) lgkmcnt(0)
	v_fma_f64 v[125:126], v[135:136], v[131:132], v[125:126]
	s_waitcnt vmcnt(0)
	v_add_f64 v[125:126], v[137:138], -v[125:126]
	buffer_store_dword v126, off, s[0:3], 0 offset:364
	buffer_store_dword v125, off, s[0:3], 0 offset:360
	s_and_saveexec_b64 s[4:5], vcc
	s_cbranch_execz .LBB60_285
; %bb.284:
	buffer_load_dword v125, off, s[0:3], 0 offset:352
	buffer_load_dword v126, off, s[0:3], 0 offset:356
	s_waitcnt vmcnt(0)
	ds_write_b64 v123, v[125:126]
	buffer_store_dword v124, off, s[0:3], 0 offset:352
	buffer_store_dword v124, off, s[0:3], 0 offset:356
.LBB60_285:
	s_or_b64 exec, exec, s[4:5]
	s_waitcnt lgkmcnt(0)
	; wave barrier
	buffer_load_dword v133, off, s[0:3], 0 offset:360
	buffer_load_dword v134, off, s[0:3], 0 offset:364
	;; [unrolled: 1-line block ×22, first 2 shown]
	ds_read2_b64 v[125:128], v124 offset0:107 offset1:108
	ds_read2_b64 v[129:132], v124 offset0:109 offset1:110
	v_cmp_lt_u32_e32 vcc, 43, v0
	s_waitcnt vmcnt(20) lgkmcnt(1)
	v_fma_f64 v[125:126], v[133:134], v[125:126], 0
	s_waitcnt vmcnt(18)
	v_fma_f64 v[125:126], v[135:136], v[127:128], v[125:126]
	buffer_load_dword v134, off, s[0:3], 0 offset:452
	buffer_load_dword v135, off, s[0:3], 0 offset:472
	;; [unrolled: 1-line block ×8, first 2 shown]
	s_waitcnt vmcnt(24) lgkmcnt(0)
	v_fma_f64 v[125:126], v[137:138], v[129:130], v[125:126]
	s_waitcnt vmcnt(22)
	v_fma_f64 v[137:138], v[139:140], v[131:132], v[125:126]
	ds_read2_b64 v[125:128], v124 offset0:111 offset1:112
	ds_read2_b64 v[129:132], v124 offset0:113 offset1:114
	s_waitcnt vmcnt(20) lgkmcnt(1)
	v_fma_f64 v[125:126], v[141:142], v[125:126], v[137:138]
	buffer_load_dword v138, off, s[0:3], 0 offset:484
	buffer_load_dword v137, off, s[0:3], 0 offset:480
	buffer_load_dword v139, off, s[0:3], 0 offset:352
	buffer_load_dword v140, off, s[0:3], 0 offset:356
	s_waitcnt vmcnt(22)
	v_fma_f64 v[125:126], v[143:144], v[127:128], v[125:126]
	s_waitcnt vmcnt(20) lgkmcnt(0)
	v_fma_f64 v[125:126], v[145:146], v[129:130], v[125:126]
	s_waitcnt vmcnt(15)
	v_fma_f64 v[141:142], v[147:148], v[131:132], v[125:126]
	ds_read2_b64 v[125:128], v124 offset0:115 offset1:116
	ds_read2_b64 v[129:132], v124 offset0:117 offset1:118
	s_waitcnt vmcnt(14) lgkmcnt(1)
	v_fma_f64 v[125:126], v[153:154], v[125:126], v[141:142]
	s_waitcnt vmcnt(13)
	v_fma_f64 v[125:126], v[151:152], v[127:128], v[125:126]
	s_waitcnt vmcnt(12) lgkmcnt(0)
	v_fma_f64 v[125:126], v[149:150], v[129:130], v[125:126]
	s_waitcnt vmcnt(7)
	v_fma_f64 v[133:134], v[133:134], v[131:132], v[125:126]
	ds_read2_b64 v[125:128], v124 offset0:119 offset1:120
	ds_read2_b64 v[129:132], v124 offset0:121 offset1:122
	s_waitcnt vmcnt(6) lgkmcnt(1)
	v_fma_f64 v[124:125], v[157:158], v[125:126], v[133:134]
	s_waitcnt vmcnt(5)
	v_fma_f64 v[124:125], v[155:156], v[127:128], v[124:125]
	s_waitcnt vmcnt(4) lgkmcnt(0)
	v_fma_f64 v[124:125], v[135:136], v[129:130], v[124:125]
	s_waitcnt vmcnt(2)
	v_fma_f64 v[124:125], v[137:138], v[131:132], v[124:125]
	s_waitcnt vmcnt(0)
	v_add_f64 v[124:125], v[139:140], -v[124:125]
	buffer_store_dword v125, off, s[0:3], 0 offset:356
	buffer_store_dword v124, off, s[0:3], 0 offset:352
	s_and_saveexec_b64 s[4:5], vcc
	s_cbranch_execz .LBB60_287
; %bb.286:
	buffer_load_dword v124, off, s[0:3], 0 offset:344
	buffer_load_dword v125, off, s[0:3], 0 offset:348
	v_mov_b32_e32 v126, 0
	buffer_store_dword v126, off, s[0:3], 0 offset:344
	buffer_store_dword v126, off, s[0:3], 0 offset:348
	s_waitcnt vmcnt(2)
	ds_write_b64 v123, v[124:125]
.LBB60_287:
	s_or_b64 exec, exec, s[4:5]
	s_waitcnt lgkmcnt(0)
	; wave barrier
	buffer_load_dword v133, off, s[0:3], 0 offset:352
	buffer_load_dword v134, off, s[0:3], 0 offset:356
	;; [unrolled: 1-line block ×22, first 2 shown]
	v_mov_b32_e32 v124, 0
	ds_read_b128 v[125:128], v124 offset:848
	ds_read_b128 v[129:132], v124 offset:864
	v_cmp_lt_u32_e32 vcc, 42, v0
	s_waitcnt vmcnt(20) lgkmcnt(1)
	v_fma_f64 v[125:126], v[133:134], v[125:126], 0
	s_waitcnt vmcnt(18)
	v_fma_f64 v[125:126], v[135:136], v[127:128], v[125:126]
	buffer_load_dword v134, off, s[0:3], 0 offset:444
	buffer_load_dword v135, off, s[0:3], 0 offset:464
	;; [unrolled: 1-line block ×7, first 2 shown]
	s_waitcnt vmcnt(23) lgkmcnt(0)
	v_fma_f64 v[125:126], v[137:138], v[129:130], v[125:126]
	s_waitcnt vmcnt(21)
	v_fma_f64 v[136:137], v[139:140], v[131:132], v[125:126]
	ds_read_b128 v[125:128], v124 offset:880
	ds_read_b128 v[129:132], v124 offset:896
	s_waitcnt vmcnt(19) lgkmcnt(1)
	v_fma_f64 v[125:126], v[141:142], v[125:126], v[136:137]
	buffer_load_dword v136, off, s[0:3], 0 offset:468
	buffer_load_dword v138, off, s[0:3], 0 offset:476
	;; [unrolled: 1-line block ×7, first 2 shown]
	s_waitcnt vmcnt(24)
	v_fma_f64 v[125:126], v[143:144], v[127:128], v[125:126]
	s_waitcnt vmcnt(22) lgkmcnt(0)
	v_fma_f64 v[125:126], v[145:146], v[129:130], v[125:126]
	s_waitcnt vmcnt(17)
	v_fma_f64 v[143:144], v[147:148], v[131:132], v[125:126]
	ds_read_b128 v[125:128], v124 offset:912
	ds_read_b128 v[129:132], v124 offset:928
	s_waitcnt vmcnt(16) lgkmcnt(1)
	v_fma_f64 v[125:126], v[153:154], v[125:126], v[143:144]
	s_waitcnt vmcnt(15)
	v_fma_f64 v[125:126], v[151:152], v[127:128], v[125:126]
	s_waitcnt vmcnt(14) lgkmcnt(0)
	v_fma_f64 v[125:126], v[149:150], v[129:130], v[125:126]
	s_waitcnt vmcnt(9)
	v_fma_f64 v[133:134], v[133:134], v[131:132], v[125:126]
	ds_read_b128 v[125:128], v124 offset:944
	ds_read_b128 v[129:132], v124 offset:960
	s_waitcnt vmcnt(8) lgkmcnt(1)
	v_fma_f64 v[125:126], v[157:158], v[125:126], v[133:134]
	s_waitcnt vmcnt(7)
	v_fma_f64 v[125:126], v[155:156], v[127:128], v[125:126]
	ds_read_b64 v[127:128], v124 offset:976
	s_waitcnt vmcnt(6) lgkmcnt(1)
	v_fma_f64 v[125:126], v[135:136], v[129:130], v[125:126]
	s_waitcnt vmcnt(3)
	v_fma_f64 v[125:126], v[137:138], v[131:132], v[125:126]
	s_waitcnt vmcnt(2) lgkmcnt(0)
	v_fma_f64 v[125:126], v[139:140], v[127:128], v[125:126]
	s_waitcnt vmcnt(0)
	v_add_f64 v[125:126], v[141:142], -v[125:126]
	buffer_store_dword v126, off, s[0:3], 0 offset:348
	buffer_store_dword v125, off, s[0:3], 0 offset:344
	s_and_saveexec_b64 s[4:5], vcc
	s_cbranch_execz .LBB60_289
; %bb.288:
	buffer_load_dword v125, off, s[0:3], 0 offset:336
	buffer_load_dword v126, off, s[0:3], 0 offset:340
	s_waitcnt vmcnt(0)
	ds_write_b64 v123, v[125:126]
	buffer_store_dword v124, off, s[0:3], 0 offset:336
	buffer_store_dword v124, off, s[0:3], 0 offset:340
.LBB60_289:
	s_or_b64 exec, exec, s[4:5]
	s_waitcnt lgkmcnt(0)
	; wave barrier
	buffer_load_dword v133, off, s[0:3], 0 offset:344
	buffer_load_dword v134, off, s[0:3], 0 offset:348
	;; [unrolled: 1-line block ×22, first 2 shown]
	ds_read2_b64 v[125:128], v124 offset0:105 offset1:106
	ds_read2_b64 v[129:132], v124 offset0:107 offset1:108
	v_cmp_lt_u32_e32 vcc, 41, v0
	s_waitcnt vmcnt(20) lgkmcnt(1)
	v_fma_f64 v[125:126], v[133:134], v[125:126], 0
	s_waitcnt vmcnt(18)
	v_fma_f64 v[125:126], v[135:136], v[127:128], v[125:126]
	buffer_load_dword v134, off, s[0:3], 0 offset:436
	buffer_load_dword v135, off, s[0:3], 0 offset:456
	;; [unrolled: 1-line block ×7, first 2 shown]
	s_waitcnt vmcnt(23) lgkmcnt(0)
	v_fma_f64 v[125:126], v[137:138], v[129:130], v[125:126]
	s_waitcnt vmcnt(21)
	v_fma_f64 v[136:137], v[139:140], v[131:132], v[125:126]
	ds_read2_b64 v[125:128], v124 offset0:109 offset1:110
	ds_read2_b64 v[129:132], v124 offset0:111 offset1:112
	s_waitcnt vmcnt(19) lgkmcnt(1)
	v_fma_f64 v[125:126], v[141:142], v[125:126], v[136:137]
	buffer_load_dword v136, off, s[0:3], 0 offset:460
	buffer_load_dword v138, off, s[0:3], 0 offset:468
	;; [unrolled: 1-line block ×7, first 2 shown]
	s_waitcnt vmcnt(24)
	v_fma_f64 v[125:126], v[143:144], v[127:128], v[125:126]
	s_waitcnt vmcnt(22) lgkmcnt(0)
	v_fma_f64 v[125:126], v[145:146], v[129:130], v[125:126]
	s_waitcnt vmcnt(17)
	v_fma_f64 v[143:144], v[147:148], v[131:132], v[125:126]
	ds_read2_b64 v[125:128], v124 offset0:113 offset1:114
	buffer_load_dword v145, off, s[0:3], 0 offset:336
	buffer_load_dword v146, off, s[0:3], 0 offset:340
	ds_read2_b64 v[129:132], v124 offset0:115 offset1:116
	s_waitcnt vmcnt(18) lgkmcnt(1)
	v_fma_f64 v[125:126], v[153:154], v[125:126], v[143:144]
	s_waitcnt vmcnt(17)
	v_fma_f64 v[125:126], v[151:152], v[127:128], v[125:126]
	s_waitcnt vmcnt(16) lgkmcnt(0)
	v_fma_f64 v[125:126], v[149:150], v[129:130], v[125:126]
	s_waitcnt vmcnt(11)
	v_fma_f64 v[133:134], v[133:134], v[131:132], v[125:126]
	ds_read2_b64 v[125:128], v124 offset0:117 offset1:118
	ds_read2_b64 v[129:132], v124 offset0:119 offset1:120
	s_waitcnt vmcnt(10) lgkmcnt(1)
	v_fma_f64 v[125:126], v[157:158], v[125:126], v[133:134]
	s_waitcnt vmcnt(9)
	v_fma_f64 v[125:126], v[155:156], v[127:128], v[125:126]
	s_waitcnt vmcnt(8) lgkmcnt(0)
	v_fma_f64 v[125:126], v[135:136], v[129:130], v[125:126]
	s_waitcnt vmcnt(4)
	v_fma_f64 v[128:129], v[137:138], v[131:132], v[125:126]
	ds_read2_b64 v[124:127], v124 offset0:121 offset1:122
	s_waitcnt vmcnt(3) lgkmcnt(0)
	v_fma_f64 v[124:125], v[141:142], v[124:125], v[128:129]
	s_waitcnt vmcnt(2)
	v_fma_f64 v[124:125], v[139:140], v[126:127], v[124:125]
	s_waitcnt vmcnt(0)
	v_add_f64 v[124:125], v[145:146], -v[124:125]
	buffer_store_dword v125, off, s[0:3], 0 offset:340
	buffer_store_dword v124, off, s[0:3], 0 offset:336
	s_and_saveexec_b64 s[4:5], vcc
	s_cbranch_execz .LBB60_291
; %bb.290:
	buffer_load_dword v124, off, s[0:3], 0 offset:328
	buffer_load_dword v125, off, s[0:3], 0 offset:332
	v_mov_b32_e32 v126, 0
	buffer_store_dword v126, off, s[0:3], 0 offset:328
	buffer_store_dword v126, off, s[0:3], 0 offset:332
	s_waitcnt vmcnt(2)
	ds_write_b64 v123, v[124:125]
.LBB60_291:
	s_or_b64 exec, exec, s[4:5]
	s_waitcnt lgkmcnt(0)
	; wave barrier
	buffer_load_dword v133, off, s[0:3], 0 offset:336
	buffer_load_dword v134, off, s[0:3], 0 offset:340
	;; [unrolled: 1-line block ×22, first 2 shown]
	v_mov_b32_e32 v124, 0
	ds_read_b128 v[125:128], v124 offset:832
	ds_read_b128 v[129:132], v124 offset:848
	v_cmp_lt_u32_e32 vcc, 40, v0
	s_waitcnt vmcnt(20) lgkmcnt(1)
	v_fma_f64 v[125:126], v[133:134], v[125:126], 0
	s_waitcnt vmcnt(18)
	v_fma_f64 v[125:126], v[135:136], v[127:128], v[125:126]
	buffer_load_dword v134, off, s[0:3], 0 offset:428
	buffer_load_dword v135, off, s[0:3], 0 offset:448
	;; [unrolled: 1-line block ×7, first 2 shown]
	s_waitcnt vmcnt(23) lgkmcnt(0)
	v_fma_f64 v[125:126], v[137:138], v[129:130], v[125:126]
	s_waitcnt vmcnt(21)
	v_fma_f64 v[136:137], v[139:140], v[131:132], v[125:126]
	ds_read_b128 v[125:128], v124 offset:864
	ds_read_b128 v[129:132], v124 offset:880
	s_waitcnt vmcnt(19) lgkmcnt(1)
	v_fma_f64 v[125:126], v[141:142], v[125:126], v[136:137]
	buffer_load_dword v136, off, s[0:3], 0 offset:452
	s_waitcnt vmcnt(18)
	v_fma_f64 v[125:126], v[143:144], v[127:128], v[125:126]
	buffer_load_dword v138, off, s[0:3], 0 offset:460
	buffer_load_dword v139, off, s[0:3], 0 offset:480
	buffer_load_dword v141, off, s[0:3], 0 offset:472
	buffer_load_dword v143, off, s[0:3], 0 offset:464
	buffer_load_dword v137, off, s[0:3], 0 offset:456
	buffer_load_dword v144, off, s[0:3], 0 offset:468
	buffer_load_dword v142, off, s[0:3], 0 offset:476
	buffer_load_dword v140, off, s[0:3], 0 offset:484
	s_waitcnt vmcnt(24) lgkmcnt(0)
	v_fma_f64 v[125:126], v[145:146], v[129:130], v[125:126]
	s_waitcnt vmcnt(19)
	v_fma_f64 v[145:146], v[147:148], v[131:132], v[125:126]
	ds_read_b128 v[125:128], v124 offset:896
	ds_read_b128 v[129:132], v124 offset:912
	s_waitcnt vmcnt(18) lgkmcnt(1)
	v_fma_f64 v[125:126], v[153:154], v[125:126], v[145:146]
	buffer_load_dword v145, off, s[0:3], 0 offset:328
	buffer_load_dword v146, off, s[0:3], 0 offset:332
	s_waitcnt vmcnt(19)
	v_fma_f64 v[125:126], v[151:152], v[127:128], v[125:126]
	s_waitcnt vmcnt(18) lgkmcnt(0)
	v_fma_f64 v[125:126], v[149:150], v[129:130], v[125:126]
	s_waitcnt vmcnt(13)
	v_fma_f64 v[133:134], v[133:134], v[131:132], v[125:126]
	ds_read_b128 v[125:128], v124 offset:928
	ds_read_b128 v[129:132], v124 offset:944
	s_waitcnt vmcnt(12) lgkmcnt(1)
	v_fma_f64 v[125:126], v[157:158], v[125:126], v[133:134]
	s_waitcnt vmcnt(11)
	v_fma_f64 v[125:126], v[155:156], v[127:128], v[125:126]
	s_waitcnt vmcnt(10) lgkmcnt(0)
	v_fma_f64 v[125:126], v[135:136], v[129:130], v[125:126]
	s_waitcnt vmcnt(5)
	v_fma_f64 v[129:130], v[137:138], v[131:132], v[125:126]
	ds_read_b128 v[125:128], v124 offset:960
	ds_read_b64 v[131:132], v124 offset:976
	s_waitcnt vmcnt(4) lgkmcnt(1)
	v_fma_f64 v[125:126], v[143:144], v[125:126], v[129:130]
	s_waitcnt vmcnt(3)
	v_fma_f64 v[125:126], v[141:142], v[127:128], v[125:126]
	s_waitcnt vmcnt(2) lgkmcnt(0)
	v_fma_f64 v[125:126], v[139:140], v[131:132], v[125:126]
	s_waitcnt vmcnt(0)
	v_add_f64 v[125:126], v[145:146], -v[125:126]
	buffer_store_dword v126, off, s[0:3], 0 offset:332
	buffer_store_dword v125, off, s[0:3], 0 offset:328
	s_and_saveexec_b64 s[4:5], vcc
	s_cbranch_execz .LBB60_293
; %bb.292:
	buffer_load_dword v125, off, s[0:3], 0 offset:320
	buffer_load_dword v126, off, s[0:3], 0 offset:324
	s_waitcnt vmcnt(0)
	ds_write_b64 v123, v[125:126]
	buffer_store_dword v124, off, s[0:3], 0 offset:320
	buffer_store_dword v124, off, s[0:3], 0 offset:324
.LBB60_293:
	s_or_b64 exec, exec, s[4:5]
	s_waitcnt lgkmcnt(0)
	; wave barrier
	buffer_load_dword v133, off, s[0:3], 0 offset:328
	buffer_load_dword v134, off, s[0:3], 0 offset:332
	;; [unrolled: 1-line block ×22, first 2 shown]
	ds_read2_b64 v[125:128], v124 offset0:103 offset1:104
	ds_read2_b64 v[129:132], v124 offset0:105 offset1:106
	v_cmp_lt_u32_e32 vcc, 39, v0
	s_waitcnt vmcnt(20) lgkmcnt(1)
	v_fma_f64 v[125:126], v[133:134], v[125:126], 0
	s_waitcnt vmcnt(18)
	v_fma_f64 v[125:126], v[135:136], v[127:128], v[125:126]
	buffer_load_dword v134, off, s[0:3], 0 offset:420
	buffer_load_dword v135, off, s[0:3], 0 offset:440
	;; [unrolled: 1-line block ×7, first 2 shown]
	s_waitcnt vmcnt(23) lgkmcnt(0)
	v_fma_f64 v[125:126], v[137:138], v[129:130], v[125:126]
	s_waitcnt vmcnt(21)
	v_fma_f64 v[136:137], v[139:140], v[131:132], v[125:126]
	ds_read2_b64 v[125:128], v124 offset0:107 offset1:108
	ds_read2_b64 v[129:132], v124 offset0:109 offset1:110
	s_waitcnt vmcnt(19) lgkmcnt(1)
	v_fma_f64 v[125:126], v[141:142], v[125:126], v[136:137]
	buffer_load_dword v136, off, s[0:3], 0 offset:444
	s_waitcnt vmcnt(18)
	v_fma_f64 v[125:126], v[143:144], v[127:128], v[125:126]
	buffer_load_dword v138, off, s[0:3], 0 offset:452
	buffer_load_dword v139, off, s[0:3], 0 offset:472
	;; [unrolled: 1-line block ×8, first 2 shown]
	s_waitcnt vmcnt(24) lgkmcnt(0)
	v_fma_f64 v[125:126], v[145:146], v[129:130], v[125:126]
	s_waitcnt vmcnt(19)
	v_fma_f64 v[145:146], v[147:148], v[131:132], v[125:126]
	ds_read2_b64 v[125:128], v124 offset0:111 offset1:112
	ds_read2_b64 v[129:132], v124 offset0:113 offset1:114
	s_waitcnt vmcnt(18) lgkmcnt(1)
	v_fma_f64 v[125:126], v[153:154], v[125:126], v[145:146]
	buffer_load_dword v146, off, s[0:3], 0 offset:484
	buffer_load_dword v145, off, s[0:3], 0 offset:480
	;; [unrolled: 1-line block ×4, first 2 shown]
	s_waitcnt vmcnt(21)
	v_fma_f64 v[125:126], v[151:152], v[127:128], v[125:126]
	s_waitcnt vmcnt(20) lgkmcnt(0)
	v_fma_f64 v[125:126], v[149:150], v[129:130], v[125:126]
	s_waitcnt vmcnt(15)
	v_fma_f64 v[133:134], v[133:134], v[131:132], v[125:126]
	ds_read2_b64 v[125:128], v124 offset0:115 offset1:116
	ds_read2_b64 v[129:132], v124 offset0:117 offset1:118
	s_waitcnt vmcnt(14) lgkmcnt(1)
	v_fma_f64 v[125:126], v[157:158], v[125:126], v[133:134]
	s_waitcnt vmcnt(13)
	v_fma_f64 v[125:126], v[155:156], v[127:128], v[125:126]
	s_waitcnt vmcnt(12) lgkmcnt(0)
	v_fma_f64 v[125:126], v[135:136], v[129:130], v[125:126]
	s_waitcnt vmcnt(7)
	v_fma_f64 v[133:134], v[137:138], v[131:132], v[125:126]
	ds_read2_b64 v[125:128], v124 offset0:119 offset1:120
	ds_read2_b64 v[129:132], v124 offset0:121 offset1:122
	s_waitcnt vmcnt(6) lgkmcnt(1)
	v_fma_f64 v[124:125], v[143:144], v[125:126], v[133:134]
	s_waitcnt vmcnt(5)
	v_fma_f64 v[124:125], v[141:142], v[127:128], v[124:125]
	s_waitcnt vmcnt(4) lgkmcnt(0)
	v_fma_f64 v[124:125], v[139:140], v[129:130], v[124:125]
	s_waitcnt vmcnt(2)
	v_fma_f64 v[124:125], v[145:146], v[131:132], v[124:125]
	s_waitcnt vmcnt(0)
	v_add_f64 v[124:125], v[147:148], -v[124:125]
	buffer_store_dword v125, off, s[0:3], 0 offset:324
	buffer_store_dword v124, off, s[0:3], 0 offset:320
	s_and_saveexec_b64 s[4:5], vcc
	s_cbranch_execz .LBB60_295
; %bb.294:
	buffer_load_dword v124, off, s[0:3], 0 offset:312
	buffer_load_dword v125, off, s[0:3], 0 offset:316
	v_mov_b32_e32 v126, 0
	buffer_store_dword v126, off, s[0:3], 0 offset:312
	buffer_store_dword v126, off, s[0:3], 0 offset:316
	s_waitcnt vmcnt(2)
	ds_write_b64 v123, v[124:125]
.LBB60_295:
	s_or_b64 exec, exec, s[4:5]
	s_waitcnt lgkmcnt(0)
	; wave barrier
	buffer_load_dword v133, off, s[0:3], 0 offset:320
	buffer_load_dword v134, off, s[0:3], 0 offset:324
	;; [unrolled: 1-line block ×21, first 2 shown]
	v_mov_b32_e32 v124, 0
	ds_read_b128 v[125:128], v124 offset:816
	ds_read_b128 v[129:132], v124 offset:832
	buffer_load_dword v150, off, s[0:3], 0 offset:404
	v_cmp_lt_u32_e32 vcc, 38, v0
	s_waitcnt vmcnt(20) lgkmcnt(1)
	v_fma_f64 v[125:126], v[133:134], v[125:126], 0
	s_waitcnt vmcnt(18)
	v_fma_f64 v[125:126], v[135:136], v[127:128], v[125:126]
	buffer_load_dword v134, off, s[0:3], 0 offset:412
	buffer_load_dword v135, off, s[0:3], 0 offset:432
	;; [unrolled: 1-line block ×7, first 2 shown]
	s_waitcnt vmcnt(23) lgkmcnt(0)
	v_fma_f64 v[125:126], v[137:138], v[129:130], v[125:126]
	s_waitcnt vmcnt(21)
	v_fma_f64 v[136:137], v[139:140], v[131:132], v[125:126]
	ds_read_b128 v[125:128], v124 offset:848
	ds_read_b128 v[129:132], v124 offset:864
	s_waitcnt vmcnt(19) lgkmcnt(1)
	v_fma_f64 v[125:126], v[141:142], v[125:126], v[136:137]
	buffer_load_dword v136, off, s[0:3], 0 offset:436
	s_waitcnt vmcnt(18)
	v_fma_f64 v[125:126], v[143:144], v[127:128], v[125:126]
	buffer_load_dword v138, off, s[0:3], 0 offset:444
	buffer_load_dword v139, off, s[0:3], 0 offset:464
	;; [unrolled: 1-line block ×7, first 2 shown]
	s_waitcnt vmcnt(23) lgkmcnt(0)
	v_fma_f64 v[125:126], v[145:146], v[129:130], v[125:126]
	s_waitcnt vmcnt(18)
	v_fma_f64 v[145:146], v[147:148], v[131:132], v[125:126]
	ds_read_b128 v[125:128], v124 offset:880
	ds_read_b128 v[129:132], v124 offset:896
	buffer_load_dword v140, off, s[0:3], 0 offset:468
	s_waitcnt vmcnt(18) lgkmcnt(1)
	v_fma_f64 v[125:126], v[153:154], v[125:126], v[145:146]
	buffer_load_dword v146, off, s[0:3], 0 offset:476
	buffer_load_dword v147, off, s[0:3], 0 offset:480
	;; [unrolled: 1-line block ×4, first 2 shown]
	s_waitcnt vmcnt(21)
	v_fma_f64 v[125:126], v[151:152], v[127:128], v[125:126]
	s_waitcnt vmcnt(20) lgkmcnt(0)
	v_fma_f64 v[125:126], v[149:150], v[129:130], v[125:126]
	buffer_load_dword v149, off, s[0:3], 0 offset:312
	buffer_load_dword v150, off, s[0:3], 0 offset:316
	s_waitcnt vmcnt(17)
	v_fma_f64 v[133:134], v[133:134], v[131:132], v[125:126]
	ds_read_b128 v[125:128], v124 offset:912
	ds_read_b128 v[129:132], v124 offset:928
	s_waitcnt vmcnt(16) lgkmcnt(1)
	v_fma_f64 v[125:126], v[157:158], v[125:126], v[133:134]
	s_waitcnt vmcnt(15)
	v_fma_f64 v[125:126], v[155:156], v[127:128], v[125:126]
	s_waitcnt vmcnt(14) lgkmcnt(0)
	v_fma_f64 v[125:126], v[135:136], v[129:130], v[125:126]
	s_waitcnt vmcnt(9)
	v_fma_f64 v[133:134], v[137:138], v[131:132], v[125:126]
	ds_read_b128 v[125:128], v124 offset:944
	ds_read_b128 v[129:132], v124 offset:960
	s_waitcnt vmcnt(8) lgkmcnt(1)
	v_fma_f64 v[125:126], v[143:144], v[125:126], v[133:134]
	s_waitcnt vmcnt(7)
	v_fma_f64 v[125:126], v[141:142], v[127:128], v[125:126]
	ds_read_b64 v[127:128], v124 offset:976
	s_waitcnt vmcnt(6) lgkmcnt(1)
	v_fma_f64 v[125:126], v[139:140], v[129:130], v[125:126]
	s_waitcnt vmcnt(3)
	v_fma_f64 v[125:126], v[145:146], v[131:132], v[125:126]
	s_waitcnt vmcnt(2) lgkmcnt(0)
	v_fma_f64 v[125:126], v[147:148], v[127:128], v[125:126]
	s_waitcnt vmcnt(0)
	v_add_f64 v[125:126], v[149:150], -v[125:126]
	buffer_store_dword v126, off, s[0:3], 0 offset:316
	buffer_store_dword v125, off, s[0:3], 0 offset:312
	s_and_saveexec_b64 s[4:5], vcc
	s_cbranch_execz .LBB60_297
; %bb.296:
	buffer_load_dword v125, off, s[0:3], 0 offset:304
	buffer_load_dword v126, off, s[0:3], 0 offset:308
	s_waitcnt vmcnt(0)
	ds_write_b64 v123, v[125:126]
	buffer_store_dword v124, off, s[0:3], 0 offset:304
	buffer_store_dword v124, off, s[0:3], 0 offset:308
.LBB60_297:
	s_or_b64 exec, exec, s[4:5]
	s_waitcnt lgkmcnt(0)
	; wave barrier
	buffer_load_dword v133, off, s[0:3], 0 offset:312
	buffer_load_dword v134, off, s[0:3], 0 offset:316
	;; [unrolled: 1-line block ×21, first 2 shown]
	ds_read2_b64 v[125:128], v124 offset0:101 offset1:102
	ds_read2_b64 v[129:132], v124 offset0:103 offset1:104
	buffer_load_dword v150, off, s[0:3], 0 offset:396
	v_cmp_lt_u32_e32 vcc, 37, v0
	s_waitcnt vmcnt(20) lgkmcnt(1)
	v_fma_f64 v[125:126], v[133:134], v[125:126], 0
	s_waitcnt vmcnt(18)
	v_fma_f64 v[125:126], v[135:136], v[127:128], v[125:126]
	buffer_load_dword v134, off, s[0:3], 0 offset:404
	buffer_load_dword v135, off, s[0:3], 0 offset:424
	;; [unrolled: 1-line block ×7, first 2 shown]
	s_waitcnt vmcnt(23) lgkmcnt(0)
	v_fma_f64 v[125:126], v[137:138], v[129:130], v[125:126]
	s_waitcnt vmcnt(21)
	v_fma_f64 v[136:137], v[139:140], v[131:132], v[125:126]
	ds_read2_b64 v[125:128], v124 offset0:105 offset1:106
	ds_read2_b64 v[129:132], v124 offset0:107 offset1:108
	s_waitcnt vmcnt(19) lgkmcnt(1)
	v_fma_f64 v[125:126], v[141:142], v[125:126], v[136:137]
	buffer_load_dword v136, off, s[0:3], 0 offset:428
	s_waitcnt vmcnt(18)
	v_fma_f64 v[125:126], v[143:144], v[127:128], v[125:126]
	buffer_load_dword v138, off, s[0:3], 0 offset:436
	buffer_load_dword v139, off, s[0:3], 0 offset:456
	buffer_load_dword v141, off, s[0:3], 0 offset:448
	buffer_load_dword v143, off, s[0:3], 0 offset:440
	buffer_load_dword v137, off, s[0:3], 0 offset:432
	buffer_load_dword v144, off, s[0:3], 0 offset:444
	buffer_load_dword v142, off, s[0:3], 0 offset:452
	buffer_load_dword v140, off, s[0:3], 0 offset:460
	s_waitcnt vmcnt(24) lgkmcnt(0)
	v_fma_f64 v[125:126], v[145:146], v[129:130], v[125:126]
	s_waitcnt vmcnt(19)
	v_fma_f64 v[145:146], v[147:148], v[131:132], v[125:126]
	ds_read2_b64 v[125:128], v124 offset0:109 offset1:110
	ds_read2_b64 v[129:132], v124 offset0:111 offset1:112
	s_waitcnt vmcnt(18) lgkmcnt(1)
	v_fma_f64 v[125:126], v[153:154], v[125:126], v[145:146]
	s_waitcnt vmcnt(17)
	v_fma_f64 v[125:126], v[151:152], v[127:128], v[125:126]
	buffer_load_dword v146, off, s[0:3], 0 offset:468
	buffer_load_dword v147, off, s[0:3], 0 offset:480
	;; [unrolled: 1-line block ×6, first 2 shown]
	s_waitcnt vmcnt(22) lgkmcnt(0)
	v_fma_f64 v[125:126], v[149:150], v[129:130], v[125:126]
	s_waitcnt vmcnt(17)
	v_fma_f64 v[133:134], v[133:134], v[131:132], v[125:126]
	ds_read2_b64 v[125:128], v124 offset0:113 offset1:114
	buffer_load_dword v149, off, s[0:3], 0 offset:304
	buffer_load_dword v150, off, s[0:3], 0 offset:308
	ds_read2_b64 v[129:132], v124 offset0:115 offset1:116
	s_waitcnt vmcnt(18) lgkmcnt(1)
	v_fma_f64 v[125:126], v[157:158], v[125:126], v[133:134]
	s_waitcnt vmcnt(17)
	v_fma_f64 v[125:126], v[155:156], v[127:128], v[125:126]
	s_waitcnt vmcnt(16) lgkmcnt(0)
	v_fma_f64 v[125:126], v[135:136], v[129:130], v[125:126]
	s_waitcnt vmcnt(11)
	v_fma_f64 v[133:134], v[137:138], v[131:132], v[125:126]
	ds_read2_b64 v[125:128], v124 offset0:117 offset1:118
	ds_read2_b64 v[129:132], v124 offset0:119 offset1:120
	s_waitcnt vmcnt(10) lgkmcnt(1)
	v_fma_f64 v[125:126], v[143:144], v[125:126], v[133:134]
	s_waitcnt vmcnt(9)
	v_fma_f64 v[125:126], v[141:142], v[127:128], v[125:126]
	s_waitcnt vmcnt(8) lgkmcnt(0)
	v_fma_f64 v[125:126], v[139:140], v[129:130], v[125:126]
	s_waitcnt vmcnt(4)
	v_fma_f64 v[128:129], v[145:146], v[131:132], v[125:126]
	ds_read2_b64 v[124:127], v124 offset0:121 offset1:122
	s_waitcnt vmcnt(3) lgkmcnt(0)
	v_fma_f64 v[124:125], v[151:152], v[124:125], v[128:129]
	s_waitcnt vmcnt(2)
	v_fma_f64 v[124:125], v[147:148], v[126:127], v[124:125]
	s_waitcnt vmcnt(0)
	v_add_f64 v[124:125], v[149:150], -v[124:125]
	buffer_store_dword v125, off, s[0:3], 0 offset:308
	buffer_store_dword v124, off, s[0:3], 0 offset:304
	s_and_saveexec_b64 s[4:5], vcc
	s_cbranch_execz .LBB60_299
; %bb.298:
	buffer_load_dword v124, off, s[0:3], 0 offset:296
	buffer_load_dword v125, off, s[0:3], 0 offset:300
	v_mov_b32_e32 v126, 0
	buffer_store_dword v126, off, s[0:3], 0 offset:296
	buffer_store_dword v126, off, s[0:3], 0 offset:300
	s_waitcnt vmcnt(2)
	ds_write_b64 v123, v[124:125]
.LBB60_299:
	s_or_b64 exec, exec, s[4:5]
	s_waitcnt lgkmcnt(0)
	; wave barrier
	buffer_load_dword v133, off, s[0:3], 0 offset:304
	buffer_load_dword v134, off, s[0:3], 0 offset:308
	;; [unrolled: 1-line block ×21, first 2 shown]
	v_mov_b32_e32 v124, 0
	ds_read_b128 v[125:128], v124 offset:800
	ds_read_b128 v[129:132], v124 offset:816
	buffer_load_dword v150, off, s[0:3], 0 offset:388
	v_cmp_lt_u32_e32 vcc, 36, v0
	s_waitcnt vmcnt(20) lgkmcnt(1)
	v_fma_f64 v[125:126], v[133:134], v[125:126], 0
	s_waitcnt vmcnt(18)
	v_fma_f64 v[125:126], v[135:136], v[127:128], v[125:126]
	buffer_load_dword v134, off, s[0:3], 0 offset:396
	buffer_load_dword v135, off, s[0:3], 0 offset:416
	buffer_load_dword v155, off, s[0:3], 0 offset:408
	buffer_load_dword v157, off, s[0:3], 0 offset:400
	buffer_load_dword v133, off, s[0:3], 0 offset:392
	buffer_load_dword v158, off, s[0:3], 0 offset:404
	buffer_load_dword v156, off, s[0:3], 0 offset:412
	s_waitcnt vmcnt(23) lgkmcnt(0)
	v_fma_f64 v[125:126], v[137:138], v[129:130], v[125:126]
	s_waitcnt vmcnt(21)
	v_fma_f64 v[136:137], v[139:140], v[131:132], v[125:126]
	ds_read_b128 v[125:128], v124 offset:832
	ds_read_b128 v[129:132], v124 offset:848
	s_waitcnt vmcnt(19) lgkmcnt(1)
	v_fma_f64 v[125:126], v[141:142], v[125:126], v[136:137]
	buffer_load_dword v136, off, s[0:3], 0 offset:420
	s_waitcnt vmcnt(18)
	v_fma_f64 v[125:126], v[143:144], v[127:128], v[125:126]
	buffer_load_dword v138, off, s[0:3], 0 offset:428
	buffer_load_dword v139, off, s[0:3], 0 offset:448
	;; [unrolled: 1-line block ×8, first 2 shown]
	s_waitcnt vmcnt(24) lgkmcnt(0)
	v_fma_f64 v[125:126], v[145:146], v[129:130], v[125:126]
	s_waitcnt vmcnt(19)
	v_fma_f64 v[145:146], v[147:148], v[131:132], v[125:126]
	ds_read_b128 v[125:128], v124 offset:864
	ds_read_b128 v[129:132], v124 offset:880
	s_waitcnt vmcnt(18) lgkmcnt(1)
	v_fma_f64 v[125:126], v[153:154], v[125:126], v[145:146]
	s_waitcnt vmcnt(17)
	v_fma_f64 v[125:126], v[151:152], v[127:128], v[125:126]
	buffer_load_dword v146, off, s[0:3], 0 offset:460
	buffer_load_dword v147, off, s[0:3], 0 offset:480
	;; [unrolled: 1-line block ×8, first 2 shown]
	s_waitcnt vmcnt(24) lgkmcnt(0)
	v_fma_f64 v[125:126], v[149:150], v[129:130], v[125:126]
	s_waitcnt vmcnt(19)
	v_fma_f64 v[133:134], v[133:134], v[131:132], v[125:126]
	ds_read_b128 v[125:128], v124 offset:896
	ds_read_b128 v[129:132], v124 offset:912
	s_waitcnt vmcnt(18) lgkmcnt(1)
	v_fma_f64 v[125:126], v[157:158], v[125:126], v[133:134]
	buffer_load_dword v133, off, s[0:3], 0 offset:296
	buffer_load_dword v134, off, s[0:3], 0 offset:300
	s_waitcnt vmcnt(19)
	v_fma_f64 v[125:126], v[155:156], v[127:128], v[125:126]
	s_waitcnt vmcnt(18) lgkmcnt(0)
	v_fma_f64 v[125:126], v[135:136], v[129:130], v[125:126]
	s_waitcnt vmcnt(13)
	v_fma_f64 v[135:136], v[137:138], v[131:132], v[125:126]
	ds_read_b128 v[125:128], v124 offset:928
	ds_read_b128 v[129:132], v124 offset:944
	s_waitcnt vmcnt(12) lgkmcnt(1)
	v_fma_f64 v[125:126], v[143:144], v[125:126], v[135:136]
	s_waitcnt vmcnt(11)
	v_fma_f64 v[125:126], v[141:142], v[127:128], v[125:126]
	s_waitcnt vmcnt(10) lgkmcnt(0)
	v_fma_f64 v[125:126], v[139:140], v[129:130], v[125:126]
	s_waitcnt vmcnt(5)
	v_fma_f64 v[129:130], v[145:146], v[131:132], v[125:126]
	ds_read_b128 v[125:128], v124 offset:960
	ds_read_b64 v[131:132], v124 offset:976
	s_waitcnt vmcnt(4) lgkmcnt(1)
	v_fma_f64 v[125:126], v[153:154], v[125:126], v[129:130]
	s_waitcnt vmcnt(3)
	v_fma_f64 v[125:126], v[151:152], v[127:128], v[125:126]
	s_waitcnt vmcnt(2) lgkmcnt(0)
	v_fma_f64 v[125:126], v[147:148], v[131:132], v[125:126]
	s_waitcnt vmcnt(0)
	v_add_f64 v[125:126], v[133:134], -v[125:126]
	buffer_store_dword v126, off, s[0:3], 0 offset:300
	buffer_store_dword v125, off, s[0:3], 0 offset:296
	s_and_saveexec_b64 s[4:5], vcc
	s_cbranch_execz .LBB60_301
; %bb.300:
	buffer_load_dword v125, off, s[0:3], 0 offset:288
	buffer_load_dword v126, off, s[0:3], 0 offset:292
	s_waitcnt vmcnt(0)
	ds_write_b64 v123, v[125:126]
	buffer_store_dword v124, off, s[0:3], 0 offset:288
	buffer_store_dword v124, off, s[0:3], 0 offset:292
.LBB60_301:
	s_or_b64 exec, exec, s[4:5]
	s_waitcnt lgkmcnt(0)
	; wave barrier
	buffer_load_dword v133, off, s[0:3], 0 offset:296
	buffer_load_dword v134, off, s[0:3], 0 offset:300
	;; [unrolled: 1-line block ×21, first 2 shown]
	ds_read2_b64 v[125:128], v124 offset0:99 offset1:100
	ds_read2_b64 v[129:132], v124 offset0:101 offset1:102
	buffer_load_dword v150, off, s[0:3], 0 offset:380
	v_cmp_lt_u32_e32 vcc, 35, v0
	s_waitcnt vmcnt(20) lgkmcnt(1)
	v_fma_f64 v[125:126], v[133:134], v[125:126], 0
	s_waitcnt vmcnt(18)
	v_fma_f64 v[125:126], v[135:136], v[127:128], v[125:126]
	buffer_load_dword v134, off, s[0:3], 0 offset:388
	buffer_load_dword v135, off, s[0:3], 0 offset:408
	;; [unrolled: 1-line block ×7, first 2 shown]
	s_waitcnt vmcnt(23) lgkmcnt(0)
	v_fma_f64 v[125:126], v[137:138], v[129:130], v[125:126]
	s_waitcnt vmcnt(21)
	v_fma_f64 v[136:137], v[139:140], v[131:132], v[125:126]
	ds_read2_b64 v[125:128], v124 offset0:103 offset1:104
	ds_read2_b64 v[129:132], v124 offset0:105 offset1:106
	s_waitcnt vmcnt(19) lgkmcnt(1)
	v_fma_f64 v[125:126], v[141:142], v[125:126], v[136:137]
	buffer_load_dword v136, off, s[0:3], 0 offset:412
	s_waitcnt vmcnt(18)
	v_fma_f64 v[125:126], v[143:144], v[127:128], v[125:126]
	buffer_load_dword v138, off, s[0:3], 0 offset:420
	buffer_load_dword v139, off, s[0:3], 0 offset:440
	;; [unrolled: 1-line block ×8, first 2 shown]
	s_waitcnt vmcnt(24) lgkmcnt(0)
	v_fma_f64 v[125:126], v[145:146], v[129:130], v[125:126]
	s_waitcnt vmcnt(19)
	v_fma_f64 v[145:146], v[147:148], v[131:132], v[125:126]
	ds_read2_b64 v[125:128], v124 offset0:107 offset1:108
	ds_read2_b64 v[129:132], v124 offset0:109 offset1:110
	s_waitcnt vmcnt(18) lgkmcnt(1)
	v_fma_f64 v[125:126], v[153:154], v[125:126], v[145:146]
	s_waitcnt vmcnt(17)
	v_fma_f64 v[125:126], v[151:152], v[127:128], v[125:126]
	buffer_load_dword v146, off, s[0:3], 0 offset:452
	buffer_load_dword v147, off, s[0:3], 0 offset:472
	;; [unrolled: 1-line block ×8, first 2 shown]
	s_waitcnt vmcnt(24) lgkmcnt(0)
	v_fma_f64 v[125:126], v[149:150], v[129:130], v[125:126]
	s_waitcnt vmcnt(19)
	v_fma_f64 v[133:134], v[133:134], v[131:132], v[125:126]
	ds_read2_b64 v[125:128], v124 offset0:111 offset1:112
	ds_read2_b64 v[129:132], v124 offset0:113 offset1:114
	s_waitcnt vmcnt(18) lgkmcnt(1)
	v_fma_f64 v[125:126], v[157:158], v[125:126], v[133:134]
	buffer_load_dword v134, off, s[0:3], 0 offset:484
	buffer_load_dword v133, off, s[0:3], 0 offset:480
	;; [unrolled: 1-line block ×4, first 2 shown]
	s_waitcnt vmcnt(21)
	v_fma_f64 v[125:126], v[155:156], v[127:128], v[125:126]
	s_waitcnt vmcnt(20) lgkmcnt(0)
	v_fma_f64 v[125:126], v[135:136], v[129:130], v[125:126]
	s_waitcnt vmcnt(15)
	v_fma_f64 v[135:136], v[137:138], v[131:132], v[125:126]
	ds_read2_b64 v[125:128], v124 offset0:115 offset1:116
	ds_read2_b64 v[129:132], v124 offset0:117 offset1:118
	s_waitcnt vmcnt(14) lgkmcnt(1)
	v_fma_f64 v[125:126], v[143:144], v[125:126], v[135:136]
	s_waitcnt vmcnt(13)
	v_fma_f64 v[125:126], v[141:142], v[127:128], v[125:126]
	s_waitcnt vmcnt(12) lgkmcnt(0)
	v_fma_f64 v[125:126], v[139:140], v[129:130], v[125:126]
	s_waitcnt vmcnt(7)
	v_fma_f64 v[135:136], v[145:146], v[131:132], v[125:126]
	ds_read2_b64 v[125:128], v124 offset0:119 offset1:120
	ds_read2_b64 v[129:132], v124 offset0:121 offset1:122
	s_waitcnt vmcnt(6) lgkmcnt(1)
	v_fma_f64 v[124:125], v[153:154], v[125:126], v[135:136]
	s_waitcnt vmcnt(5)
	v_fma_f64 v[124:125], v[151:152], v[127:128], v[124:125]
	s_waitcnt vmcnt(4) lgkmcnt(0)
	v_fma_f64 v[124:125], v[147:148], v[129:130], v[124:125]
	s_waitcnt vmcnt(2)
	v_fma_f64 v[124:125], v[133:134], v[131:132], v[124:125]
	s_waitcnt vmcnt(0)
	v_add_f64 v[124:125], v[149:150], -v[124:125]
	buffer_store_dword v125, off, s[0:3], 0 offset:292
	buffer_store_dword v124, off, s[0:3], 0 offset:288
	s_and_saveexec_b64 s[4:5], vcc
	s_cbranch_execz .LBB60_303
; %bb.302:
	buffer_load_dword v124, off, s[0:3], 0 offset:280
	buffer_load_dword v125, off, s[0:3], 0 offset:284
	v_mov_b32_e32 v126, 0
	buffer_store_dword v126, off, s[0:3], 0 offset:280
	buffer_store_dword v126, off, s[0:3], 0 offset:284
	s_waitcnt vmcnt(2)
	ds_write_b64 v123, v[124:125]
.LBB60_303:
	s_or_b64 exec, exec, s[4:5]
	s_waitcnt lgkmcnt(0)
	; wave barrier
	buffer_load_dword v133, off, s[0:3], 0 offset:288
	buffer_load_dword v134, off, s[0:3], 0 offset:292
	;; [unrolled: 1-line block ×21, first 2 shown]
	v_mov_b32_e32 v124, 0
	ds_read_b128 v[125:128], v124 offset:784
	ds_read_b128 v[129:132], v124 offset:800
	buffer_load_dword v150, off, s[0:3], 0 offset:372
	v_cmp_lt_u32_e32 vcc, 34, v0
	s_waitcnt vmcnt(20) lgkmcnt(1)
	v_fma_f64 v[125:126], v[133:134], v[125:126], 0
	s_waitcnt vmcnt(18)
	v_fma_f64 v[125:126], v[135:136], v[127:128], v[125:126]
	buffer_load_dword v134, off, s[0:3], 0 offset:380
	buffer_load_dword v135, off, s[0:3], 0 offset:400
	;; [unrolled: 1-line block ×7, first 2 shown]
	s_waitcnt vmcnt(23) lgkmcnt(0)
	v_fma_f64 v[125:126], v[137:138], v[129:130], v[125:126]
	s_waitcnt vmcnt(21)
	v_fma_f64 v[136:137], v[139:140], v[131:132], v[125:126]
	ds_read_b128 v[125:128], v124 offset:816
	ds_read_b128 v[129:132], v124 offset:832
	s_waitcnt vmcnt(19) lgkmcnt(1)
	v_fma_f64 v[125:126], v[141:142], v[125:126], v[136:137]
	buffer_load_dword v136, off, s[0:3], 0 offset:404
	s_waitcnt vmcnt(18)
	v_fma_f64 v[125:126], v[143:144], v[127:128], v[125:126]
	buffer_load_dword v138, off, s[0:3], 0 offset:412
	buffer_load_dword v139, off, s[0:3], 0 offset:432
	buffer_load_dword v141, off, s[0:3], 0 offset:424
	buffer_load_dword v143, off, s[0:3], 0 offset:416
	buffer_load_dword v137, off, s[0:3], 0 offset:408
	buffer_load_dword v144, off, s[0:3], 0 offset:420
	buffer_load_dword v142, off, s[0:3], 0 offset:428
	buffer_load_dword v140, off, s[0:3], 0 offset:436
	s_waitcnt vmcnt(24) lgkmcnt(0)
	v_fma_f64 v[125:126], v[145:146], v[129:130], v[125:126]
	s_waitcnt vmcnt(19)
	v_fma_f64 v[145:146], v[147:148], v[131:132], v[125:126]
	ds_read_b128 v[125:128], v124 offset:848
	ds_read_b128 v[129:132], v124 offset:864
	s_waitcnt vmcnt(18) lgkmcnt(1)
	v_fma_f64 v[125:126], v[153:154], v[125:126], v[145:146]
	s_waitcnt vmcnt(17)
	v_fma_f64 v[125:126], v[151:152], v[127:128], v[125:126]
	buffer_load_dword v146, off, s[0:3], 0 offset:444
	buffer_load_dword v147, off, s[0:3], 0 offset:464
	;; [unrolled: 1-line block ×7, first 2 shown]
	s_waitcnt vmcnt(23) lgkmcnt(0)
	v_fma_f64 v[125:126], v[149:150], v[129:130], v[125:126]
	s_waitcnt vmcnt(18)
	v_fma_f64 v[133:134], v[133:134], v[131:132], v[125:126]
	ds_read_b128 v[125:128], v124 offset:880
	ds_read_b128 v[129:132], v124 offset:896
	buffer_load_dword v148, off, s[0:3], 0 offset:468
	s_waitcnt vmcnt(18) lgkmcnt(1)
	v_fma_f64 v[125:126], v[157:158], v[125:126], v[133:134]
	buffer_load_dword v134, off, s[0:3], 0 offset:476
	buffer_load_dword v149, off, s[0:3], 0 offset:480
	;; [unrolled: 1-line block ×4, first 2 shown]
	s_waitcnt vmcnt(21)
	v_fma_f64 v[125:126], v[155:156], v[127:128], v[125:126]
	s_waitcnt vmcnt(20) lgkmcnt(0)
	v_fma_f64 v[125:126], v[135:136], v[129:130], v[125:126]
	buffer_load_dword v135, off, s[0:3], 0 offset:280
	buffer_load_dword v136, off, s[0:3], 0 offset:284
	s_waitcnt vmcnt(17)
	v_fma_f64 v[137:138], v[137:138], v[131:132], v[125:126]
	ds_read_b128 v[125:128], v124 offset:912
	ds_read_b128 v[129:132], v124 offset:928
	s_waitcnt vmcnt(16) lgkmcnt(1)
	v_fma_f64 v[125:126], v[143:144], v[125:126], v[137:138]
	s_waitcnt vmcnt(15)
	v_fma_f64 v[125:126], v[141:142], v[127:128], v[125:126]
	s_waitcnt vmcnt(14) lgkmcnt(0)
	v_fma_f64 v[125:126], v[139:140], v[129:130], v[125:126]
	s_waitcnt vmcnt(9)
	v_fma_f64 v[137:138], v[145:146], v[131:132], v[125:126]
	ds_read_b128 v[125:128], v124 offset:944
	ds_read_b128 v[129:132], v124 offset:960
	s_waitcnt vmcnt(8) lgkmcnt(1)
	v_fma_f64 v[125:126], v[153:154], v[125:126], v[137:138]
	s_waitcnt vmcnt(7)
	v_fma_f64 v[125:126], v[151:152], v[127:128], v[125:126]
	ds_read_b64 v[127:128], v124 offset:976
	s_waitcnt vmcnt(6) lgkmcnt(1)
	v_fma_f64 v[125:126], v[147:148], v[129:130], v[125:126]
	s_waitcnt vmcnt(3)
	v_fma_f64 v[125:126], v[133:134], v[131:132], v[125:126]
	s_waitcnt vmcnt(2) lgkmcnt(0)
	v_fma_f64 v[125:126], v[149:150], v[127:128], v[125:126]
	s_waitcnt vmcnt(0)
	v_add_f64 v[125:126], v[135:136], -v[125:126]
	buffer_store_dword v126, off, s[0:3], 0 offset:284
	buffer_store_dword v125, off, s[0:3], 0 offset:280
	s_and_saveexec_b64 s[4:5], vcc
	s_cbranch_execz .LBB60_305
; %bb.304:
	buffer_load_dword v125, off, s[0:3], 0 offset:272
	buffer_load_dword v126, off, s[0:3], 0 offset:276
	s_waitcnt vmcnt(0)
	ds_write_b64 v123, v[125:126]
	buffer_store_dword v124, off, s[0:3], 0 offset:272
	buffer_store_dword v124, off, s[0:3], 0 offset:276
.LBB60_305:
	s_or_b64 exec, exec, s[4:5]
	s_waitcnt lgkmcnt(0)
	; wave barrier
	buffer_load_dword v133, off, s[0:3], 0 offset:280
	buffer_load_dword v134, off, s[0:3], 0 offset:284
	;; [unrolled: 1-line block ×22, first 2 shown]
	ds_read2_b64 v[125:128], v124 offset0:97 offset1:98
	ds_read2_b64 v[129:132], v124 offset0:99 offset1:100
	v_cmp_lt_u32_e32 vcc, 33, v0
	s_waitcnt vmcnt(20) lgkmcnt(1)
	v_fma_f64 v[125:126], v[133:134], v[125:126], 0
	s_waitcnt vmcnt(18)
	v_fma_f64 v[125:126], v[135:136], v[127:128], v[125:126]
	buffer_load_dword v134, off, s[0:3], 0 offset:372
	buffer_load_dword v135, off, s[0:3], 0 offset:392
	buffer_load_dword v155, off, s[0:3], 0 offset:384
	buffer_load_dword v157, off, s[0:3], 0 offset:376
	buffer_load_dword v133, off, s[0:3], 0 offset:368
	buffer_load_dword v158, off, s[0:3], 0 offset:380
	buffer_load_dword v156, off, s[0:3], 0 offset:388
	s_waitcnt vmcnt(23) lgkmcnt(0)
	v_fma_f64 v[125:126], v[137:138], v[129:130], v[125:126]
	s_waitcnt vmcnt(21)
	v_fma_f64 v[136:137], v[139:140], v[131:132], v[125:126]
	ds_read2_b64 v[125:128], v124 offset0:101 offset1:102
	ds_read2_b64 v[129:132], v124 offset0:103 offset1:104
	s_waitcnt vmcnt(19) lgkmcnt(1)
	v_fma_f64 v[125:126], v[141:142], v[125:126], v[136:137]
	buffer_load_dword v136, off, s[0:3], 0 offset:396
	s_waitcnt vmcnt(18)
	v_fma_f64 v[125:126], v[143:144], v[127:128], v[125:126]
	buffer_load_dword v138, off, s[0:3], 0 offset:404
	buffer_load_dword v139, off, s[0:3], 0 offset:424
	buffer_load_dword v141, off, s[0:3], 0 offset:416
	buffer_load_dword v143, off, s[0:3], 0 offset:408
	buffer_load_dword v137, off, s[0:3], 0 offset:400
	buffer_load_dword v144, off, s[0:3], 0 offset:412
	buffer_load_dword v142, off, s[0:3], 0 offset:420
	buffer_load_dword v140, off, s[0:3], 0 offset:428
	s_waitcnt vmcnt(24) lgkmcnt(0)
	v_fma_f64 v[125:126], v[145:146], v[129:130], v[125:126]
	s_waitcnt vmcnt(19)
	v_fma_f64 v[145:146], v[147:148], v[131:132], v[125:126]
	ds_read2_b64 v[125:128], v124 offset0:105 offset1:106
	ds_read2_b64 v[129:132], v124 offset0:107 offset1:108
	s_waitcnt vmcnt(18) lgkmcnt(1)
	v_fma_f64 v[125:126], v[153:154], v[125:126], v[145:146]
	s_waitcnt vmcnt(17)
	v_fma_f64 v[125:126], v[151:152], v[127:128], v[125:126]
	buffer_load_dword v146, off, s[0:3], 0 offset:436
	buffer_load_dword v147, off, s[0:3], 0 offset:456
	;; [unrolled: 1-line block ×8, first 2 shown]
	s_waitcnt vmcnt(24) lgkmcnt(0)
	v_fma_f64 v[125:126], v[149:150], v[129:130], v[125:126]
	s_waitcnt vmcnt(19)
	v_fma_f64 v[133:134], v[133:134], v[131:132], v[125:126]
	ds_read2_b64 v[125:128], v124 offset0:109 offset1:110
	ds_read2_b64 v[129:132], v124 offset0:111 offset1:112
	s_waitcnt vmcnt(18) lgkmcnt(1)
	v_fma_f64 v[125:126], v[157:158], v[125:126], v[133:134]
	s_waitcnt vmcnt(17)
	v_fma_f64 v[125:126], v[155:156], v[127:128], v[125:126]
	buffer_load_dword v134, off, s[0:3], 0 offset:468
	buffer_load_dword v149, off, s[0:3], 0 offset:480
	;; [unrolled: 1-line block ×6, first 2 shown]
	s_waitcnt vmcnt(22) lgkmcnt(0)
	v_fma_f64 v[125:126], v[135:136], v[129:130], v[125:126]
	s_waitcnt vmcnt(17)
	v_fma_f64 v[135:136], v[137:138], v[131:132], v[125:126]
	ds_read2_b64 v[125:128], v124 offset0:113 offset1:114
	buffer_load_dword v137, off, s[0:3], 0 offset:272
	buffer_load_dword v138, off, s[0:3], 0 offset:276
	ds_read2_b64 v[129:132], v124 offset0:115 offset1:116
	s_waitcnt vmcnt(18) lgkmcnt(1)
	v_fma_f64 v[125:126], v[143:144], v[125:126], v[135:136]
	s_waitcnt vmcnt(17)
	v_fma_f64 v[125:126], v[141:142], v[127:128], v[125:126]
	s_waitcnt vmcnt(16) lgkmcnt(0)
	v_fma_f64 v[125:126], v[139:140], v[129:130], v[125:126]
	s_waitcnt vmcnt(11)
	v_fma_f64 v[135:136], v[145:146], v[131:132], v[125:126]
	ds_read2_b64 v[125:128], v124 offset0:117 offset1:118
	ds_read2_b64 v[129:132], v124 offset0:119 offset1:120
	s_waitcnt vmcnt(10) lgkmcnt(1)
	v_fma_f64 v[125:126], v[153:154], v[125:126], v[135:136]
	s_waitcnt vmcnt(9)
	v_fma_f64 v[125:126], v[151:152], v[127:128], v[125:126]
	s_waitcnt vmcnt(8) lgkmcnt(0)
	v_fma_f64 v[125:126], v[147:148], v[129:130], v[125:126]
	s_waitcnt vmcnt(4)
	v_fma_f64 v[128:129], v[133:134], v[131:132], v[125:126]
	ds_read2_b64 v[124:127], v124 offset0:121 offset1:122
	s_waitcnt vmcnt(3) lgkmcnt(0)
	v_fma_f64 v[124:125], v[155:156], v[124:125], v[128:129]
	s_waitcnt vmcnt(2)
	v_fma_f64 v[124:125], v[149:150], v[126:127], v[124:125]
	s_waitcnt vmcnt(0)
	v_add_f64 v[124:125], v[137:138], -v[124:125]
	buffer_store_dword v125, off, s[0:3], 0 offset:276
	buffer_store_dword v124, off, s[0:3], 0 offset:272
	s_and_saveexec_b64 s[4:5], vcc
	s_cbranch_execz .LBB60_307
; %bb.306:
	buffer_load_dword v124, off, s[0:3], 0 offset:264
	buffer_load_dword v125, off, s[0:3], 0 offset:268
	v_mov_b32_e32 v126, 0
	buffer_store_dword v126, off, s[0:3], 0 offset:264
	buffer_store_dword v126, off, s[0:3], 0 offset:268
	s_waitcnt vmcnt(2)
	ds_write_b64 v123, v[124:125]
.LBB60_307:
	s_or_b64 exec, exec, s[4:5]
	s_waitcnt lgkmcnt(0)
	; wave barrier
	buffer_load_dword v133, off, s[0:3], 0 offset:272
	buffer_load_dword v134, off, s[0:3], 0 offset:276
	;; [unrolled: 1-line block ×22, first 2 shown]
	v_mov_b32_e32 v124, 0
	ds_read_b128 v[125:128], v124 offset:768
	ds_read_b128 v[129:132], v124 offset:784
	v_cmp_lt_u32_e32 vcc, 32, v0
	s_waitcnt vmcnt(20) lgkmcnt(1)
	v_fma_f64 v[125:126], v[133:134], v[125:126], 0
	s_waitcnt vmcnt(18)
	v_fma_f64 v[125:126], v[135:136], v[127:128], v[125:126]
	buffer_load_dword v134, off, s[0:3], 0 offset:364
	buffer_load_dword v135, off, s[0:3], 0 offset:384
	;; [unrolled: 1-line block ×7, first 2 shown]
	s_waitcnt vmcnt(23) lgkmcnt(0)
	v_fma_f64 v[125:126], v[137:138], v[129:130], v[125:126]
	s_waitcnt vmcnt(21)
	v_fma_f64 v[136:137], v[139:140], v[131:132], v[125:126]
	ds_read_b128 v[125:128], v124 offset:800
	ds_read_b128 v[129:132], v124 offset:816
	s_waitcnt vmcnt(19) lgkmcnt(1)
	v_fma_f64 v[125:126], v[141:142], v[125:126], v[136:137]
	buffer_load_dword v136, off, s[0:3], 0 offset:388
	s_waitcnt vmcnt(18)
	v_fma_f64 v[125:126], v[143:144], v[127:128], v[125:126]
	buffer_load_dword v138, off, s[0:3], 0 offset:396
	buffer_load_dword v139, off, s[0:3], 0 offset:416
	buffer_load_dword v141, off, s[0:3], 0 offset:408
	buffer_load_dword v143, off, s[0:3], 0 offset:400
	buffer_load_dword v137, off, s[0:3], 0 offset:392
	buffer_load_dword v144, off, s[0:3], 0 offset:404
	buffer_load_dword v142, off, s[0:3], 0 offset:412
	buffer_load_dword v140, off, s[0:3], 0 offset:420
	s_waitcnt vmcnt(24) lgkmcnt(0)
	v_fma_f64 v[125:126], v[145:146], v[129:130], v[125:126]
	s_waitcnt vmcnt(19)
	v_fma_f64 v[145:146], v[147:148], v[131:132], v[125:126]
	ds_read_b128 v[125:128], v124 offset:832
	ds_read_b128 v[129:132], v124 offset:848
	s_waitcnt vmcnt(18) lgkmcnt(1)
	v_fma_f64 v[125:126], v[153:154], v[125:126], v[145:146]
	s_waitcnt vmcnt(17)
	v_fma_f64 v[125:126], v[151:152], v[127:128], v[125:126]
	buffer_load_dword v146, off, s[0:3], 0 offset:428
	buffer_load_dword v147, off, s[0:3], 0 offset:448
	buffer_load_dword v151, off, s[0:3], 0 offset:440
	buffer_load_dword v153, off, s[0:3], 0 offset:432
	buffer_load_dword v145, off, s[0:3], 0 offset:424
	buffer_load_dword v154, off, s[0:3], 0 offset:436
	buffer_load_dword v152, off, s[0:3], 0 offset:444
	buffer_load_dword v148, off, s[0:3], 0 offset:452
	s_waitcnt vmcnt(24) lgkmcnt(0)
	v_fma_f64 v[125:126], v[149:150], v[129:130], v[125:126]
	s_waitcnt vmcnt(19)
	v_fma_f64 v[133:134], v[133:134], v[131:132], v[125:126]
	ds_read_b128 v[125:128], v124 offset:864
	ds_read_b128 v[129:132], v124 offset:880
	s_waitcnt vmcnt(18) lgkmcnt(1)
	v_fma_f64 v[125:126], v[157:158], v[125:126], v[133:134]
	;; [unrolled: 18-line block ×3, first 2 shown]
	buffer_load_dword v135, off, s[0:3], 0 offset:264
	buffer_load_dword v136, off, s[0:3], 0 offset:268
	s_waitcnt vmcnt(19)
	v_fma_f64 v[125:126], v[141:142], v[127:128], v[125:126]
	s_waitcnt vmcnt(18) lgkmcnt(0)
	v_fma_f64 v[125:126], v[139:140], v[129:130], v[125:126]
	s_waitcnt vmcnt(13)
	v_fma_f64 v[137:138], v[145:146], v[131:132], v[125:126]
	ds_read_b128 v[125:128], v124 offset:928
	ds_read_b128 v[129:132], v124 offset:944
	s_waitcnt vmcnt(12) lgkmcnt(1)
	v_fma_f64 v[125:126], v[153:154], v[125:126], v[137:138]
	s_waitcnt vmcnt(11)
	v_fma_f64 v[125:126], v[151:152], v[127:128], v[125:126]
	s_waitcnt vmcnt(10) lgkmcnt(0)
	v_fma_f64 v[125:126], v[147:148], v[129:130], v[125:126]
	s_waitcnt vmcnt(5)
	v_fma_f64 v[129:130], v[133:134], v[131:132], v[125:126]
	ds_read_b128 v[125:128], v124 offset:960
	ds_read_b64 v[131:132], v124 offset:976
	s_waitcnt vmcnt(4) lgkmcnt(1)
	v_fma_f64 v[125:126], v[157:158], v[125:126], v[129:130]
	s_waitcnt vmcnt(3)
	v_fma_f64 v[125:126], v[155:156], v[127:128], v[125:126]
	s_waitcnt vmcnt(2) lgkmcnt(0)
	v_fma_f64 v[125:126], v[149:150], v[131:132], v[125:126]
	s_waitcnt vmcnt(0)
	v_add_f64 v[125:126], v[135:136], -v[125:126]
	buffer_store_dword v126, off, s[0:3], 0 offset:268
	buffer_store_dword v125, off, s[0:3], 0 offset:264
	s_and_saveexec_b64 s[4:5], vcc
	s_cbranch_execz .LBB60_309
; %bb.308:
	buffer_load_dword v125, off, s[0:3], 0 offset:256
	buffer_load_dword v126, off, s[0:3], 0 offset:260
	s_waitcnt vmcnt(0)
	ds_write_b64 v123, v[125:126]
	buffer_store_dword v124, off, s[0:3], 0 offset:256
	buffer_store_dword v124, off, s[0:3], 0 offset:260
.LBB60_309:
	s_or_b64 exec, exec, s[4:5]
	s_waitcnt lgkmcnt(0)
	; wave barrier
	buffer_load_dword v133, off, s[0:3], 0 offset:264
	buffer_load_dword v134, off, s[0:3], 0 offset:268
	;; [unrolled: 1-line block ×22, first 2 shown]
	ds_read2_b64 v[125:128], v124 offset0:95 offset1:96
	ds_read2_b64 v[129:132], v124 offset0:97 offset1:98
	v_cmp_lt_u32_e32 vcc, 31, v0
	s_waitcnt vmcnt(20) lgkmcnt(1)
	v_fma_f64 v[125:126], v[133:134], v[125:126], 0
	s_waitcnt vmcnt(18)
	v_fma_f64 v[125:126], v[135:136], v[127:128], v[125:126]
	buffer_load_dword v134, off, s[0:3], 0 offset:356
	buffer_load_dword v135, off, s[0:3], 0 offset:376
	;; [unrolled: 1-line block ×7, first 2 shown]
	s_waitcnt vmcnt(23) lgkmcnt(0)
	v_fma_f64 v[125:126], v[137:138], v[129:130], v[125:126]
	s_waitcnt vmcnt(21)
	v_fma_f64 v[136:137], v[139:140], v[131:132], v[125:126]
	ds_read2_b64 v[125:128], v124 offset0:99 offset1:100
	ds_read2_b64 v[129:132], v124 offset0:101 offset1:102
	s_waitcnt vmcnt(19) lgkmcnt(1)
	v_fma_f64 v[125:126], v[141:142], v[125:126], v[136:137]
	buffer_load_dword v136, off, s[0:3], 0 offset:380
	s_waitcnt vmcnt(18)
	v_fma_f64 v[125:126], v[143:144], v[127:128], v[125:126]
	buffer_load_dword v138, off, s[0:3], 0 offset:388
	buffer_load_dword v139, off, s[0:3], 0 offset:408
	buffer_load_dword v141, off, s[0:3], 0 offset:400
	buffer_load_dword v143, off, s[0:3], 0 offset:392
	buffer_load_dword v137, off, s[0:3], 0 offset:384
	buffer_load_dword v144, off, s[0:3], 0 offset:396
	buffer_load_dword v142, off, s[0:3], 0 offset:404
	buffer_load_dword v140, off, s[0:3], 0 offset:412
	s_waitcnt vmcnt(24) lgkmcnt(0)
	v_fma_f64 v[125:126], v[145:146], v[129:130], v[125:126]
	s_waitcnt vmcnt(19)
	v_fma_f64 v[145:146], v[147:148], v[131:132], v[125:126]
	ds_read2_b64 v[125:128], v124 offset0:103 offset1:104
	ds_read2_b64 v[129:132], v124 offset0:105 offset1:106
	s_waitcnt vmcnt(18) lgkmcnt(1)
	v_fma_f64 v[125:126], v[153:154], v[125:126], v[145:146]
	s_waitcnt vmcnt(17)
	v_fma_f64 v[125:126], v[151:152], v[127:128], v[125:126]
	buffer_load_dword v146, off, s[0:3], 0 offset:420
	buffer_load_dword v147, off, s[0:3], 0 offset:440
	buffer_load_dword v151, off, s[0:3], 0 offset:432
	buffer_load_dword v153, off, s[0:3], 0 offset:424
	buffer_load_dword v145, off, s[0:3], 0 offset:416
	buffer_load_dword v154, off, s[0:3], 0 offset:428
	buffer_load_dword v152, off, s[0:3], 0 offset:436
	buffer_load_dword v148, off, s[0:3], 0 offset:444
	s_waitcnt vmcnt(24) lgkmcnt(0)
	v_fma_f64 v[125:126], v[149:150], v[129:130], v[125:126]
	s_waitcnt vmcnt(19)
	v_fma_f64 v[133:134], v[133:134], v[131:132], v[125:126]
	ds_read2_b64 v[125:128], v124 offset0:107 offset1:108
	ds_read2_b64 v[129:132], v124 offset0:109 offset1:110
	s_waitcnt vmcnt(18) lgkmcnt(1)
	v_fma_f64 v[125:126], v[157:158], v[125:126], v[133:134]
	;; [unrolled: 18-line block ×3, first 2 shown]
	buffer_load_dword v136, off, s[0:3], 0 offset:484
	buffer_load_dword v135, off, s[0:3], 0 offset:480
	;; [unrolled: 1-line block ×4, first 2 shown]
	s_waitcnt vmcnt(21)
	v_fma_f64 v[125:126], v[141:142], v[127:128], v[125:126]
	s_waitcnt vmcnt(20) lgkmcnt(0)
	v_fma_f64 v[125:126], v[139:140], v[129:130], v[125:126]
	s_waitcnt vmcnt(15)
	v_fma_f64 v[139:140], v[145:146], v[131:132], v[125:126]
	ds_read2_b64 v[125:128], v124 offset0:115 offset1:116
	ds_read2_b64 v[129:132], v124 offset0:117 offset1:118
	s_waitcnt vmcnt(14) lgkmcnt(1)
	v_fma_f64 v[125:126], v[153:154], v[125:126], v[139:140]
	s_waitcnt vmcnt(13)
	v_fma_f64 v[125:126], v[151:152], v[127:128], v[125:126]
	s_waitcnt vmcnt(12) lgkmcnt(0)
	v_fma_f64 v[125:126], v[147:148], v[129:130], v[125:126]
	s_waitcnt vmcnt(7)
	v_fma_f64 v[133:134], v[133:134], v[131:132], v[125:126]
	ds_read2_b64 v[125:128], v124 offset0:119 offset1:120
	ds_read2_b64 v[129:132], v124 offset0:121 offset1:122
	s_waitcnt vmcnt(6) lgkmcnt(1)
	v_fma_f64 v[124:125], v[157:158], v[125:126], v[133:134]
	s_waitcnt vmcnt(5)
	v_fma_f64 v[124:125], v[155:156], v[127:128], v[124:125]
	s_waitcnt vmcnt(4) lgkmcnt(0)
	v_fma_f64 v[124:125], v[149:150], v[129:130], v[124:125]
	s_waitcnt vmcnt(2)
	v_fma_f64 v[124:125], v[135:136], v[131:132], v[124:125]
	s_waitcnt vmcnt(0)
	v_add_f64 v[124:125], v[137:138], -v[124:125]
	buffer_store_dword v125, off, s[0:3], 0 offset:260
	buffer_store_dword v124, off, s[0:3], 0 offset:256
	s_and_saveexec_b64 s[4:5], vcc
	s_cbranch_execz .LBB60_311
; %bb.310:
	buffer_load_dword v124, off, s[0:3], 0 offset:248
	buffer_load_dword v125, off, s[0:3], 0 offset:252
	v_mov_b32_e32 v126, 0
	buffer_store_dword v126, off, s[0:3], 0 offset:248
	buffer_store_dword v126, off, s[0:3], 0 offset:252
	s_waitcnt vmcnt(2)
	ds_write_b64 v123, v[124:125]
.LBB60_311:
	s_or_b64 exec, exec, s[4:5]
	s_waitcnt lgkmcnt(0)
	; wave barrier
	buffer_load_dword v133, off, s[0:3], 0 offset:256
	buffer_load_dword v134, off, s[0:3], 0 offset:260
	;; [unrolled: 1-line block ×22, first 2 shown]
	v_mov_b32_e32 v124, 0
	ds_read_b128 v[125:128], v124 offset:752
	ds_read_b128 v[129:132], v124 offset:768
	v_cmp_lt_u32_e32 vcc, 30, v0
	s_waitcnt vmcnt(20) lgkmcnt(1)
	v_fma_f64 v[125:126], v[133:134], v[125:126], 0
	s_waitcnt vmcnt(18)
	v_fma_f64 v[125:126], v[135:136], v[127:128], v[125:126]
	buffer_load_dword v134, off, s[0:3], 0 offset:348
	buffer_load_dword v135, off, s[0:3], 0 offset:368
	buffer_load_dword v155, off, s[0:3], 0 offset:360
	buffer_load_dword v157, off, s[0:3], 0 offset:352
	buffer_load_dword v133, off, s[0:3], 0 offset:344
	buffer_load_dword v158, off, s[0:3], 0 offset:356
	buffer_load_dword v156, off, s[0:3], 0 offset:364
	s_waitcnt vmcnt(23) lgkmcnt(0)
	v_fma_f64 v[125:126], v[137:138], v[129:130], v[125:126]
	s_waitcnt vmcnt(21)
	v_fma_f64 v[136:137], v[139:140], v[131:132], v[125:126]
	ds_read_b128 v[125:128], v124 offset:784
	ds_read_b128 v[129:132], v124 offset:800
	s_waitcnt vmcnt(19) lgkmcnt(1)
	v_fma_f64 v[125:126], v[141:142], v[125:126], v[136:137]
	buffer_load_dword v136, off, s[0:3], 0 offset:372
	s_waitcnt vmcnt(18)
	v_fma_f64 v[125:126], v[143:144], v[127:128], v[125:126]
	buffer_load_dword v138, off, s[0:3], 0 offset:380
	buffer_load_dword v139, off, s[0:3], 0 offset:400
	;; [unrolled: 1-line block ×7, first 2 shown]
	s_waitcnt vmcnt(23) lgkmcnt(0)
	v_fma_f64 v[125:126], v[145:146], v[129:130], v[125:126]
	s_waitcnt vmcnt(18)
	v_fma_f64 v[145:146], v[147:148], v[131:132], v[125:126]
	ds_read_b128 v[125:128], v124 offset:816
	ds_read_b128 v[129:132], v124 offset:832
	buffer_load_dword v140, off, s[0:3], 0 offset:404
	s_waitcnt vmcnt(18) lgkmcnt(1)
	v_fma_f64 v[125:126], v[153:154], v[125:126], v[145:146]
	s_waitcnt vmcnt(17)
	v_fma_f64 v[125:126], v[151:152], v[127:128], v[125:126]
	buffer_load_dword v146, off, s[0:3], 0 offset:412
	buffer_load_dword v147, off, s[0:3], 0 offset:432
	;; [unrolled: 1-line block ×8, first 2 shown]
	s_waitcnt vmcnt(24) lgkmcnt(0)
	v_fma_f64 v[125:126], v[149:150], v[129:130], v[125:126]
	s_waitcnt vmcnt(19)
	v_fma_f64 v[133:134], v[133:134], v[131:132], v[125:126]
	ds_read_b128 v[125:128], v124 offset:848
	ds_read_b128 v[129:132], v124 offset:864
	s_waitcnt vmcnt(18) lgkmcnt(1)
	v_fma_f64 v[125:126], v[157:158], v[125:126], v[133:134]
	s_waitcnt vmcnt(17)
	v_fma_f64 v[125:126], v[155:156], v[127:128], v[125:126]
	buffer_load_dword v134, off, s[0:3], 0 offset:444
	buffer_load_dword v149, off, s[0:3], 0 offset:464
	;; [unrolled: 1-line block ×7, first 2 shown]
	s_waitcnt vmcnt(23) lgkmcnt(0)
	v_fma_f64 v[125:126], v[135:136], v[129:130], v[125:126]
	s_waitcnt vmcnt(18)
	v_fma_f64 v[135:136], v[137:138], v[131:132], v[125:126]
	ds_read_b128 v[125:128], v124 offset:880
	ds_read_b128 v[129:132], v124 offset:896
	buffer_load_dword v150, off, s[0:3], 0 offset:468
	s_waitcnt vmcnt(18) lgkmcnt(1)
	v_fma_f64 v[125:126], v[143:144], v[125:126], v[135:136]
	buffer_load_dword v136, off, s[0:3], 0 offset:476
	buffer_load_dword v137, off, s[0:3], 0 offset:480
	;; [unrolled: 1-line block ×4, first 2 shown]
	s_waitcnt vmcnt(21)
	v_fma_f64 v[125:126], v[141:142], v[127:128], v[125:126]
	s_waitcnt vmcnt(20) lgkmcnt(0)
	v_fma_f64 v[125:126], v[139:140], v[129:130], v[125:126]
	buffer_load_dword v139, off, s[0:3], 0 offset:248
	buffer_load_dword v140, off, s[0:3], 0 offset:252
	s_waitcnt vmcnt(17)
	v_fma_f64 v[141:142], v[145:146], v[131:132], v[125:126]
	ds_read_b128 v[125:128], v124 offset:912
	ds_read_b128 v[129:132], v124 offset:928
	s_waitcnt vmcnt(16) lgkmcnt(1)
	v_fma_f64 v[125:126], v[153:154], v[125:126], v[141:142]
	s_waitcnt vmcnt(15)
	v_fma_f64 v[125:126], v[151:152], v[127:128], v[125:126]
	s_waitcnt vmcnt(14) lgkmcnt(0)
	v_fma_f64 v[125:126], v[147:148], v[129:130], v[125:126]
	s_waitcnt vmcnt(9)
	v_fma_f64 v[133:134], v[133:134], v[131:132], v[125:126]
	ds_read_b128 v[125:128], v124 offset:944
	ds_read_b128 v[129:132], v124 offset:960
	s_waitcnt vmcnt(8) lgkmcnt(1)
	v_fma_f64 v[125:126], v[157:158], v[125:126], v[133:134]
	s_waitcnt vmcnt(7)
	v_fma_f64 v[125:126], v[155:156], v[127:128], v[125:126]
	ds_read_b64 v[127:128], v124 offset:976
	s_waitcnt vmcnt(6) lgkmcnt(1)
	v_fma_f64 v[125:126], v[149:150], v[129:130], v[125:126]
	s_waitcnt vmcnt(3)
	v_fma_f64 v[125:126], v[135:136], v[131:132], v[125:126]
	s_waitcnt vmcnt(2) lgkmcnt(0)
	v_fma_f64 v[125:126], v[137:138], v[127:128], v[125:126]
	s_waitcnt vmcnt(0)
	v_add_f64 v[125:126], v[139:140], -v[125:126]
	buffer_store_dword v126, off, s[0:3], 0 offset:252
	buffer_store_dword v125, off, s[0:3], 0 offset:248
	s_and_saveexec_b64 s[4:5], vcc
	s_cbranch_execz .LBB60_313
; %bb.312:
	buffer_load_dword v125, off, s[0:3], 0 offset:240
	buffer_load_dword v126, off, s[0:3], 0 offset:244
	s_waitcnt vmcnt(0)
	ds_write_b64 v123, v[125:126]
	buffer_store_dword v124, off, s[0:3], 0 offset:240
	buffer_store_dword v124, off, s[0:3], 0 offset:244
.LBB60_313:
	s_or_b64 exec, exec, s[4:5]
	s_waitcnt lgkmcnt(0)
	; wave barrier
	buffer_load_dword v133, off, s[0:3], 0 offset:248
	buffer_load_dword v134, off, s[0:3], 0 offset:252
	;; [unrolled: 1-line block ×22, first 2 shown]
	ds_read2_b64 v[125:128], v124 offset0:93 offset1:94
	ds_read2_b64 v[129:132], v124 offset0:95 offset1:96
	v_cmp_lt_u32_e32 vcc, 29, v0
	s_waitcnt vmcnt(20) lgkmcnt(1)
	v_fma_f64 v[125:126], v[133:134], v[125:126], 0
	s_waitcnt vmcnt(18)
	v_fma_f64 v[125:126], v[135:136], v[127:128], v[125:126]
	buffer_load_dword v134, off, s[0:3], 0 offset:340
	buffer_load_dword v135, off, s[0:3], 0 offset:360
	;; [unrolled: 1-line block ×7, first 2 shown]
	s_waitcnt vmcnt(23) lgkmcnt(0)
	v_fma_f64 v[125:126], v[137:138], v[129:130], v[125:126]
	s_waitcnt vmcnt(21)
	v_fma_f64 v[136:137], v[139:140], v[131:132], v[125:126]
	ds_read2_b64 v[125:128], v124 offset0:97 offset1:98
	ds_read2_b64 v[129:132], v124 offset0:99 offset1:100
	s_waitcnt vmcnt(19) lgkmcnt(1)
	v_fma_f64 v[125:126], v[141:142], v[125:126], v[136:137]
	buffer_load_dword v136, off, s[0:3], 0 offset:364
	s_waitcnt vmcnt(18)
	v_fma_f64 v[125:126], v[143:144], v[127:128], v[125:126]
	buffer_load_dword v138, off, s[0:3], 0 offset:372
	buffer_load_dword v139, off, s[0:3], 0 offset:392
	;; [unrolled: 1-line block ×7, first 2 shown]
	s_waitcnt vmcnt(23) lgkmcnt(0)
	v_fma_f64 v[125:126], v[145:146], v[129:130], v[125:126]
	s_waitcnt vmcnt(18)
	v_fma_f64 v[145:146], v[147:148], v[131:132], v[125:126]
	ds_read2_b64 v[125:128], v124 offset0:101 offset1:102
	ds_read2_b64 v[129:132], v124 offset0:103 offset1:104
	buffer_load_dword v140, off, s[0:3], 0 offset:396
	s_waitcnt vmcnt(18) lgkmcnt(1)
	v_fma_f64 v[125:126], v[153:154], v[125:126], v[145:146]
	s_waitcnt vmcnt(17)
	v_fma_f64 v[125:126], v[151:152], v[127:128], v[125:126]
	buffer_load_dword v146, off, s[0:3], 0 offset:404
	buffer_load_dword v147, off, s[0:3], 0 offset:424
	;; [unrolled: 1-line block ×8, first 2 shown]
	s_waitcnt vmcnt(24) lgkmcnt(0)
	v_fma_f64 v[125:126], v[149:150], v[129:130], v[125:126]
	s_waitcnt vmcnt(19)
	v_fma_f64 v[133:134], v[133:134], v[131:132], v[125:126]
	ds_read2_b64 v[125:128], v124 offset0:105 offset1:106
	ds_read2_b64 v[129:132], v124 offset0:107 offset1:108
	s_waitcnt vmcnt(18) lgkmcnt(1)
	v_fma_f64 v[125:126], v[157:158], v[125:126], v[133:134]
	s_waitcnt vmcnt(17)
	v_fma_f64 v[125:126], v[155:156], v[127:128], v[125:126]
	buffer_load_dword v134, off, s[0:3], 0 offset:436
	buffer_load_dword v149, off, s[0:3], 0 offset:456
	;; [unrolled: 1-line block ×8, first 2 shown]
	s_waitcnt vmcnt(24) lgkmcnt(0)
	v_fma_f64 v[125:126], v[135:136], v[129:130], v[125:126]
	s_waitcnt vmcnt(19)
	v_fma_f64 v[135:136], v[137:138], v[131:132], v[125:126]
	ds_read2_b64 v[125:128], v124 offset0:109 offset1:110
	ds_read2_b64 v[129:132], v124 offset0:111 offset1:112
	s_waitcnt vmcnt(18) lgkmcnt(1)
	v_fma_f64 v[125:126], v[143:144], v[125:126], v[135:136]
	s_waitcnt vmcnt(17)
	v_fma_f64 v[125:126], v[141:142], v[127:128], v[125:126]
	buffer_load_dword v136, off, s[0:3], 0 offset:468
	buffer_load_dword v137, off, s[0:3], 0 offset:480
	;; [unrolled: 1-line block ×6, first 2 shown]
	s_waitcnt vmcnt(22) lgkmcnt(0)
	v_fma_f64 v[125:126], v[139:140], v[129:130], v[125:126]
	s_waitcnt vmcnt(17)
	v_fma_f64 v[139:140], v[145:146], v[131:132], v[125:126]
	ds_read2_b64 v[125:128], v124 offset0:113 offset1:114
	buffer_load_dword v143, off, s[0:3], 0 offset:240
	buffer_load_dword v144, off, s[0:3], 0 offset:244
	ds_read2_b64 v[129:132], v124 offset0:115 offset1:116
	s_waitcnt vmcnt(18) lgkmcnt(1)
	v_fma_f64 v[125:126], v[153:154], v[125:126], v[139:140]
	s_waitcnt vmcnt(17)
	v_fma_f64 v[125:126], v[151:152], v[127:128], v[125:126]
	s_waitcnt vmcnt(16) lgkmcnt(0)
	v_fma_f64 v[125:126], v[147:148], v[129:130], v[125:126]
	s_waitcnt vmcnt(11)
	v_fma_f64 v[133:134], v[133:134], v[131:132], v[125:126]
	ds_read2_b64 v[125:128], v124 offset0:117 offset1:118
	ds_read2_b64 v[129:132], v124 offset0:119 offset1:120
	s_waitcnt vmcnt(10) lgkmcnt(1)
	v_fma_f64 v[125:126], v[157:158], v[125:126], v[133:134]
	s_waitcnt vmcnt(9)
	v_fma_f64 v[125:126], v[155:156], v[127:128], v[125:126]
	s_waitcnt vmcnt(8) lgkmcnt(0)
	v_fma_f64 v[125:126], v[149:150], v[129:130], v[125:126]
	s_waitcnt vmcnt(4)
	v_fma_f64 v[128:129], v[135:136], v[131:132], v[125:126]
	ds_read2_b64 v[124:127], v124 offset0:121 offset1:122
	s_waitcnt vmcnt(3) lgkmcnt(0)
	v_fma_f64 v[124:125], v[141:142], v[124:125], v[128:129]
	s_waitcnt vmcnt(2)
	v_fma_f64 v[124:125], v[137:138], v[126:127], v[124:125]
	s_waitcnt vmcnt(0)
	v_add_f64 v[124:125], v[143:144], -v[124:125]
	buffer_store_dword v125, off, s[0:3], 0 offset:244
	buffer_store_dword v124, off, s[0:3], 0 offset:240
	s_and_saveexec_b64 s[4:5], vcc
	s_cbranch_execz .LBB60_315
; %bb.314:
	buffer_load_dword v124, off, s[0:3], 0 offset:232
	buffer_load_dword v125, off, s[0:3], 0 offset:236
	v_mov_b32_e32 v126, 0
	buffer_store_dword v126, off, s[0:3], 0 offset:232
	buffer_store_dword v126, off, s[0:3], 0 offset:236
	s_waitcnt vmcnt(2)
	ds_write_b64 v123, v[124:125]
.LBB60_315:
	s_or_b64 exec, exec, s[4:5]
	s_waitcnt lgkmcnt(0)
	; wave barrier
	buffer_load_dword v133, off, s[0:3], 0 offset:240
	buffer_load_dword v134, off, s[0:3], 0 offset:244
	;; [unrolled: 1-line block ×22, first 2 shown]
	v_mov_b32_e32 v124, 0
	ds_read_b128 v[125:128], v124 offset:736
	ds_read_b128 v[129:132], v124 offset:752
	v_cmp_lt_u32_e32 vcc, 28, v0
	s_waitcnt vmcnt(20) lgkmcnt(1)
	v_fma_f64 v[125:126], v[133:134], v[125:126], 0
	s_waitcnt vmcnt(18)
	v_fma_f64 v[125:126], v[135:136], v[127:128], v[125:126]
	buffer_load_dword v134, off, s[0:3], 0 offset:332
	buffer_load_dword v135, off, s[0:3], 0 offset:352
	;; [unrolled: 1-line block ×7, first 2 shown]
	s_waitcnt vmcnt(23) lgkmcnt(0)
	v_fma_f64 v[125:126], v[137:138], v[129:130], v[125:126]
	s_waitcnt vmcnt(21)
	v_fma_f64 v[136:137], v[139:140], v[131:132], v[125:126]
	ds_read_b128 v[125:128], v124 offset:768
	ds_read_b128 v[129:132], v124 offset:784
	s_waitcnt vmcnt(19) lgkmcnt(1)
	v_fma_f64 v[125:126], v[141:142], v[125:126], v[136:137]
	buffer_load_dword v136, off, s[0:3], 0 offset:356
	s_waitcnt vmcnt(18)
	v_fma_f64 v[125:126], v[143:144], v[127:128], v[125:126]
	buffer_load_dword v138, off, s[0:3], 0 offset:364
	buffer_load_dword v139, off, s[0:3], 0 offset:384
	;; [unrolled: 1-line block ×7, first 2 shown]
	s_waitcnt vmcnt(23) lgkmcnt(0)
	v_fma_f64 v[125:126], v[145:146], v[129:130], v[125:126]
	s_waitcnt vmcnt(18)
	v_fma_f64 v[145:146], v[147:148], v[131:132], v[125:126]
	ds_read_b128 v[125:128], v124 offset:800
	ds_read_b128 v[129:132], v124 offset:816
	buffer_load_dword v140, off, s[0:3], 0 offset:388
	s_waitcnt vmcnt(18) lgkmcnt(1)
	v_fma_f64 v[125:126], v[153:154], v[125:126], v[145:146]
	s_waitcnt vmcnt(17)
	v_fma_f64 v[125:126], v[151:152], v[127:128], v[125:126]
	buffer_load_dword v146, off, s[0:3], 0 offset:396
	buffer_load_dword v147, off, s[0:3], 0 offset:416
	buffer_load_dword v151, off, s[0:3], 0 offset:408
	buffer_load_dword v153, off, s[0:3], 0 offset:400
	buffer_load_dword v145, off, s[0:3], 0 offset:392
	buffer_load_dword v154, off, s[0:3], 0 offset:404
	buffer_load_dword v152, off, s[0:3], 0 offset:412
	buffer_load_dword v148, off, s[0:3], 0 offset:420
	s_waitcnt vmcnt(24) lgkmcnt(0)
	v_fma_f64 v[125:126], v[149:150], v[129:130], v[125:126]
	s_waitcnt vmcnt(19)
	v_fma_f64 v[133:134], v[133:134], v[131:132], v[125:126]
	ds_read_b128 v[125:128], v124 offset:832
	ds_read_b128 v[129:132], v124 offset:848
	s_waitcnt vmcnt(18) lgkmcnt(1)
	v_fma_f64 v[125:126], v[157:158], v[125:126], v[133:134]
	s_waitcnt vmcnt(17)
	v_fma_f64 v[125:126], v[155:156], v[127:128], v[125:126]
	buffer_load_dword v134, off, s[0:3], 0 offset:428
	buffer_load_dword v149, off, s[0:3], 0 offset:448
	buffer_load_dword v155, off, s[0:3], 0 offset:440
	buffer_load_dword v157, off, s[0:3], 0 offset:432
	buffer_load_dword v133, off, s[0:3], 0 offset:424
	buffer_load_dword v158, off, s[0:3], 0 offset:436
	buffer_load_dword v156, off, s[0:3], 0 offset:444
	buffer_load_dword v150, off, s[0:3], 0 offset:452
	s_waitcnt vmcnt(24) lgkmcnt(0)
	v_fma_f64 v[125:126], v[135:136], v[129:130], v[125:126]
	s_waitcnt vmcnt(19)
	v_fma_f64 v[135:136], v[137:138], v[131:132], v[125:126]
	ds_read_b128 v[125:128], v124 offset:864
	ds_read_b128 v[129:132], v124 offset:880
	;; [unrolled: 18-line block ×3, first 2 shown]
	s_waitcnt vmcnt(18) lgkmcnt(1)
	v_fma_f64 v[125:126], v[153:154], v[125:126], v[139:140]
	buffer_load_dword v139, off, s[0:3], 0 offset:232
	buffer_load_dword v140, off, s[0:3], 0 offset:236
	s_waitcnt vmcnt(19)
	v_fma_f64 v[125:126], v[151:152], v[127:128], v[125:126]
	s_waitcnt vmcnt(18) lgkmcnt(0)
	v_fma_f64 v[125:126], v[147:148], v[129:130], v[125:126]
	s_waitcnt vmcnt(13)
	v_fma_f64 v[133:134], v[133:134], v[131:132], v[125:126]
	ds_read_b128 v[125:128], v124 offset:928
	ds_read_b128 v[129:132], v124 offset:944
	s_waitcnt vmcnt(12) lgkmcnt(1)
	v_fma_f64 v[125:126], v[157:158], v[125:126], v[133:134]
	s_waitcnt vmcnt(11)
	v_fma_f64 v[125:126], v[155:156], v[127:128], v[125:126]
	s_waitcnt vmcnt(10) lgkmcnt(0)
	v_fma_f64 v[125:126], v[149:150], v[129:130], v[125:126]
	s_waitcnt vmcnt(5)
	v_fma_f64 v[129:130], v[135:136], v[131:132], v[125:126]
	ds_read_b128 v[125:128], v124 offset:960
	ds_read_b64 v[131:132], v124 offset:976
	s_waitcnt vmcnt(4) lgkmcnt(1)
	v_fma_f64 v[125:126], v[143:144], v[125:126], v[129:130]
	s_waitcnt vmcnt(3)
	v_fma_f64 v[125:126], v[141:142], v[127:128], v[125:126]
	s_waitcnt vmcnt(2) lgkmcnt(0)
	v_fma_f64 v[125:126], v[137:138], v[131:132], v[125:126]
	s_waitcnt vmcnt(0)
	v_add_f64 v[125:126], v[139:140], -v[125:126]
	buffer_store_dword v126, off, s[0:3], 0 offset:236
	buffer_store_dword v125, off, s[0:3], 0 offset:232
	s_and_saveexec_b64 s[4:5], vcc
	s_cbranch_execz .LBB60_317
; %bb.316:
	buffer_load_dword v125, off, s[0:3], 0 offset:224
	buffer_load_dword v126, off, s[0:3], 0 offset:228
	s_waitcnt vmcnt(0)
	ds_write_b64 v123, v[125:126]
	buffer_store_dword v124, off, s[0:3], 0 offset:224
	buffer_store_dword v124, off, s[0:3], 0 offset:228
.LBB60_317:
	s_or_b64 exec, exec, s[4:5]
	s_waitcnt lgkmcnt(0)
	; wave barrier
	buffer_load_dword v133, off, s[0:3], 0 offset:232
	buffer_load_dword v134, off, s[0:3], 0 offset:236
	;; [unrolled: 1-line block ×22, first 2 shown]
	ds_read2_b64 v[125:128], v124 offset0:91 offset1:92
	ds_read2_b64 v[129:132], v124 offset0:93 offset1:94
	v_cmp_lt_u32_e32 vcc, 27, v0
	s_waitcnt vmcnt(20) lgkmcnt(1)
	v_fma_f64 v[125:126], v[133:134], v[125:126], 0
	s_waitcnt vmcnt(18)
	v_fma_f64 v[125:126], v[135:136], v[127:128], v[125:126]
	buffer_load_dword v134, off, s[0:3], 0 offset:324
	buffer_load_dword v135, off, s[0:3], 0 offset:344
	;; [unrolled: 1-line block ×7, first 2 shown]
	s_waitcnt vmcnt(23) lgkmcnt(0)
	v_fma_f64 v[125:126], v[137:138], v[129:130], v[125:126]
	s_waitcnt vmcnt(21)
	v_fma_f64 v[136:137], v[139:140], v[131:132], v[125:126]
	ds_read2_b64 v[125:128], v124 offset0:95 offset1:96
	ds_read2_b64 v[129:132], v124 offset0:97 offset1:98
	s_waitcnt vmcnt(19) lgkmcnt(1)
	v_fma_f64 v[125:126], v[141:142], v[125:126], v[136:137]
	buffer_load_dword v136, off, s[0:3], 0 offset:348
	s_waitcnt vmcnt(18)
	v_fma_f64 v[125:126], v[143:144], v[127:128], v[125:126]
	buffer_load_dword v138, off, s[0:3], 0 offset:356
	buffer_load_dword v139, off, s[0:3], 0 offset:376
	buffer_load_dword v141, off, s[0:3], 0 offset:368
	buffer_load_dword v143, off, s[0:3], 0 offset:360
	buffer_load_dword v137, off, s[0:3], 0 offset:352
	buffer_load_dword v144, off, s[0:3], 0 offset:364
	buffer_load_dword v142, off, s[0:3], 0 offset:372
	s_waitcnt vmcnt(23) lgkmcnt(0)
	v_fma_f64 v[125:126], v[145:146], v[129:130], v[125:126]
	s_waitcnt vmcnt(18)
	v_fma_f64 v[145:146], v[147:148], v[131:132], v[125:126]
	ds_read2_b64 v[125:128], v124 offset0:99 offset1:100
	ds_read2_b64 v[129:132], v124 offset0:101 offset1:102
	buffer_load_dword v140, off, s[0:3], 0 offset:380
	s_waitcnt vmcnt(18) lgkmcnt(1)
	v_fma_f64 v[125:126], v[153:154], v[125:126], v[145:146]
	s_waitcnt vmcnt(17)
	v_fma_f64 v[125:126], v[151:152], v[127:128], v[125:126]
	buffer_load_dword v146, off, s[0:3], 0 offset:388
	buffer_load_dword v147, off, s[0:3], 0 offset:408
	buffer_load_dword v151, off, s[0:3], 0 offset:400
	buffer_load_dword v153, off, s[0:3], 0 offset:392
	buffer_load_dword v145, off, s[0:3], 0 offset:384
	buffer_load_dword v154, off, s[0:3], 0 offset:396
	buffer_load_dword v152, off, s[0:3], 0 offset:404
	buffer_load_dword v148, off, s[0:3], 0 offset:412
	s_waitcnt vmcnt(24) lgkmcnt(0)
	v_fma_f64 v[125:126], v[149:150], v[129:130], v[125:126]
	s_waitcnt vmcnt(19)
	v_fma_f64 v[133:134], v[133:134], v[131:132], v[125:126]
	ds_read2_b64 v[125:128], v124 offset0:103 offset1:104
	ds_read2_b64 v[129:132], v124 offset0:105 offset1:106
	s_waitcnt vmcnt(18) lgkmcnt(1)
	v_fma_f64 v[125:126], v[157:158], v[125:126], v[133:134]
	s_waitcnt vmcnt(17)
	v_fma_f64 v[125:126], v[155:156], v[127:128], v[125:126]
	buffer_load_dword v134, off, s[0:3], 0 offset:420
	buffer_load_dword v149, off, s[0:3], 0 offset:440
	buffer_load_dword v155, off, s[0:3], 0 offset:432
	buffer_load_dword v157, off, s[0:3], 0 offset:424
	buffer_load_dword v133, off, s[0:3], 0 offset:416
	buffer_load_dword v158, off, s[0:3], 0 offset:428
	buffer_load_dword v156, off, s[0:3], 0 offset:436
	buffer_load_dword v150, off, s[0:3], 0 offset:444
	s_waitcnt vmcnt(24) lgkmcnt(0)
	v_fma_f64 v[125:126], v[135:136], v[129:130], v[125:126]
	s_waitcnt vmcnt(19)
	v_fma_f64 v[135:136], v[137:138], v[131:132], v[125:126]
	ds_read2_b64 v[125:128], v124 offset0:107 offset1:108
	ds_read2_b64 v[129:132], v124 offset0:109 offset1:110
	;; [unrolled: 18-line block ×3, first 2 shown]
	s_waitcnt vmcnt(18) lgkmcnt(1)
	v_fma_f64 v[125:126], v[153:154], v[125:126], v[139:140]
	buffer_load_dword v140, off, s[0:3], 0 offset:484
	buffer_load_dword v139, off, s[0:3], 0 offset:480
	;; [unrolled: 1-line block ×4, first 2 shown]
	s_waitcnt vmcnt(21)
	v_fma_f64 v[125:126], v[151:152], v[127:128], v[125:126]
	s_waitcnt vmcnt(20) lgkmcnt(0)
	v_fma_f64 v[125:126], v[147:148], v[129:130], v[125:126]
	s_waitcnt vmcnt(15)
	v_fma_f64 v[133:134], v[133:134], v[131:132], v[125:126]
	ds_read2_b64 v[125:128], v124 offset0:115 offset1:116
	ds_read2_b64 v[129:132], v124 offset0:117 offset1:118
	s_waitcnt vmcnt(14) lgkmcnt(1)
	v_fma_f64 v[125:126], v[157:158], v[125:126], v[133:134]
	s_waitcnt vmcnt(13)
	v_fma_f64 v[125:126], v[155:156], v[127:128], v[125:126]
	s_waitcnt vmcnt(12) lgkmcnt(0)
	v_fma_f64 v[125:126], v[149:150], v[129:130], v[125:126]
	s_waitcnt vmcnt(7)
	v_fma_f64 v[133:134], v[135:136], v[131:132], v[125:126]
	ds_read2_b64 v[125:128], v124 offset0:119 offset1:120
	ds_read2_b64 v[129:132], v124 offset0:121 offset1:122
	s_waitcnt vmcnt(6) lgkmcnt(1)
	v_fma_f64 v[124:125], v[143:144], v[125:126], v[133:134]
	s_waitcnt vmcnt(5)
	v_fma_f64 v[124:125], v[141:142], v[127:128], v[124:125]
	s_waitcnt vmcnt(4) lgkmcnt(0)
	v_fma_f64 v[124:125], v[137:138], v[129:130], v[124:125]
	s_waitcnt vmcnt(2)
	v_fma_f64 v[124:125], v[139:140], v[131:132], v[124:125]
	s_waitcnt vmcnt(0)
	v_add_f64 v[124:125], v[145:146], -v[124:125]
	buffer_store_dword v125, off, s[0:3], 0 offset:228
	buffer_store_dword v124, off, s[0:3], 0 offset:224
	s_and_saveexec_b64 s[4:5], vcc
	s_cbranch_execz .LBB60_319
; %bb.318:
	buffer_load_dword v124, off, s[0:3], 0 offset:216
	buffer_load_dword v125, off, s[0:3], 0 offset:220
	v_mov_b32_e32 v126, 0
	buffer_store_dword v126, off, s[0:3], 0 offset:216
	buffer_store_dword v126, off, s[0:3], 0 offset:220
	s_waitcnt vmcnt(2)
	ds_write_b64 v123, v[124:125]
.LBB60_319:
	s_or_b64 exec, exec, s[4:5]
	s_waitcnt lgkmcnt(0)
	; wave barrier
	buffer_load_dword v133, off, s[0:3], 0 offset:224
	buffer_load_dword v134, off, s[0:3], 0 offset:228
	;; [unrolled: 1-line block ×21, first 2 shown]
	v_mov_b32_e32 v124, 0
	ds_read_b128 v[125:128], v124 offset:720
	ds_read_b128 v[129:132], v124 offset:736
	buffer_load_dword v150, off, s[0:3], 0 offset:308
	v_cmp_lt_u32_e32 vcc, 26, v0
	s_waitcnt vmcnt(20) lgkmcnt(1)
	v_fma_f64 v[125:126], v[133:134], v[125:126], 0
	s_waitcnt vmcnt(18)
	v_fma_f64 v[125:126], v[135:136], v[127:128], v[125:126]
	buffer_load_dword v134, off, s[0:3], 0 offset:316
	buffer_load_dword v135, off, s[0:3], 0 offset:336
	;; [unrolled: 1-line block ×7, first 2 shown]
	s_waitcnt vmcnt(23) lgkmcnt(0)
	v_fma_f64 v[125:126], v[137:138], v[129:130], v[125:126]
	s_waitcnt vmcnt(21)
	v_fma_f64 v[136:137], v[139:140], v[131:132], v[125:126]
	ds_read_b128 v[125:128], v124 offset:752
	ds_read_b128 v[129:132], v124 offset:768
	s_waitcnt vmcnt(19) lgkmcnt(1)
	v_fma_f64 v[125:126], v[141:142], v[125:126], v[136:137]
	buffer_load_dword v136, off, s[0:3], 0 offset:340
	s_waitcnt vmcnt(18)
	v_fma_f64 v[125:126], v[143:144], v[127:128], v[125:126]
	buffer_load_dword v138, off, s[0:3], 0 offset:348
	buffer_load_dword v139, off, s[0:3], 0 offset:368
	;; [unrolled: 1-line block ×7, first 2 shown]
	s_waitcnt vmcnt(23) lgkmcnt(0)
	v_fma_f64 v[125:126], v[145:146], v[129:130], v[125:126]
	s_waitcnt vmcnt(18)
	v_fma_f64 v[145:146], v[147:148], v[131:132], v[125:126]
	ds_read_b128 v[125:128], v124 offset:784
	ds_read_b128 v[129:132], v124 offset:800
	buffer_load_dword v140, off, s[0:3], 0 offset:372
	s_waitcnt vmcnt(18) lgkmcnt(1)
	v_fma_f64 v[125:126], v[153:154], v[125:126], v[145:146]
	s_waitcnt vmcnt(17)
	v_fma_f64 v[125:126], v[151:152], v[127:128], v[125:126]
	buffer_load_dword v146, off, s[0:3], 0 offset:380
	buffer_load_dword v147, off, s[0:3], 0 offset:400
	;; [unrolled: 1-line block ×7, first 2 shown]
	s_waitcnt vmcnt(23) lgkmcnt(0)
	v_fma_f64 v[125:126], v[149:150], v[129:130], v[125:126]
	s_waitcnt vmcnt(18)
	v_fma_f64 v[133:134], v[133:134], v[131:132], v[125:126]
	ds_read_b128 v[125:128], v124 offset:816
	ds_read_b128 v[129:132], v124 offset:832
	buffer_load_dword v148, off, s[0:3], 0 offset:404
	s_waitcnt vmcnt(18) lgkmcnt(1)
	v_fma_f64 v[125:126], v[157:158], v[125:126], v[133:134]
	s_waitcnt vmcnt(17)
	v_fma_f64 v[125:126], v[155:156], v[127:128], v[125:126]
	buffer_load_dword v134, off, s[0:3], 0 offset:412
	buffer_load_dword v149, off, s[0:3], 0 offset:432
	;; [unrolled: 1-line block ×8, first 2 shown]
	s_waitcnt vmcnt(24) lgkmcnt(0)
	v_fma_f64 v[125:126], v[135:136], v[129:130], v[125:126]
	s_waitcnt vmcnt(19)
	v_fma_f64 v[135:136], v[137:138], v[131:132], v[125:126]
	ds_read_b128 v[125:128], v124 offset:848
	ds_read_b128 v[129:132], v124 offset:864
	s_waitcnt vmcnt(18) lgkmcnt(1)
	v_fma_f64 v[125:126], v[143:144], v[125:126], v[135:136]
	s_waitcnt vmcnt(17)
	v_fma_f64 v[125:126], v[141:142], v[127:128], v[125:126]
	buffer_load_dword v136, off, s[0:3], 0 offset:444
	buffer_load_dword v137, off, s[0:3], 0 offset:464
	;; [unrolled: 1-line block ×7, first 2 shown]
	s_waitcnt vmcnt(23) lgkmcnt(0)
	v_fma_f64 v[125:126], v[139:140], v[129:130], v[125:126]
	s_waitcnt vmcnt(18)
	v_fma_f64 v[138:139], v[145:146], v[131:132], v[125:126]
	ds_read_b128 v[125:128], v124 offset:880
	ds_read_b128 v[129:132], v124 offset:896
	s_waitcnt vmcnt(17) lgkmcnt(1)
	v_fma_f64 v[125:126], v[153:154], v[125:126], v[138:139]
	buffer_load_dword v138, off, s[0:3], 0 offset:468
	buffer_load_dword v140, off, s[0:3], 0 offset:476
	;; [unrolled: 1-line block ×5, first 2 shown]
	s_waitcnt vmcnt(21)
	v_fma_f64 v[125:126], v[151:152], v[127:128], v[125:126]
	s_waitcnt vmcnt(20) lgkmcnt(0)
	v_fma_f64 v[125:126], v[147:148], v[129:130], v[125:126]
	buffer_load_dword v147, off, s[0:3], 0 offset:216
	buffer_load_dword v148, off, s[0:3], 0 offset:220
	s_waitcnt vmcnt(17)
	v_fma_f64 v[133:134], v[133:134], v[131:132], v[125:126]
	ds_read_b128 v[125:128], v124 offset:912
	ds_read_b128 v[129:132], v124 offset:928
	s_waitcnt vmcnt(16) lgkmcnt(1)
	v_fma_f64 v[125:126], v[157:158], v[125:126], v[133:134]
	s_waitcnt vmcnt(15)
	v_fma_f64 v[125:126], v[155:156], v[127:128], v[125:126]
	s_waitcnt vmcnt(14) lgkmcnt(0)
	v_fma_f64 v[125:126], v[149:150], v[129:130], v[125:126]
	s_waitcnt vmcnt(9)
	v_fma_f64 v[133:134], v[135:136], v[131:132], v[125:126]
	ds_read_b128 v[125:128], v124 offset:944
	ds_read_b128 v[129:132], v124 offset:960
	s_waitcnt vmcnt(8) lgkmcnt(1)
	v_fma_f64 v[125:126], v[143:144], v[125:126], v[133:134]
	s_waitcnt vmcnt(7)
	v_fma_f64 v[125:126], v[141:142], v[127:128], v[125:126]
	ds_read_b64 v[127:128], v124 offset:976
	s_waitcnt vmcnt(6) lgkmcnt(1)
	v_fma_f64 v[125:126], v[137:138], v[129:130], v[125:126]
	s_waitcnt vmcnt(3)
	v_fma_f64 v[125:126], v[139:140], v[131:132], v[125:126]
	s_waitcnt vmcnt(2) lgkmcnt(0)
	v_fma_f64 v[125:126], v[145:146], v[127:128], v[125:126]
	s_waitcnt vmcnt(0)
	v_add_f64 v[125:126], v[147:148], -v[125:126]
	buffer_store_dword v126, off, s[0:3], 0 offset:220
	buffer_store_dword v125, off, s[0:3], 0 offset:216
	s_and_saveexec_b64 s[4:5], vcc
	s_cbranch_execz .LBB60_321
; %bb.320:
	buffer_load_dword v125, off, s[0:3], 0 offset:208
	buffer_load_dword v126, off, s[0:3], 0 offset:212
	s_waitcnt vmcnt(0)
	ds_write_b64 v123, v[125:126]
	buffer_store_dword v124, off, s[0:3], 0 offset:208
	buffer_store_dword v124, off, s[0:3], 0 offset:212
.LBB60_321:
	s_or_b64 exec, exec, s[4:5]
	s_waitcnt lgkmcnt(0)
	; wave barrier
	buffer_load_dword v133, off, s[0:3], 0 offset:216
	buffer_load_dword v134, off, s[0:3], 0 offset:220
	;; [unrolled: 1-line block ×21, first 2 shown]
	ds_read2_b64 v[125:128], v124 offset0:89 offset1:90
	ds_read2_b64 v[129:132], v124 offset0:91 offset1:92
	buffer_load_dword v150, off, s[0:3], 0 offset:300
	v_cmp_lt_u32_e32 vcc, 25, v0
	s_waitcnt vmcnt(20) lgkmcnt(1)
	v_fma_f64 v[125:126], v[133:134], v[125:126], 0
	s_waitcnt vmcnt(18)
	v_fma_f64 v[125:126], v[135:136], v[127:128], v[125:126]
	buffer_load_dword v134, off, s[0:3], 0 offset:308
	buffer_load_dword v135, off, s[0:3], 0 offset:328
	;; [unrolled: 1-line block ×7, first 2 shown]
	s_waitcnt vmcnt(23) lgkmcnt(0)
	v_fma_f64 v[125:126], v[137:138], v[129:130], v[125:126]
	s_waitcnt vmcnt(21)
	v_fma_f64 v[136:137], v[139:140], v[131:132], v[125:126]
	ds_read2_b64 v[125:128], v124 offset0:93 offset1:94
	ds_read2_b64 v[129:132], v124 offset0:95 offset1:96
	s_waitcnt vmcnt(19) lgkmcnt(1)
	v_fma_f64 v[125:126], v[141:142], v[125:126], v[136:137]
	buffer_load_dword v136, off, s[0:3], 0 offset:332
	s_waitcnt vmcnt(18)
	v_fma_f64 v[125:126], v[143:144], v[127:128], v[125:126]
	buffer_load_dword v138, off, s[0:3], 0 offset:340
	buffer_load_dword v139, off, s[0:3], 0 offset:360
	;; [unrolled: 1-line block ×8, first 2 shown]
	s_waitcnt vmcnt(24) lgkmcnt(0)
	v_fma_f64 v[125:126], v[145:146], v[129:130], v[125:126]
	s_waitcnt vmcnt(19)
	v_fma_f64 v[145:146], v[147:148], v[131:132], v[125:126]
	ds_read2_b64 v[125:128], v124 offset0:97 offset1:98
	ds_read2_b64 v[129:132], v124 offset0:99 offset1:100
	s_waitcnt vmcnt(18) lgkmcnt(1)
	v_fma_f64 v[125:126], v[153:154], v[125:126], v[145:146]
	s_waitcnt vmcnt(17)
	v_fma_f64 v[125:126], v[151:152], v[127:128], v[125:126]
	buffer_load_dword v146, off, s[0:3], 0 offset:372
	buffer_load_dword v147, off, s[0:3], 0 offset:392
	;; [unrolled: 1-line block ×7, first 2 shown]
	s_waitcnt vmcnt(23) lgkmcnt(0)
	v_fma_f64 v[125:126], v[149:150], v[129:130], v[125:126]
	s_waitcnt vmcnt(18)
	v_fma_f64 v[133:134], v[133:134], v[131:132], v[125:126]
	ds_read2_b64 v[125:128], v124 offset0:101 offset1:102
	ds_read2_b64 v[129:132], v124 offset0:103 offset1:104
	buffer_load_dword v148, off, s[0:3], 0 offset:396
	s_waitcnt vmcnt(18) lgkmcnt(1)
	v_fma_f64 v[125:126], v[157:158], v[125:126], v[133:134]
	s_waitcnt vmcnt(17)
	v_fma_f64 v[125:126], v[155:156], v[127:128], v[125:126]
	buffer_load_dword v134, off, s[0:3], 0 offset:404
	buffer_load_dword v149, off, s[0:3], 0 offset:424
	;; [unrolled: 1-line block ×8, first 2 shown]
	s_waitcnt vmcnt(24) lgkmcnt(0)
	v_fma_f64 v[125:126], v[135:136], v[129:130], v[125:126]
	s_waitcnt vmcnt(19)
	v_fma_f64 v[135:136], v[137:138], v[131:132], v[125:126]
	ds_read2_b64 v[125:128], v124 offset0:105 offset1:106
	ds_read2_b64 v[129:132], v124 offset0:107 offset1:108
	s_waitcnt vmcnt(18) lgkmcnt(1)
	v_fma_f64 v[125:126], v[143:144], v[125:126], v[135:136]
	s_waitcnt vmcnt(17)
	v_fma_f64 v[125:126], v[141:142], v[127:128], v[125:126]
	buffer_load_dword v136, off, s[0:3], 0 offset:436
	buffer_load_dword v137, off, s[0:3], 0 offset:456
	;; [unrolled: 1-line block ×7, first 2 shown]
	s_waitcnt vmcnt(23) lgkmcnt(0)
	v_fma_f64 v[125:126], v[139:140], v[129:130], v[125:126]
	s_waitcnt vmcnt(18)
	v_fma_f64 v[138:139], v[145:146], v[131:132], v[125:126]
	ds_read2_b64 v[125:128], v124 offset0:109 offset1:110
	ds_read2_b64 v[129:132], v124 offset0:111 offset1:112
	s_waitcnt vmcnt(17) lgkmcnt(1)
	v_fma_f64 v[125:126], v[153:154], v[125:126], v[138:139]
	buffer_load_dword v138, off, s[0:3], 0 offset:460
	s_waitcnt vmcnt(17)
	v_fma_f64 v[125:126], v[151:152], v[127:128], v[125:126]
	buffer_load_dword v140, off, s[0:3], 0 offset:468
	buffer_load_dword v145, off, s[0:3], 0 offset:480
	buffer_load_dword v151, off, s[0:3], 0 offset:472
	buffer_load_dword v139, off, s[0:3], 0 offset:464
	buffer_load_dword v152, off, s[0:3], 0 offset:476
	buffer_load_dword v146, off, s[0:3], 0 offset:484
	s_waitcnt vmcnt(22) lgkmcnt(0)
	v_fma_f64 v[125:126], v[147:148], v[129:130], v[125:126]
	s_waitcnt vmcnt(17)
	v_fma_f64 v[133:134], v[133:134], v[131:132], v[125:126]
	ds_read2_b64 v[125:128], v124 offset0:113 offset1:114
	buffer_load_dword v147, off, s[0:3], 0 offset:208
	buffer_load_dword v148, off, s[0:3], 0 offset:212
	ds_read2_b64 v[129:132], v124 offset0:115 offset1:116
	s_waitcnt vmcnt(18) lgkmcnt(1)
	v_fma_f64 v[125:126], v[157:158], v[125:126], v[133:134]
	s_waitcnt vmcnt(17)
	v_fma_f64 v[125:126], v[155:156], v[127:128], v[125:126]
	s_waitcnt vmcnt(16) lgkmcnt(0)
	v_fma_f64 v[125:126], v[149:150], v[129:130], v[125:126]
	s_waitcnt vmcnt(11)
	v_fma_f64 v[133:134], v[135:136], v[131:132], v[125:126]
	ds_read2_b64 v[125:128], v124 offset0:117 offset1:118
	ds_read2_b64 v[129:132], v124 offset0:119 offset1:120
	s_waitcnt vmcnt(10) lgkmcnt(1)
	v_fma_f64 v[125:126], v[143:144], v[125:126], v[133:134]
	s_waitcnt vmcnt(9)
	v_fma_f64 v[125:126], v[141:142], v[127:128], v[125:126]
	s_waitcnt vmcnt(8) lgkmcnt(0)
	v_fma_f64 v[125:126], v[137:138], v[129:130], v[125:126]
	s_waitcnt vmcnt(4)
	v_fma_f64 v[128:129], v[139:140], v[131:132], v[125:126]
	ds_read2_b64 v[124:127], v124 offset0:121 offset1:122
	s_waitcnt vmcnt(3) lgkmcnt(0)
	v_fma_f64 v[124:125], v[151:152], v[124:125], v[128:129]
	s_waitcnt vmcnt(2)
	v_fma_f64 v[124:125], v[145:146], v[126:127], v[124:125]
	s_waitcnt vmcnt(0)
	v_add_f64 v[124:125], v[147:148], -v[124:125]
	buffer_store_dword v125, off, s[0:3], 0 offset:212
	buffer_store_dword v124, off, s[0:3], 0 offset:208
	s_and_saveexec_b64 s[4:5], vcc
	s_cbranch_execz .LBB60_323
; %bb.322:
	buffer_load_dword v124, off, s[0:3], 0 offset:200
	buffer_load_dword v125, off, s[0:3], 0 offset:204
	v_mov_b32_e32 v126, 0
	buffer_store_dword v126, off, s[0:3], 0 offset:200
	buffer_store_dword v126, off, s[0:3], 0 offset:204
	s_waitcnt vmcnt(2)
	ds_write_b64 v123, v[124:125]
.LBB60_323:
	s_or_b64 exec, exec, s[4:5]
	s_waitcnt lgkmcnt(0)
	; wave barrier
	buffer_load_dword v133, off, s[0:3], 0 offset:208
	buffer_load_dword v134, off, s[0:3], 0 offset:212
	;; [unrolled: 1-line block ×21, first 2 shown]
	v_mov_b32_e32 v124, 0
	ds_read_b128 v[125:128], v124 offset:704
	ds_read_b128 v[129:132], v124 offset:720
	buffer_load_dword v150, off, s[0:3], 0 offset:292
	v_cmp_lt_u32_e32 vcc, 24, v0
	s_waitcnt vmcnt(20) lgkmcnt(1)
	v_fma_f64 v[125:126], v[133:134], v[125:126], 0
	s_waitcnt vmcnt(18)
	v_fma_f64 v[125:126], v[135:136], v[127:128], v[125:126]
	buffer_load_dword v134, off, s[0:3], 0 offset:300
	buffer_load_dword v135, off, s[0:3], 0 offset:320
	;; [unrolled: 1-line block ×7, first 2 shown]
	s_waitcnt vmcnt(23) lgkmcnt(0)
	v_fma_f64 v[125:126], v[137:138], v[129:130], v[125:126]
	s_waitcnt vmcnt(21)
	v_fma_f64 v[136:137], v[139:140], v[131:132], v[125:126]
	ds_read_b128 v[125:128], v124 offset:736
	ds_read_b128 v[129:132], v124 offset:752
	s_waitcnt vmcnt(19) lgkmcnt(1)
	v_fma_f64 v[125:126], v[141:142], v[125:126], v[136:137]
	buffer_load_dword v136, off, s[0:3], 0 offset:324
	s_waitcnt vmcnt(18)
	v_fma_f64 v[125:126], v[143:144], v[127:128], v[125:126]
	buffer_load_dword v138, off, s[0:3], 0 offset:332
	buffer_load_dword v139, off, s[0:3], 0 offset:352
	;; [unrolled: 1-line block ×8, first 2 shown]
	s_waitcnt vmcnt(24) lgkmcnt(0)
	v_fma_f64 v[125:126], v[145:146], v[129:130], v[125:126]
	s_waitcnt vmcnt(19)
	v_fma_f64 v[145:146], v[147:148], v[131:132], v[125:126]
	ds_read_b128 v[125:128], v124 offset:768
	ds_read_b128 v[129:132], v124 offset:784
	s_waitcnt vmcnt(18) lgkmcnt(1)
	v_fma_f64 v[125:126], v[153:154], v[125:126], v[145:146]
	s_waitcnt vmcnt(17)
	v_fma_f64 v[125:126], v[151:152], v[127:128], v[125:126]
	buffer_load_dword v146, off, s[0:3], 0 offset:364
	buffer_load_dword v147, off, s[0:3], 0 offset:384
	buffer_load_dword v151, off, s[0:3], 0 offset:376
	buffer_load_dword v153, off, s[0:3], 0 offset:368
	buffer_load_dword v145, off, s[0:3], 0 offset:360
	buffer_load_dword v154, off, s[0:3], 0 offset:372
	buffer_load_dword v152, off, s[0:3], 0 offset:380
	s_waitcnt vmcnt(23) lgkmcnt(0)
	v_fma_f64 v[125:126], v[149:150], v[129:130], v[125:126]
	s_waitcnt vmcnt(18)
	v_fma_f64 v[133:134], v[133:134], v[131:132], v[125:126]
	ds_read_b128 v[125:128], v124 offset:800
	ds_read_b128 v[129:132], v124 offset:816
	buffer_load_dword v148, off, s[0:3], 0 offset:388
	s_waitcnt vmcnt(18) lgkmcnt(1)
	v_fma_f64 v[125:126], v[157:158], v[125:126], v[133:134]
	s_waitcnt vmcnt(17)
	v_fma_f64 v[125:126], v[155:156], v[127:128], v[125:126]
	buffer_load_dword v134, off, s[0:3], 0 offset:396
	buffer_load_dword v149, off, s[0:3], 0 offset:416
	;; [unrolled: 1-line block ×8, first 2 shown]
	s_waitcnt vmcnt(24) lgkmcnt(0)
	v_fma_f64 v[125:126], v[135:136], v[129:130], v[125:126]
	s_waitcnt vmcnt(19)
	v_fma_f64 v[135:136], v[137:138], v[131:132], v[125:126]
	ds_read_b128 v[125:128], v124 offset:832
	ds_read_b128 v[129:132], v124 offset:848
	s_waitcnt vmcnt(18) lgkmcnt(1)
	v_fma_f64 v[125:126], v[143:144], v[125:126], v[135:136]
	s_waitcnt vmcnt(17)
	v_fma_f64 v[125:126], v[141:142], v[127:128], v[125:126]
	buffer_load_dword v136, off, s[0:3], 0 offset:428
	buffer_load_dword v137, off, s[0:3], 0 offset:448
	;; [unrolled: 1-line block ×7, first 2 shown]
	s_waitcnt vmcnt(23) lgkmcnt(0)
	v_fma_f64 v[125:126], v[139:140], v[129:130], v[125:126]
	s_waitcnt vmcnt(18)
	v_fma_f64 v[138:139], v[145:146], v[131:132], v[125:126]
	ds_read_b128 v[125:128], v124 offset:864
	ds_read_b128 v[129:132], v124 offset:880
	s_waitcnt vmcnt(17) lgkmcnt(1)
	v_fma_f64 v[125:126], v[153:154], v[125:126], v[138:139]
	buffer_load_dword v138, off, s[0:3], 0 offset:452
	s_waitcnt vmcnt(17)
	v_fma_f64 v[125:126], v[151:152], v[127:128], v[125:126]
	buffer_load_dword v140, off, s[0:3], 0 offset:460
	buffer_load_dword v145, off, s[0:3], 0 offset:480
	;; [unrolled: 1-line block ×8, first 2 shown]
	s_waitcnt vmcnt(24) lgkmcnt(0)
	v_fma_f64 v[125:126], v[147:148], v[129:130], v[125:126]
	s_waitcnt vmcnt(19)
	v_fma_f64 v[133:134], v[133:134], v[131:132], v[125:126]
	ds_read_b128 v[125:128], v124 offset:896
	ds_read_b128 v[129:132], v124 offset:912
	s_waitcnt vmcnt(18) lgkmcnt(1)
	v_fma_f64 v[125:126], v[157:158], v[125:126], v[133:134]
	buffer_load_dword v133, off, s[0:3], 0 offset:200
	buffer_load_dword v134, off, s[0:3], 0 offset:204
	s_waitcnt vmcnt(19)
	v_fma_f64 v[125:126], v[155:156], v[127:128], v[125:126]
	s_waitcnt vmcnt(18) lgkmcnt(0)
	v_fma_f64 v[125:126], v[149:150], v[129:130], v[125:126]
	s_waitcnt vmcnt(13)
	v_fma_f64 v[135:136], v[135:136], v[131:132], v[125:126]
	ds_read_b128 v[125:128], v124 offset:928
	ds_read_b128 v[129:132], v124 offset:944
	s_waitcnt vmcnt(12) lgkmcnt(1)
	v_fma_f64 v[125:126], v[143:144], v[125:126], v[135:136]
	s_waitcnt vmcnt(11)
	v_fma_f64 v[125:126], v[141:142], v[127:128], v[125:126]
	s_waitcnt vmcnt(10) lgkmcnt(0)
	v_fma_f64 v[125:126], v[137:138], v[129:130], v[125:126]
	s_waitcnt vmcnt(5)
	v_fma_f64 v[129:130], v[139:140], v[131:132], v[125:126]
	ds_read_b128 v[125:128], v124 offset:960
	ds_read_b64 v[131:132], v124 offset:976
	s_waitcnt vmcnt(4) lgkmcnt(1)
	v_fma_f64 v[125:126], v[153:154], v[125:126], v[129:130]
	s_waitcnt vmcnt(3)
	v_fma_f64 v[125:126], v[151:152], v[127:128], v[125:126]
	s_waitcnt vmcnt(2) lgkmcnt(0)
	v_fma_f64 v[125:126], v[145:146], v[131:132], v[125:126]
	s_waitcnt vmcnt(0)
	v_add_f64 v[125:126], v[133:134], -v[125:126]
	buffer_store_dword v126, off, s[0:3], 0 offset:204
	buffer_store_dword v125, off, s[0:3], 0 offset:200
	s_and_saveexec_b64 s[4:5], vcc
	s_cbranch_execz .LBB60_325
; %bb.324:
	buffer_load_dword v125, off, s[0:3], 0 offset:192
	buffer_load_dword v126, off, s[0:3], 0 offset:196
	s_waitcnt vmcnt(0)
	ds_write_b64 v123, v[125:126]
	buffer_store_dword v124, off, s[0:3], 0 offset:192
	buffer_store_dword v124, off, s[0:3], 0 offset:196
.LBB60_325:
	s_or_b64 exec, exec, s[4:5]
	s_waitcnt lgkmcnt(0)
	; wave barrier
	buffer_load_dword v133, off, s[0:3], 0 offset:200
	buffer_load_dword v134, off, s[0:3], 0 offset:204
	;; [unrolled: 1-line block ×21, first 2 shown]
	ds_read2_b64 v[125:128], v124 offset0:87 offset1:88
	ds_read2_b64 v[129:132], v124 offset0:89 offset1:90
	buffer_load_dword v150, off, s[0:3], 0 offset:284
	v_cmp_lt_u32_e32 vcc, 23, v0
	s_waitcnt vmcnt(20) lgkmcnt(1)
	v_fma_f64 v[125:126], v[133:134], v[125:126], 0
	s_waitcnt vmcnt(18)
	v_fma_f64 v[125:126], v[135:136], v[127:128], v[125:126]
	buffer_load_dword v134, off, s[0:3], 0 offset:292
	buffer_load_dword v135, off, s[0:3], 0 offset:312
	buffer_load_dword v155, off, s[0:3], 0 offset:304
	buffer_load_dword v157, off, s[0:3], 0 offset:296
	buffer_load_dword v133, off, s[0:3], 0 offset:288
	buffer_load_dword v158, off, s[0:3], 0 offset:300
	buffer_load_dword v156, off, s[0:3], 0 offset:308
	s_waitcnt vmcnt(23) lgkmcnt(0)
	v_fma_f64 v[125:126], v[137:138], v[129:130], v[125:126]
	s_waitcnt vmcnt(21)
	v_fma_f64 v[136:137], v[139:140], v[131:132], v[125:126]
	ds_read2_b64 v[125:128], v124 offset0:91 offset1:92
	ds_read2_b64 v[129:132], v124 offset0:93 offset1:94
	s_waitcnt vmcnt(19) lgkmcnt(1)
	v_fma_f64 v[125:126], v[141:142], v[125:126], v[136:137]
	buffer_load_dword v136, off, s[0:3], 0 offset:316
	s_waitcnt vmcnt(18)
	v_fma_f64 v[125:126], v[143:144], v[127:128], v[125:126]
	buffer_load_dword v138, off, s[0:3], 0 offset:324
	buffer_load_dword v139, off, s[0:3], 0 offset:344
	;; [unrolled: 1-line block ×8, first 2 shown]
	s_waitcnt vmcnt(24) lgkmcnt(0)
	v_fma_f64 v[125:126], v[145:146], v[129:130], v[125:126]
	s_waitcnt vmcnt(19)
	v_fma_f64 v[145:146], v[147:148], v[131:132], v[125:126]
	ds_read2_b64 v[125:128], v124 offset0:95 offset1:96
	ds_read2_b64 v[129:132], v124 offset0:97 offset1:98
	s_waitcnt vmcnt(18) lgkmcnt(1)
	v_fma_f64 v[125:126], v[153:154], v[125:126], v[145:146]
	s_waitcnt vmcnt(17)
	v_fma_f64 v[125:126], v[151:152], v[127:128], v[125:126]
	buffer_load_dword v146, off, s[0:3], 0 offset:356
	buffer_load_dword v147, off, s[0:3], 0 offset:376
	;; [unrolled: 1-line block ×7, first 2 shown]
	s_waitcnt vmcnt(23) lgkmcnt(0)
	v_fma_f64 v[125:126], v[149:150], v[129:130], v[125:126]
	s_waitcnt vmcnt(18)
	v_fma_f64 v[133:134], v[133:134], v[131:132], v[125:126]
	ds_read2_b64 v[125:128], v124 offset0:99 offset1:100
	ds_read2_b64 v[129:132], v124 offset0:101 offset1:102
	buffer_load_dword v148, off, s[0:3], 0 offset:380
	s_waitcnt vmcnt(18) lgkmcnt(1)
	v_fma_f64 v[125:126], v[157:158], v[125:126], v[133:134]
	s_waitcnt vmcnt(17)
	v_fma_f64 v[125:126], v[155:156], v[127:128], v[125:126]
	buffer_load_dword v134, off, s[0:3], 0 offset:388
	buffer_load_dword v149, off, s[0:3], 0 offset:408
	;; [unrolled: 1-line block ×8, first 2 shown]
	s_waitcnt vmcnt(24) lgkmcnt(0)
	v_fma_f64 v[125:126], v[135:136], v[129:130], v[125:126]
	s_waitcnt vmcnt(19)
	v_fma_f64 v[135:136], v[137:138], v[131:132], v[125:126]
	ds_read2_b64 v[125:128], v124 offset0:103 offset1:104
	ds_read2_b64 v[129:132], v124 offset0:105 offset1:106
	s_waitcnt vmcnt(18) lgkmcnt(1)
	v_fma_f64 v[125:126], v[143:144], v[125:126], v[135:136]
	s_waitcnt vmcnt(17)
	v_fma_f64 v[125:126], v[141:142], v[127:128], v[125:126]
	buffer_load_dword v136, off, s[0:3], 0 offset:420
	buffer_load_dword v137, off, s[0:3], 0 offset:440
	buffer_load_dword v141, off, s[0:3], 0 offset:432
	buffer_load_dword v143, off, s[0:3], 0 offset:424
	buffer_load_dword v135, off, s[0:3], 0 offset:416
	buffer_load_dword v144, off, s[0:3], 0 offset:428
	buffer_load_dword v142, off, s[0:3], 0 offset:436
	s_waitcnt vmcnt(23) lgkmcnt(0)
	v_fma_f64 v[125:126], v[139:140], v[129:130], v[125:126]
	s_waitcnt vmcnt(18)
	v_fma_f64 v[138:139], v[145:146], v[131:132], v[125:126]
	ds_read2_b64 v[125:128], v124 offset0:107 offset1:108
	ds_read2_b64 v[129:132], v124 offset0:109 offset1:110
	s_waitcnt vmcnt(17) lgkmcnt(1)
	v_fma_f64 v[125:126], v[153:154], v[125:126], v[138:139]
	buffer_load_dword v138, off, s[0:3], 0 offset:444
	s_waitcnt vmcnt(17)
	v_fma_f64 v[125:126], v[151:152], v[127:128], v[125:126]
	buffer_load_dword v140, off, s[0:3], 0 offset:452
	buffer_load_dword v145, off, s[0:3], 0 offset:472
	;; [unrolled: 1-line block ×8, first 2 shown]
	s_waitcnt vmcnt(24) lgkmcnt(0)
	v_fma_f64 v[125:126], v[147:148], v[129:130], v[125:126]
	s_waitcnt vmcnt(19)
	v_fma_f64 v[133:134], v[133:134], v[131:132], v[125:126]
	ds_read2_b64 v[125:128], v124 offset0:111 offset1:112
	ds_read2_b64 v[129:132], v124 offset0:113 offset1:114
	s_waitcnt vmcnt(18) lgkmcnt(1)
	v_fma_f64 v[125:126], v[157:158], v[125:126], v[133:134]
	buffer_load_dword v134, off, s[0:3], 0 offset:484
	buffer_load_dword v133, off, s[0:3], 0 offset:480
	;; [unrolled: 1-line block ×4, first 2 shown]
	s_waitcnt vmcnt(21)
	v_fma_f64 v[125:126], v[155:156], v[127:128], v[125:126]
	s_waitcnt vmcnt(20) lgkmcnt(0)
	v_fma_f64 v[125:126], v[149:150], v[129:130], v[125:126]
	s_waitcnt vmcnt(15)
	v_fma_f64 v[135:136], v[135:136], v[131:132], v[125:126]
	ds_read2_b64 v[125:128], v124 offset0:115 offset1:116
	ds_read2_b64 v[129:132], v124 offset0:117 offset1:118
	s_waitcnt vmcnt(14) lgkmcnt(1)
	v_fma_f64 v[125:126], v[143:144], v[125:126], v[135:136]
	s_waitcnt vmcnt(13)
	v_fma_f64 v[125:126], v[141:142], v[127:128], v[125:126]
	s_waitcnt vmcnt(12) lgkmcnt(0)
	v_fma_f64 v[125:126], v[137:138], v[129:130], v[125:126]
	s_waitcnt vmcnt(7)
	v_fma_f64 v[135:136], v[139:140], v[131:132], v[125:126]
	ds_read2_b64 v[125:128], v124 offset0:119 offset1:120
	ds_read2_b64 v[129:132], v124 offset0:121 offset1:122
	s_waitcnt vmcnt(6) lgkmcnt(1)
	v_fma_f64 v[124:125], v[153:154], v[125:126], v[135:136]
	s_waitcnt vmcnt(5)
	v_fma_f64 v[124:125], v[151:152], v[127:128], v[124:125]
	s_waitcnt vmcnt(4) lgkmcnt(0)
	v_fma_f64 v[124:125], v[145:146], v[129:130], v[124:125]
	s_waitcnt vmcnt(2)
	v_fma_f64 v[124:125], v[133:134], v[131:132], v[124:125]
	s_waitcnt vmcnt(0)
	v_add_f64 v[124:125], v[147:148], -v[124:125]
	buffer_store_dword v125, off, s[0:3], 0 offset:196
	buffer_store_dword v124, off, s[0:3], 0 offset:192
	s_and_saveexec_b64 s[4:5], vcc
	s_cbranch_execz .LBB60_327
; %bb.326:
	buffer_load_dword v124, off, s[0:3], 0 offset:184
	buffer_load_dword v125, off, s[0:3], 0 offset:188
	v_mov_b32_e32 v126, 0
	buffer_store_dword v126, off, s[0:3], 0 offset:184
	buffer_store_dword v126, off, s[0:3], 0 offset:188
	s_waitcnt vmcnt(2)
	ds_write_b64 v123, v[124:125]
.LBB60_327:
	s_or_b64 exec, exec, s[4:5]
	s_waitcnt lgkmcnt(0)
	; wave barrier
	buffer_load_dword v133, off, s[0:3], 0 offset:192
	buffer_load_dword v134, off, s[0:3], 0 offset:196
	buffer_load_dword v135, off, s[0:3], 0 offset:200
	buffer_load_dword v136, off, s[0:3], 0 offset:204
	buffer_load_dword v137, off, s[0:3], 0 offset:208
	buffer_load_dword v138, off, s[0:3], 0 offset:212
	buffer_load_dword v139, off, s[0:3], 0 offset:216
	buffer_load_dword v140, off, s[0:3], 0 offset:220
	buffer_load_dword v141, off, s[0:3], 0 offset:224
	buffer_load_dword v142, off, s[0:3], 0 offset:228
	buffer_load_dword v143, off, s[0:3], 0 offset:232
	buffer_load_dword v144, off, s[0:3], 0 offset:236
	buffer_load_dword v145, off, s[0:3], 0 offset:240
	buffer_load_dword v146, off, s[0:3], 0 offset:244
	buffer_load_dword v148, off, s[0:3], 0 offset:252
	buffer_load_dword v149, off, s[0:3], 0 offset:272
	buffer_load_dword v151, off, s[0:3], 0 offset:264
	buffer_load_dword v153, off, s[0:3], 0 offset:256
	buffer_load_dword v147, off, s[0:3], 0 offset:248
	buffer_load_dword v154, off, s[0:3], 0 offset:260
	buffer_load_dword v152, off, s[0:3], 0 offset:268
	v_mov_b32_e32 v124, 0
	ds_read_b128 v[125:128], v124 offset:688
	ds_read_b128 v[129:132], v124 offset:704
	buffer_load_dword v150, off, s[0:3], 0 offset:276
	v_cmp_lt_u32_e32 vcc, 22, v0
	s_waitcnt vmcnt(20) lgkmcnt(1)
	v_fma_f64 v[125:126], v[133:134], v[125:126], 0
	s_waitcnt vmcnt(18)
	v_fma_f64 v[125:126], v[135:136], v[127:128], v[125:126]
	buffer_load_dword v134, off, s[0:3], 0 offset:284
	buffer_load_dword v135, off, s[0:3], 0 offset:304
	;; [unrolled: 1-line block ×7, first 2 shown]
	s_waitcnt vmcnt(23) lgkmcnt(0)
	v_fma_f64 v[125:126], v[137:138], v[129:130], v[125:126]
	s_waitcnt vmcnt(21)
	v_fma_f64 v[136:137], v[139:140], v[131:132], v[125:126]
	ds_read_b128 v[125:128], v124 offset:720
	ds_read_b128 v[129:132], v124 offset:736
	s_waitcnt vmcnt(19) lgkmcnt(1)
	v_fma_f64 v[125:126], v[141:142], v[125:126], v[136:137]
	buffer_load_dword v136, off, s[0:3], 0 offset:308
	s_waitcnt vmcnt(18)
	v_fma_f64 v[125:126], v[143:144], v[127:128], v[125:126]
	buffer_load_dword v138, off, s[0:3], 0 offset:316
	buffer_load_dword v139, off, s[0:3], 0 offset:336
	;; [unrolled: 1-line block ×8, first 2 shown]
	s_waitcnt vmcnt(24) lgkmcnt(0)
	v_fma_f64 v[125:126], v[145:146], v[129:130], v[125:126]
	s_waitcnt vmcnt(19)
	v_fma_f64 v[145:146], v[147:148], v[131:132], v[125:126]
	ds_read_b128 v[125:128], v124 offset:752
	ds_read_b128 v[129:132], v124 offset:768
	s_waitcnt vmcnt(18) lgkmcnt(1)
	v_fma_f64 v[125:126], v[153:154], v[125:126], v[145:146]
	s_waitcnt vmcnt(17)
	v_fma_f64 v[125:126], v[151:152], v[127:128], v[125:126]
	buffer_load_dword v146, off, s[0:3], 0 offset:348
	buffer_load_dword v147, off, s[0:3], 0 offset:368
	;; [unrolled: 1-line block ×7, first 2 shown]
	s_waitcnt vmcnt(23) lgkmcnt(0)
	v_fma_f64 v[125:126], v[149:150], v[129:130], v[125:126]
	s_waitcnt vmcnt(18)
	v_fma_f64 v[133:134], v[133:134], v[131:132], v[125:126]
	ds_read_b128 v[125:128], v124 offset:784
	ds_read_b128 v[129:132], v124 offset:800
	buffer_load_dword v148, off, s[0:3], 0 offset:372
	s_waitcnt vmcnt(18) lgkmcnt(1)
	v_fma_f64 v[125:126], v[157:158], v[125:126], v[133:134]
	s_waitcnt vmcnt(17)
	v_fma_f64 v[125:126], v[155:156], v[127:128], v[125:126]
	buffer_load_dword v134, off, s[0:3], 0 offset:380
	buffer_load_dword v149, off, s[0:3], 0 offset:400
	;; [unrolled: 1-line block ×7, first 2 shown]
	s_waitcnt vmcnt(23) lgkmcnt(0)
	v_fma_f64 v[125:126], v[135:136], v[129:130], v[125:126]
	s_waitcnt vmcnt(18)
	v_fma_f64 v[135:136], v[137:138], v[131:132], v[125:126]
	ds_read_b128 v[125:128], v124 offset:816
	ds_read_b128 v[129:132], v124 offset:832
	buffer_load_dword v150, off, s[0:3], 0 offset:404
	s_waitcnt vmcnt(18) lgkmcnt(1)
	v_fma_f64 v[125:126], v[143:144], v[125:126], v[135:136]
	s_waitcnt vmcnt(17)
	v_fma_f64 v[125:126], v[141:142], v[127:128], v[125:126]
	buffer_load_dword v136, off, s[0:3], 0 offset:412
	buffer_load_dword v137, off, s[0:3], 0 offset:432
	;; [unrolled: 1-line block ×7, first 2 shown]
	s_waitcnt vmcnt(23) lgkmcnt(0)
	v_fma_f64 v[125:126], v[139:140], v[129:130], v[125:126]
	s_waitcnt vmcnt(18)
	v_fma_f64 v[138:139], v[145:146], v[131:132], v[125:126]
	ds_read_b128 v[125:128], v124 offset:848
	ds_read_b128 v[129:132], v124 offset:864
	s_waitcnt vmcnt(17) lgkmcnt(1)
	v_fma_f64 v[125:126], v[153:154], v[125:126], v[138:139]
	buffer_load_dword v138, off, s[0:3], 0 offset:436
	s_waitcnt vmcnt(17)
	v_fma_f64 v[125:126], v[151:152], v[127:128], v[125:126]
	buffer_load_dword v140, off, s[0:3], 0 offset:444
	buffer_load_dword v145, off, s[0:3], 0 offset:464
	;; [unrolled: 1-line block ×7, first 2 shown]
	s_waitcnt vmcnt(23) lgkmcnt(0)
	v_fma_f64 v[125:126], v[147:148], v[129:130], v[125:126]
	s_waitcnt vmcnt(18)
	v_fma_f64 v[133:134], v[133:134], v[131:132], v[125:126]
	ds_read_b128 v[125:128], v124 offset:880
	ds_read_b128 v[129:132], v124 offset:896
	buffer_load_dword v146, off, s[0:3], 0 offset:468
	s_waitcnt vmcnt(18) lgkmcnt(1)
	v_fma_f64 v[125:126], v[157:158], v[125:126], v[133:134]
	buffer_load_dword v134, off, s[0:3], 0 offset:476
	buffer_load_dword v147, off, s[0:3], 0 offset:480
	;; [unrolled: 1-line block ×4, first 2 shown]
	s_waitcnt vmcnt(21)
	v_fma_f64 v[125:126], v[155:156], v[127:128], v[125:126]
	s_waitcnt vmcnt(20) lgkmcnt(0)
	v_fma_f64 v[125:126], v[149:150], v[129:130], v[125:126]
	buffer_load_dword v149, off, s[0:3], 0 offset:184
	buffer_load_dword v150, off, s[0:3], 0 offset:188
	s_waitcnt vmcnt(17)
	v_fma_f64 v[135:136], v[135:136], v[131:132], v[125:126]
	ds_read_b128 v[125:128], v124 offset:912
	ds_read_b128 v[129:132], v124 offset:928
	s_waitcnt vmcnt(16) lgkmcnt(1)
	v_fma_f64 v[125:126], v[143:144], v[125:126], v[135:136]
	s_waitcnt vmcnt(15)
	v_fma_f64 v[125:126], v[141:142], v[127:128], v[125:126]
	s_waitcnt vmcnt(14) lgkmcnt(0)
	v_fma_f64 v[125:126], v[137:138], v[129:130], v[125:126]
	s_waitcnt vmcnt(9)
	v_fma_f64 v[135:136], v[139:140], v[131:132], v[125:126]
	ds_read_b128 v[125:128], v124 offset:944
	ds_read_b128 v[129:132], v124 offset:960
	s_waitcnt vmcnt(8) lgkmcnt(1)
	v_fma_f64 v[125:126], v[153:154], v[125:126], v[135:136]
	s_waitcnt vmcnt(7)
	v_fma_f64 v[125:126], v[151:152], v[127:128], v[125:126]
	ds_read_b64 v[127:128], v124 offset:976
	s_waitcnt vmcnt(6) lgkmcnt(1)
	v_fma_f64 v[125:126], v[145:146], v[129:130], v[125:126]
	s_waitcnt vmcnt(3)
	v_fma_f64 v[125:126], v[133:134], v[131:132], v[125:126]
	s_waitcnt vmcnt(2) lgkmcnt(0)
	v_fma_f64 v[125:126], v[147:148], v[127:128], v[125:126]
	s_waitcnt vmcnt(0)
	v_add_f64 v[125:126], v[149:150], -v[125:126]
	buffer_store_dword v126, off, s[0:3], 0 offset:188
	buffer_store_dword v125, off, s[0:3], 0 offset:184
	s_and_saveexec_b64 s[4:5], vcc
	s_cbranch_execz .LBB60_329
; %bb.328:
	buffer_load_dword v125, off, s[0:3], 0 offset:176
	buffer_load_dword v126, off, s[0:3], 0 offset:180
	s_waitcnt vmcnt(0)
	ds_write_b64 v123, v[125:126]
	buffer_store_dword v124, off, s[0:3], 0 offset:176
	buffer_store_dword v124, off, s[0:3], 0 offset:180
.LBB60_329:
	s_or_b64 exec, exec, s[4:5]
	s_waitcnt lgkmcnt(0)
	; wave barrier
	buffer_load_dword v133, off, s[0:3], 0 offset:184
	buffer_load_dword v134, off, s[0:3], 0 offset:188
	;; [unrolled: 1-line block ×22, first 2 shown]
	ds_read2_b64 v[125:128], v124 offset0:85 offset1:86
	ds_read2_b64 v[129:132], v124 offset0:87 offset1:88
	v_cmp_lt_u32_e32 vcc, 21, v0
	s_waitcnt vmcnt(20) lgkmcnt(1)
	v_fma_f64 v[125:126], v[133:134], v[125:126], 0
	s_waitcnt vmcnt(18)
	v_fma_f64 v[125:126], v[135:136], v[127:128], v[125:126]
	buffer_load_dword v134, off, s[0:3], 0 offset:276
	buffer_load_dword v135, off, s[0:3], 0 offset:296
	;; [unrolled: 1-line block ×7, first 2 shown]
	s_waitcnt vmcnt(23) lgkmcnt(0)
	v_fma_f64 v[125:126], v[137:138], v[129:130], v[125:126]
	s_waitcnt vmcnt(21)
	v_fma_f64 v[136:137], v[139:140], v[131:132], v[125:126]
	ds_read2_b64 v[125:128], v124 offset0:89 offset1:90
	ds_read2_b64 v[129:132], v124 offset0:91 offset1:92
	s_waitcnt vmcnt(19) lgkmcnt(1)
	v_fma_f64 v[125:126], v[141:142], v[125:126], v[136:137]
	buffer_load_dword v136, off, s[0:3], 0 offset:300
	s_waitcnt vmcnt(18)
	v_fma_f64 v[125:126], v[143:144], v[127:128], v[125:126]
	buffer_load_dword v138, off, s[0:3], 0 offset:308
	buffer_load_dword v139, off, s[0:3], 0 offset:328
	;; [unrolled: 1-line block ×8, first 2 shown]
	s_waitcnt vmcnt(24) lgkmcnt(0)
	v_fma_f64 v[125:126], v[145:146], v[129:130], v[125:126]
	s_waitcnt vmcnt(19)
	v_fma_f64 v[145:146], v[147:148], v[131:132], v[125:126]
	ds_read2_b64 v[125:128], v124 offset0:93 offset1:94
	ds_read2_b64 v[129:132], v124 offset0:95 offset1:96
	s_waitcnt vmcnt(18) lgkmcnt(1)
	v_fma_f64 v[125:126], v[153:154], v[125:126], v[145:146]
	s_waitcnt vmcnt(17)
	v_fma_f64 v[125:126], v[151:152], v[127:128], v[125:126]
	buffer_load_dword v146, off, s[0:3], 0 offset:340
	buffer_load_dword v147, off, s[0:3], 0 offset:360
	;; [unrolled: 1-line block ×8, first 2 shown]
	s_waitcnt vmcnt(24) lgkmcnt(0)
	v_fma_f64 v[125:126], v[149:150], v[129:130], v[125:126]
	s_waitcnt vmcnt(19)
	v_fma_f64 v[133:134], v[133:134], v[131:132], v[125:126]
	ds_read2_b64 v[125:128], v124 offset0:97 offset1:98
	ds_read2_b64 v[129:132], v124 offset0:99 offset1:100
	s_waitcnt vmcnt(18) lgkmcnt(1)
	v_fma_f64 v[125:126], v[157:158], v[125:126], v[133:134]
	s_waitcnt vmcnt(17)
	v_fma_f64 v[125:126], v[155:156], v[127:128], v[125:126]
	buffer_load_dword v134, off, s[0:3], 0 offset:372
	buffer_load_dword v149, off, s[0:3], 0 offset:392
	;; [unrolled: 1-line block ×7, first 2 shown]
	s_waitcnt vmcnt(23) lgkmcnt(0)
	v_fma_f64 v[125:126], v[135:136], v[129:130], v[125:126]
	s_waitcnt vmcnt(18)
	v_fma_f64 v[135:136], v[137:138], v[131:132], v[125:126]
	ds_read2_b64 v[125:128], v124 offset0:101 offset1:102
	ds_read2_b64 v[129:132], v124 offset0:103 offset1:104
	buffer_load_dword v150, off, s[0:3], 0 offset:396
	s_waitcnt vmcnt(18) lgkmcnt(1)
	v_fma_f64 v[125:126], v[143:144], v[125:126], v[135:136]
	s_waitcnt vmcnt(17)
	v_fma_f64 v[125:126], v[141:142], v[127:128], v[125:126]
	buffer_load_dword v136, off, s[0:3], 0 offset:404
	buffer_load_dword v137, off, s[0:3], 0 offset:424
	;; [unrolled: 1-line block ×7, first 2 shown]
	s_waitcnt vmcnt(23) lgkmcnt(0)
	v_fma_f64 v[125:126], v[139:140], v[129:130], v[125:126]
	s_waitcnt vmcnt(18)
	v_fma_f64 v[138:139], v[145:146], v[131:132], v[125:126]
	ds_read2_b64 v[125:128], v124 offset0:105 offset1:106
	ds_read2_b64 v[129:132], v124 offset0:107 offset1:108
	s_waitcnt vmcnt(17) lgkmcnt(1)
	v_fma_f64 v[125:126], v[153:154], v[125:126], v[138:139]
	buffer_load_dword v138, off, s[0:3], 0 offset:428
	s_waitcnt vmcnt(17)
	v_fma_f64 v[125:126], v[151:152], v[127:128], v[125:126]
	buffer_load_dword v140, off, s[0:3], 0 offset:436
	buffer_load_dword v145, off, s[0:3], 0 offset:456
	;; [unrolled: 1-line block ×8, first 2 shown]
	s_waitcnt vmcnt(24) lgkmcnt(0)
	v_fma_f64 v[125:126], v[147:148], v[129:130], v[125:126]
	s_waitcnt vmcnt(19)
	v_fma_f64 v[133:134], v[133:134], v[131:132], v[125:126]
	ds_read2_b64 v[125:128], v124 offset0:109 offset1:110
	ds_read2_b64 v[129:132], v124 offset0:111 offset1:112
	s_waitcnt vmcnt(18) lgkmcnt(1)
	v_fma_f64 v[125:126], v[157:158], v[125:126], v[133:134]
	s_waitcnt vmcnt(17)
	v_fma_f64 v[125:126], v[155:156], v[127:128], v[125:126]
	buffer_load_dword v134, off, s[0:3], 0 offset:468
	buffer_load_dword v147, off, s[0:3], 0 offset:480
	;; [unrolled: 1-line block ×6, first 2 shown]
	s_waitcnt vmcnt(22) lgkmcnt(0)
	v_fma_f64 v[125:126], v[149:150], v[129:130], v[125:126]
	s_waitcnt vmcnt(17)
	v_fma_f64 v[135:136], v[135:136], v[131:132], v[125:126]
	ds_read2_b64 v[125:128], v124 offset0:113 offset1:114
	buffer_load_dword v149, off, s[0:3], 0 offset:176
	buffer_load_dword v150, off, s[0:3], 0 offset:180
	ds_read2_b64 v[129:132], v124 offset0:115 offset1:116
	s_waitcnt vmcnt(18) lgkmcnt(1)
	v_fma_f64 v[125:126], v[143:144], v[125:126], v[135:136]
	s_waitcnt vmcnt(17)
	v_fma_f64 v[125:126], v[141:142], v[127:128], v[125:126]
	s_waitcnt vmcnt(16) lgkmcnt(0)
	v_fma_f64 v[125:126], v[137:138], v[129:130], v[125:126]
	s_waitcnt vmcnt(11)
	v_fma_f64 v[135:136], v[139:140], v[131:132], v[125:126]
	ds_read2_b64 v[125:128], v124 offset0:117 offset1:118
	ds_read2_b64 v[129:132], v124 offset0:119 offset1:120
	s_waitcnt vmcnt(10) lgkmcnt(1)
	v_fma_f64 v[125:126], v[153:154], v[125:126], v[135:136]
	s_waitcnt vmcnt(9)
	v_fma_f64 v[125:126], v[151:152], v[127:128], v[125:126]
	s_waitcnt vmcnt(8) lgkmcnt(0)
	v_fma_f64 v[125:126], v[145:146], v[129:130], v[125:126]
	s_waitcnt vmcnt(4)
	v_fma_f64 v[128:129], v[133:134], v[131:132], v[125:126]
	ds_read2_b64 v[124:127], v124 offset0:121 offset1:122
	s_waitcnt vmcnt(3) lgkmcnt(0)
	v_fma_f64 v[124:125], v[155:156], v[124:125], v[128:129]
	s_waitcnt vmcnt(2)
	v_fma_f64 v[124:125], v[147:148], v[126:127], v[124:125]
	s_waitcnt vmcnt(0)
	v_add_f64 v[124:125], v[149:150], -v[124:125]
	buffer_store_dword v125, off, s[0:3], 0 offset:180
	buffer_store_dword v124, off, s[0:3], 0 offset:176
	s_and_saveexec_b64 s[4:5], vcc
	s_cbranch_execz .LBB60_331
; %bb.330:
	buffer_load_dword v124, off, s[0:3], 0 offset:168
	buffer_load_dword v125, off, s[0:3], 0 offset:172
	v_mov_b32_e32 v126, 0
	buffer_store_dword v126, off, s[0:3], 0 offset:168
	buffer_store_dword v126, off, s[0:3], 0 offset:172
	s_waitcnt vmcnt(2)
	ds_write_b64 v123, v[124:125]
.LBB60_331:
	s_or_b64 exec, exec, s[4:5]
	s_waitcnt lgkmcnt(0)
	; wave barrier
	buffer_load_dword v133, off, s[0:3], 0 offset:176
	buffer_load_dword v134, off, s[0:3], 0 offset:180
	;; [unrolled: 1-line block ×22, first 2 shown]
	v_mov_b32_e32 v124, 0
	ds_read_b128 v[125:128], v124 offset:672
	ds_read_b128 v[129:132], v124 offset:688
	v_cmp_lt_u32_e32 vcc, 20, v0
	s_waitcnt vmcnt(20) lgkmcnt(1)
	v_fma_f64 v[125:126], v[133:134], v[125:126], 0
	s_waitcnt vmcnt(18)
	v_fma_f64 v[125:126], v[135:136], v[127:128], v[125:126]
	buffer_load_dword v134, off, s[0:3], 0 offset:268
	buffer_load_dword v135, off, s[0:3], 0 offset:288
	;; [unrolled: 1-line block ×7, first 2 shown]
	s_waitcnt vmcnt(23) lgkmcnt(0)
	v_fma_f64 v[125:126], v[137:138], v[129:130], v[125:126]
	s_waitcnt vmcnt(21)
	v_fma_f64 v[136:137], v[139:140], v[131:132], v[125:126]
	ds_read_b128 v[125:128], v124 offset:704
	ds_read_b128 v[129:132], v124 offset:720
	s_waitcnt vmcnt(19) lgkmcnt(1)
	v_fma_f64 v[125:126], v[141:142], v[125:126], v[136:137]
	buffer_load_dword v136, off, s[0:3], 0 offset:292
	s_waitcnt vmcnt(18)
	v_fma_f64 v[125:126], v[143:144], v[127:128], v[125:126]
	buffer_load_dword v138, off, s[0:3], 0 offset:300
	buffer_load_dword v139, off, s[0:3], 0 offset:320
	;; [unrolled: 1-line block ×8, first 2 shown]
	s_waitcnt vmcnt(24) lgkmcnt(0)
	v_fma_f64 v[125:126], v[145:146], v[129:130], v[125:126]
	s_waitcnt vmcnt(19)
	v_fma_f64 v[145:146], v[147:148], v[131:132], v[125:126]
	ds_read_b128 v[125:128], v124 offset:736
	ds_read_b128 v[129:132], v124 offset:752
	s_waitcnt vmcnt(18) lgkmcnt(1)
	v_fma_f64 v[125:126], v[153:154], v[125:126], v[145:146]
	s_waitcnt vmcnt(17)
	v_fma_f64 v[125:126], v[151:152], v[127:128], v[125:126]
	buffer_load_dword v146, off, s[0:3], 0 offset:332
	buffer_load_dword v147, off, s[0:3], 0 offset:352
	;; [unrolled: 1-line block ×8, first 2 shown]
	s_waitcnt vmcnt(24) lgkmcnt(0)
	v_fma_f64 v[125:126], v[149:150], v[129:130], v[125:126]
	s_waitcnt vmcnt(19)
	v_fma_f64 v[133:134], v[133:134], v[131:132], v[125:126]
	ds_read_b128 v[125:128], v124 offset:768
	ds_read_b128 v[129:132], v124 offset:784
	s_waitcnt vmcnt(18) lgkmcnt(1)
	v_fma_f64 v[125:126], v[157:158], v[125:126], v[133:134]
	s_waitcnt vmcnt(17)
	v_fma_f64 v[125:126], v[155:156], v[127:128], v[125:126]
	buffer_load_dword v134, off, s[0:3], 0 offset:364
	buffer_load_dword v149, off, s[0:3], 0 offset:384
	;; [unrolled: 1-line block ×7, first 2 shown]
	s_waitcnt vmcnt(23) lgkmcnt(0)
	v_fma_f64 v[125:126], v[135:136], v[129:130], v[125:126]
	s_waitcnt vmcnt(18)
	v_fma_f64 v[135:136], v[137:138], v[131:132], v[125:126]
	ds_read_b128 v[125:128], v124 offset:800
	ds_read_b128 v[129:132], v124 offset:816
	buffer_load_dword v150, off, s[0:3], 0 offset:388
	s_waitcnt vmcnt(18) lgkmcnt(1)
	v_fma_f64 v[125:126], v[143:144], v[125:126], v[135:136]
	s_waitcnt vmcnt(17)
	v_fma_f64 v[125:126], v[141:142], v[127:128], v[125:126]
	buffer_load_dword v136, off, s[0:3], 0 offset:396
	buffer_load_dword v137, off, s[0:3], 0 offset:416
	;; [unrolled: 1-line block ×7, first 2 shown]
	s_waitcnt vmcnt(23) lgkmcnt(0)
	v_fma_f64 v[125:126], v[139:140], v[129:130], v[125:126]
	s_waitcnt vmcnt(18)
	v_fma_f64 v[138:139], v[145:146], v[131:132], v[125:126]
	ds_read_b128 v[125:128], v124 offset:832
	ds_read_b128 v[129:132], v124 offset:848
	s_waitcnt vmcnt(17) lgkmcnt(1)
	v_fma_f64 v[125:126], v[153:154], v[125:126], v[138:139]
	buffer_load_dword v138, off, s[0:3], 0 offset:420
	s_waitcnt vmcnt(17)
	v_fma_f64 v[125:126], v[151:152], v[127:128], v[125:126]
	buffer_load_dword v140, off, s[0:3], 0 offset:428
	buffer_load_dword v145, off, s[0:3], 0 offset:448
	;; [unrolled: 1-line block ×8, first 2 shown]
	s_waitcnt vmcnt(24) lgkmcnt(0)
	v_fma_f64 v[125:126], v[147:148], v[129:130], v[125:126]
	s_waitcnt vmcnt(19)
	v_fma_f64 v[133:134], v[133:134], v[131:132], v[125:126]
	ds_read_b128 v[125:128], v124 offset:864
	ds_read_b128 v[129:132], v124 offset:880
	s_waitcnt vmcnt(18) lgkmcnt(1)
	v_fma_f64 v[125:126], v[157:158], v[125:126], v[133:134]
	s_waitcnt vmcnt(17)
	v_fma_f64 v[125:126], v[155:156], v[127:128], v[125:126]
	buffer_load_dword v134, off, s[0:3], 0 offset:460
	buffer_load_dword v147, off, s[0:3], 0 offset:480
	;; [unrolled: 1-line block ×8, first 2 shown]
	s_waitcnt vmcnt(24) lgkmcnt(0)
	v_fma_f64 v[125:126], v[149:150], v[129:130], v[125:126]
	s_waitcnt vmcnt(19)
	v_fma_f64 v[135:136], v[135:136], v[131:132], v[125:126]
	ds_read_b128 v[125:128], v124 offset:896
	ds_read_b128 v[129:132], v124 offset:912
	s_waitcnt vmcnt(18) lgkmcnt(1)
	v_fma_f64 v[125:126], v[143:144], v[125:126], v[135:136]
	buffer_load_dword v135, off, s[0:3], 0 offset:168
	buffer_load_dword v136, off, s[0:3], 0 offset:172
	s_waitcnt vmcnt(19)
	v_fma_f64 v[125:126], v[141:142], v[127:128], v[125:126]
	s_waitcnt vmcnt(18) lgkmcnt(0)
	v_fma_f64 v[125:126], v[137:138], v[129:130], v[125:126]
	s_waitcnt vmcnt(13)
	v_fma_f64 v[137:138], v[139:140], v[131:132], v[125:126]
	ds_read_b128 v[125:128], v124 offset:928
	ds_read_b128 v[129:132], v124 offset:944
	s_waitcnt vmcnt(12) lgkmcnt(1)
	v_fma_f64 v[125:126], v[153:154], v[125:126], v[137:138]
	s_waitcnt vmcnt(11)
	v_fma_f64 v[125:126], v[151:152], v[127:128], v[125:126]
	s_waitcnt vmcnt(10) lgkmcnt(0)
	v_fma_f64 v[125:126], v[145:146], v[129:130], v[125:126]
	s_waitcnt vmcnt(5)
	v_fma_f64 v[129:130], v[133:134], v[131:132], v[125:126]
	ds_read_b128 v[125:128], v124 offset:960
	ds_read_b64 v[131:132], v124 offset:976
	s_waitcnt vmcnt(4) lgkmcnt(1)
	v_fma_f64 v[125:126], v[157:158], v[125:126], v[129:130]
	s_waitcnt vmcnt(3)
	v_fma_f64 v[125:126], v[155:156], v[127:128], v[125:126]
	s_waitcnt vmcnt(2) lgkmcnt(0)
	v_fma_f64 v[125:126], v[147:148], v[131:132], v[125:126]
	s_waitcnt vmcnt(0)
	v_add_f64 v[125:126], v[135:136], -v[125:126]
	buffer_store_dword v126, off, s[0:3], 0 offset:172
	buffer_store_dword v125, off, s[0:3], 0 offset:168
	s_and_saveexec_b64 s[4:5], vcc
	s_cbranch_execz .LBB60_333
; %bb.332:
	buffer_load_dword v125, off, s[0:3], 0 offset:160
	buffer_load_dword v126, off, s[0:3], 0 offset:164
	s_waitcnt vmcnt(0)
	ds_write_b64 v123, v[125:126]
	buffer_store_dword v124, off, s[0:3], 0 offset:160
	buffer_store_dword v124, off, s[0:3], 0 offset:164
.LBB60_333:
	s_or_b64 exec, exec, s[4:5]
	s_waitcnt lgkmcnt(0)
	; wave barrier
	buffer_load_dword v133, off, s[0:3], 0 offset:168
	buffer_load_dword v134, off, s[0:3], 0 offset:172
	;; [unrolled: 1-line block ×22, first 2 shown]
	ds_read2_b64 v[125:128], v124 offset0:83 offset1:84
	ds_read2_b64 v[129:132], v124 offset0:85 offset1:86
	v_cmp_lt_u32_e32 vcc, 19, v0
	s_waitcnt vmcnt(20) lgkmcnt(1)
	v_fma_f64 v[125:126], v[133:134], v[125:126], 0
	s_waitcnt vmcnt(18)
	v_fma_f64 v[125:126], v[135:136], v[127:128], v[125:126]
	buffer_load_dword v134, off, s[0:3], 0 offset:260
	buffer_load_dword v135, off, s[0:3], 0 offset:280
	;; [unrolled: 1-line block ×7, first 2 shown]
	s_waitcnt vmcnt(23) lgkmcnt(0)
	v_fma_f64 v[125:126], v[137:138], v[129:130], v[125:126]
	s_waitcnt vmcnt(21)
	v_fma_f64 v[136:137], v[139:140], v[131:132], v[125:126]
	ds_read2_b64 v[125:128], v124 offset0:87 offset1:88
	ds_read2_b64 v[129:132], v124 offset0:89 offset1:90
	s_waitcnt vmcnt(19) lgkmcnt(1)
	v_fma_f64 v[125:126], v[141:142], v[125:126], v[136:137]
	buffer_load_dword v136, off, s[0:3], 0 offset:284
	s_waitcnt vmcnt(18)
	v_fma_f64 v[125:126], v[143:144], v[127:128], v[125:126]
	buffer_load_dword v138, off, s[0:3], 0 offset:292
	buffer_load_dword v139, off, s[0:3], 0 offset:312
	;; [unrolled: 1-line block ×8, first 2 shown]
	s_waitcnt vmcnt(24) lgkmcnt(0)
	v_fma_f64 v[125:126], v[145:146], v[129:130], v[125:126]
	s_waitcnt vmcnt(19)
	v_fma_f64 v[145:146], v[147:148], v[131:132], v[125:126]
	ds_read2_b64 v[125:128], v124 offset0:91 offset1:92
	ds_read2_b64 v[129:132], v124 offset0:93 offset1:94
	s_waitcnt vmcnt(18) lgkmcnt(1)
	v_fma_f64 v[125:126], v[153:154], v[125:126], v[145:146]
	s_waitcnt vmcnt(17)
	v_fma_f64 v[125:126], v[151:152], v[127:128], v[125:126]
	buffer_load_dword v146, off, s[0:3], 0 offset:324
	buffer_load_dword v147, off, s[0:3], 0 offset:344
	;; [unrolled: 1-line block ×8, first 2 shown]
	s_waitcnt vmcnt(24) lgkmcnt(0)
	v_fma_f64 v[125:126], v[149:150], v[129:130], v[125:126]
	s_waitcnt vmcnt(19)
	v_fma_f64 v[133:134], v[133:134], v[131:132], v[125:126]
	ds_read2_b64 v[125:128], v124 offset0:95 offset1:96
	ds_read2_b64 v[129:132], v124 offset0:97 offset1:98
	s_waitcnt vmcnt(18) lgkmcnt(1)
	v_fma_f64 v[125:126], v[157:158], v[125:126], v[133:134]
	s_waitcnt vmcnt(17)
	v_fma_f64 v[125:126], v[155:156], v[127:128], v[125:126]
	buffer_load_dword v134, off, s[0:3], 0 offset:356
	buffer_load_dword v149, off, s[0:3], 0 offset:376
	;; [unrolled: 1-line block ×7, first 2 shown]
	s_waitcnt vmcnt(23) lgkmcnt(0)
	v_fma_f64 v[125:126], v[135:136], v[129:130], v[125:126]
	s_waitcnt vmcnt(18)
	v_fma_f64 v[135:136], v[137:138], v[131:132], v[125:126]
	ds_read2_b64 v[125:128], v124 offset0:99 offset1:100
	ds_read2_b64 v[129:132], v124 offset0:101 offset1:102
	buffer_load_dword v150, off, s[0:3], 0 offset:380
	s_waitcnt vmcnt(18) lgkmcnt(1)
	v_fma_f64 v[125:126], v[143:144], v[125:126], v[135:136]
	s_waitcnt vmcnt(17)
	v_fma_f64 v[125:126], v[141:142], v[127:128], v[125:126]
	buffer_load_dword v136, off, s[0:3], 0 offset:388
	buffer_load_dword v137, off, s[0:3], 0 offset:408
	;; [unrolled: 1-line block ×7, first 2 shown]
	s_waitcnt vmcnt(23) lgkmcnt(0)
	v_fma_f64 v[125:126], v[139:140], v[129:130], v[125:126]
	s_waitcnt vmcnt(18)
	v_fma_f64 v[138:139], v[145:146], v[131:132], v[125:126]
	ds_read2_b64 v[125:128], v124 offset0:103 offset1:104
	ds_read2_b64 v[129:132], v124 offset0:105 offset1:106
	s_waitcnt vmcnt(17) lgkmcnt(1)
	v_fma_f64 v[125:126], v[153:154], v[125:126], v[138:139]
	buffer_load_dword v138, off, s[0:3], 0 offset:412
	s_waitcnt vmcnt(17)
	v_fma_f64 v[125:126], v[151:152], v[127:128], v[125:126]
	buffer_load_dword v140, off, s[0:3], 0 offset:420
	buffer_load_dword v145, off, s[0:3], 0 offset:440
	buffer_load_dword v151, off, s[0:3], 0 offset:432
	buffer_load_dword v153, off, s[0:3], 0 offset:424
	buffer_load_dword v139, off, s[0:3], 0 offset:416
	buffer_load_dword v154, off, s[0:3], 0 offset:428
	buffer_load_dword v152, off, s[0:3], 0 offset:436
	buffer_load_dword v146, off, s[0:3], 0 offset:444
	s_waitcnt vmcnt(24) lgkmcnt(0)
	v_fma_f64 v[125:126], v[147:148], v[129:130], v[125:126]
	s_waitcnt vmcnt(19)
	v_fma_f64 v[133:134], v[133:134], v[131:132], v[125:126]
	ds_read2_b64 v[125:128], v124 offset0:107 offset1:108
	ds_read2_b64 v[129:132], v124 offset0:109 offset1:110
	s_waitcnt vmcnt(18) lgkmcnt(1)
	v_fma_f64 v[125:126], v[157:158], v[125:126], v[133:134]
	s_waitcnt vmcnt(17)
	v_fma_f64 v[125:126], v[155:156], v[127:128], v[125:126]
	buffer_load_dword v134, off, s[0:3], 0 offset:452
	buffer_load_dword v147, off, s[0:3], 0 offset:472
	;; [unrolled: 1-line block ×8, first 2 shown]
	s_waitcnt vmcnt(24) lgkmcnt(0)
	v_fma_f64 v[125:126], v[149:150], v[129:130], v[125:126]
	s_waitcnt vmcnt(19)
	v_fma_f64 v[135:136], v[135:136], v[131:132], v[125:126]
	ds_read2_b64 v[125:128], v124 offset0:111 offset1:112
	ds_read2_b64 v[129:132], v124 offset0:113 offset1:114
	s_waitcnt vmcnt(18) lgkmcnt(1)
	v_fma_f64 v[125:126], v[143:144], v[125:126], v[135:136]
	buffer_load_dword v136, off, s[0:3], 0 offset:484
	buffer_load_dword v135, off, s[0:3], 0 offset:480
	s_waitcnt vmcnt(19)
	v_fma_f64 v[125:126], v[141:142], v[127:128], v[125:126]
	buffer_load_dword v141, off, s[0:3], 0 offset:160
	buffer_load_dword v142, off, s[0:3], 0 offset:164
	s_waitcnt vmcnt(20) lgkmcnt(0)
	v_fma_f64 v[125:126], v[137:138], v[129:130], v[125:126]
	s_waitcnt vmcnt(15)
	v_fma_f64 v[137:138], v[139:140], v[131:132], v[125:126]
	ds_read2_b64 v[125:128], v124 offset0:115 offset1:116
	ds_read2_b64 v[129:132], v124 offset0:117 offset1:118
	s_waitcnt vmcnt(14) lgkmcnt(1)
	v_fma_f64 v[125:126], v[153:154], v[125:126], v[137:138]
	s_waitcnt vmcnt(13)
	v_fma_f64 v[125:126], v[151:152], v[127:128], v[125:126]
	s_waitcnt vmcnt(12) lgkmcnt(0)
	v_fma_f64 v[125:126], v[145:146], v[129:130], v[125:126]
	s_waitcnt vmcnt(7)
	v_fma_f64 v[133:134], v[133:134], v[131:132], v[125:126]
	ds_read2_b64 v[125:128], v124 offset0:119 offset1:120
	ds_read2_b64 v[129:132], v124 offset0:121 offset1:122
	s_waitcnt vmcnt(6) lgkmcnt(1)
	v_fma_f64 v[124:125], v[157:158], v[125:126], v[133:134]
	s_waitcnt vmcnt(5)
	v_fma_f64 v[124:125], v[155:156], v[127:128], v[124:125]
	s_waitcnt vmcnt(4) lgkmcnt(0)
	v_fma_f64 v[124:125], v[147:148], v[129:130], v[124:125]
	s_waitcnt vmcnt(2)
	v_fma_f64 v[124:125], v[135:136], v[131:132], v[124:125]
	s_waitcnt vmcnt(0)
	v_add_f64 v[124:125], v[141:142], -v[124:125]
	buffer_store_dword v125, off, s[0:3], 0 offset:164
	buffer_store_dword v124, off, s[0:3], 0 offset:160
	s_and_saveexec_b64 s[4:5], vcc
	s_cbranch_execz .LBB60_335
; %bb.334:
	buffer_load_dword v124, off, s[0:3], 0 offset:152
	buffer_load_dword v125, off, s[0:3], 0 offset:156
	v_mov_b32_e32 v126, 0
	buffer_store_dword v126, off, s[0:3], 0 offset:152
	buffer_store_dword v126, off, s[0:3], 0 offset:156
	s_waitcnt vmcnt(2)
	ds_write_b64 v123, v[124:125]
.LBB60_335:
	s_or_b64 exec, exec, s[4:5]
	s_waitcnt lgkmcnt(0)
	; wave barrier
	buffer_load_dword v133, off, s[0:3], 0 offset:160
	buffer_load_dword v134, off, s[0:3], 0 offset:164
	;; [unrolled: 1-line block ×22, first 2 shown]
	v_mov_b32_e32 v124, 0
	ds_read_b128 v[125:128], v124 offset:656
	ds_read_b128 v[129:132], v124 offset:672
	v_cmp_lt_u32_e32 vcc, 18, v0
	s_waitcnt vmcnt(20) lgkmcnt(1)
	v_fma_f64 v[125:126], v[133:134], v[125:126], 0
	s_waitcnt vmcnt(18)
	v_fma_f64 v[125:126], v[135:136], v[127:128], v[125:126]
	buffer_load_dword v134, off, s[0:3], 0 offset:252
	buffer_load_dword v135, off, s[0:3], 0 offset:272
	;; [unrolled: 1-line block ×7, first 2 shown]
	s_waitcnt vmcnt(23) lgkmcnt(0)
	v_fma_f64 v[125:126], v[137:138], v[129:130], v[125:126]
	s_waitcnt vmcnt(21)
	v_fma_f64 v[136:137], v[139:140], v[131:132], v[125:126]
	ds_read_b128 v[125:128], v124 offset:688
	ds_read_b128 v[129:132], v124 offset:704
	s_waitcnt vmcnt(19) lgkmcnt(1)
	v_fma_f64 v[125:126], v[141:142], v[125:126], v[136:137]
	buffer_load_dword v136, off, s[0:3], 0 offset:276
	s_waitcnt vmcnt(18)
	v_fma_f64 v[125:126], v[143:144], v[127:128], v[125:126]
	buffer_load_dword v138, off, s[0:3], 0 offset:284
	buffer_load_dword v139, off, s[0:3], 0 offset:304
	;; [unrolled: 1-line block ×7, first 2 shown]
	s_waitcnt vmcnt(23) lgkmcnt(0)
	v_fma_f64 v[125:126], v[145:146], v[129:130], v[125:126]
	s_waitcnt vmcnt(18)
	v_fma_f64 v[145:146], v[147:148], v[131:132], v[125:126]
	ds_read_b128 v[125:128], v124 offset:720
	ds_read_b128 v[129:132], v124 offset:736
	buffer_load_dword v140, off, s[0:3], 0 offset:308
	s_waitcnt vmcnt(18) lgkmcnt(1)
	v_fma_f64 v[125:126], v[153:154], v[125:126], v[145:146]
	s_waitcnt vmcnt(17)
	v_fma_f64 v[125:126], v[151:152], v[127:128], v[125:126]
	buffer_load_dword v146, off, s[0:3], 0 offset:316
	buffer_load_dword v147, off, s[0:3], 0 offset:336
	;; [unrolled: 1-line block ×8, first 2 shown]
	s_waitcnt vmcnt(24) lgkmcnt(0)
	v_fma_f64 v[125:126], v[149:150], v[129:130], v[125:126]
	s_waitcnt vmcnt(19)
	v_fma_f64 v[133:134], v[133:134], v[131:132], v[125:126]
	ds_read_b128 v[125:128], v124 offset:752
	ds_read_b128 v[129:132], v124 offset:768
	s_waitcnt vmcnt(18) lgkmcnt(1)
	v_fma_f64 v[125:126], v[157:158], v[125:126], v[133:134]
	s_waitcnt vmcnt(17)
	v_fma_f64 v[125:126], v[155:156], v[127:128], v[125:126]
	buffer_load_dword v134, off, s[0:3], 0 offset:348
	buffer_load_dword v149, off, s[0:3], 0 offset:368
	;; [unrolled: 1-line block ×7, first 2 shown]
	s_waitcnt vmcnt(23) lgkmcnt(0)
	v_fma_f64 v[125:126], v[135:136], v[129:130], v[125:126]
	s_waitcnt vmcnt(18)
	v_fma_f64 v[135:136], v[137:138], v[131:132], v[125:126]
	ds_read_b128 v[125:128], v124 offset:784
	ds_read_b128 v[129:132], v124 offset:800
	buffer_load_dword v150, off, s[0:3], 0 offset:372
	s_waitcnt vmcnt(18) lgkmcnt(1)
	v_fma_f64 v[125:126], v[143:144], v[125:126], v[135:136]
	s_waitcnt vmcnt(17)
	v_fma_f64 v[125:126], v[141:142], v[127:128], v[125:126]
	buffer_load_dword v136, off, s[0:3], 0 offset:380
	buffer_load_dword v137, off, s[0:3], 0 offset:400
	;; [unrolled: 1-line block ×7, first 2 shown]
	s_waitcnt vmcnt(23) lgkmcnt(0)
	v_fma_f64 v[125:126], v[139:140], v[129:130], v[125:126]
	s_waitcnt vmcnt(18)
	v_fma_f64 v[138:139], v[145:146], v[131:132], v[125:126]
	ds_read_b128 v[125:128], v124 offset:816
	ds_read_b128 v[129:132], v124 offset:832
	s_waitcnt vmcnt(17) lgkmcnt(1)
	v_fma_f64 v[125:126], v[153:154], v[125:126], v[138:139]
	buffer_load_dword v138, off, s[0:3], 0 offset:404
	s_waitcnt vmcnt(17)
	v_fma_f64 v[125:126], v[151:152], v[127:128], v[125:126]
	buffer_load_dword v140, off, s[0:3], 0 offset:412
	buffer_load_dword v145, off, s[0:3], 0 offset:432
	;; [unrolled: 1-line block ×8, first 2 shown]
	s_waitcnt vmcnt(24) lgkmcnt(0)
	v_fma_f64 v[125:126], v[147:148], v[129:130], v[125:126]
	s_waitcnt vmcnt(19)
	v_fma_f64 v[133:134], v[133:134], v[131:132], v[125:126]
	ds_read_b128 v[125:128], v124 offset:848
	ds_read_b128 v[129:132], v124 offset:864
	s_waitcnt vmcnt(18) lgkmcnt(1)
	v_fma_f64 v[125:126], v[157:158], v[125:126], v[133:134]
	s_waitcnt vmcnt(17)
	v_fma_f64 v[125:126], v[155:156], v[127:128], v[125:126]
	buffer_load_dword v134, off, s[0:3], 0 offset:444
	buffer_load_dword v147, off, s[0:3], 0 offset:464
	;; [unrolled: 1-line block ×7, first 2 shown]
	s_waitcnt vmcnt(23) lgkmcnt(0)
	v_fma_f64 v[125:126], v[149:150], v[129:130], v[125:126]
	s_waitcnt vmcnt(18)
	v_fma_f64 v[135:136], v[135:136], v[131:132], v[125:126]
	ds_read_b128 v[125:128], v124 offset:880
	ds_read_b128 v[129:132], v124 offset:896
	buffer_load_dword v148, off, s[0:3], 0 offset:468
	s_waitcnt vmcnt(18) lgkmcnt(1)
	v_fma_f64 v[125:126], v[143:144], v[125:126], v[135:136]
	s_waitcnt vmcnt(17)
	v_fma_f64 v[125:126], v[141:142], v[127:128], v[125:126]
	buffer_load_dword v136, off, s[0:3], 0 offset:476
	buffer_load_dword v141, off, s[0:3], 0 offset:480
	;; [unrolled: 1-line block ×4, first 2 shown]
	s_waitcnt vmcnt(20) lgkmcnt(0)
	v_fma_f64 v[125:126], v[137:138], v[129:130], v[125:126]
	buffer_load_dword v137, off, s[0:3], 0 offset:152
	buffer_load_dword v138, off, s[0:3], 0 offset:156
	s_waitcnt vmcnt(17)
	v_fma_f64 v[139:140], v[139:140], v[131:132], v[125:126]
	ds_read_b128 v[125:128], v124 offset:912
	ds_read_b128 v[129:132], v124 offset:928
	s_waitcnt vmcnt(16) lgkmcnt(1)
	v_fma_f64 v[125:126], v[153:154], v[125:126], v[139:140]
	s_waitcnt vmcnt(15)
	v_fma_f64 v[125:126], v[151:152], v[127:128], v[125:126]
	s_waitcnt vmcnt(14) lgkmcnt(0)
	v_fma_f64 v[125:126], v[145:146], v[129:130], v[125:126]
	s_waitcnt vmcnt(9)
	v_fma_f64 v[133:134], v[133:134], v[131:132], v[125:126]
	ds_read_b128 v[125:128], v124 offset:944
	ds_read_b128 v[129:132], v124 offset:960
	s_waitcnt vmcnt(8) lgkmcnt(1)
	v_fma_f64 v[125:126], v[157:158], v[125:126], v[133:134]
	s_waitcnt vmcnt(7)
	v_fma_f64 v[125:126], v[155:156], v[127:128], v[125:126]
	ds_read_b64 v[127:128], v124 offset:976
	s_waitcnt vmcnt(6) lgkmcnt(1)
	v_fma_f64 v[125:126], v[147:148], v[129:130], v[125:126]
	s_waitcnt vmcnt(3)
	v_fma_f64 v[125:126], v[135:136], v[131:132], v[125:126]
	s_waitcnt vmcnt(2) lgkmcnt(0)
	v_fma_f64 v[125:126], v[141:142], v[127:128], v[125:126]
	s_waitcnt vmcnt(0)
	v_add_f64 v[125:126], v[137:138], -v[125:126]
	buffer_store_dword v126, off, s[0:3], 0 offset:156
	buffer_store_dword v125, off, s[0:3], 0 offset:152
	s_and_saveexec_b64 s[4:5], vcc
	s_cbranch_execz .LBB60_337
; %bb.336:
	buffer_load_dword v125, off, s[0:3], 0 offset:144
	buffer_load_dword v126, off, s[0:3], 0 offset:148
	s_waitcnt vmcnt(0)
	ds_write_b64 v123, v[125:126]
	buffer_store_dword v124, off, s[0:3], 0 offset:144
	buffer_store_dword v124, off, s[0:3], 0 offset:148
.LBB60_337:
	s_or_b64 exec, exec, s[4:5]
	s_waitcnt lgkmcnt(0)
	; wave barrier
	buffer_load_dword v133, off, s[0:3], 0 offset:152
	buffer_load_dword v134, off, s[0:3], 0 offset:156
	;; [unrolled: 1-line block ×22, first 2 shown]
	ds_read2_b64 v[125:128], v124 offset0:81 offset1:82
	ds_read2_b64 v[129:132], v124 offset0:83 offset1:84
	v_cmp_lt_u32_e32 vcc, 17, v0
	s_waitcnt vmcnt(20) lgkmcnt(1)
	v_fma_f64 v[125:126], v[133:134], v[125:126], 0
	s_waitcnt vmcnt(18)
	v_fma_f64 v[125:126], v[135:136], v[127:128], v[125:126]
	buffer_load_dword v134, off, s[0:3], 0 offset:244
	buffer_load_dword v135, off, s[0:3], 0 offset:264
	;; [unrolled: 1-line block ×7, first 2 shown]
	s_waitcnt vmcnt(23) lgkmcnt(0)
	v_fma_f64 v[125:126], v[137:138], v[129:130], v[125:126]
	s_waitcnt vmcnt(21)
	v_fma_f64 v[136:137], v[139:140], v[131:132], v[125:126]
	ds_read2_b64 v[125:128], v124 offset0:85 offset1:86
	ds_read2_b64 v[129:132], v124 offset0:87 offset1:88
	s_waitcnt vmcnt(19) lgkmcnt(1)
	v_fma_f64 v[125:126], v[141:142], v[125:126], v[136:137]
	buffer_load_dword v136, off, s[0:3], 0 offset:268
	s_waitcnt vmcnt(18)
	v_fma_f64 v[125:126], v[143:144], v[127:128], v[125:126]
	buffer_load_dword v138, off, s[0:3], 0 offset:276
	buffer_load_dword v139, off, s[0:3], 0 offset:296
	;; [unrolled: 1-line block ×7, first 2 shown]
	s_waitcnt vmcnt(23) lgkmcnt(0)
	v_fma_f64 v[125:126], v[145:146], v[129:130], v[125:126]
	s_waitcnt vmcnt(18)
	v_fma_f64 v[145:146], v[147:148], v[131:132], v[125:126]
	ds_read2_b64 v[125:128], v124 offset0:89 offset1:90
	ds_read2_b64 v[129:132], v124 offset0:91 offset1:92
	buffer_load_dword v140, off, s[0:3], 0 offset:300
	s_waitcnt vmcnt(18) lgkmcnt(1)
	v_fma_f64 v[125:126], v[153:154], v[125:126], v[145:146]
	s_waitcnt vmcnt(17)
	v_fma_f64 v[125:126], v[151:152], v[127:128], v[125:126]
	buffer_load_dword v146, off, s[0:3], 0 offset:308
	buffer_load_dword v147, off, s[0:3], 0 offset:328
	;; [unrolled: 1-line block ×8, first 2 shown]
	s_waitcnt vmcnt(24) lgkmcnt(0)
	v_fma_f64 v[125:126], v[149:150], v[129:130], v[125:126]
	s_waitcnt vmcnt(19)
	v_fma_f64 v[133:134], v[133:134], v[131:132], v[125:126]
	ds_read2_b64 v[125:128], v124 offset0:93 offset1:94
	ds_read2_b64 v[129:132], v124 offset0:95 offset1:96
	s_waitcnt vmcnt(18) lgkmcnt(1)
	v_fma_f64 v[125:126], v[157:158], v[125:126], v[133:134]
	s_waitcnt vmcnt(17)
	v_fma_f64 v[125:126], v[155:156], v[127:128], v[125:126]
	buffer_load_dword v134, off, s[0:3], 0 offset:340
	buffer_load_dword v149, off, s[0:3], 0 offset:360
	;; [unrolled: 1-line block ×8, first 2 shown]
	s_waitcnt vmcnt(24) lgkmcnt(0)
	v_fma_f64 v[125:126], v[135:136], v[129:130], v[125:126]
	s_waitcnt vmcnt(19)
	v_fma_f64 v[135:136], v[137:138], v[131:132], v[125:126]
	ds_read2_b64 v[125:128], v124 offset0:97 offset1:98
	ds_read2_b64 v[129:132], v124 offset0:99 offset1:100
	s_waitcnt vmcnt(18) lgkmcnt(1)
	v_fma_f64 v[125:126], v[143:144], v[125:126], v[135:136]
	s_waitcnt vmcnt(17)
	v_fma_f64 v[125:126], v[141:142], v[127:128], v[125:126]
	buffer_load_dword v136, off, s[0:3], 0 offset:372
	buffer_load_dword v137, off, s[0:3], 0 offset:392
	;; [unrolled: 1-line block ×7, first 2 shown]
	s_waitcnt vmcnt(23) lgkmcnt(0)
	v_fma_f64 v[125:126], v[139:140], v[129:130], v[125:126]
	s_waitcnt vmcnt(18)
	v_fma_f64 v[138:139], v[145:146], v[131:132], v[125:126]
	ds_read2_b64 v[125:128], v124 offset0:101 offset1:102
	ds_read2_b64 v[129:132], v124 offset0:103 offset1:104
	s_waitcnt vmcnt(17) lgkmcnt(1)
	v_fma_f64 v[125:126], v[153:154], v[125:126], v[138:139]
	buffer_load_dword v138, off, s[0:3], 0 offset:396
	s_waitcnt vmcnt(17)
	v_fma_f64 v[125:126], v[151:152], v[127:128], v[125:126]
	buffer_load_dword v140, off, s[0:3], 0 offset:404
	buffer_load_dword v145, off, s[0:3], 0 offset:424
	;; [unrolled: 1-line block ×8, first 2 shown]
	s_waitcnt vmcnt(24) lgkmcnt(0)
	v_fma_f64 v[125:126], v[147:148], v[129:130], v[125:126]
	s_waitcnt vmcnt(19)
	v_fma_f64 v[133:134], v[133:134], v[131:132], v[125:126]
	ds_read2_b64 v[125:128], v124 offset0:105 offset1:106
	ds_read2_b64 v[129:132], v124 offset0:107 offset1:108
	s_waitcnt vmcnt(18) lgkmcnt(1)
	v_fma_f64 v[125:126], v[157:158], v[125:126], v[133:134]
	s_waitcnt vmcnt(17)
	v_fma_f64 v[125:126], v[155:156], v[127:128], v[125:126]
	buffer_load_dword v134, off, s[0:3], 0 offset:436
	buffer_load_dword v147, off, s[0:3], 0 offset:456
	;; [unrolled: 1-line block ×8, first 2 shown]
	s_waitcnt vmcnt(24) lgkmcnt(0)
	v_fma_f64 v[125:126], v[149:150], v[129:130], v[125:126]
	s_waitcnt vmcnt(19)
	v_fma_f64 v[135:136], v[135:136], v[131:132], v[125:126]
	ds_read2_b64 v[125:128], v124 offset0:109 offset1:110
	ds_read2_b64 v[129:132], v124 offset0:111 offset1:112
	s_waitcnt vmcnt(18) lgkmcnt(1)
	v_fma_f64 v[125:126], v[143:144], v[125:126], v[135:136]
	s_waitcnt vmcnt(17)
	v_fma_f64 v[125:126], v[141:142], v[127:128], v[125:126]
	buffer_load_dword v136, off, s[0:3], 0 offset:468
	buffer_load_dword v141, off, s[0:3], 0 offset:480
	buffer_load_dword v143, off, s[0:3], 0 offset:472
	buffer_load_dword v135, off, s[0:3], 0 offset:464
	buffer_load_dword v144, off, s[0:3], 0 offset:476
	buffer_load_dword v142, off, s[0:3], 0 offset:484
	s_waitcnt vmcnt(22) lgkmcnt(0)
	v_fma_f64 v[125:126], v[137:138], v[129:130], v[125:126]
	s_waitcnt vmcnt(17)
	v_fma_f64 v[137:138], v[139:140], v[131:132], v[125:126]
	ds_read2_b64 v[125:128], v124 offset0:113 offset1:114
	buffer_load_dword v139, off, s[0:3], 0 offset:144
	buffer_load_dword v140, off, s[0:3], 0 offset:148
	ds_read2_b64 v[129:132], v124 offset0:115 offset1:116
	s_waitcnt vmcnt(18) lgkmcnt(1)
	v_fma_f64 v[125:126], v[153:154], v[125:126], v[137:138]
	s_waitcnt vmcnt(17)
	v_fma_f64 v[125:126], v[151:152], v[127:128], v[125:126]
	s_waitcnt vmcnt(16) lgkmcnt(0)
	v_fma_f64 v[125:126], v[145:146], v[129:130], v[125:126]
	s_waitcnt vmcnt(11)
	v_fma_f64 v[133:134], v[133:134], v[131:132], v[125:126]
	ds_read2_b64 v[125:128], v124 offset0:117 offset1:118
	ds_read2_b64 v[129:132], v124 offset0:119 offset1:120
	s_waitcnt vmcnt(10) lgkmcnt(1)
	v_fma_f64 v[125:126], v[157:158], v[125:126], v[133:134]
	s_waitcnt vmcnt(9)
	v_fma_f64 v[125:126], v[155:156], v[127:128], v[125:126]
	s_waitcnt vmcnt(8) lgkmcnt(0)
	v_fma_f64 v[125:126], v[147:148], v[129:130], v[125:126]
	s_waitcnt vmcnt(4)
	v_fma_f64 v[128:129], v[135:136], v[131:132], v[125:126]
	ds_read2_b64 v[124:127], v124 offset0:121 offset1:122
	s_waitcnt vmcnt(3) lgkmcnt(0)
	v_fma_f64 v[124:125], v[143:144], v[124:125], v[128:129]
	s_waitcnt vmcnt(2)
	v_fma_f64 v[124:125], v[141:142], v[126:127], v[124:125]
	s_waitcnt vmcnt(0)
	v_add_f64 v[124:125], v[139:140], -v[124:125]
	buffer_store_dword v125, off, s[0:3], 0 offset:148
	buffer_store_dword v124, off, s[0:3], 0 offset:144
	s_and_saveexec_b64 s[4:5], vcc
	s_cbranch_execz .LBB60_339
; %bb.338:
	buffer_load_dword v124, off, s[0:3], 0 offset:136
	buffer_load_dword v125, off, s[0:3], 0 offset:140
	v_mov_b32_e32 v126, 0
	buffer_store_dword v126, off, s[0:3], 0 offset:136
	buffer_store_dword v126, off, s[0:3], 0 offset:140
	s_waitcnt vmcnt(2)
	ds_write_b64 v123, v[124:125]
.LBB60_339:
	s_or_b64 exec, exec, s[4:5]
	s_waitcnt lgkmcnt(0)
	; wave barrier
	buffer_load_dword v133, off, s[0:3], 0 offset:144
	buffer_load_dword v134, off, s[0:3], 0 offset:148
	;; [unrolled: 1-line block ×22, first 2 shown]
	v_mov_b32_e32 v124, 0
	ds_read_b128 v[125:128], v124 offset:640
	ds_read_b128 v[129:132], v124 offset:656
	v_cmp_lt_u32_e32 vcc, 16, v0
	s_waitcnt vmcnt(20) lgkmcnt(1)
	v_fma_f64 v[125:126], v[133:134], v[125:126], 0
	s_waitcnt vmcnt(18)
	v_fma_f64 v[125:126], v[135:136], v[127:128], v[125:126]
	buffer_load_dword v134, off, s[0:3], 0 offset:236
	buffer_load_dword v135, off, s[0:3], 0 offset:256
	buffer_load_dword v155, off, s[0:3], 0 offset:248
	buffer_load_dword v157, off, s[0:3], 0 offset:240
	buffer_load_dword v133, off, s[0:3], 0 offset:232
	buffer_load_dword v158, off, s[0:3], 0 offset:244
	buffer_load_dword v156, off, s[0:3], 0 offset:252
	s_waitcnt vmcnt(23) lgkmcnt(0)
	v_fma_f64 v[125:126], v[137:138], v[129:130], v[125:126]
	s_waitcnt vmcnt(21)
	v_fma_f64 v[136:137], v[139:140], v[131:132], v[125:126]
	ds_read_b128 v[125:128], v124 offset:672
	ds_read_b128 v[129:132], v124 offset:688
	s_waitcnt vmcnt(19) lgkmcnt(1)
	v_fma_f64 v[125:126], v[141:142], v[125:126], v[136:137]
	buffer_load_dword v136, off, s[0:3], 0 offset:260
	s_waitcnt vmcnt(18)
	v_fma_f64 v[125:126], v[143:144], v[127:128], v[125:126]
	buffer_load_dword v138, off, s[0:3], 0 offset:268
	buffer_load_dword v139, off, s[0:3], 0 offset:288
	;; [unrolled: 1-line block ×7, first 2 shown]
	s_waitcnt vmcnt(23) lgkmcnt(0)
	v_fma_f64 v[125:126], v[145:146], v[129:130], v[125:126]
	s_waitcnt vmcnt(18)
	v_fma_f64 v[145:146], v[147:148], v[131:132], v[125:126]
	ds_read_b128 v[125:128], v124 offset:704
	ds_read_b128 v[129:132], v124 offset:720
	buffer_load_dword v140, off, s[0:3], 0 offset:292
	s_waitcnt vmcnt(18) lgkmcnt(1)
	v_fma_f64 v[125:126], v[153:154], v[125:126], v[145:146]
	s_waitcnt vmcnt(17)
	v_fma_f64 v[125:126], v[151:152], v[127:128], v[125:126]
	buffer_load_dword v146, off, s[0:3], 0 offset:300
	buffer_load_dword v147, off, s[0:3], 0 offset:320
	;; [unrolled: 1-line block ×8, first 2 shown]
	s_waitcnt vmcnt(24) lgkmcnt(0)
	v_fma_f64 v[125:126], v[149:150], v[129:130], v[125:126]
	s_waitcnt vmcnt(19)
	v_fma_f64 v[133:134], v[133:134], v[131:132], v[125:126]
	ds_read_b128 v[125:128], v124 offset:736
	ds_read_b128 v[129:132], v124 offset:752
	s_waitcnt vmcnt(18) lgkmcnt(1)
	v_fma_f64 v[125:126], v[157:158], v[125:126], v[133:134]
	s_waitcnt vmcnt(17)
	v_fma_f64 v[125:126], v[155:156], v[127:128], v[125:126]
	buffer_load_dword v134, off, s[0:3], 0 offset:332
	buffer_load_dword v149, off, s[0:3], 0 offset:352
	;; [unrolled: 1-line block ×8, first 2 shown]
	s_waitcnt vmcnt(24) lgkmcnt(0)
	v_fma_f64 v[125:126], v[135:136], v[129:130], v[125:126]
	s_waitcnt vmcnt(19)
	v_fma_f64 v[135:136], v[137:138], v[131:132], v[125:126]
	ds_read_b128 v[125:128], v124 offset:768
	ds_read_b128 v[129:132], v124 offset:784
	s_waitcnt vmcnt(18) lgkmcnt(1)
	v_fma_f64 v[125:126], v[143:144], v[125:126], v[135:136]
	s_waitcnt vmcnt(17)
	v_fma_f64 v[125:126], v[141:142], v[127:128], v[125:126]
	buffer_load_dword v136, off, s[0:3], 0 offset:364
	buffer_load_dword v137, off, s[0:3], 0 offset:384
	;; [unrolled: 1-line block ×7, first 2 shown]
	s_waitcnt vmcnt(23) lgkmcnt(0)
	v_fma_f64 v[125:126], v[139:140], v[129:130], v[125:126]
	s_waitcnt vmcnt(18)
	v_fma_f64 v[138:139], v[145:146], v[131:132], v[125:126]
	ds_read_b128 v[125:128], v124 offset:800
	ds_read_b128 v[129:132], v124 offset:816
	s_waitcnt vmcnt(17) lgkmcnt(1)
	v_fma_f64 v[125:126], v[153:154], v[125:126], v[138:139]
	buffer_load_dword v138, off, s[0:3], 0 offset:388
	s_waitcnt vmcnt(17)
	v_fma_f64 v[125:126], v[151:152], v[127:128], v[125:126]
	buffer_load_dword v140, off, s[0:3], 0 offset:396
	buffer_load_dword v145, off, s[0:3], 0 offset:416
	buffer_load_dword v151, off, s[0:3], 0 offset:408
	buffer_load_dword v153, off, s[0:3], 0 offset:400
	buffer_load_dword v139, off, s[0:3], 0 offset:392
	buffer_load_dword v154, off, s[0:3], 0 offset:404
	buffer_load_dword v152, off, s[0:3], 0 offset:412
	buffer_load_dword v146, off, s[0:3], 0 offset:420
	s_waitcnt vmcnt(24) lgkmcnt(0)
	v_fma_f64 v[125:126], v[147:148], v[129:130], v[125:126]
	s_waitcnt vmcnt(19)
	v_fma_f64 v[133:134], v[133:134], v[131:132], v[125:126]
	ds_read_b128 v[125:128], v124 offset:832
	ds_read_b128 v[129:132], v124 offset:848
	s_waitcnt vmcnt(18) lgkmcnt(1)
	v_fma_f64 v[125:126], v[157:158], v[125:126], v[133:134]
	s_waitcnt vmcnt(17)
	v_fma_f64 v[125:126], v[155:156], v[127:128], v[125:126]
	buffer_load_dword v134, off, s[0:3], 0 offset:428
	buffer_load_dword v147, off, s[0:3], 0 offset:448
	buffer_load_dword v155, off, s[0:3], 0 offset:440
	buffer_load_dword v157, off, s[0:3], 0 offset:432
	buffer_load_dword v133, off, s[0:3], 0 offset:424
	buffer_load_dword v158, off, s[0:3], 0 offset:436
	buffer_load_dword v156, off, s[0:3], 0 offset:444
	buffer_load_dword v148, off, s[0:3], 0 offset:452
	s_waitcnt vmcnt(24) lgkmcnt(0)
	v_fma_f64 v[125:126], v[149:150], v[129:130], v[125:126]
	s_waitcnt vmcnt(19)
	v_fma_f64 v[135:136], v[135:136], v[131:132], v[125:126]
	ds_read_b128 v[125:128], v124 offset:864
	ds_read_b128 v[129:132], v124 offset:880
	s_waitcnt vmcnt(18) lgkmcnt(1)
	v_fma_f64 v[125:126], v[143:144], v[125:126], v[135:136]
	;; [unrolled: 18-line block ×3, first 2 shown]
	buffer_load_dword v137, off, s[0:3], 0 offset:136
	buffer_load_dword v138, off, s[0:3], 0 offset:140
	s_waitcnt vmcnt(19)
	v_fma_f64 v[125:126], v[151:152], v[127:128], v[125:126]
	s_waitcnt vmcnt(18) lgkmcnt(0)
	v_fma_f64 v[125:126], v[145:146], v[129:130], v[125:126]
	s_waitcnt vmcnt(13)
	v_fma_f64 v[133:134], v[133:134], v[131:132], v[125:126]
	ds_read_b128 v[125:128], v124 offset:928
	ds_read_b128 v[129:132], v124 offset:944
	s_waitcnt vmcnt(12) lgkmcnt(1)
	v_fma_f64 v[125:126], v[157:158], v[125:126], v[133:134]
	s_waitcnt vmcnt(11)
	v_fma_f64 v[125:126], v[155:156], v[127:128], v[125:126]
	s_waitcnt vmcnt(10) lgkmcnt(0)
	v_fma_f64 v[125:126], v[147:148], v[129:130], v[125:126]
	s_waitcnt vmcnt(5)
	v_fma_f64 v[129:130], v[135:136], v[131:132], v[125:126]
	ds_read_b128 v[125:128], v124 offset:960
	ds_read_b64 v[131:132], v124 offset:976
	s_waitcnt vmcnt(4) lgkmcnt(1)
	v_fma_f64 v[125:126], v[149:150], v[125:126], v[129:130]
	s_waitcnt vmcnt(3)
	v_fma_f64 v[125:126], v[143:144], v[127:128], v[125:126]
	s_waitcnt vmcnt(2) lgkmcnt(0)
	v_fma_f64 v[125:126], v[141:142], v[131:132], v[125:126]
	s_waitcnt vmcnt(0)
	v_add_f64 v[125:126], v[137:138], -v[125:126]
	buffer_store_dword v126, off, s[0:3], 0 offset:140
	buffer_store_dword v125, off, s[0:3], 0 offset:136
	s_and_saveexec_b64 s[4:5], vcc
	s_cbranch_execz .LBB60_341
; %bb.340:
	buffer_load_dword v125, off, s[0:3], 0 offset:128
	buffer_load_dword v126, off, s[0:3], 0 offset:132
	s_waitcnt vmcnt(0)
	ds_write_b64 v123, v[125:126]
	buffer_store_dword v124, off, s[0:3], 0 offset:128
	buffer_store_dword v124, off, s[0:3], 0 offset:132
.LBB60_341:
	s_or_b64 exec, exec, s[4:5]
	s_waitcnt lgkmcnt(0)
	; wave barrier
	buffer_load_dword v133, off, s[0:3], 0 offset:136
	buffer_load_dword v134, off, s[0:3], 0 offset:140
	;; [unrolled: 1-line block ×22, first 2 shown]
	ds_read2_b64 v[125:128], v124 offset0:79 offset1:80
	ds_read2_b64 v[129:132], v124 offset0:81 offset1:82
	v_cmp_lt_u32_e32 vcc, 15, v0
	s_waitcnt vmcnt(20) lgkmcnt(1)
	v_fma_f64 v[125:126], v[133:134], v[125:126], 0
	s_waitcnt vmcnt(18)
	v_fma_f64 v[125:126], v[135:136], v[127:128], v[125:126]
	buffer_load_dword v134, off, s[0:3], 0 offset:228
	buffer_load_dword v135, off, s[0:3], 0 offset:248
	;; [unrolled: 1-line block ×7, first 2 shown]
	s_waitcnt vmcnt(23) lgkmcnt(0)
	v_fma_f64 v[125:126], v[137:138], v[129:130], v[125:126]
	s_waitcnt vmcnt(21)
	v_fma_f64 v[136:137], v[139:140], v[131:132], v[125:126]
	ds_read2_b64 v[125:128], v124 offset0:83 offset1:84
	ds_read2_b64 v[129:132], v124 offset0:85 offset1:86
	s_waitcnt vmcnt(19) lgkmcnt(1)
	v_fma_f64 v[125:126], v[141:142], v[125:126], v[136:137]
	buffer_load_dword v136, off, s[0:3], 0 offset:252
	s_waitcnt vmcnt(18)
	v_fma_f64 v[125:126], v[143:144], v[127:128], v[125:126]
	buffer_load_dword v138, off, s[0:3], 0 offset:260
	buffer_load_dword v139, off, s[0:3], 0 offset:280
	;; [unrolled: 1-line block ×7, first 2 shown]
	s_waitcnt vmcnt(23) lgkmcnt(0)
	v_fma_f64 v[125:126], v[145:146], v[129:130], v[125:126]
	s_waitcnt vmcnt(18)
	v_fma_f64 v[145:146], v[147:148], v[131:132], v[125:126]
	ds_read2_b64 v[125:128], v124 offset0:87 offset1:88
	ds_read2_b64 v[129:132], v124 offset0:89 offset1:90
	buffer_load_dword v140, off, s[0:3], 0 offset:284
	s_waitcnt vmcnt(18) lgkmcnt(1)
	v_fma_f64 v[125:126], v[153:154], v[125:126], v[145:146]
	s_waitcnt vmcnt(17)
	v_fma_f64 v[125:126], v[151:152], v[127:128], v[125:126]
	buffer_load_dword v146, off, s[0:3], 0 offset:292
	buffer_load_dword v147, off, s[0:3], 0 offset:312
	;; [unrolled: 1-line block ×8, first 2 shown]
	s_waitcnt vmcnt(24) lgkmcnt(0)
	v_fma_f64 v[125:126], v[149:150], v[129:130], v[125:126]
	s_waitcnt vmcnt(19)
	v_fma_f64 v[133:134], v[133:134], v[131:132], v[125:126]
	ds_read2_b64 v[125:128], v124 offset0:91 offset1:92
	ds_read2_b64 v[129:132], v124 offset0:93 offset1:94
	s_waitcnt vmcnt(18) lgkmcnt(1)
	v_fma_f64 v[125:126], v[157:158], v[125:126], v[133:134]
	s_waitcnt vmcnt(17)
	v_fma_f64 v[125:126], v[155:156], v[127:128], v[125:126]
	buffer_load_dword v134, off, s[0:3], 0 offset:324
	buffer_load_dword v149, off, s[0:3], 0 offset:344
	;; [unrolled: 1-line block ×8, first 2 shown]
	s_waitcnt vmcnt(24) lgkmcnt(0)
	v_fma_f64 v[125:126], v[135:136], v[129:130], v[125:126]
	s_waitcnt vmcnt(19)
	v_fma_f64 v[135:136], v[137:138], v[131:132], v[125:126]
	ds_read2_b64 v[125:128], v124 offset0:95 offset1:96
	ds_read2_b64 v[129:132], v124 offset0:97 offset1:98
	s_waitcnt vmcnt(18) lgkmcnt(1)
	v_fma_f64 v[125:126], v[143:144], v[125:126], v[135:136]
	s_waitcnt vmcnt(17)
	v_fma_f64 v[125:126], v[141:142], v[127:128], v[125:126]
	buffer_load_dword v136, off, s[0:3], 0 offset:356
	buffer_load_dword v137, off, s[0:3], 0 offset:376
	buffer_load_dword v141, off, s[0:3], 0 offset:368
	buffer_load_dword v143, off, s[0:3], 0 offset:360
	buffer_load_dword v135, off, s[0:3], 0 offset:352
	buffer_load_dword v144, off, s[0:3], 0 offset:364
	buffer_load_dword v142, off, s[0:3], 0 offset:372
	s_waitcnt vmcnt(23) lgkmcnt(0)
	v_fma_f64 v[125:126], v[139:140], v[129:130], v[125:126]
	s_waitcnt vmcnt(18)
	v_fma_f64 v[138:139], v[145:146], v[131:132], v[125:126]
	ds_read2_b64 v[125:128], v124 offset0:99 offset1:100
	ds_read2_b64 v[129:132], v124 offset0:101 offset1:102
	s_waitcnt vmcnt(17) lgkmcnt(1)
	v_fma_f64 v[125:126], v[153:154], v[125:126], v[138:139]
	buffer_load_dword v138, off, s[0:3], 0 offset:380
	s_waitcnt vmcnt(17)
	v_fma_f64 v[125:126], v[151:152], v[127:128], v[125:126]
	buffer_load_dword v140, off, s[0:3], 0 offset:388
	buffer_load_dword v145, off, s[0:3], 0 offset:408
	buffer_load_dword v151, off, s[0:3], 0 offset:400
	buffer_load_dword v153, off, s[0:3], 0 offset:392
	buffer_load_dword v139, off, s[0:3], 0 offset:384
	buffer_load_dword v154, off, s[0:3], 0 offset:396
	buffer_load_dword v152, off, s[0:3], 0 offset:404
	buffer_load_dword v146, off, s[0:3], 0 offset:412
	s_waitcnt vmcnt(24) lgkmcnt(0)
	v_fma_f64 v[125:126], v[147:148], v[129:130], v[125:126]
	s_waitcnt vmcnt(19)
	v_fma_f64 v[133:134], v[133:134], v[131:132], v[125:126]
	ds_read2_b64 v[125:128], v124 offset0:103 offset1:104
	ds_read2_b64 v[129:132], v124 offset0:105 offset1:106
	s_waitcnt vmcnt(18) lgkmcnt(1)
	v_fma_f64 v[125:126], v[157:158], v[125:126], v[133:134]
	s_waitcnt vmcnt(17)
	v_fma_f64 v[125:126], v[155:156], v[127:128], v[125:126]
	buffer_load_dword v134, off, s[0:3], 0 offset:420
	buffer_load_dword v147, off, s[0:3], 0 offset:440
	buffer_load_dword v155, off, s[0:3], 0 offset:432
	buffer_load_dword v157, off, s[0:3], 0 offset:424
	buffer_load_dword v133, off, s[0:3], 0 offset:416
	buffer_load_dword v158, off, s[0:3], 0 offset:428
	buffer_load_dword v156, off, s[0:3], 0 offset:436
	buffer_load_dword v148, off, s[0:3], 0 offset:444
	s_waitcnt vmcnt(24) lgkmcnt(0)
	v_fma_f64 v[125:126], v[149:150], v[129:130], v[125:126]
	s_waitcnt vmcnt(19)
	v_fma_f64 v[135:136], v[135:136], v[131:132], v[125:126]
	ds_read2_b64 v[125:128], v124 offset0:107 offset1:108
	ds_read2_b64 v[129:132], v124 offset0:109 offset1:110
	s_waitcnt vmcnt(18) lgkmcnt(1)
	v_fma_f64 v[125:126], v[143:144], v[125:126], v[135:136]
	;; [unrolled: 18-line block ×3, first 2 shown]
	buffer_load_dword v138, off, s[0:3], 0 offset:484
	buffer_load_dword v137, off, s[0:3], 0 offset:480
	;; [unrolled: 1-line block ×4, first 2 shown]
	s_waitcnt vmcnt(21)
	v_fma_f64 v[125:126], v[151:152], v[127:128], v[125:126]
	s_waitcnt vmcnt(20) lgkmcnt(0)
	v_fma_f64 v[125:126], v[145:146], v[129:130], v[125:126]
	s_waitcnt vmcnt(15)
	v_fma_f64 v[133:134], v[133:134], v[131:132], v[125:126]
	ds_read2_b64 v[125:128], v124 offset0:115 offset1:116
	ds_read2_b64 v[129:132], v124 offset0:117 offset1:118
	s_waitcnt vmcnt(14) lgkmcnt(1)
	v_fma_f64 v[125:126], v[157:158], v[125:126], v[133:134]
	s_waitcnt vmcnt(13)
	v_fma_f64 v[125:126], v[155:156], v[127:128], v[125:126]
	s_waitcnt vmcnt(12) lgkmcnt(0)
	v_fma_f64 v[125:126], v[147:148], v[129:130], v[125:126]
	s_waitcnt vmcnt(7)
	v_fma_f64 v[133:134], v[135:136], v[131:132], v[125:126]
	ds_read2_b64 v[125:128], v124 offset0:119 offset1:120
	ds_read2_b64 v[129:132], v124 offset0:121 offset1:122
	s_waitcnt vmcnt(6) lgkmcnt(1)
	v_fma_f64 v[124:125], v[149:150], v[125:126], v[133:134]
	s_waitcnt vmcnt(5)
	v_fma_f64 v[124:125], v[143:144], v[127:128], v[124:125]
	s_waitcnt vmcnt(4) lgkmcnt(0)
	v_fma_f64 v[124:125], v[141:142], v[129:130], v[124:125]
	s_waitcnt vmcnt(2)
	v_fma_f64 v[124:125], v[137:138], v[131:132], v[124:125]
	s_waitcnt vmcnt(0)
	v_add_f64 v[124:125], v[139:140], -v[124:125]
	buffer_store_dword v125, off, s[0:3], 0 offset:132
	buffer_store_dword v124, off, s[0:3], 0 offset:128
	s_and_saveexec_b64 s[4:5], vcc
	s_cbranch_execz .LBB60_343
; %bb.342:
	buffer_load_dword v124, off, s[0:3], 0 offset:120
	buffer_load_dword v125, off, s[0:3], 0 offset:124
	v_mov_b32_e32 v126, 0
	buffer_store_dword v126, off, s[0:3], 0 offset:120
	buffer_store_dword v126, off, s[0:3], 0 offset:124
	s_waitcnt vmcnt(2)
	ds_write_b64 v123, v[124:125]
.LBB60_343:
	s_or_b64 exec, exec, s[4:5]
	s_waitcnt lgkmcnt(0)
	; wave barrier
	buffer_load_dword v133, off, s[0:3], 0 offset:128
	buffer_load_dword v134, off, s[0:3], 0 offset:132
	;; [unrolled: 1-line block ×21, first 2 shown]
	v_mov_b32_e32 v124, 0
	ds_read_b128 v[125:128], v124 offset:624
	ds_read_b128 v[129:132], v124 offset:640
	buffer_load_dword v150, off, s[0:3], 0 offset:212
	v_cmp_lt_u32_e32 vcc, 14, v0
	s_waitcnt vmcnt(20) lgkmcnt(1)
	v_fma_f64 v[125:126], v[133:134], v[125:126], 0
	s_waitcnt vmcnt(18)
	v_fma_f64 v[125:126], v[135:136], v[127:128], v[125:126]
	buffer_load_dword v134, off, s[0:3], 0 offset:220
	buffer_load_dword v135, off, s[0:3], 0 offset:240
	;; [unrolled: 1-line block ×7, first 2 shown]
	s_waitcnt vmcnt(23) lgkmcnt(0)
	v_fma_f64 v[125:126], v[137:138], v[129:130], v[125:126]
	s_waitcnt vmcnt(21)
	v_fma_f64 v[136:137], v[139:140], v[131:132], v[125:126]
	ds_read_b128 v[125:128], v124 offset:656
	ds_read_b128 v[129:132], v124 offset:672
	s_waitcnt vmcnt(19) lgkmcnt(1)
	v_fma_f64 v[125:126], v[141:142], v[125:126], v[136:137]
	buffer_load_dword v136, off, s[0:3], 0 offset:244
	s_waitcnt vmcnt(18)
	v_fma_f64 v[125:126], v[143:144], v[127:128], v[125:126]
	buffer_load_dword v138, off, s[0:3], 0 offset:252
	buffer_load_dword v139, off, s[0:3], 0 offset:272
	;; [unrolled: 1-line block ×7, first 2 shown]
	s_waitcnt vmcnt(23) lgkmcnt(0)
	v_fma_f64 v[125:126], v[145:146], v[129:130], v[125:126]
	s_waitcnt vmcnt(18)
	v_fma_f64 v[145:146], v[147:148], v[131:132], v[125:126]
	ds_read_b128 v[125:128], v124 offset:688
	ds_read_b128 v[129:132], v124 offset:704
	buffer_load_dword v140, off, s[0:3], 0 offset:276
	s_waitcnt vmcnt(18) lgkmcnt(1)
	v_fma_f64 v[125:126], v[153:154], v[125:126], v[145:146]
	s_waitcnt vmcnt(17)
	v_fma_f64 v[125:126], v[151:152], v[127:128], v[125:126]
	buffer_load_dword v146, off, s[0:3], 0 offset:284
	buffer_load_dword v147, off, s[0:3], 0 offset:304
	;; [unrolled: 1-line block ×7, first 2 shown]
	s_waitcnt vmcnt(23) lgkmcnt(0)
	v_fma_f64 v[125:126], v[149:150], v[129:130], v[125:126]
	s_waitcnt vmcnt(18)
	v_fma_f64 v[133:134], v[133:134], v[131:132], v[125:126]
	ds_read_b128 v[125:128], v124 offset:720
	ds_read_b128 v[129:132], v124 offset:736
	buffer_load_dword v148, off, s[0:3], 0 offset:308
	s_waitcnt vmcnt(18) lgkmcnt(1)
	v_fma_f64 v[125:126], v[157:158], v[125:126], v[133:134]
	s_waitcnt vmcnt(17)
	v_fma_f64 v[125:126], v[155:156], v[127:128], v[125:126]
	buffer_load_dword v134, off, s[0:3], 0 offset:316
	buffer_load_dword v149, off, s[0:3], 0 offset:336
	;; [unrolled: 1-line block ×8, first 2 shown]
	s_waitcnt vmcnt(24) lgkmcnt(0)
	v_fma_f64 v[125:126], v[135:136], v[129:130], v[125:126]
	s_waitcnt vmcnt(19)
	v_fma_f64 v[135:136], v[137:138], v[131:132], v[125:126]
	ds_read_b128 v[125:128], v124 offset:752
	ds_read_b128 v[129:132], v124 offset:768
	s_waitcnt vmcnt(18) lgkmcnt(1)
	v_fma_f64 v[125:126], v[143:144], v[125:126], v[135:136]
	s_waitcnt vmcnt(17)
	v_fma_f64 v[125:126], v[141:142], v[127:128], v[125:126]
	buffer_load_dword v136, off, s[0:3], 0 offset:348
	buffer_load_dword v137, off, s[0:3], 0 offset:368
	;; [unrolled: 1-line block ×7, first 2 shown]
	s_waitcnt vmcnt(23) lgkmcnt(0)
	v_fma_f64 v[125:126], v[139:140], v[129:130], v[125:126]
	s_waitcnt vmcnt(18)
	v_fma_f64 v[138:139], v[145:146], v[131:132], v[125:126]
	ds_read_b128 v[125:128], v124 offset:784
	ds_read_b128 v[129:132], v124 offset:800
	s_waitcnt vmcnt(17) lgkmcnt(1)
	v_fma_f64 v[125:126], v[153:154], v[125:126], v[138:139]
	buffer_load_dword v138, off, s[0:3], 0 offset:372
	s_waitcnt vmcnt(17)
	v_fma_f64 v[125:126], v[151:152], v[127:128], v[125:126]
	buffer_load_dword v140, off, s[0:3], 0 offset:380
	buffer_load_dword v145, off, s[0:3], 0 offset:400
	;; [unrolled: 1-line block ×7, first 2 shown]
	s_waitcnt vmcnt(23) lgkmcnt(0)
	v_fma_f64 v[125:126], v[147:148], v[129:130], v[125:126]
	s_waitcnt vmcnt(18)
	v_fma_f64 v[133:134], v[133:134], v[131:132], v[125:126]
	ds_read_b128 v[125:128], v124 offset:816
	ds_read_b128 v[129:132], v124 offset:832
	buffer_load_dword v146, off, s[0:3], 0 offset:404
	s_waitcnt vmcnt(18) lgkmcnt(1)
	v_fma_f64 v[125:126], v[157:158], v[125:126], v[133:134]
	s_waitcnt vmcnt(17)
	v_fma_f64 v[125:126], v[155:156], v[127:128], v[125:126]
	buffer_load_dword v134, off, s[0:3], 0 offset:412
	buffer_load_dword v147, off, s[0:3], 0 offset:432
	;; [unrolled: 1-line block ×8, first 2 shown]
	s_waitcnt vmcnt(24) lgkmcnt(0)
	v_fma_f64 v[125:126], v[149:150], v[129:130], v[125:126]
	s_waitcnt vmcnt(19)
	v_fma_f64 v[135:136], v[135:136], v[131:132], v[125:126]
	ds_read_b128 v[125:128], v124 offset:848
	ds_read_b128 v[129:132], v124 offset:864
	s_waitcnt vmcnt(18) lgkmcnt(1)
	v_fma_f64 v[125:126], v[143:144], v[125:126], v[135:136]
	s_waitcnt vmcnt(17)
	v_fma_f64 v[125:126], v[141:142], v[127:128], v[125:126]
	buffer_load_dword v136, off, s[0:3], 0 offset:444
	buffer_load_dword v141, off, s[0:3], 0 offset:464
	;; [unrolled: 1-line block ×7, first 2 shown]
	s_waitcnt vmcnt(23) lgkmcnt(0)
	v_fma_f64 v[125:126], v[137:138], v[129:130], v[125:126]
	s_waitcnt vmcnt(18)
	v_fma_f64 v[137:138], v[139:140], v[131:132], v[125:126]
	ds_read_b128 v[125:128], v124 offset:880
	ds_read_b128 v[129:132], v124 offset:896
	buffer_load_dword v142, off, s[0:3], 0 offset:468
	s_waitcnt vmcnt(18) lgkmcnt(1)
	v_fma_f64 v[125:126], v[153:154], v[125:126], v[137:138]
	buffer_load_dword v138, off, s[0:3], 0 offset:476
	buffer_load_dword v139, off, s[0:3], 0 offset:480
	;; [unrolled: 1-line block ×4, first 2 shown]
	s_waitcnt vmcnt(21)
	v_fma_f64 v[125:126], v[151:152], v[127:128], v[125:126]
	s_waitcnt vmcnt(20) lgkmcnt(0)
	v_fma_f64 v[125:126], v[145:146], v[129:130], v[125:126]
	buffer_load_dword v145, off, s[0:3], 0 offset:120
	buffer_load_dword v146, off, s[0:3], 0 offset:124
	s_waitcnt vmcnt(17)
	v_fma_f64 v[133:134], v[133:134], v[131:132], v[125:126]
	ds_read_b128 v[125:128], v124 offset:912
	ds_read_b128 v[129:132], v124 offset:928
	s_waitcnt vmcnt(16) lgkmcnt(1)
	v_fma_f64 v[125:126], v[157:158], v[125:126], v[133:134]
	s_waitcnt vmcnt(15)
	v_fma_f64 v[125:126], v[155:156], v[127:128], v[125:126]
	s_waitcnt vmcnt(14) lgkmcnt(0)
	v_fma_f64 v[125:126], v[147:148], v[129:130], v[125:126]
	s_waitcnt vmcnt(9)
	v_fma_f64 v[133:134], v[135:136], v[131:132], v[125:126]
	ds_read_b128 v[125:128], v124 offset:944
	ds_read_b128 v[129:132], v124 offset:960
	s_waitcnt vmcnt(8) lgkmcnt(1)
	v_fma_f64 v[125:126], v[149:150], v[125:126], v[133:134]
	s_waitcnt vmcnt(7)
	v_fma_f64 v[125:126], v[143:144], v[127:128], v[125:126]
	ds_read_b64 v[127:128], v124 offset:976
	s_waitcnt vmcnt(6) lgkmcnt(1)
	v_fma_f64 v[125:126], v[141:142], v[129:130], v[125:126]
	s_waitcnt vmcnt(3)
	v_fma_f64 v[125:126], v[137:138], v[131:132], v[125:126]
	s_waitcnt vmcnt(2) lgkmcnt(0)
	v_fma_f64 v[125:126], v[139:140], v[127:128], v[125:126]
	s_waitcnt vmcnt(0)
	v_add_f64 v[125:126], v[145:146], -v[125:126]
	buffer_store_dword v126, off, s[0:3], 0 offset:124
	buffer_store_dword v125, off, s[0:3], 0 offset:120
	s_and_saveexec_b64 s[4:5], vcc
	s_cbranch_execz .LBB60_345
; %bb.344:
	buffer_load_dword v125, off, s[0:3], 0 offset:112
	buffer_load_dword v126, off, s[0:3], 0 offset:116
	s_waitcnt vmcnt(0)
	ds_write_b64 v123, v[125:126]
	buffer_store_dword v124, off, s[0:3], 0 offset:112
	buffer_store_dword v124, off, s[0:3], 0 offset:116
.LBB60_345:
	s_or_b64 exec, exec, s[4:5]
	s_waitcnt lgkmcnt(0)
	; wave barrier
	buffer_load_dword v133, off, s[0:3], 0 offset:120
	buffer_load_dword v134, off, s[0:3], 0 offset:124
	;; [unrolled: 1-line block ×21, first 2 shown]
	ds_read2_b64 v[125:128], v124 offset0:77 offset1:78
	ds_read2_b64 v[129:132], v124 offset0:79 offset1:80
	buffer_load_dword v150, off, s[0:3], 0 offset:204
	v_cmp_lt_u32_e32 vcc, 13, v0
	s_waitcnt vmcnt(20) lgkmcnt(1)
	v_fma_f64 v[125:126], v[133:134], v[125:126], 0
	s_waitcnt vmcnt(18)
	v_fma_f64 v[125:126], v[135:136], v[127:128], v[125:126]
	buffer_load_dword v134, off, s[0:3], 0 offset:212
	buffer_load_dword v135, off, s[0:3], 0 offset:232
	;; [unrolled: 1-line block ×7, first 2 shown]
	s_waitcnt vmcnt(23) lgkmcnt(0)
	v_fma_f64 v[125:126], v[137:138], v[129:130], v[125:126]
	s_waitcnt vmcnt(21)
	v_fma_f64 v[136:137], v[139:140], v[131:132], v[125:126]
	ds_read2_b64 v[125:128], v124 offset0:81 offset1:82
	ds_read2_b64 v[129:132], v124 offset0:83 offset1:84
	s_waitcnt vmcnt(19) lgkmcnt(1)
	v_fma_f64 v[125:126], v[141:142], v[125:126], v[136:137]
	buffer_load_dword v136, off, s[0:3], 0 offset:236
	s_waitcnt vmcnt(18)
	v_fma_f64 v[125:126], v[143:144], v[127:128], v[125:126]
	buffer_load_dword v138, off, s[0:3], 0 offset:244
	buffer_load_dword v139, off, s[0:3], 0 offset:264
	;; [unrolled: 1-line block ×8, first 2 shown]
	s_waitcnt vmcnt(24) lgkmcnt(0)
	v_fma_f64 v[125:126], v[145:146], v[129:130], v[125:126]
	s_waitcnt vmcnt(19)
	v_fma_f64 v[145:146], v[147:148], v[131:132], v[125:126]
	ds_read2_b64 v[125:128], v124 offset0:85 offset1:86
	ds_read2_b64 v[129:132], v124 offset0:87 offset1:88
	s_waitcnt vmcnt(18) lgkmcnt(1)
	v_fma_f64 v[125:126], v[153:154], v[125:126], v[145:146]
	s_waitcnt vmcnt(17)
	v_fma_f64 v[125:126], v[151:152], v[127:128], v[125:126]
	buffer_load_dword v146, off, s[0:3], 0 offset:276
	buffer_load_dword v147, off, s[0:3], 0 offset:296
	;; [unrolled: 1-line block ×7, first 2 shown]
	s_waitcnt vmcnt(23) lgkmcnt(0)
	v_fma_f64 v[125:126], v[149:150], v[129:130], v[125:126]
	s_waitcnt vmcnt(18)
	v_fma_f64 v[133:134], v[133:134], v[131:132], v[125:126]
	ds_read2_b64 v[125:128], v124 offset0:89 offset1:90
	ds_read2_b64 v[129:132], v124 offset0:91 offset1:92
	buffer_load_dword v148, off, s[0:3], 0 offset:300
	s_waitcnt vmcnt(18) lgkmcnt(1)
	v_fma_f64 v[125:126], v[157:158], v[125:126], v[133:134]
	s_waitcnt vmcnt(17)
	v_fma_f64 v[125:126], v[155:156], v[127:128], v[125:126]
	buffer_load_dword v134, off, s[0:3], 0 offset:308
	buffer_load_dword v149, off, s[0:3], 0 offset:328
	;; [unrolled: 1-line block ×8, first 2 shown]
	s_waitcnt vmcnt(24) lgkmcnt(0)
	v_fma_f64 v[125:126], v[135:136], v[129:130], v[125:126]
	s_waitcnt vmcnt(19)
	v_fma_f64 v[135:136], v[137:138], v[131:132], v[125:126]
	ds_read2_b64 v[125:128], v124 offset0:93 offset1:94
	ds_read2_b64 v[129:132], v124 offset0:95 offset1:96
	s_waitcnt vmcnt(18) lgkmcnt(1)
	v_fma_f64 v[125:126], v[143:144], v[125:126], v[135:136]
	s_waitcnt vmcnt(17)
	v_fma_f64 v[125:126], v[141:142], v[127:128], v[125:126]
	buffer_load_dword v136, off, s[0:3], 0 offset:340
	buffer_load_dword v137, off, s[0:3], 0 offset:360
	;; [unrolled: 1-line block ×7, first 2 shown]
	s_waitcnt vmcnt(23) lgkmcnt(0)
	v_fma_f64 v[125:126], v[139:140], v[129:130], v[125:126]
	s_waitcnt vmcnt(18)
	v_fma_f64 v[138:139], v[145:146], v[131:132], v[125:126]
	ds_read2_b64 v[125:128], v124 offset0:97 offset1:98
	ds_read2_b64 v[129:132], v124 offset0:99 offset1:100
	s_waitcnt vmcnt(17) lgkmcnt(1)
	v_fma_f64 v[125:126], v[153:154], v[125:126], v[138:139]
	buffer_load_dword v138, off, s[0:3], 0 offset:364
	s_waitcnt vmcnt(17)
	v_fma_f64 v[125:126], v[151:152], v[127:128], v[125:126]
	buffer_load_dword v140, off, s[0:3], 0 offset:372
	buffer_load_dword v145, off, s[0:3], 0 offset:392
	buffer_load_dword v151, off, s[0:3], 0 offset:384
	buffer_load_dword v153, off, s[0:3], 0 offset:376
	buffer_load_dword v139, off, s[0:3], 0 offset:368
	buffer_load_dword v154, off, s[0:3], 0 offset:380
	buffer_load_dword v152, off, s[0:3], 0 offset:388
	s_waitcnt vmcnt(23) lgkmcnt(0)
	v_fma_f64 v[125:126], v[147:148], v[129:130], v[125:126]
	s_waitcnt vmcnt(18)
	v_fma_f64 v[133:134], v[133:134], v[131:132], v[125:126]
	ds_read2_b64 v[125:128], v124 offset0:101 offset1:102
	ds_read2_b64 v[129:132], v124 offset0:103 offset1:104
	buffer_load_dword v146, off, s[0:3], 0 offset:396
	s_waitcnt vmcnt(18) lgkmcnt(1)
	v_fma_f64 v[125:126], v[157:158], v[125:126], v[133:134]
	s_waitcnt vmcnt(17)
	v_fma_f64 v[125:126], v[155:156], v[127:128], v[125:126]
	buffer_load_dword v134, off, s[0:3], 0 offset:404
	buffer_load_dword v147, off, s[0:3], 0 offset:424
	;; [unrolled: 1-line block ×8, first 2 shown]
	s_waitcnt vmcnt(24) lgkmcnt(0)
	v_fma_f64 v[125:126], v[149:150], v[129:130], v[125:126]
	s_waitcnt vmcnt(19)
	v_fma_f64 v[135:136], v[135:136], v[131:132], v[125:126]
	ds_read2_b64 v[125:128], v124 offset0:105 offset1:106
	ds_read2_b64 v[129:132], v124 offset0:107 offset1:108
	s_waitcnt vmcnt(18) lgkmcnt(1)
	v_fma_f64 v[125:126], v[143:144], v[125:126], v[135:136]
	s_waitcnt vmcnt(17)
	v_fma_f64 v[125:126], v[141:142], v[127:128], v[125:126]
	buffer_load_dword v136, off, s[0:3], 0 offset:436
	buffer_load_dword v141, off, s[0:3], 0 offset:456
	;; [unrolled: 1-line block ×8, first 2 shown]
	s_waitcnt vmcnt(24) lgkmcnt(0)
	v_fma_f64 v[125:126], v[137:138], v[129:130], v[125:126]
	s_waitcnt vmcnt(19)
	v_fma_f64 v[137:138], v[139:140], v[131:132], v[125:126]
	ds_read2_b64 v[125:128], v124 offset0:109 offset1:110
	ds_read2_b64 v[129:132], v124 offset0:111 offset1:112
	s_waitcnt vmcnt(18) lgkmcnt(1)
	v_fma_f64 v[125:126], v[153:154], v[125:126], v[137:138]
	s_waitcnt vmcnt(17)
	v_fma_f64 v[125:126], v[151:152], v[127:128], v[125:126]
	buffer_load_dword v138, off, s[0:3], 0 offset:468
	buffer_load_dword v139, off, s[0:3], 0 offset:480
	;; [unrolled: 1-line block ×6, first 2 shown]
	s_waitcnt vmcnt(22) lgkmcnt(0)
	v_fma_f64 v[125:126], v[145:146], v[129:130], v[125:126]
	s_waitcnt vmcnt(17)
	v_fma_f64 v[133:134], v[133:134], v[131:132], v[125:126]
	ds_read2_b64 v[125:128], v124 offset0:113 offset1:114
	buffer_load_dword v145, off, s[0:3], 0 offset:112
	buffer_load_dword v146, off, s[0:3], 0 offset:116
	ds_read2_b64 v[129:132], v124 offset0:115 offset1:116
	s_waitcnt vmcnt(18) lgkmcnt(1)
	v_fma_f64 v[125:126], v[157:158], v[125:126], v[133:134]
	s_waitcnt vmcnt(17)
	v_fma_f64 v[125:126], v[155:156], v[127:128], v[125:126]
	s_waitcnt vmcnt(16) lgkmcnt(0)
	v_fma_f64 v[125:126], v[147:148], v[129:130], v[125:126]
	s_waitcnt vmcnt(11)
	v_fma_f64 v[133:134], v[135:136], v[131:132], v[125:126]
	ds_read2_b64 v[125:128], v124 offset0:117 offset1:118
	ds_read2_b64 v[129:132], v124 offset0:119 offset1:120
	s_waitcnt vmcnt(10) lgkmcnt(1)
	v_fma_f64 v[125:126], v[149:150], v[125:126], v[133:134]
	s_waitcnt vmcnt(9)
	v_fma_f64 v[125:126], v[143:144], v[127:128], v[125:126]
	s_waitcnt vmcnt(8) lgkmcnt(0)
	v_fma_f64 v[125:126], v[141:142], v[129:130], v[125:126]
	s_waitcnt vmcnt(4)
	v_fma_f64 v[128:129], v[137:138], v[131:132], v[125:126]
	ds_read2_b64 v[124:127], v124 offset0:121 offset1:122
	s_waitcnt vmcnt(3) lgkmcnt(0)
	v_fma_f64 v[124:125], v[151:152], v[124:125], v[128:129]
	s_waitcnt vmcnt(2)
	v_fma_f64 v[124:125], v[139:140], v[126:127], v[124:125]
	s_waitcnt vmcnt(0)
	v_add_f64 v[124:125], v[145:146], -v[124:125]
	buffer_store_dword v125, off, s[0:3], 0 offset:116
	buffer_store_dword v124, off, s[0:3], 0 offset:112
	s_and_saveexec_b64 s[4:5], vcc
	s_cbranch_execz .LBB60_347
; %bb.346:
	buffer_load_dword v124, off, s[0:3], 0 offset:104
	buffer_load_dword v125, off, s[0:3], 0 offset:108
	v_mov_b32_e32 v126, 0
	buffer_store_dword v126, off, s[0:3], 0 offset:104
	buffer_store_dword v126, off, s[0:3], 0 offset:108
	s_waitcnt vmcnt(2)
	ds_write_b64 v123, v[124:125]
.LBB60_347:
	s_or_b64 exec, exec, s[4:5]
	s_waitcnt lgkmcnt(0)
	; wave barrier
	buffer_load_dword v133, off, s[0:3], 0 offset:112
	buffer_load_dword v134, off, s[0:3], 0 offset:116
	;; [unrolled: 1-line block ×21, first 2 shown]
	v_mov_b32_e32 v124, 0
	ds_read_b128 v[125:128], v124 offset:608
	ds_read_b128 v[129:132], v124 offset:624
	buffer_load_dword v150, off, s[0:3], 0 offset:196
	v_cmp_lt_u32_e32 vcc, 12, v0
	s_waitcnt vmcnt(20) lgkmcnt(1)
	v_fma_f64 v[125:126], v[133:134], v[125:126], 0
	s_waitcnt vmcnt(18)
	v_fma_f64 v[125:126], v[135:136], v[127:128], v[125:126]
	buffer_load_dword v134, off, s[0:3], 0 offset:204
	buffer_load_dword v135, off, s[0:3], 0 offset:224
	;; [unrolled: 1-line block ×7, first 2 shown]
	s_waitcnt vmcnt(23) lgkmcnt(0)
	v_fma_f64 v[125:126], v[137:138], v[129:130], v[125:126]
	s_waitcnt vmcnt(21)
	v_fma_f64 v[136:137], v[139:140], v[131:132], v[125:126]
	ds_read_b128 v[125:128], v124 offset:640
	ds_read_b128 v[129:132], v124 offset:656
	s_waitcnt vmcnt(19) lgkmcnt(1)
	v_fma_f64 v[125:126], v[141:142], v[125:126], v[136:137]
	buffer_load_dword v136, off, s[0:3], 0 offset:228
	s_waitcnt vmcnt(18)
	v_fma_f64 v[125:126], v[143:144], v[127:128], v[125:126]
	buffer_load_dword v138, off, s[0:3], 0 offset:236
	buffer_load_dword v139, off, s[0:3], 0 offset:256
	;; [unrolled: 1-line block ×8, first 2 shown]
	s_waitcnt vmcnt(24) lgkmcnt(0)
	v_fma_f64 v[125:126], v[145:146], v[129:130], v[125:126]
	s_waitcnt vmcnt(19)
	v_fma_f64 v[145:146], v[147:148], v[131:132], v[125:126]
	ds_read_b128 v[125:128], v124 offset:672
	ds_read_b128 v[129:132], v124 offset:688
	s_waitcnt vmcnt(18) lgkmcnt(1)
	v_fma_f64 v[125:126], v[153:154], v[125:126], v[145:146]
	s_waitcnt vmcnt(17)
	v_fma_f64 v[125:126], v[151:152], v[127:128], v[125:126]
	buffer_load_dword v146, off, s[0:3], 0 offset:268
	buffer_load_dword v147, off, s[0:3], 0 offset:288
	;; [unrolled: 1-line block ×7, first 2 shown]
	s_waitcnt vmcnt(23) lgkmcnt(0)
	v_fma_f64 v[125:126], v[149:150], v[129:130], v[125:126]
	s_waitcnt vmcnt(18)
	v_fma_f64 v[133:134], v[133:134], v[131:132], v[125:126]
	ds_read_b128 v[125:128], v124 offset:704
	ds_read_b128 v[129:132], v124 offset:720
	buffer_load_dword v148, off, s[0:3], 0 offset:292
	s_waitcnt vmcnt(18) lgkmcnt(1)
	v_fma_f64 v[125:126], v[157:158], v[125:126], v[133:134]
	s_waitcnt vmcnt(17)
	v_fma_f64 v[125:126], v[155:156], v[127:128], v[125:126]
	buffer_load_dword v134, off, s[0:3], 0 offset:300
	buffer_load_dword v149, off, s[0:3], 0 offset:320
	;; [unrolled: 1-line block ×8, first 2 shown]
	s_waitcnt vmcnt(24) lgkmcnt(0)
	v_fma_f64 v[125:126], v[135:136], v[129:130], v[125:126]
	s_waitcnt vmcnt(19)
	v_fma_f64 v[135:136], v[137:138], v[131:132], v[125:126]
	ds_read_b128 v[125:128], v124 offset:736
	ds_read_b128 v[129:132], v124 offset:752
	s_waitcnt vmcnt(18) lgkmcnt(1)
	v_fma_f64 v[125:126], v[143:144], v[125:126], v[135:136]
	s_waitcnt vmcnt(17)
	v_fma_f64 v[125:126], v[141:142], v[127:128], v[125:126]
	buffer_load_dword v136, off, s[0:3], 0 offset:332
	buffer_load_dword v137, off, s[0:3], 0 offset:352
	;; [unrolled: 1-line block ×7, first 2 shown]
	s_waitcnt vmcnt(23) lgkmcnt(0)
	v_fma_f64 v[125:126], v[139:140], v[129:130], v[125:126]
	s_waitcnt vmcnt(18)
	v_fma_f64 v[138:139], v[145:146], v[131:132], v[125:126]
	ds_read_b128 v[125:128], v124 offset:768
	ds_read_b128 v[129:132], v124 offset:784
	s_waitcnt vmcnt(17) lgkmcnt(1)
	v_fma_f64 v[125:126], v[153:154], v[125:126], v[138:139]
	buffer_load_dword v138, off, s[0:3], 0 offset:356
	s_waitcnt vmcnt(17)
	v_fma_f64 v[125:126], v[151:152], v[127:128], v[125:126]
	buffer_load_dword v140, off, s[0:3], 0 offset:364
	buffer_load_dword v145, off, s[0:3], 0 offset:384
	;; [unrolled: 1-line block ×7, first 2 shown]
	s_waitcnt vmcnt(23) lgkmcnt(0)
	v_fma_f64 v[125:126], v[147:148], v[129:130], v[125:126]
	s_waitcnt vmcnt(18)
	v_fma_f64 v[133:134], v[133:134], v[131:132], v[125:126]
	ds_read_b128 v[125:128], v124 offset:800
	ds_read_b128 v[129:132], v124 offset:816
	buffer_load_dword v146, off, s[0:3], 0 offset:388
	s_waitcnt vmcnt(18) lgkmcnt(1)
	v_fma_f64 v[125:126], v[157:158], v[125:126], v[133:134]
	s_waitcnt vmcnt(17)
	v_fma_f64 v[125:126], v[155:156], v[127:128], v[125:126]
	buffer_load_dword v134, off, s[0:3], 0 offset:396
	buffer_load_dword v147, off, s[0:3], 0 offset:416
	buffer_load_dword v155, off, s[0:3], 0 offset:408
	buffer_load_dword v157, off, s[0:3], 0 offset:400
	buffer_load_dword v133, off, s[0:3], 0 offset:392
	buffer_load_dword v158, off, s[0:3], 0 offset:404
	buffer_load_dword v156, off, s[0:3], 0 offset:412
	buffer_load_dword v148, off, s[0:3], 0 offset:420
	s_waitcnt vmcnt(24) lgkmcnt(0)
	v_fma_f64 v[125:126], v[149:150], v[129:130], v[125:126]
	s_waitcnt vmcnt(19)
	v_fma_f64 v[135:136], v[135:136], v[131:132], v[125:126]
	ds_read_b128 v[125:128], v124 offset:832
	ds_read_b128 v[129:132], v124 offset:848
	s_waitcnt vmcnt(18) lgkmcnt(1)
	v_fma_f64 v[125:126], v[143:144], v[125:126], v[135:136]
	s_waitcnt vmcnt(17)
	v_fma_f64 v[125:126], v[141:142], v[127:128], v[125:126]
	buffer_load_dword v136, off, s[0:3], 0 offset:428
	buffer_load_dword v141, off, s[0:3], 0 offset:448
	buffer_load_dword v143, off, s[0:3], 0 offset:440
	buffer_load_dword v149, off, s[0:3], 0 offset:432
	buffer_load_dword v135, off, s[0:3], 0 offset:424
	buffer_load_dword v150, off, s[0:3], 0 offset:436
	buffer_load_dword v144, off, s[0:3], 0 offset:444
	buffer_load_dword v142, off, s[0:3], 0 offset:452
	s_waitcnt vmcnt(24) lgkmcnt(0)
	v_fma_f64 v[125:126], v[137:138], v[129:130], v[125:126]
	s_waitcnt vmcnt(19)
	v_fma_f64 v[137:138], v[139:140], v[131:132], v[125:126]
	ds_read_b128 v[125:128], v124 offset:864
	ds_read_b128 v[129:132], v124 offset:880
	s_waitcnt vmcnt(18) lgkmcnt(1)
	v_fma_f64 v[125:126], v[153:154], v[125:126], v[137:138]
	s_waitcnt vmcnt(17)
	v_fma_f64 v[125:126], v[151:152], v[127:128], v[125:126]
	buffer_load_dword v138, off, s[0:3], 0 offset:460
	buffer_load_dword v139, off, s[0:3], 0 offset:480
	buffer_load_dword v151, off, s[0:3], 0 offset:472
	buffer_load_dword v153, off, s[0:3], 0 offset:464
	buffer_load_dword v137, off, s[0:3], 0 offset:456
	buffer_load_dword v154, off, s[0:3], 0 offset:468
	buffer_load_dword v152, off, s[0:3], 0 offset:476
	buffer_load_dword v140, off, s[0:3], 0 offset:484
	s_waitcnt vmcnt(24) lgkmcnt(0)
	v_fma_f64 v[125:126], v[145:146], v[129:130], v[125:126]
	s_waitcnt vmcnt(19)
	v_fma_f64 v[133:134], v[133:134], v[131:132], v[125:126]
	ds_read_b128 v[125:128], v124 offset:896
	ds_read_b128 v[129:132], v124 offset:912
	s_waitcnt vmcnt(18) lgkmcnt(1)
	v_fma_f64 v[125:126], v[157:158], v[125:126], v[133:134]
	buffer_load_dword v133, off, s[0:3], 0 offset:104
	buffer_load_dword v134, off, s[0:3], 0 offset:108
	s_waitcnt vmcnt(19)
	v_fma_f64 v[125:126], v[155:156], v[127:128], v[125:126]
	s_waitcnt vmcnt(18) lgkmcnt(0)
	v_fma_f64 v[125:126], v[147:148], v[129:130], v[125:126]
	s_waitcnt vmcnt(13)
	v_fma_f64 v[135:136], v[135:136], v[131:132], v[125:126]
	ds_read_b128 v[125:128], v124 offset:928
	ds_read_b128 v[129:132], v124 offset:944
	s_waitcnt vmcnt(12) lgkmcnt(1)
	v_fma_f64 v[125:126], v[149:150], v[125:126], v[135:136]
	s_waitcnt vmcnt(11)
	v_fma_f64 v[125:126], v[143:144], v[127:128], v[125:126]
	s_waitcnt vmcnt(10) lgkmcnt(0)
	v_fma_f64 v[125:126], v[141:142], v[129:130], v[125:126]
	s_waitcnt vmcnt(5)
	v_fma_f64 v[129:130], v[137:138], v[131:132], v[125:126]
	ds_read_b128 v[125:128], v124 offset:960
	ds_read_b64 v[131:132], v124 offset:976
	s_waitcnt vmcnt(4) lgkmcnt(1)
	v_fma_f64 v[125:126], v[153:154], v[125:126], v[129:130]
	s_waitcnt vmcnt(3)
	v_fma_f64 v[125:126], v[151:152], v[127:128], v[125:126]
	s_waitcnt vmcnt(2) lgkmcnt(0)
	v_fma_f64 v[125:126], v[139:140], v[131:132], v[125:126]
	s_waitcnt vmcnt(0)
	v_add_f64 v[125:126], v[133:134], -v[125:126]
	buffer_store_dword v126, off, s[0:3], 0 offset:108
	buffer_store_dword v125, off, s[0:3], 0 offset:104
	s_and_saveexec_b64 s[4:5], vcc
	s_cbranch_execz .LBB60_349
; %bb.348:
	buffer_load_dword v125, off, s[0:3], 0 offset:96
	buffer_load_dword v126, off, s[0:3], 0 offset:100
	s_waitcnt vmcnt(0)
	ds_write_b64 v123, v[125:126]
	buffer_store_dword v124, off, s[0:3], 0 offset:96
	buffer_store_dword v124, off, s[0:3], 0 offset:100
.LBB60_349:
	s_or_b64 exec, exec, s[4:5]
	s_waitcnt lgkmcnt(0)
	; wave barrier
	buffer_load_dword v133, off, s[0:3], 0 offset:104
	buffer_load_dword v134, off, s[0:3], 0 offset:108
	;; [unrolled: 1-line block ×21, first 2 shown]
	ds_read2_b64 v[125:128], v124 offset0:75 offset1:76
	ds_read2_b64 v[129:132], v124 offset0:77 offset1:78
	buffer_load_dword v150, off, s[0:3], 0 offset:188
	v_cmp_lt_u32_e32 vcc, 11, v0
	s_waitcnt vmcnt(20) lgkmcnt(1)
	v_fma_f64 v[125:126], v[133:134], v[125:126], 0
	s_waitcnt vmcnt(18)
	v_fma_f64 v[125:126], v[135:136], v[127:128], v[125:126]
	buffer_load_dword v134, off, s[0:3], 0 offset:196
	buffer_load_dword v135, off, s[0:3], 0 offset:216
	;; [unrolled: 1-line block ×7, first 2 shown]
	s_waitcnt vmcnt(23) lgkmcnt(0)
	v_fma_f64 v[125:126], v[137:138], v[129:130], v[125:126]
	s_waitcnt vmcnt(21)
	v_fma_f64 v[136:137], v[139:140], v[131:132], v[125:126]
	ds_read2_b64 v[125:128], v124 offset0:79 offset1:80
	ds_read2_b64 v[129:132], v124 offset0:81 offset1:82
	s_waitcnt vmcnt(19) lgkmcnt(1)
	v_fma_f64 v[125:126], v[141:142], v[125:126], v[136:137]
	buffer_load_dword v136, off, s[0:3], 0 offset:220
	s_waitcnt vmcnt(18)
	v_fma_f64 v[125:126], v[143:144], v[127:128], v[125:126]
	buffer_load_dword v138, off, s[0:3], 0 offset:228
	buffer_load_dword v139, off, s[0:3], 0 offset:248
	;; [unrolled: 1-line block ×8, first 2 shown]
	s_waitcnt vmcnt(24) lgkmcnt(0)
	v_fma_f64 v[125:126], v[145:146], v[129:130], v[125:126]
	s_waitcnt vmcnt(19)
	v_fma_f64 v[145:146], v[147:148], v[131:132], v[125:126]
	ds_read2_b64 v[125:128], v124 offset0:83 offset1:84
	ds_read2_b64 v[129:132], v124 offset0:85 offset1:86
	s_waitcnt vmcnt(18) lgkmcnt(1)
	v_fma_f64 v[125:126], v[153:154], v[125:126], v[145:146]
	s_waitcnt vmcnt(17)
	v_fma_f64 v[125:126], v[151:152], v[127:128], v[125:126]
	buffer_load_dword v146, off, s[0:3], 0 offset:260
	buffer_load_dword v147, off, s[0:3], 0 offset:280
	;; [unrolled: 1-line block ×7, first 2 shown]
	s_waitcnt vmcnt(23) lgkmcnt(0)
	v_fma_f64 v[125:126], v[149:150], v[129:130], v[125:126]
	s_waitcnt vmcnt(18)
	v_fma_f64 v[133:134], v[133:134], v[131:132], v[125:126]
	ds_read2_b64 v[125:128], v124 offset0:87 offset1:88
	ds_read2_b64 v[129:132], v124 offset0:89 offset1:90
	buffer_load_dword v148, off, s[0:3], 0 offset:284
	s_waitcnt vmcnt(18) lgkmcnt(1)
	v_fma_f64 v[125:126], v[157:158], v[125:126], v[133:134]
	s_waitcnt vmcnt(17)
	v_fma_f64 v[125:126], v[155:156], v[127:128], v[125:126]
	buffer_load_dword v134, off, s[0:3], 0 offset:292
	buffer_load_dword v149, off, s[0:3], 0 offset:312
	;; [unrolled: 1-line block ×8, first 2 shown]
	s_waitcnt vmcnt(24) lgkmcnt(0)
	v_fma_f64 v[125:126], v[135:136], v[129:130], v[125:126]
	s_waitcnt vmcnt(19)
	v_fma_f64 v[135:136], v[137:138], v[131:132], v[125:126]
	ds_read2_b64 v[125:128], v124 offset0:91 offset1:92
	ds_read2_b64 v[129:132], v124 offset0:93 offset1:94
	s_waitcnt vmcnt(18) lgkmcnt(1)
	v_fma_f64 v[125:126], v[143:144], v[125:126], v[135:136]
	s_waitcnt vmcnt(17)
	v_fma_f64 v[125:126], v[141:142], v[127:128], v[125:126]
	buffer_load_dword v136, off, s[0:3], 0 offset:324
	buffer_load_dword v137, off, s[0:3], 0 offset:344
	;; [unrolled: 1-line block ×7, first 2 shown]
	s_waitcnt vmcnt(23) lgkmcnt(0)
	v_fma_f64 v[125:126], v[139:140], v[129:130], v[125:126]
	s_waitcnt vmcnt(18)
	v_fma_f64 v[138:139], v[145:146], v[131:132], v[125:126]
	ds_read2_b64 v[125:128], v124 offset0:95 offset1:96
	ds_read2_b64 v[129:132], v124 offset0:97 offset1:98
	s_waitcnt vmcnt(17) lgkmcnt(1)
	v_fma_f64 v[125:126], v[153:154], v[125:126], v[138:139]
	buffer_load_dword v138, off, s[0:3], 0 offset:348
	s_waitcnt vmcnt(17)
	v_fma_f64 v[125:126], v[151:152], v[127:128], v[125:126]
	buffer_load_dword v140, off, s[0:3], 0 offset:356
	buffer_load_dword v145, off, s[0:3], 0 offset:376
	;; [unrolled: 1-line block ×7, first 2 shown]
	s_waitcnt vmcnt(23) lgkmcnt(0)
	v_fma_f64 v[125:126], v[147:148], v[129:130], v[125:126]
	s_waitcnt vmcnt(18)
	v_fma_f64 v[133:134], v[133:134], v[131:132], v[125:126]
	ds_read2_b64 v[125:128], v124 offset0:99 offset1:100
	ds_read2_b64 v[129:132], v124 offset0:101 offset1:102
	buffer_load_dword v146, off, s[0:3], 0 offset:380
	s_waitcnt vmcnt(18) lgkmcnt(1)
	v_fma_f64 v[125:126], v[157:158], v[125:126], v[133:134]
	s_waitcnt vmcnt(17)
	v_fma_f64 v[125:126], v[155:156], v[127:128], v[125:126]
	buffer_load_dword v134, off, s[0:3], 0 offset:388
	buffer_load_dword v147, off, s[0:3], 0 offset:408
	buffer_load_dword v155, off, s[0:3], 0 offset:400
	buffer_load_dword v157, off, s[0:3], 0 offset:392
	buffer_load_dword v133, off, s[0:3], 0 offset:384
	buffer_load_dword v158, off, s[0:3], 0 offset:396
	buffer_load_dword v156, off, s[0:3], 0 offset:404
	buffer_load_dword v148, off, s[0:3], 0 offset:412
	s_waitcnt vmcnt(24) lgkmcnt(0)
	v_fma_f64 v[125:126], v[149:150], v[129:130], v[125:126]
	s_waitcnt vmcnt(19)
	v_fma_f64 v[135:136], v[135:136], v[131:132], v[125:126]
	ds_read2_b64 v[125:128], v124 offset0:103 offset1:104
	ds_read2_b64 v[129:132], v124 offset0:105 offset1:106
	s_waitcnt vmcnt(18) lgkmcnt(1)
	v_fma_f64 v[125:126], v[143:144], v[125:126], v[135:136]
	s_waitcnt vmcnt(17)
	v_fma_f64 v[125:126], v[141:142], v[127:128], v[125:126]
	buffer_load_dword v136, off, s[0:3], 0 offset:420
	buffer_load_dword v141, off, s[0:3], 0 offset:440
	buffer_load_dword v143, off, s[0:3], 0 offset:432
	buffer_load_dword v149, off, s[0:3], 0 offset:424
	buffer_load_dword v135, off, s[0:3], 0 offset:416
	buffer_load_dword v150, off, s[0:3], 0 offset:428
	buffer_load_dword v144, off, s[0:3], 0 offset:436
	buffer_load_dword v142, off, s[0:3], 0 offset:444
	s_waitcnt vmcnt(24) lgkmcnt(0)
	v_fma_f64 v[125:126], v[137:138], v[129:130], v[125:126]
	s_waitcnt vmcnt(19)
	v_fma_f64 v[137:138], v[139:140], v[131:132], v[125:126]
	ds_read2_b64 v[125:128], v124 offset0:107 offset1:108
	ds_read2_b64 v[129:132], v124 offset0:109 offset1:110
	;; [unrolled: 18-line block ×3, first 2 shown]
	s_waitcnt vmcnt(18) lgkmcnt(1)
	v_fma_f64 v[125:126], v[157:158], v[125:126], v[133:134]
	buffer_load_dword v134, off, s[0:3], 0 offset:484
	buffer_load_dword v133, off, s[0:3], 0 offset:480
	buffer_load_dword v145, off, s[0:3], 0 offset:96
	buffer_load_dword v146, off, s[0:3], 0 offset:100
	s_waitcnt vmcnt(21)
	v_fma_f64 v[125:126], v[155:156], v[127:128], v[125:126]
	s_waitcnt vmcnt(20) lgkmcnt(0)
	v_fma_f64 v[125:126], v[147:148], v[129:130], v[125:126]
	s_waitcnt vmcnt(15)
	v_fma_f64 v[135:136], v[135:136], v[131:132], v[125:126]
	ds_read2_b64 v[125:128], v124 offset0:115 offset1:116
	ds_read2_b64 v[129:132], v124 offset0:117 offset1:118
	s_waitcnt vmcnt(14) lgkmcnt(1)
	v_fma_f64 v[125:126], v[149:150], v[125:126], v[135:136]
	s_waitcnt vmcnt(13)
	v_fma_f64 v[125:126], v[143:144], v[127:128], v[125:126]
	s_waitcnt vmcnt(12) lgkmcnt(0)
	v_fma_f64 v[125:126], v[141:142], v[129:130], v[125:126]
	s_waitcnt vmcnt(7)
	v_fma_f64 v[135:136], v[137:138], v[131:132], v[125:126]
	ds_read2_b64 v[125:128], v124 offset0:119 offset1:120
	ds_read2_b64 v[129:132], v124 offset0:121 offset1:122
	s_waitcnt vmcnt(6) lgkmcnt(1)
	v_fma_f64 v[124:125], v[153:154], v[125:126], v[135:136]
	s_waitcnt vmcnt(5)
	v_fma_f64 v[124:125], v[151:152], v[127:128], v[124:125]
	s_waitcnt vmcnt(4) lgkmcnt(0)
	v_fma_f64 v[124:125], v[139:140], v[129:130], v[124:125]
	s_waitcnt vmcnt(2)
	v_fma_f64 v[124:125], v[133:134], v[131:132], v[124:125]
	s_waitcnt vmcnt(0)
	v_add_f64 v[124:125], v[145:146], -v[124:125]
	buffer_store_dword v125, off, s[0:3], 0 offset:100
	buffer_store_dword v124, off, s[0:3], 0 offset:96
	s_and_saveexec_b64 s[4:5], vcc
	s_cbranch_execz .LBB60_351
; %bb.350:
	buffer_load_dword v124, off, s[0:3], 0 offset:88
	buffer_load_dword v125, off, s[0:3], 0 offset:92
	v_mov_b32_e32 v126, 0
	buffer_store_dword v126, off, s[0:3], 0 offset:88
	buffer_store_dword v126, off, s[0:3], 0 offset:92
	s_waitcnt vmcnt(2)
	ds_write_b64 v123, v[124:125]
.LBB60_351:
	s_or_b64 exec, exec, s[4:5]
	s_waitcnt lgkmcnt(0)
	; wave barrier
	buffer_load_dword v133, off, s[0:3], 0 offset:96
	buffer_load_dword v134, off, s[0:3], 0 offset:100
	;; [unrolled: 1-line block ×21, first 2 shown]
	v_mov_b32_e32 v124, 0
	ds_read_b128 v[125:128], v124 offset:592
	ds_read_b128 v[129:132], v124 offset:608
	buffer_load_dword v150, off, s[0:3], 0 offset:180
	v_cmp_lt_u32_e32 vcc, 10, v0
	s_waitcnt vmcnt(20) lgkmcnt(1)
	v_fma_f64 v[125:126], v[133:134], v[125:126], 0
	s_waitcnt vmcnt(18)
	v_fma_f64 v[125:126], v[135:136], v[127:128], v[125:126]
	buffer_load_dword v134, off, s[0:3], 0 offset:188
	buffer_load_dword v135, off, s[0:3], 0 offset:208
	;; [unrolled: 1-line block ×7, first 2 shown]
	s_waitcnt vmcnt(23) lgkmcnt(0)
	v_fma_f64 v[125:126], v[137:138], v[129:130], v[125:126]
	s_waitcnt vmcnt(21)
	v_fma_f64 v[136:137], v[139:140], v[131:132], v[125:126]
	ds_read_b128 v[125:128], v124 offset:624
	ds_read_b128 v[129:132], v124 offset:640
	s_waitcnt vmcnt(19) lgkmcnt(1)
	v_fma_f64 v[125:126], v[141:142], v[125:126], v[136:137]
	buffer_load_dword v136, off, s[0:3], 0 offset:212
	s_waitcnt vmcnt(18)
	v_fma_f64 v[125:126], v[143:144], v[127:128], v[125:126]
	buffer_load_dword v138, off, s[0:3], 0 offset:220
	buffer_load_dword v139, off, s[0:3], 0 offset:240
	;; [unrolled: 1-line block ×8, first 2 shown]
	s_waitcnt vmcnt(24) lgkmcnt(0)
	v_fma_f64 v[125:126], v[145:146], v[129:130], v[125:126]
	s_waitcnt vmcnt(19)
	v_fma_f64 v[145:146], v[147:148], v[131:132], v[125:126]
	ds_read_b128 v[125:128], v124 offset:656
	ds_read_b128 v[129:132], v124 offset:672
	s_waitcnt vmcnt(18) lgkmcnt(1)
	v_fma_f64 v[125:126], v[153:154], v[125:126], v[145:146]
	s_waitcnt vmcnt(17)
	v_fma_f64 v[125:126], v[151:152], v[127:128], v[125:126]
	buffer_load_dword v146, off, s[0:3], 0 offset:252
	buffer_load_dword v147, off, s[0:3], 0 offset:272
	;; [unrolled: 1-line block ×7, first 2 shown]
	s_waitcnt vmcnt(23) lgkmcnt(0)
	v_fma_f64 v[125:126], v[149:150], v[129:130], v[125:126]
	s_waitcnt vmcnt(18)
	v_fma_f64 v[133:134], v[133:134], v[131:132], v[125:126]
	ds_read_b128 v[125:128], v124 offset:688
	ds_read_b128 v[129:132], v124 offset:704
	buffer_load_dword v148, off, s[0:3], 0 offset:276
	s_waitcnt vmcnt(18) lgkmcnt(1)
	v_fma_f64 v[125:126], v[157:158], v[125:126], v[133:134]
	s_waitcnt vmcnt(17)
	v_fma_f64 v[125:126], v[155:156], v[127:128], v[125:126]
	buffer_load_dword v134, off, s[0:3], 0 offset:284
	buffer_load_dword v149, off, s[0:3], 0 offset:304
	buffer_load_dword v155, off, s[0:3], 0 offset:296
	buffer_load_dword v157, off, s[0:3], 0 offset:288
	buffer_load_dword v133, off, s[0:3], 0 offset:280
	buffer_load_dword v158, off, s[0:3], 0 offset:292
	buffer_load_dword v156, off, s[0:3], 0 offset:300
	s_waitcnt vmcnt(23) lgkmcnt(0)
	v_fma_f64 v[125:126], v[135:136], v[129:130], v[125:126]
	s_waitcnt vmcnt(18)
	v_fma_f64 v[135:136], v[137:138], v[131:132], v[125:126]
	ds_read_b128 v[125:128], v124 offset:720
	ds_read_b128 v[129:132], v124 offset:736
	buffer_load_dword v150, off, s[0:3], 0 offset:308
	s_waitcnt vmcnt(18) lgkmcnt(1)
	v_fma_f64 v[125:126], v[143:144], v[125:126], v[135:136]
	s_waitcnt vmcnt(17)
	v_fma_f64 v[125:126], v[141:142], v[127:128], v[125:126]
	buffer_load_dword v136, off, s[0:3], 0 offset:316
	buffer_load_dword v137, off, s[0:3], 0 offset:336
	;; [unrolled: 1-line block ×7, first 2 shown]
	s_waitcnt vmcnt(23) lgkmcnt(0)
	v_fma_f64 v[125:126], v[139:140], v[129:130], v[125:126]
	s_waitcnt vmcnt(18)
	v_fma_f64 v[138:139], v[145:146], v[131:132], v[125:126]
	ds_read_b128 v[125:128], v124 offset:752
	ds_read_b128 v[129:132], v124 offset:768
	s_waitcnt vmcnt(17) lgkmcnt(1)
	v_fma_f64 v[125:126], v[153:154], v[125:126], v[138:139]
	buffer_load_dword v138, off, s[0:3], 0 offset:340
	s_waitcnt vmcnt(17)
	v_fma_f64 v[125:126], v[151:152], v[127:128], v[125:126]
	buffer_load_dword v140, off, s[0:3], 0 offset:348
	buffer_load_dword v145, off, s[0:3], 0 offset:368
	;; [unrolled: 1-line block ×7, first 2 shown]
	s_waitcnt vmcnt(23) lgkmcnt(0)
	v_fma_f64 v[125:126], v[147:148], v[129:130], v[125:126]
	s_waitcnt vmcnt(18)
	v_fma_f64 v[133:134], v[133:134], v[131:132], v[125:126]
	ds_read_b128 v[125:128], v124 offset:784
	ds_read_b128 v[129:132], v124 offset:800
	buffer_load_dword v146, off, s[0:3], 0 offset:372
	s_waitcnt vmcnt(18) lgkmcnt(1)
	v_fma_f64 v[125:126], v[157:158], v[125:126], v[133:134]
	s_waitcnt vmcnt(17)
	v_fma_f64 v[125:126], v[155:156], v[127:128], v[125:126]
	buffer_load_dword v134, off, s[0:3], 0 offset:380
	buffer_load_dword v147, off, s[0:3], 0 offset:400
	;; [unrolled: 1-line block ×7, first 2 shown]
	s_waitcnt vmcnt(23) lgkmcnt(0)
	v_fma_f64 v[125:126], v[149:150], v[129:130], v[125:126]
	s_waitcnt vmcnt(18)
	v_fma_f64 v[135:136], v[135:136], v[131:132], v[125:126]
	ds_read_b128 v[125:128], v124 offset:816
	ds_read_b128 v[129:132], v124 offset:832
	buffer_load_dword v148, off, s[0:3], 0 offset:404
	s_waitcnt vmcnt(18) lgkmcnt(1)
	v_fma_f64 v[125:126], v[143:144], v[125:126], v[135:136]
	s_waitcnt vmcnt(17)
	v_fma_f64 v[125:126], v[141:142], v[127:128], v[125:126]
	buffer_load_dword v136, off, s[0:3], 0 offset:412
	buffer_load_dword v141, off, s[0:3], 0 offset:432
	;; [unrolled: 1-line block ×8, first 2 shown]
	s_waitcnt vmcnt(24) lgkmcnt(0)
	v_fma_f64 v[125:126], v[137:138], v[129:130], v[125:126]
	s_waitcnt vmcnt(19)
	v_fma_f64 v[137:138], v[139:140], v[131:132], v[125:126]
	ds_read_b128 v[125:128], v124 offset:848
	ds_read_b128 v[129:132], v124 offset:864
	s_waitcnt vmcnt(18) lgkmcnt(1)
	v_fma_f64 v[125:126], v[153:154], v[125:126], v[137:138]
	s_waitcnt vmcnt(17)
	v_fma_f64 v[125:126], v[151:152], v[127:128], v[125:126]
	buffer_load_dword v138, off, s[0:3], 0 offset:444
	buffer_load_dword v139, off, s[0:3], 0 offset:464
	;; [unrolled: 1-line block ×7, first 2 shown]
	s_waitcnt vmcnt(23) lgkmcnt(0)
	v_fma_f64 v[125:126], v[145:146], v[129:130], v[125:126]
	s_waitcnt vmcnt(18)
	v_fma_f64 v[133:134], v[133:134], v[131:132], v[125:126]
	ds_read_b128 v[125:128], v124 offset:880
	ds_read_b128 v[129:132], v124 offset:896
	buffer_load_dword v140, off, s[0:3], 0 offset:468
	s_waitcnt vmcnt(18) lgkmcnt(1)
	v_fma_f64 v[125:126], v[157:158], v[125:126], v[133:134]
	buffer_load_dword v134, off, s[0:3], 0 offset:476
	buffer_load_dword v145, off, s[0:3], 0 offset:480
	;; [unrolled: 1-line block ×4, first 2 shown]
	s_waitcnt vmcnt(21)
	v_fma_f64 v[125:126], v[155:156], v[127:128], v[125:126]
	s_waitcnt vmcnt(20) lgkmcnt(0)
	v_fma_f64 v[125:126], v[147:148], v[129:130], v[125:126]
	buffer_load_dword v147, off, s[0:3], 0 offset:88
	buffer_load_dword v148, off, s[0:3], 0 offset:92
	s_waitcnt vmcnt(17)
	v_fma_f64 v[135:136], v[135:136], v[131:132], v[125:126]
	ds_read_b128 v[125:128], v124 offset:912
	ds_read_b128 v[129:132], v124 offset:928
	s_waitcnt vmcnt(16) lgkmcnt(1)
	v_fma_f64 v[125:126], v[149:150], v[125:126], v[135:136]
	s_waitcnt vmcnt(15)
	v_fma_f64 v[125:126], v[143:144], v[127:128], v[125:126]
	s_waitcnt vmcnt(14) lgkmcnt(0)
	v_fma_f64 v[125:126], v[141:142], v[129:130], v[125:126]
	s_waitcnt vmcnt(9)
	v_fma_f64 v[135:136], v[137:138], v[131:132], v[125:126]
	ds_read_b128 v[125:128], v124 offset:944
	ds_read_b128 v[129:132], v124 offset:960
	s_waitcnt vmcnt(8) lgkmcnt(1)
	v_fma_f64 v[125:126], v[153:154], v[125:126], v[135:136]
	s_waitcnt vmcnt(7)
	v_fma_f64 v[125:126], v[151:152], v[127:128], v[125:126]
	ds_read_b64 v[127:128], v124 offset:976
	s_waitcnt vmcnt(6) lgkmcnt(1)
	v_fma_f64 v[125:126], v[139:140], v[129:130], v[125:126]
	s_waitcnt vmcnt(3)
	v_fma_f64 v[125:126], v[133:134], v[131:132], v[125:126]
	s_waitcnt vmcnt(2) lgkmcnt(0)
	v_fma_f64 v[125:126], v[145:146], v[127:128], v[125:126]
	s_waitcnt vmcnt(0)
	v_add_f64 v[125:126], v[147:148], -v[125:126]
	buffer_store_dword v126, off, s[0:3], 0 offset:92
	buffer_store_dword v125, off, s[0:3], 0 offset:88
	s_and_saveexec_b64 s[4:5], vcc
	s_cbranch_execz .LBB60_353
; %bb.352:
	buffer_load_dword v125, off, s[0:3], 0 offset:80
	buffer_load_dword v126, off, s[0:3], 0 offset:84
	s_waitcnt vmcnt(0)
	ds_write_b64 v123, v[125:126]
	buffer_store_dword v124, off, s[0:3], 0 offset:80
	buffer_store_dword v124, off, s[0:3], 0 offset:84
.LBB60_353:
	s_or_b64 exec, exec, s[4:5]
	s_waitcnt lgkmcnt(0)
	; wave barrier
	buffer_load_dword v133, off, s[0:3], 0 offset:88
	buffer_load_dword v134, off, s[0:3], 0 offset:92
	;; [unrolled: 1-line block ×22, first 2 shown]
	ds_read2_b64 v[125:128], v124 offset0:73 offset1:74
	ds_read2_b64 v[129:132], v124 offset0:75 offset1:76
	v_cmp_lt_u32_e32 vcc, 9, v0
	s_waitcnt vmcnt(20) lgkmcnt(1)
	v_fma_f64 v[125:126], v[133:134], v[125:126], 0
	s_waitcnt vmcnt(18)
	v_fma_f64 v[125:126], v[135:136], v[127:128], v[125:126]
	buffer_load_dword v134, off, s[0:3], 0 offset:180
	buffer_load_dword v135, off, s[0:3], 0 offset:200
	;; [unrolled: 1-line block ×7, first 2 shown]
	s_waitcnt vmcnt(23) lgkmcnt(0)
	v_fma_f64 v[125:126], v[137:138], v[129:130], v[125:126]
	s_waitcnt vmcnt(21)
	v_fma_f64 v[136:137], v[139:140], v[131:132], v[125:126]
	ds_read2_b64 v[125:128], v124 offset0:77 offset1:78
	ds_read2_b64 v[129:132], v124 offset0:79 offset1:80
	s_waitcnt vmcnt(19) lgkmcnt(1)
	v_fma_f64 v[125:126], v[141:142], v[125:126], v[136:137]
	buffer_load_dword v136, off, s[0:3], 0 offset:204
	s_waitcnt vmcnt(18)
	v_fma_f64 v[125:126], v[143:144], v[127:128], v[125:126]
	buffer_load_dword v138, off, s[0:3], 0 offset:212
	buffer_load_dword v139, off, s[0:3], 0 offset:232
	;; [unrolled: 1-line block ×8, first 2 shown]
	s_waitcnt vmcnt(24) lgkmcnt(0)
	v_fma_f64 v[125:126], v[145:146], v[129:130], v[125:126]
	s_waitcnt vmcnt(19)
	v_fma_f64 v[145:146], v[147:148], v[131:132], v[125:126]
	ds_read2_b64 v[125:128], v124 offset0:81 offset1:82
	ds_read2_b64 v[129:132], v124 offset0:83 offset1:84
	s_waitcnt vmcnt(18) lgkmcnt(1)
	v_fma_f64 v[125:126], v[153:154], v[125:126], v[145:146]
	s_waitcnt vmcnt(17)
	v_fma_f64 v[125:126], v[151:152], v[127:128], v[125:126]
	buffer_load_dword v146, off, s[0:3], 0 offset:244
	buffer_load_dword v147, off, s[0:3], 0 offset:264
	buffer_load_dword v151, off, s[0:3], 0 offset:256
	buffer_load_dword v153, off, s[0:3], 0 offset:248
	buffer_load_dword v145, off, s[0:3], 0 offset:240
	buffer_load_dword v154, off, s[0:3], 0 offset:252
	buffer_load_dword v152, off, s[0:3], 0 offset:260
	buffer_load_dword v148, off, s[0:3], 0 offset:268
	s_waitcnt vmcnt(24) lgkmcnt(0)
	v_fma_f64 v[125:126], v[149:150], v[129:130], v[125:126]
	s_waitcnt vmcnt(19)
	v_fma_f64 v[133:134], v[133:134], v[131:132], v[125:126]
	ds_read2_b64 v[125:128], v124 offset0:85 offset1:86
	ds_read2_b64 v[129:132], v124 offset0:87 offset1:88
	s_waitcnt vmcnt(18) lgkmcnt(1)
	v_fma_f64 v[125:126], v[157:158], v[125:126], v[133:134]
	s_waitcnt vmcnt(17)
	v_fma_f64 v[125:126], v[155:156], v[127:128], v[125:126]
	buffer_load_dword v134, off, s[0:3], 0 offset:276
	buffer_load_dword v149, off, s[0:3], 0 offset:296
	;; [unrolled: 1-line block ×7, first 2 shown]
	s_waitcnt vmcnt(23) lgkmcnt(0)
	v_fma_f64 v[125:126], v[135:136], v[129:130], v[125:126]
	s_waitcnt vmcnt(18)
	v_fma_f64 v[135:136], v[137:138], v[131:132], v[125:126]
	ds_read2_b64 v[125:128], v124 offset0:89 offset1:90
	ds_read2_b64 v[129:132], v124 offset0:91 offset1:92
	buffer_load_dword v150, off, s[0:3], 0 offset:300
	s_waitcnt vmcnt(18) lgkmcnt(1)
	v_fma_f64 v[125:126], v[143:144], v[125:126], v[135:136]
	s_waitcnt vmcnt(17)
	v_fma_f64 v[125:126], v[141:142], v[127:128], v[125:126]
	buffer_load_dword v136, off, s[0:3], 0 offset:308
	buffer_load_dword v137, off, s[0:3], 0 offset:328
	;; [unrolled: 1-line block ×7, first 2 shown]
	s_waitcnt vmcnt(23) lgkmcnt(0)
	v_fma_f64 v[125:126], v[139:140], v[129:130], v[125:126]
	s_waitcnt vmcnt(18)
	v_fma_f64 v[138:139], v[145:146], v[131:132], v[125:126]
	ds_read2_b64 v[125:128], v124 offset0:93 offset1:94
	ds_read2_b64 v[129:132], v124 offset0:95 offset1:96
	s_waitcnt vmcnt(17) lgkmcnt(1)
	v_fma_f64 v[125:126], v[153:154], v[125:126], v[138:139]
	buffer_load_dword v138, off, s[0:3], 0 offset:332
	s_waitcnt vmcnt(17)
	v_fma_f64 v[125:126], v[151:152], v[127:128], v[125:126]
	buffer_load_dword v140, off, s[0:3], 0 offset:340
	buffer_load_dword v145, off, s[0:3], 0 offset:360
	;; [unrolled: 1-line block ×8, first 2 shown]
	s_waitcnt vmcnt(24) lgkmcnt(0)
	v_fma_f64 v[125:126], v[147:148], v[129:130], v[125:126]
	s_waitcnt vmcnt(19)
	v_fma_f64 v[133:134], v[133:134], v[131:132], v[125:126]
	ds_read2_b64 v[125:128], v124 offset0:97 offset1:98
	ds_read2_b64 v[129:132], v124 offset0:99 offset1:100
	s_waitcnt vmcnt(18) lgkmcnt(1)
	v_fma_f64 v[125:126], v[157:158], v[125:126], v[133:134]
	s_waitcnt vmcnt(17)
	v_fma_f64 v[125:126], v[155:156], v[127:128], v[125:126]
	buffer_load_dword v134, off, s[0:3], 0 offset:372
	buffer_load_dword v147, off, s[0:3], 0 offset:392
	;; [unrolled: 1-line block ×7, first 2 shown]
	s_waitcnt vmcnt(23) lgkmcnt(0)
	v_fma_f64 v[125:126], v[149:150], v[129:130], v[125:126]
	s_waitcnt vmcnt(18)
	v_fma_f64 v[135:136], v[135:136], v[131:132], v[125:126]
	ds_read2_b64 v[125:128], v124 offset0:101 offset1:102
	ds_read2_b64 v[129:132], v124 offset0:103 offset1:104
	buffer_load_dword v148, off, s[0:3], 0 offset:396
	s_waitcnt vmcnt(18) lgkmcnt(1)
	v_fma_f64 v[125:126], v[143:144], v[125:126], v[135:136]
	s_waitcnt vmcnt(17)
	v_fma_f64 v[125:126], v[141:142], v[127:128], v[125:126]
	buffer_load_dword v136, off, s[0:3], 0 offset:404
	buffer_load_dword v141, off, s[0:3], 0 offset:424
	;; [unrolled: 1-line block ×8, first 2 shown]
	s_waitcnt vmcnt(24) lgkmcnt(0)
	v_fma_f64 v[125:126], v[137:138], v[129:130], v[125:126]
	s_waitcnt vmcnt(19)
	v_fma_f64 v[137:138], v[139:140], v[131:132], v[125:126]
	ds_read2_b64 v[125:128], v124 offset0:105 offset1:106
	ds_read2_b64 v[129:132], v124 offset0:107 offset1:108
	s_waitcnt vmcnt(18) lgkmcnt(1)
	v_fma_f64 v[125:126], v[153:154], v[125:126], v[137:138]
	s_waitcnt vmcnt(17)
	v_fma_f64 v[125:126], v[151:152], v[127:128], v[125:126]
	buffer_load_dword v138, off, s[0:3], 0 offset:436
	buffer_load_dword v139, off, s[0:3], 0 offset:456
	buffer_load_dword v151, off, s[0:3], 0 offset:448
	buffer_load_dword v153, off, s[0:3], 0 offset:440
	buffer_load_dword v137, off, s[0:3], 0 offset:432
	buffer_load_dword v154, off, s[0:3], 0 offset:444
	buffer_load_dword v152, off, s[0:3], 0 offset:452
	buffer_load_dword v140, off, s[0:3], 0 offset:460
	s_waitcnt vmcnt(24) lgkmcnt(0)
	v_fma_f64 v[125:126], v[145:146], v[129:130], v[125:126]
	s_waitcnt vmcnt(19)
	v_fma_f64 v[133:134], v[133:134], v[131:132], v[125:126]
	ds_read2_b64 v[125:128], v124 offset0:109 offset1:110
	ds_read2_b64 v[129:132], v124 offset0:111 offset1:112
	s_waitcnt vmcnt(18) lgkmcnt(1)
	v_fma_f64 v[125:126], v[157:158], v[125:126], v[133:134]
	s_waitcnt vmcnt(17)
	v_fma_f64 v[125:126], v[155:156], v[127:128], v[125:126]
	buffer_load_dword v134, off, s[0:3], 0 offset:468
	buffer_load_dword v145, off, s[0:3], 0 offset:480
	;; [unrolled: 1-line block ×6, first 2 shown]
	s_waitcnt vmcnt(22) lgkmcnt(0)
	v_fma_f64 v[125:126], v[147:148], v[129:130], v[125:126]
	s_waitcnt vmcnt(17)
	v_fma_f64 v[135:136], v[135:136], v[131:132], v[125:126]
	ds_read2_b64 v[125:128], v124 offset0:113 offset1:114
	buffer_load_dword v147, off, s[0:3], 0 offset:80
	buffer_load_dword v148, off, s[0:3], 0 offset:84
	ds_read2_b64 v[129:132], v124 offset0:115 offset1:116
	s_waitcnt vmcnt(18) lgkmcnt(1)
	v_fma_f64 v[125:126], v[149:150], v[125:126], v[135:136]
	s_waitcnt vmcnt(17)
	v_fma_f64 v[125:126], v[143:144], v[127:128], v[125:126]
	s_waitcnt vmcnt(16) lgkmcnt(0)
	v_fma_f64 v[125:126], v[141:142], v[129:130], v[125:126]
	s_waitcnt vmcnt(11)
	v_fma_f64 v[135:136], v[137:138], v[131:132], v[125:126]
	ds_read2_b64 v[125:128], v124 offset0:117 offset1:118
	ds_read2_b64 v[129:132], v124 offset0:119 offset1:120
	s_waitcnt vmcnt(10) lgkmcnt(1)
	v_fma_f64 v[125:126], v[153:154], v[125:126], v[135:136]
	s_waitcnt vmcnt(9)
	v_fma_f64 v[125:126], v[151:152], v[127:128], v[125:126]
	s_waitcnt vmcnt(8) lgkmcnt(0)
	v_fma_f64 v[125:126], v[139:140], v[129:130], v[125:126]
	s_waitcnt vmcnt(4)
	v_fma_f64 v[128:129], v[133:134], v[131:132], v[125:126]
	ds_read2_b64 v[124:127], v124 offset0:121 offset1:122
	s_waitcnt vmcnt(3) lgkmcnt(0)
	v_fma_f64 v[124:125], v[155:156], v[124:125], v[128:129]
	s_waitcnt vmcnt(2)
	v_fma_f64 v[124:125], v[145:146], v[126:127], v[124:125]
	s_waitcnt vmcnt(0)
	v_add_f64 v[124:125], v[147:148], -v[124:125]
	buffer_store_dword v125, off, s[0:3], 0 offset:84
	buffer_store_dword v124, off, s[0:3], 0 offset:80
	s_and_saveexec_b64 s[4:5], vcc
	s_cbranch_execz .LBB60_355
; %bb.354:
	buffer_load_dword v124, off, s[0:3], 0 offset:72
	buffer_load_dword v125, off, s[0:3], 0 offset:76
	v_mov_b32_e32 v126, 0
	buffer_store_dword v126, off, s[0:3], 0 offset:72
	buffer_store_dword v126, off, s[0:3], 0 offset:76
	s_waitcnt vmcnt(2)
	ds_write_b64 v123, v[124:125]
.LBB60_355:
	s_or_b64 exec, exec, s[4:5]
	s_waitcnt lgkmcnt(0)
	; wave barrier
	buffer_load_dword v133, off, s[0:3], 0 offset:80
	buffer_load_dword v134, off, s[0:3], 0 offset:84
	;; [unrolled: 1-line block ×22, first 2 shown]
	v_mov_b32_e32 v124, 0
	ds_read_b128 v[125:128], v124 offset:576
	ds_read_b128 v[129:132], v124 offset:592
	v_cmp_lt_u32_e32 vcc, 8, v0
	s_waitcnt vmcnt(20) lgkmcnt(1)
	v_fma_f64 v[125:126], v[133:134], v[125:126], 0
	s_waitcnt vmcnt(18)
	v_fma_f64 v[125:126], v[135:136], v[127:128], v[125:126]
	buffer_load_dword v134, off, s[0:3], 0 offset:172
	buffer_load_dword v135, off, s[0:3], 0 offset:192
	;; [unrolled: 1-line block ×7, first 2 shown]
	s_waitcnt vmcnt(23) lgkmcnt(0)
	v_fma_f64 v[125:126], v[137:138], v[129:130], v[125:126]
	s_waitcnt vmcnt(21)
	v_fma_f64 v[136:137], v[139:140], v[131:132], v[125:126]
	ds_read_b128 v[125:128], v124 offset:608
	ds_read_b128 v[129:132], v124 offset:624
	s_waitcnt vmcnt(19) lgkmcnt(1)
	v_fma_f64 v[125:126], v[141:142], v[125:126], v[136:137]
	buffer_load_dword v136, off, s[0:3], 0 offset:196
	s_waitcnt vmcnt(18)
	v_fma_f64 v[125:126], v[143:144], v[127:128], v[125:126]
	buffer_load_dword v138, off, s[0:3], 0 offset:204
	buffer_load_dword v139, off, s[0:3], 0 offset:224
	;; [unrolled: 1-line block ×8, first 2 shown]
	s_waitcnt vmcnt(24) lgkmcnt(0)
	v_fma_f64 v[125:126], v[145:146], v[129:130], v[125:126]
	s_waitcnt vmcnt(19)
	v_fma_f64 v[145:146], v[147:148], v[131:132], v[125:126]
	ds_read_b128 v[125:128], v124 offset:640
	ds_read_b128 v[129:132], v124 offset:656
	s_waitcnt vmcnt(18) lgkmcnt(1)
	v_fma_f64 v[125:126], v[153:154], v[125:126], v[145:146]
	s_waitcnt vmcnt(17)
	v_fma_f64 v[125:126], v[151:152], v[127:128], v[125:126]
	buffer_load_dword v146, off, s[0:3], 0 offset:236
	buffer_load_dword v147, off, s[0:3], 0 offset:256
	buffer_load_dword v151, off, s[0:3], 0 offset:248
	buffer_load_dword v153, off, s[0:3], 0 offset:240
	buffer_load_dword v145, off, s[0:3], 0 offset:232
	buffer_load_dword v154, off, s[0:3], 0 offset:244
	buffer_load_dword v152, off, s[0:3], 0 offset:252
	buffer_load_dword v148, off, s[0:3], 0 offset:260
	s_waitcnt vmcnt(24) lgkmcnt(0)
	v_fma_f64 v[125:126], v[149:150], v[129:130], v[125:126]
	s_waitcnt vmcnt(19)
	v_fma_f64 v[133:134], v[133:134], v[131:132], v[125:126]
	ds_read_b128 v[125:128], v124 offset:672
	ds_read_b128 v[129:132], v124 offset:688
	s_waitcnt vmcnt(18) lgkmcnt(1)
	v_fma_f64 v[125:126], v[157:158], v[125:126], v[133:134]
	s_waitcnt vmcnt(17)
	v_fma_f64 v[125:126], v[155:156], v[127:128], v[125:126]
	buffer_load_dword v134, off, s[0:3], 0 offset:268
	buffer_load_dword v149, off, s[0:3], 0 offset:288
	;; [unrolled: 1-line block ×7, first 2 shown]
	s_waitcnt vmcnt(23) lgkmcnt(0)
	v_fma_f64 v[125:126], v[135:136], v[129:130], v[125:126]
	s_waitcnt vmcnt(18)
	v_fma_f64 v[135:136], v[137:138], v[131:132], v[125:126]
	ds_read_b128 v[125:128], v124 offset:704
	ds_read_b128 v[129:132], v124 offset:720
	buffer_load_dword v150, off, s[0:3], 0 offset:292
	s_waitcnt vmcnt(18) lgkmcnt(1)
	v_fma_f64 v[125:126], v[143:144], v[125:126], v[135:136]
	s_waitcnt vmcnt(17)
	v_fma_f64 v[125:126], v[141:142], v[127:128], v[125:126]
	buffer_load_dword v136, off, s[0:3], 0 offset:300
	buffer_load_dword v137, off, s[0:3], 0 offset:320
	;; [unrolled: 1-line block ×7, first 2 shown]
	s_waitcnt vmcnt(23) lgkmcnt(0)
	v_fma_f64 v[125:126], v[139:140], v[129:130], v[125:126]
	s_waitcnt vmcnt(18)
	v_fma_f64 v[138:139], v[145:146], v[131:132], v[125:126]
	ds_read_b128 v[125:128], v124 offset:736
	ds_read_b128 v[129:132], v124 offset:752
	s_waitcnt vmcnt(17) lgkmcnt(1)
	v_fma_f64 v[125:126], v[153:154], v[125:126], v[138:139]
	buffer_load_dword v138, off, s[0:3], 0 offset:324
	s_waitcnt vmcnt(17)
	v_fma_f64 v[125:126], v[151:152], v[127:128], v[125:126]
	buffer_load_dword v140, off, s[0:3], 0 offset:332
	buffer_load_dword v145, off, s[0:3], 0 offset:352
	;; [unrolled: 1-line block ×8, first 2 shown]
	s_waitcnt vmcnt(24) lgkmcnt(0)
	v_fma_f64 v[125:126], v[147:148], v[129:130], v[125:126]
	s_waitcnt vmcnt(19)
	v_fma_f64 v[133:134], v[133:134], v[131:132], v[125:126]
	ds_read_b128 v[125:128], v124 offset:768
	ds_read_b128 v[129:132], v124 offset:784
	s_waitcnt vmcnt(18) lgkmcnt(1)
	v_fma_f64 v[125:126], v[157:158], v[125:126], v[133:134]
	s_waitcnt vmcnt(17)
	v_fma_f64 v[125:126], v[155:156], v[127:128], v[125:126]
	buffer_load_dword v134, off, s[0:3], 0 offset:364
	buffer_load_dword v147, off, s[0:3], 0 offset:384
	;; [unrolled: 1-line block ×7, first 2 shown]
	s_waitcnt vmcnt(23) lgkmcnt(0)
	v_fma_f64 v[125:126], v[149:150], v[129:130], v[125:126]
	s_waitcnt vmcnt(18)
	v_fma_f64 v[135:136], v[135:136], v[131:132], v[125:126]
	ds_read_b128 v[125:128], v124 offset:800
	ds_read_b128 v[129:132], v124 offset:816
	buffer_load_dword v148, off, s[0:3], 0 offset:388
	s_waitcnt vmcnt(18) lgkmcnt(1)
	v_fma_f64 v[125:126], v[143:144], v[125:126], v[135:136]
	s_waitcnt vmcnt(17)
	v_fma_f64 v[125:126], v[141:142], v[127:128], v[125:126]
	buffer_load_dword v136, off, s[0:3], 0 offset:396
	buffer_load_dword v141, off, s[0:3], 0 offset:416
	buffer_load_dword v143, off, s[0:3], 0 offset:408
	buffer_load_dword v149, off, s[0:3], 0 offset:400
	buffer_load_dword v135, off, s[0:3], 0 offset:392
	buffer_load_dword v150, off, s[0:3], 0 offset:404
	buffer_load_dword v144, off, s[0:3], 0 offset:412
	buffer_load_dword v142, off, s[0:3], 0 offset:420
	s_waitcnt vmcnt(24) lgkmcnt(0)
	v_fma_f64 v[125:126], v[137:138], v[129:130], v[125:126]
	s_waitcnt vmcnt(19)
	v_fma_f64 v[137:138], v[139:140], v[131:132], v[125:126]
	ds_read_b128 v[125:128], v124 offset:832
	ds_read_b128 v[129:132], v124 offset:848
	s_waitcnt vmcnt(18) lgkmcnt(1)
	v_fma_f64 v[125:126], v[153:154], v[125:126], v[137:138]
	s_waitcnt vmcnt(17)
	v_fma_f64 v[125:126], v[151:152], v[127:128], v[125:126]
	buffer_load_dword v138, off, s[0:3], 0 offset:428
	buffer_load_dword v139, off, s[0:3], 0 offset:448
	buffer_load_dword v151, off, s[0:3], 0 offset:440
	buffer_load_dword v153, off, s[0:3], 0 offset:432
	buffer_load_dword v137, off, s[0:3], 0 offset:424
	buffer_load_dword v154, off, s[0:3], 0 offset:436
	buffer_load_dword v152, off, s[0:3], 0 offset:444
	buffer_load_dword v140, off, s[0:3], 0 offset:452
	s_waitcnt vmcnt(24) lgkmcnt(0)
	v_fma_f64 v[125:126], v[145:146], v[129:130], v[125:126]
	s_waitcnt vmcnt(19)
	v_fma_f64 v[133:134], v[133:134], v[131:132], v[125:126]
	ds_read_b128 v[125:128], v124 offset:864
	ds_read_b128 v[129:132], v124 offset:880
	;; [unrolled: 18-line block ×3, first 2 shown]
	s_waitcnt vmcnt(18) lgkmcnt(1)
	v_fma_f64 v[125:126], v[149:150], v[125:126], v[135:136]
	buffer_load_dword v135, off, s[0:3], 0 offset:72
	buffer_load_dword v136, off, s[0:3], 0 offset:76
	s_waitcnt vmcnt(19)
	v_fma_f64 v[125:126], v[143:144], v[127:128], v[125:126]
	s_waitcnt vmcnt(18) lgkmcnt(0)
	v_fma_f64 v[125:126], v[141:142], v[129:130], v[125:126]
	s_waitcnt vmcnt(13)
	v_fma_f64 v[137:138], v[137:138], v[131:132], v[125:126]
	ds_read_b128 v[125:128], v124 offset:928
	ds_read_b128 v[129:132], v124 offset:944
	s_waitcnt vmcnt(12) lgkmcnt(1)
	v_fma_f64 v[125:126], v[153:154], v[125:126], v[137:138]
	s_waitcnt vmcnt(11)
	v_fma_f64 v[125:126], v[151:152], v[127:128], v[125:126]
	s_waitcnt vmcnt(10) lgkmcnt(0)
	v_fma_f64 v[125:126], v[139:140], v[129:130], v[125:126]
	s_waitcnt vmcnt(5)
	v_fma_f64 v[129:130], v[133:134], v[131:132], v[125:126]
	ds_read_b128 v[125:128], v124 offset:960
	ds_read_b64 v[131:132], v124 offset:976
	s_waitcnt vmcnt(4) lgkmcnt(1)
	v_fma_f64 v[125:126], v[157:158], v[125:126], v[129:130]
	s_waitcnt vmcnt(3)
	v_fma_f64 v[125:126], v[155:156], v[127:128], v[125:126]
	s_waitcnt vmcnt(2) lgkmcnt(0)
	v_fma_f64 v[125:126], v[145:146], v[131:132], v[125:126]
	s_waitcnt vmcnt(0)
	v_add_f64 v[125:126], v[135:136], -v[125:126]
	buffer_store_dword v126, off, s[0:3], 0 offset:76
	buffer_store_dword v125, off, s[0:3], 0 offset:72
	s_and_saveexec_b64 s[4:5], vcc
	s_cbranch_execz .LBB60_357
; %bb.356:
	buffer_load_dword v125, off, s[0:3], 0 offset:64
	buffer_load_dword v126, off, s[0:3], 0 offset:68
	s_waitcnt vmcnt(0)
	ds_write_b64 v123, v[125:126]
	buffer_store_dword v124, off, s[0:3], 0 offset:64
	buffer_store_dword v124, off, s[0:3], 0 offset:68
.LBB60_357:
	s_or_b64 exec, exec, s[4:5]
	s_waitcnt lgkmcnt(0)
	; wave barrier
	buffer_load_dword v133, off, s[0:3], 0 offset:72
	buffer_load_dword v134, off, s[0:3], 0 offset:76
	;; [unrolled: 1-line block ×22, first 2 shown]
	ds_read2_b64 v[125:128], v124 offset0:71 offset1:72
	ds_read2_b64 v[129:132], v124 offset0:73 offset1:74
	v_cmp_lt_u32_e32 vcc, 7, v0
	s_waitcnt vmcnt(20) lgkmcnt(1)
	v_fma_f64 v[125:126], v[133:134], v[125:126], 0
	s_waitcnt vmcnt(18)
	v_fma_f64 v[125:126], v[135:136], v[127:128], v[125:126]
	buffer_load_dword v134, off, s[0:3], 0 offset:164
	buffer_load_dword v135, off, s[0:3], 0 offset:184
	;; [unrolled: 1-line block ×7, first 2 shown]
	s_waitcnt vmcnt(23) lgkmcnt(0)
	v_fma_f64 v[125:126], v[137:138], v[129:130], v[125:126]
	s_waitcnt vmcnt(21)
	v_fma_f64 v[136:137], v[139:140], v[131:132], v[125:126]
	ds_read2_b64 v[125:128], v124 offset0:75 offset1:76
	ds_read2_b64 v[129:132], v124 offset0:77 offset1:78
	s_waitcnt vmcnt(19) lgkmcnt(1)
	v_fma_f64 v[125:126], v[141:142], v[125:126], v[136:137]
	buffer_load_dword v136, off, s[0:3], 0 offset:188
	s_waitcnt vmcnt(18)
	v_fma_f64 v[125:126], v[143:144], v[127:128], v[125:126]
	buffer_load_dword v138, off, s[0:3], 0 offset:196
	buffer_load_dword v139, off, s[0:3], 0 offset:216
	;; [unrolled: 1-line block ×8, first 2 shown]
	s_waitcnt vmcnt(24) lgkmcnt(0)
	v_fma_f64 v[125:126], v[145:146], v[129:130], v[125:126]
	s_waitcnt vmcnt(19)
	v_fma_f64 v[145:146], v[147:148], v[131:132], v[125:126]
	ds_read2_b64 v[125:128], v124 offset0:79 offset1:80
	ds_read2_b64 v[129:132], v124 offset0:81 offset1:82
	s_waitcnt vmcnt(18) lgkmcnt(1)
	v_fma_f64 v[125:126], v[153:154], v[125:126], v[145:146]
	s_waitcnt vmcnt(17)
	v_fma_f64 v[125:126], v[151:152], v[127:128], v[125:126]
	buffer_load_dword v146, off, s[0:3], 0 offset:228
	buffer_load_dword v147, off, s[0:3], 0 offset:248
	;; [unrolled: 1-line block ×8, first 2 shown]
	s_waitcnt vmcnt(24) lgkmcnt(0)
	v_fma_f64 v[125:126], v[149:150], v[129:130], v[125:126]
	s_waitcnt vmcnt(19)
	v_fma_f64 v[133:134], v[133:134], v[131:132], v[125:126]
	ds_read2_b64 v[125:128], v124 offset0:83 offset1:84
	ds_read2_b64 v[129:132], v124 offset0:85 offset1:86
	s_waitcnt vmcnt(18) lgkmcnt(1)
	v_fma_f64 v[125:126], v[157:158], v[125:126], v[133:134]
	s_waitcnt vmcnt(17)
	v_fma_f64 v[125:126], v[155:156], v[127:128], v[125:126]
	buffer_load_dword v134, off, s[0:3], 0 offset:260
	buffer_load_dword v149, off, s[0:3], 0 offset:280
	;; [unrolled: 1-line block ×7, first 2 shown]
	s_waitcnt vmcnt(23) lgkmcnt(0)
	v_fma_f64 v[125:126], v[135:136], v[129:130], v[125:126]
	s_waitcnt vmcnt(18)
	v_fma_f64 v[135:136], v[137:138], v[131:132], v[125:126]
	ds_read2_b64 v[125:128], v124 offset0:87 offset1:88
	ds_read2_b64 v[129:132], v124 offset0:89 offset1:90
	buffer_load_dword v150, off, s[0:3], 0 offset:284
	s_waitcnt vmcnt(18) lgkmcnt(1)
	v_fma_f64 v[125:126], v[143:144], v[125:126], v[135:136]
	s_waitcnt vmcnt(17)
	v_fma_f64 v[125:126], v[141:142], v[127:128], v[125:126]
	buffer_load_dword v136, off, s[0:3], 0 offset:292
	buffer_load_dword v137, off, s[0:3], 0 offset:312
	;; [unrolled: 1-line block ×7, first 2 shown]
	s_waitcnt vmcnt(23) lgkmcnt(0)
	v_fma_f64 v[125:126], v[139:140], v[129:130], v[125:126]
	s_waitcnt vmcnt(18)
	v_fma_f64 v[138:139], v[145:146], v[131:132], v[125:126]
	ds_read2_b64 v[125:128], v124 offset0:91 offset1:92
	ds_read2_b64 v[129:132], v124 offset0:93 offset1:94
	s_waitcnt vmcnt(17) lgkmcnt(1)
	v_fma_f64 v[125:126], v[153:154], v[125:126], v[138:139]
	buffer_load_dword v138, off, s[0:3], 0 offset:316
	s_waitcnt vmcnt(17)
	v_fma_f64 v[125:126], v[151:152], v[127:128], v[125:126]
	buffer_load_dword v140, off, s[0:3], 0 offset:324
	buffer_load_dword v145, off, s[0:3], 0 offset:344
	buffer_load_dword v151, off, s[0:3], 0 offset:336
	buffer_load_dword v153, off, s[0:3], 0 offset:328
	buffer_load_dword v139, off, s[0:3], 0 offset:320
	buffer_load_dword v154, off, s[0:3], 0 offset:332
	buffer_load_dword v152, off, s[0:3], 0 offset:340
	buffer_load_dword v146, off, s[0:3], 0 offset:348
	s_waitcnt vmcnt(24) lgkmcnt(0)
	v_fma_f64 v[125:126], v[147:148], v[129:130], v[125:126]
	s_waitcnt vmcnt(19)
	v_fma_f64 v[133:134], v[133:134], v[131:132], v[125:126]
	ds_read2_b64 v[125:128], v124 offset0:95 offset1:96
	ds_read2_b64 v[129:132], v124 offset0:97 offset1:98
	s_waitcnt vmcnt(18) lgkmcnt(1)
	v_fma_f64 v[125:126], v[157:158], v[125:126], v[133:134]
	s_waitcnt vmcnt(17)
	v_fma_f64 v[125:126], v[155:156], v[127:128], v[125:126]
	buffer_load_dword v134, off, s[0:3], 0 offset:356
	buffer_load_dword v147, off, s[0:3], 0 offset:376
	;; [unrolled: 1-line block ×7, first 2 shown]
	s_waitcnt vmcnt(23) lgkmcnt(0)
	v_fma_f64 v[125:126], v[149:150], v[129:130], v[125:126]
	s_waitcnt vmcnt(18)
	v_fma_f64 v[135:136], v[135:136], v[131:132], v[125:126]
	ds_read2_b64 v[125:128], v124 offset0:99 offset1:100
	ds_read2_b64 v[129:132], v124 offset0:101 offset1:102
	buffer_load_dword v148, off, s[0:3], 0 offset:380
	s_waitcnt vmcnt(18) lgkmcnt(1)
	v_fma_f64 v[125:126], v[143:144], v[125:126], v[135:136]
	s_waitcnt vmcnt(17)
	v_fma_f64 v[125:126], v[141:142], v[127:128], v[125:126]
	buffer_load_dword v136, off, s[0:3], 0 offset:388
	buffer_load_dword v141, off, s[0:3], 0 offset:408
	buffer_load_dword v143, off, s[0:3], 0 offset:400
	buffer_load_dword v149, off, s[0:3], 0 offset:392
	buffer_load_dword v135, off, s[0:3], 0 offset:384
	buffer_load_dword v150, off, s[0:3], 0 offset:396
	buffer_load_dword v144, off, s[0:3], 0 offset:404
	buffer_load_dword v142, off, s[0:3], 0 offset:412
	s_waitcnt vmcnt(24) lgkmcnt(0)
	v_fma_f64 v[125:126], v[137:138], v[129:130], v[125:126]
	s_waitcnt vmcnt(19)
	v_fma_f64 v[137:138], v[139:140], v[131:132], v[125:126]
	ds_read2_b64 v[125:128], v124 offset0:103 offset1:104
	ds_read2_b64 v[129:132], v124 offset0:105 offset1:106
	s_waitcnt vmcnt(18) lgkmcnt(1)
	v_fma_f64 v[125:126], v[153:154], v[125:126], v[137:138]
	s_waitcnt vmcnt(17)
	v_fma_f64 v[125:126], v[151:152], v[127:128], v[125:126]
	buffer_load_dword v138, off, s[0:3], 0 offset:420
	buffer_load_dword v139, off, s[0:3], 0 offset:440
	buffer_load_dword v151, off, s[0:3], 0 offset:432
	buffer_load_dword v153, off, s[0:3], 0 offset:424
	buffer_load_dword v137, off, s[0:3], 0 offset:416
	buffer_load_dword v154, off, s[0:3], 0 offset:428
	buffer_load_dword v152, off, s[0:3], 0 offset:436
	buffer_load_dword v140, off, s[0:3], 0 offset:444
	s_waitcnt vmcnt(24) lgkmcnt(0)
	v_fma_f64 v[125:126], v[145:146], v[129:130], v[125:126]
	s_waitcnt vmcnt(19)
	v_fma_f64 v[133:134], v[133:134], v[131:132], v[125:126]
	ds_read2_b64 v[125:128], v124 offset0:107 offset1:108
	ds_read2_b64 v[129:132], v124 offset0:109 offset1:110
	;; [unrolled: 18-line block ×3, first 2 shown]
	s_waitcnt vmcnt(18) lgkmcnt(1)
	v_fma_f64 v[125:126], v[149:150], v[125:126], v[135:136]
	buffer_load_dword v136, off, s[0:3], 0 offset:484
	buffer_load_dword v135, off, s[0:3], 0 offset:480
	s_waitcnt vmcnt(19)
	v_fma_f64 v[125:126], v[143:144], v[127:128], v[125:126]
	buffer_load_dword v143, off, s[0:3], 0 offset:64
	buffer_load_dword v144, off, s[0:3], 0 offset:68
	s_waitcnt vmcnt(20) lgkmcnt(0)
	v_fma_f64 v[125:126], v[141:142], v[129:130], v[125:126]
	s_waitcnt vmcnt(15)
	v_fma_f64 v[137:138], v[137:138], v[131:132], v[125:126]
	ds_read2_b64 v[125:128], v124 offset0:115 offset1:116
	ds_read2_b64 v[129:132], v124 offset0:117 offset1:118
	s_waitcnt vmcnt(14) lgkmcnt(1)
	v_fma_f64 v[125:126], v[153:154], v[125:126], v[137:138]
	s_waitcnt vmcnt(13)
	v_fma_f64 v[125:126], v[151:152], v[127:128], v[125:126]
	s_waitcnt vmcnt(12) lgkmcnt(0)
	v_fma_f64 v[125:126], v[139:140], v[129:130], v[125:126]
	s_waitcnt vmcnt(7)
	v_fma_f64 v[133:134], v[133:134], v[131:132], v[125:126]
	ds_read2_b64 v[125:128], v124 offset0:119 offset1:120
	ds_read2_b64 v[129:132], v124 offset0:121 offset1:122
	s_waitcnt vmcnt(6) lgkmcnt(1)
	v_fma_f64 v[124:125], v[157:158], v[125:126], v[133:134]
	s_waitcnt vmcnt(5)
	v_fma_f64 v[124:125], v[155:156], v[127:128], v[124:125]
	s_waitcnt vmcnt(4) lgkmcnt(0)
	v_fma_f64 v[124:125], v[145:146], v[129:130], v[124:125]
	s_waitcnt vmcnt(2)
	v_fma_f64 v[124:125], v[135:136], v[131:132], v[124:125]
	s_waitcnt vmcnt(0)
	v_add_f64 v[124:125], v[143:144], -v[124:125]
	buffer_store_dword v125, off, s[0:3], 0 offset:68
	buffer_store_dword v124, off, s[0:3], 0 offset:64
	s_and_saveexec_b64 s[4:5], vcc
	s_cbranch_execz .LBB60_359
; %bb.358:
	buffer_load_dword v124, off, s[0:3], 0 offset:56
	buffer_load_dword v125, off, s[0:3], 0 offset:60
	v_mov_b32_e32 v126, 0
	buffer_store_dword v126, off, s[0:3], 0 offset:56
	buffer_store_dword v126, off, s[0:3], 0 offset:60
	s_waitcnt vmcnt(2)
	ds_write_b64 v123, v[124:125]
.LBB60_359:
	s_or_b64 exec, exec, s[4:5]
	s_waitcnt lgkmcnt(0)
	; wave barrier
	buffer_load_dword v133, off, s[0:3], 0 offset:64
	buffer_load_dword v134, off, s[0:3], 0 offset:68
	buffer_load_dword v135, off, s[0:3], 0 offset:72
	buffer_load_dword v136, off, s[0:3], 0 offset:76
	buffer_load_dword v137, off, s[0:3], 0 offset:80
	buffer_load_dword v138, off, s[0:3], 0 offset:84
	buffer_load_dword v139, off, s[0:3], 0 offset:88
	buffer_load_dword v140, off, s[0:3], 0 offset:92
	buffer_load_dword v141, off, s[0:3], 0 offset:96
	buffer_load_dword v142, off, s[0:3], 0 offset:100
	buffer_load_dword v143, off, s[0:3], 0 offset:104
	buffer_load_dword v144, off, s[0:3], 0 offset:108
	buffer_load_dword v145, off, s[0:3], 0 offset:112
	buffer_load_dword v146, off, s[0:3], 0 offset:116
	buffer_load_dword v148, off, s[0:3], 0 offset:124
	buffer_load_dword v149, off, s[0:3], 0 offset:144
	buffer_load_dword v151, off, s[0:3], 0 offset:136
	buffer_load_dword v153, off, s[0:3], 0 offset:128
	buffer_load_dword v147, off, s[0:3], 0 offset:120
	buffer_load_dword v154, off, s[0:3], 0 offset:132
	buffer_load_dword v152, off, s[0:3], 0 offset:140
	buffer_load_dword v150, off, s[0:3], 0 offset:148
	v_mov_b32_e32 v124, 0
	ds_read_b128 v[125:128], v124 offset:560
	ds_read_b128 v[129:132], v124 offset:576
	v_cmp_lt_u32_e32 vcc, 6, v0
	s_waitcnt vmcnt(20) lgkmcnt(1)
	v_fma_f64 v[125:126], v[133:134], v[125:126], 0
	s_waitcnt vmcnt(18)
	v_fma_f64 v[125:126], v[135:136], v[127:128], v[125:126]
	buffer_load_dword v134, off, s[0:3], 0 offset:156
	buffer_load_dword v135, off, s[0:3], 0 offset:176
	;; [unrolled: 1-line block ×7, first 2 shown]
	s_waitcnt vmcnt(23) lgkmcnt(0)
	v_fma_f64 v[125:126], v[137:138], v[129:130], v[125:126]
	s_waitcnt vmcnt(21)
	v_fma_f64 v[136:137], v[139:140], v[131:132], v[125:126]
	ds_read_b128 v[125:128], v124 offset:592
	ds_read_b128 v[129:132], v124 offset:608
	s_waitcnt vmcnt(19) lgkmcnt(1)
	v_fma_f64 v[125:126], v[141:142], v[125:126], v[136:137]
	buffer_load_dword v136, off, s[0:3], 0 offset:180
	s_waitcnt vmcnt(18)
	v_fma_f64 v[125:126], v[143:144], v[127:128], v[125:126]
	buffer_load_dword v138, off, s[0:3], 0 offset:188
	buffer_load_dword v139, off, s[0:3], 0 offset:208
	;; [unrolled: 1-line block ×7, first 2 shown]
	s_waitcnt vmcnt(23) lgkmcnt(0)
	v_fma_f64 v[125:126], v[145:146], v[129:130], v[125:126]
	s_waitcnt vmcnt(18)
	v_fma_f64 v[145:146], v[147:148], v[131:132], v[125:126]
	ds_read_b128 v[125:128], v124 offset:624
	ds_read_b128 v[129:132], v124 offset:640
	buffer_load_dword v140, off, s[0:3], 0 offset:212
	s_waitcnt vmcnt(18) lgkmcnt(1)
	v_fma_f64 v[125:126], v[153:154], v[125:126], v[145:146]
	s_waitcnt vmcnt(17)
	v_fma_f64 v[125:126], v[151:152], v[127:128], v[125:126]
	buffer_load_dword v146, off, s[0:3], 0 offset:220
	buffer_load_dword v147, off, s[0:3], 0 offset:240
	;; [unrolled: 1-line block ×8, first 2 shown]
	s_waitcnt vmcnt(24) lgkmcnt(0)
	v_fma_f64 v[125:126], v[149:150], v[129:130], v[125:126]
	s_waitcnt vmcnt(19)
	v_fma_f64 v[133:134], v[133:134], v[131:132], v[125:126]
	ds_read_b128 v[125:128], v124 offset:656
	ds_read_b128 v[129:132], v124 offset:672
	s_waitcnt vmcnt(18) lgkmcnt(1)
	v_fma_f64 v[125:126], v[157:158], v[125:126], v[133:134]
	s_waitcnt vmcnt(17)
	v_fma_f64 v[125:126], v[155:156], v[127:128], v[125:126]
	buffer_load_dword v134, off, s[0:3], 0 offset:252
	buffer_load_dword v149, off, s[0:3], 0 offset:272
	;; [unrolled: 1-line block ×7, first 2 shown]
	s_waitcnt vmcnt(23) lgkmcnt(0)
	v_fma_f64 v[125:126], v[135:136], v[129:130], v[125:126]
	s_waitcnt vmcnt(18)
	v_fma_f64 v[135:136], v[137:138], v[131:132], v[125:126]
	ds_read_b128 v[125:128], v124 offset:688
	ds_read_b128 v[129:132], v124 offset:704
	buffer_load_dword v150, off, s[0:3], 0 offset:276
	s_waitcnt vmcnt(18) lgkmcnt(1)
	v_fma_f64 v[125:126], v[143:144], v[125:126], v[135:136]
	s_waitcnt vmcnt(17)
	v_fma_f64 v[125:126], v[141:142], v[127:128], v[125:126]
	buffer_load_dword v136, off, s[0:3], 0 offset:284
	buffer_load_dword v137, off, s[0:3], 0 offset:304
	;; [unrolled: 1-line block ×7, first 2 shown]
	s_waitcnt vmcnt(23) lgkmcnt(0)
	v_fma_f64 v[125:126], v[139:140], v[129:130], v[125:126]
	s_waitcnt vmcnt(18)
	v_fma_f64 v[138:139], v[145:146], v[131:132], v[125:126]
	ds_read_b128 v[125:128], v124 offset:720
	ds_read_b128 v[129:132], v124 offset:736
	s_waitcnt vmcnt(17) lgkmcnt(1)
	v_fma_f64 v[125:126], v[153:154], v[125:126], v[138:139]
	buffer_load_dword v138, off, s[0:3], 0 offset:308
	s_waitcnt vmcnt(17)
	v_fma_f64 v[125:126], v[151:152], v[127:128], v[125:126]
	buffer_load_dword v140, off, s[0:3], 0 offset:316
	buffer_load_dword v145, off, s[0:3], 0 offset:336
	;; [unrolled: 1-line block ×8, first 2 shown]
	s_waitcnt vmcnt(24) lgkmcnt(0)
	v_fma_f64 v[125:126], v[147:148], v[129:130], v[125:126]
	s_waitcnt vmcnt(19)
	v_fma_f64 v[133:134], v[133:134], v[131:132], v[125:126]
	ds_read_b128 v[125:128], v124 offset:752
	ds_read_b128 v[129:132], v124 offset:768
	s_waitcnt vmcnt(18) lgkmcnt(1)
	v_fma_f64 v[125:126], v[157:158], v[125:126], v[133:134]
	s_waitcnt vmcnt(17)
	v_fma_f64 v[125:126], v[155:156], v[127:128], v[125:126]
	buffer_load_dword v134, off, s[0:3], 0 offset:348
	buffer_load_dword v147, off, s[0:3], 0 offset:368
	;; [unrolled: 1-line block ×7, first 2 shown]
	s_waitcnt vmcnt(23) lgkmcnt(0)
	v_fma_f64 v[125:126], v[149:150], v[129:130], v[125:126]
	s_waitcnt vmcnt(18)
	v_fma_f64 v[135:136], v[135:136], v[131:132], v[125:126]
	ds_read_b128 v[125:128], v124 offset:784
	ds_read_b128 v[129:132], v124 offset:800
	buffer_load_dword v148, off, s[0:3], 0 offset:372
	s_waitcnt vmcnt(18) lgkmcnt(1)
	v_fma_f64 v[125:126], v[143:144], v[125:126], v[135:136]
	s_waitcnt vmcnt(17)
	v_fma_f64 v[125:126], v[141:142], v[127:128], v[125:126]
	buffer_load_dword v136, off, s[0:3], 0 offset:380
	buffer_load_dword v141, off, s[0:3], 0 offset:400
	;; [unrolled: 1-line block ×7, first 2 shown]
	s_waitcnt vmcnt(23) lgkmcnt(0)
	v_fma_f64 v[125:126], v[137:138], v[129:130], v[125:126]
	s_waitcnt vmcnt(18)
	v_fma_f64 v[137:138], v[139:140], v[131:132], v[125:126]
	ds_read_b128 v[125:128], v124 offset:816
	ds_read_b128 v[129:132], v124 offset:832
	buffer_load_dword v142, off, s[0:3], 0 offset:404
	s_waitcnt vmcnt(18) lgkmcnt(1)
	v_fma_f64 v[125:126], v[153:154], v[125:126], v[137:138]
	s_waitcnt vmcnt(17)
	v_fma_f64 v[125:126], v[151:152], v[127:128], v[125:126]
	buffer_load_dword v138, off, s[0:3], 0 offset:412
	buffer_load_dword v139, off, s[0:3], 0 offset:432
	;; [unrolled: 1-line block ×8, first 2 shown]
	s_waitcnt vmcnt(24) lgkmcnt(0)
	v_fma_f64 v[125:126], v[145:146], v[129:130], v[125:126]
	s_waitcnt vmcnt(19)
	v_fma_f64 v[133:134], v[133:134], v[131:132], v[125:126]
	ds_read_b128 v[125:128], v124 offset:848
	ds_read_b128 v[129:132], v124 offset:864
	s_waitcnt vmcnt(18) lgkmcnt(1)
	v_fma_f64 v[125:126], v[157:158], v[125:126], v[133:134]
	s_waitcnt vmcnt(17)
	v_fma_f64 v[125:126], v[155:156], v[127:128], v[125:126]
	buffer_load_dword v134, off, s[0:3], 0 offset:444
	buffer_load_dword v145, off, s[0:3], 0 offset:464
	buffer_load_dword v155, off, s[0:3], 0 offset:456
	buffer_load_dword v157, off, s[0:3], 0 offset:448
	buffer_load_dword v133, off, s[0:3], 0 offset:440
	buffer_load_dword v158, off, s[0:3], 0 offset:452
	buffer_load_dword v156, off, s[0:3], 0 offset:460
	s_waitcnt vmcnt(23) lgkmcnt(0)
	v_fma_f64 v[125:126], v[147:148], v[129:130], v[125:126]
	s_waitcnt vmcnt(18)
	v_fma_f64 v[135:136], v[135:136], v[131:132], v[125:126]
	ds_read_b128 v[125:128], v124 offset:880
	ds_read_b128 v[129:132], v124 offset:896
	buffer_load_dword v146, off, s[0:3], 0 offset:468
	s_waitcnt vmcnt(18) lgkmcnt(1)
	v_fma_f64 v[125:126], v[149:150], v[125:126], v[135:136]
	s_waitcnt vmcnt(17)
	v_fma_f64 v[125:126], v[143:144], v[127:128], v[125:126]
	buffer_load_dword v136, off, s[0:3], 0 offset:476
	buffer_load_dword v143, off, s[0:3], 0 offset:480
	;; [unrolled: 1-line block ×4, first 2 shown]
	s_waitcnt vmcnt(20) lgkmcnt(0)
	v_fma_f64 v[125:126], v[141:142], v[129:130], v[125:126]
	buffer_load_dword v141, off, s[0:3], 0 offset:56
	buffer_load_dword v142, off, s[0:3], 0 offset:60
	s_waitcnt vmcnt(17)
	v_fma_f64 v[137:138], v[137:138], v[131:132], v[125:126]
	ds_read_b128 v[125:128], v124 offset:912
	ds_read_b128 v[129:132], v124 offset:928
	s_waitcnt vmcnt(16) lgkmcnt(1)
	v_fma_f64 v[125:126], v[153:154], v[125:126], v[137:138]
	s_waitcnt vmcnt(15)
	v_fma_f64 v[125:126], v[151:152], v[127:128], v[125:126]
	s_waitcnt vmcnt(14) lgkmcnt(0)
	v_fma_f64 v[125:126], v[139:140], v[129:130], v[125:126]
	s_waitcnt vmcnt(9)
	v_fma_f64 v[133:134], v[133:134], v[131:132], v[125:126]
	ds_read_b128 v[125:128], v124 offset:944
	ds_read_b128 v[129:132], v124 offset:960
	s_waitcnt vmcnt(8) lgkmcnt(1)
	v_fma_f64 v[125:126], v[157:158], v[125:126], v[133:134]
	s_waitcnt vmcnt(7)
	v_fma_f64 v[125:126], v[155:156], v[127:128], v[125:126]
	ds_read_b64 v[127:128], v124 offset:976
	s_waitcnt vmcnt(6) lgkmcnt(1)
	v_fma_f64 v[125:126], v[145:146], v[129:130], v[125:126]
	s_waitcnt vmcnt(3)
	v_fma_f64 v[125:126], v[135:136], v[131:132], v[125:126]
	s_waitcnt vmcnt(2) lgkmcnt(0)
	v_fma_f64 v[125:126], v[143:144], v[127:128], v[125:126]
	s_waitcnt vmcnt(0)
	v_add_f64 v[125:126], v[141:142], -v[125:126]
	buffer_store_dword v126, off, s[0:3], 0 offset:60
	buffer_store_dword v125, off, s[0:3], 0 offset:56
	s_and_saveexec_b64 s[4:5], vcc
	s_cbranch_execz .LBB60_361
; %bb.360:
	buffer_load_dword v125, off, s[0:3], 0 offset:48
	buffer_load_dword v126, off, s[0:3], 0 offset:52
	s_waitcnt vmcnt(0)
	ds_write_b64 v123, v[125:126]
	buffer_store_dword v124, off, s[0:3], 0 offset:48
	buffer_store_dword v124, off, s[0:3], 0 offset:52
.LBB60_361:
	s_or_b64 exec, exec, s[4:5]
	s_waitcnt lgkmcnt(0)
	; wave barrier
	buffer_load_dword v133, off, s[0:3], 0 offset:56
	buffer_load_dword v134, off, s[0:3], 0 offset:60
	;; [unrolled: 1-line block ×22, first 2 shown]
	ds_read2_b64 v[125:128], v124 offset0:69 offset1:70
	ds_read2_b64 v[129:132], v124 offset0:71 offset1:72
	v_cmp_lt_u32_e32 vcc, 5, v0
	s_waitcnt vmcnt(20) lgkmcnt(1)
	v_fma_f64 v[125:126], v[133:134], v[125:126], 0
	s_waitcnt vmcnt(18)
	v_fma_f64 v[125:126], v[135:136], v[127:128], v[125:126]
	buffer_load_dword v134, off, s[0:3], 0 offset:148
	buffer_load_dword v135, off, s[0:3], 0 offset:168
	;; [unrolled: 1-line block ×7, first 2 shown]
	s_waitcnt vmcnt(23) lgkmcnt(0)
	v_fma_f64 v[125:126], v[137:138], v[129:130], v[125:126]
	s_waitcnt vmcnt(21)
	v_fma_f64 v[136:137], v[139:140], v[131:132], v[125:126]
	ds_read2_b64 v[125:128], v124 offset0:73 offset1:74
	ds_read2_b64 v[129:132], v124 offset0:75 offset1:76
	s_waitcnt vmcnt(19) lgkmcnt(1)
	v_fma_f64 v[125:126], v[141:142], v[125:126], v[136:137]
	buffer_load_dword v136, off, s[0:3], 0 offset:172
	s_waitcnt vmcnt(18)
	v_fma_f64 v[125:126], v[143:144], v[127:128], v[125:126]
	buffer_load_dword v138, off, s[0:3], 0 offset:180
	buffer_load_dword v139, off, s[0:3], 0 offset:200
	buffer_load_dword v141, off, s[0:3], 0 offset:192
	buffer_load_dword v143, off, s[0:3], 0 offset:184
	buffer_load_dword v137, off, s[0:3], 0 offset:176
	buffer_load_dword v144, off, s[0:3], 0 offset:188
	buffer_load_dword v142, off, s[0:3], 0 offset:196
	s_waitcnt vmcnt(23) lgkmcnt(0)
	v_fma_f64 v[125:126], v[145:146], v[129:130], v[125:126]
	s_waitcnt vmcnt(18)
	v_fma_f64 v[145:146], v[147:148], v[131:132], v[125:126]
	ds_read2_b64 v[125:128], v124 offset0:77 offset1:78
	ds_read2_b64 v[129:132], v124 offset0:79 offset1:80
	buffer_load_dword v140, off, s[0:3], 0 offset:204
	s_waitcnt vmcnt(18) lgkmcnt(1)
	v_fma_f64 v[125:126], v[153:154], v[125:126], v[145:146]
	s_waitcnt vmcnt(17)
	v_fma_f64 v[125:126], v[151:152], v[127:128], v[125:126]
	buffer_load_dword v146, off, s[0:3], 0 offset:212
	buffer_load_dword v147, off, s[0:3], 0 offset:232
	;; [unrolled: 1-line block ×8, first 2 shown]
	s_waitcnt vmcnt(24) lgkmcnt(0)
	v_fma_f64 v[125:126], v[149:150], v[129:130], v[125:126]
	s_waitcnt vmcnt(19)
	v_fma_f64 v[133:134], v[133:134], v[131:132], v[125:126]
	ds_read2_b64 v[125:128], v124 offset0:81 offset1:82
	ds_read2_b64 v[129:132], v124 offset0:83 offset1:84
	s_waitcnt vmcnt(18) lgkmcnt(1)
	v_fma_f64 v[125:126], v[157:158], v[125:126], v[133:134]
	s_waitcnt vmcnt(17)
	v_fma_f64 v[125:126], v[155:156], v[127:128], v[125:126]
	buffer_load_dword v134, off, s[0:3], 0 offset:244
	buffer_load_dword v149, off, s[0:3], 0 offset:264
	;; [unrolled: 1-line block ×8, first 2 shown]
	s_waitcnt vmcnt(24) lgkmcnt(0)
	v_fma_f64 v[125:126], v[135:136], v[129:130], v[125:126]
	s_waitcnt vmcnt(19)
	v_fma_f64 v[135:136], v[137:138], v[131:132], v[125:126]
	ds_read2_b64 v[125:128], v124 offset0:85 offset1:86
	ds_read2_b64 v[129:132], v124 offset0:87 offset1:88
	s_waitcnt vmcnt(18) lgkmcnt(1)
	v_fma_f64 v[125:126], v[143:144], v[125:126], v[135:136]
	s_waitcnt vmcnt(17)
	v_fma_f64 v[125:126], v[141:142], v[127:128], v[125:126]
	buffer_load_dword v136, off, s[0:3], 0 offset:276
	buffer_load_dword v137, off, s[0:3], 0 offset:296
	;; [unrolled: 1-line block ×7, first 2 shown]
	s_waitcnt vmcnt(23) lgkmcnt(0)
	v_fma_f64 v[125:126], v[139:140], v[129:130], v[125:126]
	s_waitcnt vmcnt(18)
	v_fma_f64 v[138:139], v[145:146], v[131:132], v[125:126]
	ds_read2_b64 v[125:128], v124 offset0:89 offset1:90
	ds_read2_b64 v[129:132], v124 offset0:91 offset1:92
	s_waitcnt vmcnt(17) lgkmcnt(1)
	v_fma_f64 v[125:126], v[153:154], v[125:126], v[138:139]
	buffer_load_dword v138, off, s[0:3], 0 offset:300
	s_waitcnt vmcnt(17)
	v_fma_f64 v[125:126], v[151:152], v[127:128], v[125:126]
	buffer_load_dword v140, off, s[0:3], 0 offset:308
	buffer_load_dword v145, off, s[0:3], 0 offset:328
	;; [unrolled: 1-line block ×8, first 2 shown]
	s_waitcnt vmcnt(24) lgkmcnt(0)
	v_fma_f64 v[125:126], v[147:148], v[129:130], v[125:126]
	s_waitcnt vmcnt(19)
	v_fma_f64 v[133:134], v[133:134], v[131:132], v[125:126]
	ds_read2_b64 v[125:128], v124 offset0:93 offset1:94
	ds_read2_b64 v[129:132], v124 offset0:95 offset1:96
	s_waitcnt vmcnt(18) lgkmcnt(1)
	v_fma_f64 v[125:126], v[157:158], v[125:126], v[133:134]
	s_waitcnt vmcnt(17)
	v_fma_f64 v[125:126], v[155:156], v[127:128], v[125:126]
	buffer_load_dword v134, off, s[0:3], 0 offset:340
	buffer_load_dword v147, off, s[0:3], 0 offset:360
	;; [unrolled: 1-line block ×8, first 2 shown]
	s_waitcnt vmcnt(24) lgkmcnt(0)
	v_fma_f64 v[125:126], v[149:150], v[129:130], v[125:126]
	s_waitcnt vmcnt(19)
	v_fma_f64 v[135:136], v[135:136], v[131:132], v[125:126]
	ds_read2_b64 v[125:128], v124 offset0:97 offset1:98
	ds_read2_b64 v[129:132], v124 offset0:99 offset1:100
	s_waitcnt vmcnt(18) lgkmcnt(1)
	v_fma_f64 v[125:126], v[143:144], v[125:126], v[135:136]
	s_waitcnt vmcnt(17)
	v_fma_f64 v[125:126], v[141:142], v[127:128], v[125:126]
	buffer_load_dword v136, off, s[0:3], 0 offset:372
	buffer_load_dword v141, off, s[0:3], 0 offset:392
	;; [unrolled: 1-line block ×7, first 2 shown]
	s_waitcnt vmcnt(23) lgkmcnt(0)
	v_fma_f64 v[125:126], v[137:138], v[129:130], v[125:126]
	s_waitcnt vmcnt(18)
	v_fma_f64 v[137:138], v[139:140], v[131:132], v[125:126]
	ds_read2_b64 v[125:128], v124 offset0:101 offset1:102
	ds_read2_b64 v[129:132], v124 offset0:103 offset1:104
	buffer_load_dword v142, off, s[0:3], 0 offset:396
	s_waitcnt vmcnt(18) lgkmcnt(1)
	v_fma_f64 v[125:126], v[153:154], v[125:126], v[137:138]
	s_waitcnt vmcnt(17)
	v_fma_f64 v[125:126], v[151:152], v[127:128], v[125:126]
	buffer_load_dword v138, off, s[0:3], 0 offset:404
	buffer_load_dword v139, off, s[0:3], 0 offset:424
	;; [unrolled: 1-line block ×8, first 2 shown]
	s_waitcnt vmcnt(24) lgkmcnt(0)
	v_fma_f64 v[125:126], v[145:146], v[129:130], v[125:126]
	s_waitcnt vmcnt(19)
	v_fma_f64 v[133:134], v[133:134], v[131:132], v[125:126]
	ds_read2_b64 v[125:128], v124 offset0:105 offset1:106
	ds_read2_b64 v[129:132], v124 offset0:107 offset1:108
	s_waitcnt vmcnt(18) lgkmcnt(1)
	v_fma_f64 v[125:126], v[157:158], v[125:126], v[133:134]
	s_waitcnt vmcnt(17)
	v_fma_f64 v[125:126], v[155:156], v[127:128], v[125:126]
	buffer_load_dword v134, off, s[0:3], 0 offset:436
	buffer_load_dword v145, off, s[0:3], 0 offset:456
	;; [unrolled: 1-line block ×8, first 2 shown]
	s_waitcnt vmcnt(24) lgkmcnt(0)
	v_fma_f64 v[125:126], v[147:148], v[129:130], v[125:126]
	s_waitcnt vmcnt(19)
	v_fma_f64 v[135:136], v[135:136], v[131:132], v[125:126]
	ds_read2_b64 v[125:128], v124 offset0:109 offset1:110
	ds_read2_b64 v[129:132], v124 offset0:111 offset1:112
	s_waitcnt vmcnt(18) lgkmcnt(1)
	v_fma_f64 v[125:126], v[149:150], v[125:126], v[135:136]
	s_waitcnt vmcnt(17)
	v_fma_f64 v[125:126], v[143:144], v[127:128], v[125:126]
	buffer_load_dword v136, off, s[0:3], 0 offset:468
	buffer_load_dword v143, off, s[0:3], 0 offset:480
	;; [unrolled: 1-line block ×6, first 2 shown]
	s_waitcnt vmcnt(22) lgkmcnt(0)
	v_fma_f64 v[125:126], v[141:142], v[129:130], v[125:126]
	s_waitcnt vmcnt(17)
	v_fma_f64 v[137:138], v[137:138], v[131:132], v[125:126]
	ds_read2_b64 v[125:128], v124 offset0:113 offset1:114
	buffer_load_dword v141, off, s[0:3], 0 offset:48
	buffer_load_dword v142, off, s[0:3], 0 offset:52
	ds_read2_b64 v[129:132], v124 offset0:115 offset1:116
	s_waitcnt vmcnt(18) lgkmcnt(1)
	v_fma_f64 v[125:126], v[153:154], v[125:126], v[137:138]
	s_waitcnt vmcnt(17)
	v_fma_f64 v[125:126], v[151:152], v[127:128], v[125:126]
	s_waitcnt vmcnt(16) lgkmcnt(0)
	v_fma_f64 v[125:126], v[139:140], v[129:130], v[125:126]
	s_waitcnt vmcnt(11)
	v_fma_f64 v[133:134], v[133:134], v[131:132], v[125:126]
	ds_read2_b64 v[125:128], v124 offset0:117 offset1:118
	ds_read2_b64 v[129:132], v124 offset0:119 offset1:120
	s_waitcnt vmcnt(10) lgkmcnt(1)
	v_fma_f64 v[125:126], v[157:158], v[125:126], v[133:134]
	s_waitcnt vmcnt(9)
	v_fma_f64 v[125:126], v[155:156], v[127:128], v[125:126]
	s_waitcnt vmcnt(8) lgkmcnt(0)
	v_fma_f64 v[125:126], v[145:146], v[129:130], v[125:126]
	s_waitcnt vmcnt(4)
	v_fma_f64 v[128:129], v[135:136], v[131:132], v[125:126]
	ds_read2_b64 v[124:127], v124 offset0:121 offset1:122
	s_waitcnt vmcnt(3) lgkmcnt(0)
	v_fma_f64 v[124:125], v[147:148], v[124:125], v[128:129]
	s_waitcnt vmcnt(2)
	v_fma_f64 v[124:125], v[143:144], v[126:127], v[124:125]
	s_waitcnt vmcnt(0)
	v_add_f64 v[124:125], v[141:142], -v[124:125]
	buffer_store_dword v125, off, s[0:3], 0 offset:52
	buffer_store_dword v124, off, s[0:3], 0 offset:48
	s_and_saveexec_b64 s[4:5], vcc
	s_cbranch_execz .LBB60_363
; %bb.362:
	buffer_load_dword v124, off, s[0:3], 0 offset:40
	buffer_load_dword v125, off, s[0:3], 0 offset:44
	v_mov_b32_e32 v126, 0
	buffer_store_dword v126, off, s[0:3], 0 offset:40
	buffer_store_dword v126, off, s[0:3], 0 offset:44
	s_waitcnt vmcnt(2)
	ds_write_b64 v123, v[124:125]
.LBB60_363:
	s_or_b64 exec, exec, s[4:5]
	s_waitcnt lgkmcnt(0)
	; wave barrier
	buffer_load_dword v133, off, s[0:3], 0 offset:48
	buffer_load_dword v134, off, s[0:3], 0 offset:52
	buffer_load_dword v135, off, s[0:3], 0 offset:56
	buffer_load_dword v136, off, s[0:3], 0 offset:60
	buffer_load_dword v137, off, s[0:3], 0 offset:64
	buffer_load_dword v138, off, s[0:3], 0 offset:68
	buffer_load_dword v139, off, s[0:3], 0 offset:72
	buffer_load_dword v140, off, s[0:3], 0 offset:76
	buffer_load_dword v141, off, s[0:3], 0 offset:80
	buffer_load_dword v142, off, s[0:3], 0 offset:84
	buffer_load_dword v143, off, s[0:3], 0 offset:88
	buffer_load_dword v144, off, s[0:3], 0 offset:92
	buffer_load_dword v145, off, s[0:3], 0 offset:96
	buffer_load_dword v146, off, s[0:3], 0 offset:100
	buffer_load_dword v148, off, s[0:3], 0 offset:108
	buffer_load_dword v149, off, s[0:3], 0 offset:128
	buffer_load_dword v151, off, s[0:3], 0 offset:120
	buffer_load_dword v153, off, s[0:3], 0 offset:112
	buffer_load_dword v147, off, s[0:3], 0 offset:104
	buffer_load_dword v154, off, s[0:3], 0 offset:116
	buffer_load_dword v152, off, s[0:3], 0 offset:124
	buffer_load_dword v150, off, s[0:3], 0 offset:132
	v_mov_b32_e32 v124, 0
	ds_read_b128 v[125:128], v124 offset:544
	ds_read_b128 v[129:132], v124 offset:560
	v_cmp_lt_u32_e32 vcc, 4, v0
	s_waitcnt vmcnt(20) lgkmcnt(1)
	v_fma_f64 v[125:126], v[133:134], v[125:126], 0
	s_waitcnt vmcnt(18)
	v_fma_f64 v[125:126], v[135:136], v[127:128], v[125:126]
	buffer_load_dword v134, off, s[0:3], 0 offset:140
	buffer_load_dword v135, off, s[0:3], 0 offset:160
	;; [unrolled: 1-line block ×7, first 2 shown]
	s_waitcnt vmcnt(23) lgkmcnt(0)
	v_fma_f64 v[125:126], v[137:138], v[129:130], v[125:126]
	s_waitcnt vmcnt(21)
	v_fma_f64 v[136:137], v[139:140], v[131:132], v[125:126]
	ds_read_b128 v[125:128], v124 offset:576
	ds_read_b128 v[129:132], v124 offset:592
	s_waitcnt vmcnt(19) lgkmcnt(1)
	v_fma_f64 v[125:126], v[141:142], v[125:126], v[136:137]
	buffer_load_dword v136, off, s[0:3], 0 offset:164
	s_waitcnt vmcnt(18)
	v_fma_f64 v[125:126], v[143:144], v[127:128], v[125:126]
	buffer_load_dword v138, off, s[0:3], 0 offset:172
	buffer_load_dword v139, off, s[0:3], 0 offset:192
	buffer_load_dword v141, off, s[0:3], 0 offset:184
	buffer_load_dword v143, off, s[0:3], 0 offset:176
	buffer_load_dword v137, off, s[0:3], 0 offset:168
	buffer_load_dword v144, off, s[0:3], 0 offset:180
	buffer_load_dword v142, off, s[0:3], 0 offset:188
	s_waitcnt vmcnt(23) lgkmcnt(0)
	v_fma_f64 v[125:126], v[145:146], v[129:130], v[125:126]
	s_waitcnt vmcnt(18)
	v_fma_f64 v[145:146], v[147:148], v[131:132], v[125:126]
	ds_read_b128 v[125:128], v124 offset:608
	ds_read_b128 v[129:132], v124 offset:624
	buffer_load_dword v140, off, s[0:3], 0 offset:196
	s_waitcnt vmcnt(18) lgkmcnt(1)
	v_fma_f64 v[125:126], v[153:154], v[125:126], v[145:146]
	s_waitcnt vmcnt(17)
	v_fma_f64 v[125:126], v[151:152], v[127:128], v[125:126]
	buffer_load_dword v146, off, s[0:3], 0 offset:204
	buffer_load_dword v147, off, s[0:3], 0 offset:224
	;; [unrolled: 1-line block ×8, first 2 shown]
	s_waitcnt vmcnt(24) lgkmcnt(0)
	v_fma_f64 v[125:126], v[149:150], v[129:130], v[125:126]
	s_waitcnt vmcnt(19)
	v_fma_f64 v[133:134], v[133:134], v[131:132], v[125:126]
	ds_read_b128 v[125:128], v124 offset:640
	ds_read_b128 v[129:132], v124 offset:656
	s_waitcnt vmcnt(18) lgkmcnt(1)
	v_fma_f64 v[125:126], v[157:158], v[125:126], v[133:134]
	s_waitcnt vmcnt(17)
	v_fma_f64 v[125:126], v[155:156], v[127:128], v[125:126]
	buffer_load_dword v134, off, s[0:3], 0 offset:236
	buffer_load_dword v149, off, s[0:3], 0 offset:256
	;; [unrolled: 1-line block ×8, first 2 shown]
	s_waitcnt vmcnt(24) lgkmcnt(0)
	v_fma_f64 v[125:126], v[135:136], v[129:130], v[125:126]
	s_waitcnt vmcnt(19)
	v_fma_f64 v[135:136], v[137:138], v[131:132], v[125:126]
	ds_read_b128 v[125:128], v124 offset:672
	ds_read_b128 v[129:132], v124 offset:688
	s_waitcnt vmcnt(18) lgkmcnt(1)
	v_fma_f64 v[125:126], v[143:144], v[125:126], v[135:136]
	s_waitcnt vmcnt(17)
	v_fma_f64 v[125:126], v[141:142], v[127:128], v[125:126]
	buffer_load_dword v136, off, s[0:3], 0 offset:268
	buffer_load_dword v137, off, s[0:3], 0 offset:288
	;; [unrolled: 1-line block ×7, first 2 shown]
	s_waitcnt vmcnt(23) lgkmcnt(0)
	v_fma_f64 v[125:126], v[139:140], v[129:130], v[125:126]
	s_waitcnt vmcnt(18)
	v_fma_f64 v[138:139], v[145:146], v[131:132], v[125:126]
	ds_read_b128 v[125:128], v124 offset:704
	ds_read_b128 v[129:132], v124 offset:720
	s_waitcnt vmcnt(17) lgkmcnt(1)
	v_fma_f64 v[125:126], v[153:154], v[125:126], v[138:139]
	buffer_load_dword v138, off, s[0:3], 0 offset:292
	s_waitcnt vmcnt(17)
	v_fma_f64 v[125:126], v[151:152], v[127:128], v[125:126]
	buffer_load_dword v140, off, s[0:3], 0 offset:300
	buffer_load_dword v145, off, s[0:3], 0 offset:320
	;; [unrolled: 1-line block ×8, first 2 shown]
	s_waitcnt vmcnt(24) lgkmcnt(0)
	v_fma_f64 v[125:126], v[147:148], v[129:130], v[125:126]
	s_waitcnt vmcnt(19)
	v_fma_f64 v[133:134], v[133:134], v[131:132], v[125:126]
	ds_read_b128 v[125:128], v124 offset:736
	ds_read_b128 v[129:132], v124 offset:752
	s_waitcnt vmcnt(18) lgkmcnt(1)
	v_fma_f64 v[125:126], v[157:158], v[125:126], v[133:134]
	s_waitcnt vmcnt(17)
	v_fma_f64 v[125:126], v[155:156], v[127:128], v[125:126]
	buffer_load_dword v134, off, s[0:3], 0 offset:332
	buffer_load_dword v147, off, s[0:3], 0 offset:352
	;; [unrolled: 1-line block ×8, first 2 shown]
	s_waitcnt vmcnt(24) lgkmcnt(0)
	v_fma_f64 v[125:126], v[149:150], v[129:130], v[125:126]
	s_waitcnt vmcnt(19)
	v_fma_f64 v[135:136], v[135:136], v[131:132], v[125:126]
	ds_read_b128 v[125:128], v124 offset:768
	ds_read_b128 v[129:132], v124 offset:784
	s_waitcnt vmcnt(18) lgkmcnt(1)
	v_fma_f64 v[125:126], v[143:144], v[125:126], v[135:136]
	s_waitcnt vmcnt(17)
	v_fma_f64 v[125:126], v[141:142], v[127:128], v[125:126]
	buffer_load_dword v136, off, s[0:3], 0 offset:364
	buffer_load_dword v141, off, s[0:3], 0 offset:384
	buffer_load_dword v143, off, s[0:3], 0 offset:376
	buffer_load_dword v149, off, s[0:3], 0 offset:368
	buffer_load_dword v135, off, s[0:3], 0 offset:360
	buffer_load_dword v150, off, s[0:3], 0 offset:372
	buffer_load_dword v144, off, s[0:3], 0 offset:380
	s_waitcnt vmcnt(23) lgkmcnt(0)
	v_fma_f64 v[125:126], v[137:138], v[129:130], v[125:126]
	s_waitcnt vmcnt(18)
	v_fma_f64 v[137:138], v[139:140], v[131:132], v[125:126]
	ds_read_b128 v[125:128], v124 offset:800
	ds_read_b128 v[129:132], v124 offset:816
	buffer_load_dword v142, off, s[0:3], 0 offset:388
	s_waitcnt vmcnt(18) lgkmcnt(1)
	v_fma_f64 v[125:126], v[153:154], v[125:126], v[137:138]
	s_waitcnt vmcnt(17)
	v_fma_f64 v[125:126], v[151:152], v[127:128], v[125:126]
	buffer_load_dword v138, off, s[0:3], 0 offset:396
	buffer_load_dword v139, off, s[0:3], 0 offset:416
	buffer_load_dword v151, off, s[0:3], 0 offset:408
	buffer_load_dword v153, off, s[0:3], 0 offset:400
	buffer_load_dword v137, off, s[0:3], 0 offset:392
	buffer_load_dword v154, off, s[0:3], 0 offset:404
	buffer_load_dword v152, off, s[0:3], 0 offset:412
	buffer_load_dword v140, off, s[0:3], 0 offset:420
	s_waitcnt vmcnt(24) lgkmcnt(0)
	v_fma_f64 v[125:126], v[145:146], v[129:130], v[125:126]
	s_waitcnt vmcnt(19)
	v_fma_f64 v[133:134], v[133:134], v[131:132], v[125:126]
	ds_read_b128 v[125:128], v124 offset:832
	ds_read_b128 v[129:132], v124 offset:848
	s_waitcnt vmcnt(18) lgkmcnt(1)
	v_fma_f64 v[125:126], v[157:158], v[125:126], v[133:134]
	s_waitcnt vmcnt(17)
	v_fma_f64 v[125:126], v[155:156], v[127:128], v[125:126]
	buffer_load_dword v134, off, s[0:3], 0 offset:428
	buffer_load_dword v145, off, s[0:3], 0 offset:448
	buffer_load_dword v155, off, s[0:3], 0 offset:440
	buffer_load_dword v157, off, s[0:3], 0 offset:432
	buffer_load_dword v133, off, s[0:3], 0 offset:424
	buffer_load_dword v158, off, s[0:3], 0 offset:436
	buffer_load_dword v156, off, s[0:3], 0 offset:444
	buffer_load_dword v146, off, s[0:3], 0 offset:452
	s_waitcnt vmcnt(24) lgkmcnt(0)
	v_fma_f64 v[125:126], v[147:148], v[129:130], v[125:126]
	s_waitcnt vmcnt(19)
	v_fma_f64 v[135:136], v[135:136], v[131:132], v[125:126]
	ds_read_b128 v[125:128], v124 offset:864
	ds_read_b128 v[129:132], v124 offset:880
	;; [unrolled: 18-line block ×3, first 2 shown]
	s_waitcnt vmcnt(18) lgkmcnt(1)
	v_fma_f64 v[125:126], v[153:154], v[125:126], v[137:138]
	buffer_load_dword v137, off, s[0:3], 0 offset:40
	buffer_load_dword v138, off, s[0:3], 0 offset:44
	s_waitcnt vmcnt(19)
	v_fma_f64 v[125:126], v[151:152], v[127:128], v[125:126]
	s_waitcnt vmcnt(18) lgkmcnt(0)
	v_fma_f64 v[125:126], v[139:140], v[129:130], v[125:126]
	s_waitcnt vmcnt(13)
	v_fma_f64 v[133:134], v[133:134], v[131:132], v[125:126]
	ds_read_b128 v[125:128], v124 offset:928
	ds_read_b128 v[129:132], v124 offset:944
	s_waitcnt vmcnt(12) lgkmcnt(1)
	v_fma_f64 v[125:126], v[157:158], v[125:126], v[133:134]
	s_waitcnt vmcnt(11)
	v_fma_f64 v[125:126], v[155:156], v[127:128], v[125:126]
	s_waitcnt vmcnt(10) lgkmcnt(0)
	v_fma_f64 v[125:126], v[145:146], v[129:130], v[125:126]
	s_waitcnt vmcnt(5)
	v_fma_f64 v[129:130], v[135:136], v[131:132], v[125:126]
	ds_read_b128 v[125:128], v124 offset:960
	ds_read_b64 v[131:132], v124 offset:976
	s_waitcnt vmcnt(4) lgkmcnt(1)
	v_fma_f64 v[125:126], v[149:150], v[125:126], v[129:130]
	s_waitcnt vmcnt(3)
	v_fma_f64 v[125:126], v[147:148], v[127:128], v[125:126]
	s_waitcnt vmcnt(2) lgkmcnt(0)
	v_fma_f64 v[125:126], v[143:144], v[131:132], v[125:126]
	s_waitcnt vmcnt(0)
	v_add_f64 v[125:126], v[137:138], -v[125:126]
	buffer_store_dword v126, off, s[0:3], 0 offset:44
	buffer_store_dword v125, off, s[0:3], 0 offset:40
	s_and_saveexec_b64 s[4:5], vcc
	s_cbranch_execz .LBB60_365
; %bb.364:
	buffer_load_dword v125, off, s[0:3], 0 offset:32
	buffer_load_dword v126, off, s[0:3], 0 offset:36
	s_waitcnt vmcnt(0)
	ds_write_b64 v123, v[125:126]
	buffer_store_dword v124, off, s[0:3], 0 offset:32
	buffer_store_dword v124, off, s[0:3], 0 offset:36
.LBB60_365:
	s_or_b64 exec, exec, s[4:5]
	s_waitcnt lgkmcnt(0)
	; wave barrier
	buffer_load_dword v133, off, s[0:3], 0 offset:40
	buffer_load_dword v134, off, s[0:3], 0 offset:44
	;; [unrolled: 1-line block ×22, first 2 shown]
	ds_read2_b64 v[125:128], v124 offset0:67 offset1:68
	ds_read2_b64 v[129:132], v124 offset0:69 offset1:70
	v_cmp_lt_u32_e32 vcc, 3, v0
	s_waitcnt vmcnt(20) lgkmcnt(1)
	v_fma_f64 v[125:126], v[133:134], v[125:126], 0
	s_waitcnt vmcnt(18)
	v_fma_f64 v[125:126], v[135:136], v[127:128], v[125:126]
	buffer_load_dword v134, off, s[0:3], 0 offset:132
	buffer_load_dword v135, off, s[0:3], 0 offset:152
	buffer_load_dword v155, off, s[0:3], 0 offset:144
	buffer_load_dword v157, off, s[0:3], 0 offset:136
	buffer_load_dword v133, off, s[0:3], 0 offset:128
	buffer_load_dword v158, off, s[0:3], 0 offset:140
	buffer_load_dword v156, off, s[0:3], 0 offset:148
	s_waitcnt vmcnt(23) lgkmcnt(0)
	v_fma_f64 v[125:126], v[137:138], v[129:130], v[125:126]
	s_waitcnt vmcnt(21)
	v_fma_f64 v[136:137], v[139:140], v[131:132], v[125:126]
	ds_read2_b64 v[125:128], v124 offset0:71 offset1:72
	ds_read2_b64 v[129:132], v124 offset0:73 offset1:74
	s_waitcnt vmcnt(19) lgkmcnt(1)
	v_fma_f64 v[125:126], v[141:142], v[125:126], v[136:137]
	buffer_load_dword v136, off, s[0:3], 0 offset:156
	s_waitcnt vmcnt(18)
	v_fma_f64 v[125:126], v[143:144], v[127:128], v[125:126]
	buffer_load_dword v138, off, s[0:3], 0 offset:164
	buffer_load_dword v139, off, s[0:3], 0 offset:184
	;; [unrolled: 1-line block ×7, first 2 shown]
	s_waitcnt vmcnt(23) lgkmcnt(0)
	v_fma_f64 v[125:126], v[145:146], v[129:130], v[125:126]
	s_waitcnt vmcnt(18)
	v_fma_f64 v[145:146], v[147:148], v[131:132], v[125:126]
	ds_read2_b64 v[125:128], v124 offset0:75 offset1:76
	ds_read2_b64 v[129:132], v124 offset0:77 offset1:78
	buffer_load_dword v140, off, s[0:3], 0 offset:188
	s_waitcnt vmcnt(18) lgkmcnt(1)
	v_fma_f64 v[125:126], v[153:154], v[125:126], v[145:146]
	s_waitcnt vmcnt(17)
	v_fma_f64 v[125:126], v[151:152], v[127:128], v[125:126]
	buffer_load_dword v146, off, s[0:3], 0 offset:196
	buffer_load_dword v147, off, s[0:3], 0 offset:216
	;; [unrolled: 1-line block ×8, first 2 shown]
	s_waitcnt vmcnt(24) lgkmcnt(0)
	v_fma_f64 v[125:126], v[149:150], v[129:130], v[125:126]
	s_waitcnt vmcnt(19)
	v_fma_f64 v[133:134], v[133:134], v[131:132], v[125:126]
	ds_read2_b64 v[125:128], v124 offset0:79 offset1:80
	ds_read2_b64 v[129:132], v124 offset0:81 offset1:82
	s_waitcnt vmcnt(18) lgkmcnt(1)
	v_fma_f64 v[125:126], v[157:158], v[125:126], v[133:134]
	s_waitcnt vmcnt(17)
	v_fma_f64 v[125:126], v[155:156], v[127:128], v[125:126]
	buffer_load_dword v134, off, s[0:3], 0 offset:228
	buffer_load_dword v149, off, s[0:3], 0 offset:248
	;; [unrolled: 1-line block ×8, first 2 shown]
	s_waitcnt vmcnt(24) lgkmcnt(0)
	v_fma_f64 v[125:126], v[135:136], v[129:130], v[125:126]
	s_waitcnt vmcnt(19)
	v_fma_f64 v[135:136], v[137:138], v[131:132], v[125:126]
	ds_read2_b64 v[125:128], v124 offset0:83 offset1:84
	ds_read2_b64 v[129:132], v124 offset0:85 offset1:86
	s_waitcnt vmcnt(18) lgkmcnt(1)
	v_fma_f64 v[125:126], v[143:144], v[125:126], v[135:136]
	s_waitcnt vmcnt(17)
	v_fma_f64 v[125:126], v[141:142], v[127:128], v[125:126]
	buffer_load_dword v136, off, s[0:3], 0 offset:260
	buffer_load_dword v137, off, s[0:3], 0 offset:280
	;; [unrolled: 1-line block ×7, first 2 shown]
	s_waitcnt vmcnt(23) lgkmcnt(0)
	v_fma_f64 v[125:126], v[139:140], v[129:130], v[125:126]
	s_waitcnt vmcnt(18)
	v_fma_f64 v[138:139], v[145:146], v[131:132], v[125:126]
	ds_read2_b64 v[125:128], v124 offset0:87 offset1:88
	ds_read2_b64 v[129:132], v124 offset0:89 offset1:90
	s_waitcnt vmcnt(17) lgkmcnt(1)
	v_fma_f64 v[125:126], v[153:154], v[125:126], v[138:139]
	buffer_load_dword v138, off, s[0:3], 0 offset:284
	s_waitcnt vmcnt(17)
	v_fma_f64 v[125:126], v[151:152], v[127:128], v[125:126]
	buffer_load_dword v140, off, s[0:3], 0 offset:292
	buffer_load_dword v145, off, s[0:3], 0 offset:312
	;; [unrolled: 1-line block ×8, first 2 shown]
	s_waitcnt vmcnt(24) lgkmcnt(0)
	v_fma_f64 v[125:126], v[147:148], v[129:130], v[125:126]
	s_waitcnt vmcnt(19)
	v_fma_f64 v[133:134], v[133:134], v[131:132], v[125:126]
	ds_read2_b64 v[125:128], v124 offset0:91 offset1:92
	ds_read2_b64 v[129:132], v124 offset0:93 offset1:94
	s_waitcnt vmcnt(18) lgkmcnt(1)
	v_fma_f64 v[125:126], v[157:158], v[125:126], v[133:134]
	s_waitcnt vmcnt(17)
	v_fma_f64 v[125:126], v[155:156], v[127:128], v[125:126]
	buffer_load_dword v134, off, s[0:3], 0 offset:324
	buffer_load_dword v147, off, s[0:3], 0 offset:344
	;; [unrolled: 1-line block ×8, first 2 shown]
	s_waitcnt vmcnt(24) lgkmcnt(0)
	v_fma_f64 v[125:126], v[149:150], v[129:130], v[125:126]
	s_waitcnt vmcnt(19)
	v_fma_f64 v[135:136], v[135:136], v[131:132], v[125:126]
	ds_read2_b64 v[125:128], v124 offset0:95 offset1:96
	ds_read2_b64 v[129:132], v124 offset0:97 offset1:98
	s_waitcnt vmcnt(18) lgkmcnt(1)
	v_fma_f64 v[125:126], v[143:144], v[125:126], v[135:136]
	s_waitcnt vmcnt(17)
	v_fma_f64 v[125:126], v[141:142], v[127:128], v[125:126]
	buffer_load_dword v136, off, s[0:3], 0 offset:356
	buffer_load_dword v141, off, s[0:3], 0 offset:376
	;; [unrolled: 1-line block ×7, first 2 shown]
	s_waitcnt vmcnt(23) lgkmcnt(0)
	v_fma_f64 v[125:126], v[137:138], v[129:130], v[125:126]
	s_waitcnt vmcnt(18)
	v_fma_f64 v[137:138], v[139:140], v[131:132], v[125:126]
	ds_read2_b64 v[125:128], v124 offset0:99 offset1:100
	ds_read2_b64 v[129:132], v124 offset0:101 offset1:102
	buffer_load_dword v142, off, s[0:3], 0 offset:380
	s_waitcnt vmcnt(18) lgkmcnt(1)
	v_fma_f64 v[125:126], v[153:154], v[125:126], v[137:138]
	s_waitcnt vmcnt(17)
	v_fma_f64 v[125:126], v[151:152], v[127:128], v[125:126]
	buffer_load_dword v138, off, s[0:3], 0 offset:388
	buffer_load_dword v139, off, s[0:3], 0 offset:408
	buffer_load_dword v151, off, s[0:3], 0 offset:400
	buffer_load_dword v153, off, s[0:3], 0 offset:392
	buffer_load_dword v137, off, s[0:3], 0 offset:384
	buffer_load_dword v154, off, s[0:3], 0 offset:396
	buffer_load_dword v152, off, s[0:3], 0 offset:404
	buffer_load_dword v140, off, s[0:3], 0 offset:412
	s_waitcnt vmcnt(24) lgkmcnt(0)
	v_fma_f64 v[125:126], v[145:146], v[129:130], v[125:126]
	s_waitcnt vmcnt(19)
	v_fma_f64 v[133:134], v[133:134], v[131:132], v[125:126]
	ds_read2_b64 v[125:128], v124 offset0:103 offset1:104
	ds_read2_b64 v[129:132], v124 offset0:105 offset1:106
	s_waitcnt vmcnt(18) lgkmcnt(1)
	v_fma_f64 v[125:126], v[157:158], v[125:126], v[133:134]
	s_waitcnt vmcnt(17)
	v_fma_f64 v[125:126], v[155:156], v[127:128], v[125:126]
	buffer_load_dword v134, off, s[0:3], 0 offset:420
	buffer_load_dword v145, off, s[0:3], 0 offset:440
	buffer_load_dword v155, off, s[0:3], 0 offset:432
	buffer_load_dword v157, off, s[0:3], 0 offset:424
	buffer_load_dword v133, off, s[0:3], 0 offset:416
	buffer_load_dword v158, off, s[0:3], 0 offset:428
	buffer_load_dword v156, off, s[0:3], 0 offset:436
	buffer_load_dword v146, off, s[0:3], 0 offset:444
	s_waitcnt vmcnt(24) lgkmcnt(0)
	v_fma_f64 v[125:126], v[147:148], v[129:130], v[125:126]
	s_waitcnt vmcnt(19)
	v_fma_f64 v[135:136], v[135:136], v[131:132], v[125:126]
	ds_read2_b64 v[125:128], v124 offset0:107 offset1:108
	ds_read2_b64 v[129:132], v124 offset0:109 offset1:110
	;; [unrolled: 18-line block ×3, first 2 shown]
	s_waitcnt vmcnt(18) lgkmcnt(1)
	v_fma_f64 v[125:126], v[153:154], v[125:126], v[137:138]
	buffer_load_dword v138, off, s[0:3], 0 offset:484
	buffer_load_dword v137, off, s[0:3], 0 offset:480
	;; [unrolled: 1-line block ×4, first 2 shown]
	s_waitcnt vmcnt(21)
	v_fma_f64 v[125:126], v[151:152], v[127:128], v[125:126]
	s_waitcnt vmcnt(20) lgkmcnt(0)
	v_fma_f64 v[125:126], v[139:140], v[129:130], v[125:126]
	s_waitcnt vmcnt(15)
	v_fma_f64 v[133:134], v[133:134], v[131:132], v[125:126]
	ds_read2_b64 v[125:128], v124 offset0:115 offset1:116
	ds_read2_b64 v[129:132], v124 offset0:117 offset1:118
	s_waitcnt vmcnt(14) lgkmcnt(1)
	v_fma_f64 v[125:126], v[157:158], v[125:126], v[133:134]
	s_waitcnt vmcnt(13)
	v_fma_f64 v[125:126], v[155:156], v[127:128], v[125:126]
	s_waitcnt vmcnt(12) lgkmcnt(0)
	v_fma_f64 v[125:126], v[145:146], v[129:130], v[125:126]
	s_waitcnt vmcnt(7)
	v_fma_f64 v[133:134], v[135:136], v[131:132], v[125:126]
	ds_read2_b64 v[125:128], v124 offset0:119 offset1:120
	ds_read2_b64 v[129:132], v124 offset0:121 offset1:122
	s_waitcnt vmcnt(6) lgkmcnt(1)
	v_fma_f64 v[124:125], v[149:150], v[125:126], v[133:134]
	s_waitcnt vmcnt(5)
	v_fma_f64 v[124:125], v[147:148], v[127:128], v[124:125]
	s_waitcnt vmcnt(4) lgkmcnt(0)
	v_fma_f64 v[124:125], v[143:144], v[129:130], v[124:125]
	s_waitcnt vmcnt(2)
	v_fma_f64 v[124:125], v[137:138], v[131:132], v[124:125]
	s_waitcnt vmcnt(0)
	v_add_f64 v[124:125], v[141:142], -v[124:125]
	buffer_store_dword v125, off, s[0:3], 0 offset:36
	buffer_store_dword v124, off, s[0:3], 0 offset:32
	s_and_saveexec_b64 s[4:5], vcc
	s_cbranch_execz .LBB60_367
; %bb.366:
	buffer_load_dword v124, off, s[0:3], 0 offset:24
	buffer_load_dword v125, off, s[0:3], 0 offset:28
	v_mov_b32_e32 v126, 0
	buffer_store_dword v126, off, s[0:3], 0 offset:24
	buffer_store_dword v126, off, s[0:3], 0 offset:28
	s_waitcnt vmcnt(2)
	ds_write_b64 v123, v[124:125]
.LBB60_367:
	s_or_b64 exec, exec, s[4:5]
	s_waitcnt lgkmcnt(0)
	; wave barrier
	buffer_load_dword v133, off, s[0:3], 0 offset:32
	buffer_load_dword v134, off, s[0:3], 0 offset:36
	;; [unrolled: 1-line block ×21, first 2 shown]
	v_mov_b32_e32 v124, 0
	ds_read_b128 v[125:128], v124 offset:528
	ds_read_b128 v[129:132], v124 offset:544
	buffer_load_dword v150, off, s[0:3], 0 offset:116
	v_cmp_lt_u32_e32 vcc, 2, v0
	s_waitcnt vmcnt(20) lgkmcnt(1)
	v_fma_f64 v[125:126], v[133:134], v[125:126], 0
	s_waitcnt vmcnt(18)
	v_fma_f64 v[125:126], v[135:136], v[127:128], v[125:126]
	buffer_load_dword v134, off, s[0:3], 0 offset:124
	buffer_load_dword v135, off, s[0:3], 0 offset:144
	;; [unrolled: 1-line block ×7, first 2 shown]
	s_waitcnt vmcnt(23) lgkmcnt(0)
	v_fma_f64 v[125:126], v[137:138], v[129:130], v[125:126]
	s_waitcnt vmcnt(21)
	v_fma_f64 v[136:137], v[139:140], v[131:132], v[125:126]
	ds_read_b128 v[125:128], v124 offset:560
	ds_read_b128 v[129:132], v124 offset:576
	s_waitcnt vmcnt(19) lgkmcnt(1)
	v_fma_f64 v[125:126], v[141:142], v[125:126], v[136:137]
	buffer_load_dword v136, off, s[0:3], 0 offset:148
	s_waitcnt vmcnt(18)
	v_fma_f64 v[125:126], v[143:144], v[127:128], v[125:126]
	buffer_load_dword v138, off, s[0:3], 0 offset:156
	buffer_load_dword v139, off, s[0:3], 0 offset:176
	buffer_load_dword v141, off, s[0:3], 0 offset:168
	buffer_load_dword v143, off, s[0:3], 0 offset:160
	buffer_load_dword v137, off, s[0:3], 0 offset:152
	buffer_load_dword v144, off, s[0:3], 0 offset:164
	buffer_load_dword v142, off, s[0:3], 0 offset:172
	s_waitcnt vmcnt(23) lgkmcnt(0)
	v_fma_f64 v[125:126], v[145:146], v[129:130], v[125:126]
	s_waitcnt vmcnt(18)
	v_fma_f64 v[145:146], v[147:148], v[131:132], v[125:126]
	ds_read_b128 v[125:128], v124 offset:592
	ds_read_b128 v[129:132], v124 offset:608
	buffer_load_dword v140, off, s[0:3], 0 offset:180
	s_waitcnt vmcnt(18) lgkmcnt(1)
	v_fma_f64 v[125:126], v[153:154], v[125:126], v[145:146]
	s_waitcnt vmcnt(17)
	v_fma_f64 v[125:126], v[151:152], v[127:128], v[125:126]
	buffer_load_dword v146, off, s[0:3], 0 offset:188
	buffer_load_dword v147, off, s[0:3], 0 offset:208
	;; [unrolled: 1-line block ×7, first 2 shown]
	s_waitcnt vmcnt(23) lgkmcnt(0)
	v_fma_f64 v[125:126], v[149:150], v[129:130], v[125:126]
	s_waitcnt vmcnt(18)
	v_fma_f64 v[133:134], v[133:134], v[131:132], v[125:126]
	ds_read_b128 v[125:128], v124 offset:624
	ds_read_b128 v[129:132], v124 offset:640
	buffer_load_dword v148, off, s[0:3], 0 offset:212
	s_waitcnt vmcnt(18) lgkmcnt(1)
	v_fma_f64 v[125:126], v[157:158], v[125:126], v[133:134]
	s_waitcnt vmcnt(17)
	v_fma_f64 v[125:126], v[155:156], v[127:128], v[125:126]
	buffer_load_dword v134, off, s[0:3], 0 offset:220
	buffer_load_dword v149, off, s[0:3], 0 offset:240
	;; [unrolled: 1-line block ×8, first 2 shown]
	s_waitcnt vmcnt(24) lgkmcnt(0)
	v_fma_f64 v[125:126], v[135:136], v[129:130], v[125:126]
	s_waitcnt vmcnt(19)
	v_fma_f64 v[135:136], v[137:138], v[131:132], v[125:126]
	ds_read_b128 v[125:128], v124 offset:656
	ds_read_b128 v[129:132], v124 offset:672
	s_waitcnt vmcnt(18) lgkmcnt(1)
	v_fma_f64 v[125:126], v[143:144], v[125:126], v[135:136]
	s_waitcnt vmcnt(17)
	v_fma_f64 v[125:126], v[141:142], v[127:128], v[125:126]
	buffer_load_dword v136, off, s[0:3], 0 offset:252
	buffer_load_dword v137, off, s[0:3], 0 offset:272
	;; [unrolled: 1-line block ×7, first 2 shown]
	s_waitcnt vmcnt(23) lgkmcnt(0)
	v_fma_f64 v[125:126], v[139:140], v[129:130], v[125:126]
	s_waitcnt vmcnt(18)
	v_fma_f64 v[138:139], v[145:146], v[131:132], v[125:126]
	ds_read_b128 v[125:128], v124 offset:688
	ds_read_b128 v[129:132], v124 offset:704
	s_waitcnt vmcnt(17) lgkmcnt(1)
	v_fma_f64 v[125:126], v[153:154], v[125:126], v[138:139]
	buffer_load_dword v138, off, s[0:3], 0 offset:276
	s_waitcnt vmcnt(17)
	v_fma_f64 v[125:126], v[151:152], v[127:128], v[125:126]
	buffer_load_dword v140, off, s[0:3], 0 offset:284
	buffer_load_dword v145, off, s[0:3], 0 offset:304
	;; [unrolled: 1-line block ×7, first 2 shown]
	s_waitcnt vmcnt(23) lgkmcnt(0)
	v_fma_f64 v[125:126], v[147:148], v[129:130], v[125:126]
	s_waitcnt vmcnt(18)
	v_fma_f64 v[133:134], v[133:134], v[131:132], v[125:126]
	ds_read_b128 v[125:128], v124 offset:720
	ds_read_b128 v[129:132], v124 offset:736
	buffer_load_dword v146, off, s[0:3], 0 offset:308
	s_waitcnt vmcnt(18) lgkmcnt(1)
	v_fma_f64 v[125:126], v[157:158], v[125:126], v[133:134]
	s_waitcnt vmcnt(17)
	v_fma_f64 v[125:126], v[155:156], v[127:128], v[125:126]
	buffer_load_dword v134, off, s[0:3], 0 offset:316
	buffer_load_dword v147, off, s[0:3], 0 offset:336
	;; [unrolled: 1-line block ×8, first 2 shown]
	s_waitcnt vmcnt(24) lgkmcnt(0)
	v_fma_f64 v[125:126], v[149:150], v[129:130], v[125:126]
	s_waitcnt vmcnt(19)
	v_fma_f64 v[135:136], v[135:136], v[131:132], v[125:126]
	ds_read_b128 v[125:128], v124 offset:752
	ds_read_b128 v[129:132], v124 offset:768
	s_waitcnt vmcnt(18) lgkmcnt(1)
	v_fma_f64 v[125:126], v[143:144], v[125:126], v[135:136]
	s_waitcnt vmcnt(17)
	v_fma_f64 v[125:126], v[141:142], v[127:128], v[125:126]
	buffer_load_dword v136, off, s[0:3], 0 offset:348
	buffer_load_dword v141, off, s[0:3], 0 offset:368
	;; [unrolled: 1-line block ×7, first 2 shown]
	s_waitcnt vmcnt(23) lgkmcnt(0)
	v_fma_f64 v[125:126], v[137:138], v[129:130], v[125:126]
	s_waitcnt vmcnt(18)
	v_fma_f64 v[137:138], v[139:140], v[131:132], v[125:126]
	ds_read_b128 v[125:128], v124 offset:784
	ds_read_b128 v[129:132], v124 offset:800
	buffer_load_dword v142, off, s[0:3], 0 offset:372
	s_waitcnt vmcnt(18) lgkmcnt(1)
	v_fma_f64 v[125:126], v[153:154], v[125:126], v[137:138]
	s_waitcnt vmcnt(17)
	v_fma_f64 v[125:126], v[151:152], v[127:128], v[125:126]
	buffer_load_dword v138, off, s[0:3], 0 offset:380
	buffer_load_dword v139, off, s[0:3], 0 offset:400
	;; [unrolled: 1-line block ×7, first 2 shown]
	s_waitcnt vmcnt(23) lgkmcnt(0)
	v_fma_f64 v[125:126], v[145:146], v[129:130], v[125:126]
	s_waitcnt vmcnt(18)
	v_fma_f64 v[133:134], v[133:134], v[131:132], v[125:126]
	ds_read_b128 v[125:128], v124 offset:816
	ds_read_b128 v[129:132], v124 offset:832
	buffer_load_dword v140, off, s[0:3], 0 offset:404
	s_waitcnt vmcnt(18) lgkmcnt(1)
	v_fma_f64 v[125:126], v[157:158], v[125:126], v[133:134]
	s_waitcnt vmcnt(17)
	v_fma_f64 v[125:126], v[155:156], v[127:128], v[125:126]
	buffer_load_dword v134, off, s[0:3], 0 offset:412
	buffer_load_dword v145, off, s[0:3], 0 offset:432
	;; [unrolled: 1-line block ×8, first 2 shown]
	s_waitcnt vmcnt(24) lgkmcnt(0)
	v_fma_f64 v[125:126], v[147:148], v[129:130], v[125:126]
	s_waitcnt vmcnt(19)
	v_fma_f64 v[135:136], v[135:136], v[131:132], v[125:126]
	ds_read_b128 v[125:128], v124 offset:848
	ds_read_b128 v[129:132], v124 offset:864
	s_waitcnt vmcnt(18) lgkmcnt(1)
	v_fma_f64 v[125:126], v[149:150], v[125:126], v[135:136]
	s_waitcnt vmcnt(17)
	v_fma_f64 v[125:126], v[143:144], v[127:128], v[125:126]
	buffer_load_dword v136, off, s[0:3], 0 offset:444
	buffer_load_dword v143, off, s[0:3], 0 offset:464
	;; [unrolled: 1-line block ×7, first 2 shown]
	s_waitcnt vmcnt(23) lgkmcnt(0)
	v_fma_f64 v[125:126], v[141:142], v[129:130], v[125:126]
	s_waitcnt vmcnt(18)
	v_fma_f64 v[137:138], v[137:138], v[131:132], v[125:126]
	ds_read_b128 v[125:128], v124 offset:880
	ds_read_b128 v[129:132], v124 offset:896
	buffer_load_dword v144, off, s[0:3], 0 offset:468
	s_waitcnt vmcnt(18) lgkmcnt(1)
	v_fma_f64 v[125:126], v[153:154], v[125:126], v[137:138]
	buffer_load_dword v138, off, s[0:3], 0 offset:476
	buffer_load_dword v141, off, s[0:3], 0 offset:480
	;; [unrolled: 1-line block ×4, first 2 shown]
	s_waitcnt vmcnt(21)
	v_fma_f64 v[125:126], v[151:152], v[127:128], v[125:126]
	s_waitcnt vmcnt(20) lgkmcnt(0)
	v_fma_f64 v[125:126], v[139:140], v[129:130], v[125:126]
	buffer_load_dword v139, off, s[0:3], 0 offset:24
	buffer_load_dword v140, off, s[0:3], 0 offset:28
	s_waitcnt vmcnt(17)
	v_fma_f64 v[133:134], v[133:134], v[131:132], v[125:126]
	ds_read_b128 v[125:128], v124 offset:912
	ds_read_b128 v[129:132], v124 offset:928
	s_waitcnt vmcnt(16) lgkmcnt(1)
	v_fma_f64 v[125:126], v[157:158], v[125:126], v[133:134]
	s_waitcnt vmcnt(15)
	v_fma_f64 v[125:126], v[155:156], v[127:128], v[125:126]
	s_waitcnt vmcnt(14) lgkmcnt(0)
	v_fma_f64 v[125:126], v[145:146], v[129:130], v[125:126]
	s_waitcnt vmcnt(9)
	v_fma_f64 v[133:134], v[135:136], v[131:132], v[125:126]
	ds_read_b128 v[125:128], v124 offset:944
	ds_read_b128 v[129:132], v124 offset:960
	s_waitcnt vmcnt(8) lgkmcnt(1)
	v_fma_f64 v[125:126], v[149:150], v[125:126], v[133:134]
	s_waitcnt vmcnt(7)
	v_fma_f64 v[125:126], v[147:148], v[127:128], v[125:126]
	ds_read_b64 v[127:128], v124 offset:976
	s_waitcnt vmcnt(6) lgkmcnt(1)
	v_fma_f64 v[125:126], v[143:144], v[129:130], v[125:126]
	s_waitcnt vmcnt(3)
	v_fma_f64 v[125:126], v[137:138], v[131:132], v[125:126]
	s_waitcnt vmcnt(2) lgkmcnt(0)
	v_fma_f64 v[125:126], v[141:142], v[127:128], v[125:126]
	s_waitcnt vmcnt(0)
	v_add_f64 v[125:126], v[139:140], -v[125:126]
	buffer_store_dword v126, off, s[0:3], 0 offset:28
	buffer_store_dword v125, off, s[0:3], 0 offset:24
	s_and_saveexec_b64 s[4:5], vcc
	s_cbranch_execz .LBB60_369
; %bb.368:
	buffer_load_dword v125, off, s[0:3], 0 offset:16
	buffer_load_dword v126, off, s[0:3], 0 offset:20
	s_waitcnt vmcnt(0)
	ds_write_b64 v123, v[125:126]
	buffer_store_dword v124, off, s[0:3], 0 offset:16
	buffer_store_dword v124, off, s[0:3], 0 offset:20
.LBB60_369:
	s_or_b64 exec, exec, s[4:5]
	s_waitcnt lgkmcnt(0)
	; wave barrier
	buffer_load_dword v133, off, s[0:3], 0 offset:24
	buffer_load_dword v134, off, s[0:3], 0 offset:28
	;; [unrolled: 1-line block ×21, first 2 shown]
	ds_read2_b64 v[125:128], v124 offset0:65 offset1:66
	ds_read2_b64 v[129:132], v124 offset0:67 offset1:68
	buffer_load_dword v150, off, s[0:3], 0 offset:108
	v_cmp_lt_u32_e32 vcc, 1, v0
	s_waitcnt vmcnt(20) lgkmcnt(1)
	v_fma_f64 v[125:126], v[133:134], v[125:126], 0
	s_waitcnt vmcnt(18)
	v_fma_f64 v[125:126], v[135:136], v[127:128], v[125:126]
	buffer_load_dword v134, off, s[0:3], 0 offset:116
	buffer_load_dword v135, off, s[0:3], 0 offset:136
	;; [unrolled: 1-line block ×7, first 2 shown]
	s_waitcnt vmcnt(23) lgkmcnt(0)
	v_fma_f64 v[125:126], v[137:138], v[129:130], v[125:126]
	s_waitcnt vmcnt(21)
	v_fma_f64 v[136:137], v[139:140], v[131:132], v[125:126]
	ds_read2_b64 v[125:128], v124 offset0:69 offset1:70
	ds_read2_b64 v[129:132], v124 offset0:71 offset1:72
	s_waitcnt vmcnt(19) lgkmcnt(1)
	v_fma_f64 v[125:126], v[141:142], v[125:126], v[136:137]
	buffer_load_dword v136, off, s[0:3], 0 offset:140
	s_waitcnt vmcnt(18)
	v_fma_f64 v[125:126], v[143:144], v[127:128], v[125:126]
	buffer_load_dword v138, off, s[0:3], 0 offset:148
	buffer_load_dword v139, off, s[0:3], 0 offset:168
	;; [unrolled: 1-line block ×8, first 2 shown]
	s_waitcnt vmcnt(24) lgkmcnt(0)
	v_fma_f64 v[125:126], v[145:146], v[129:130], v[125:126]
	s_waitcnt vmcnt(19)
	v_fma_f64 v[145:146], v[147:148], v[131:132], v[125:126]
	ds_read2_b64 v[125:128], v124 offset0:73 offset1:74
	ds_read2_b64 v[129:132], v124 offset0:75 offset1:76
	s_waitcnt vmcnt(18) lgkmcnt(1)
	v_fma_f64 v[125:126], v[153:154], v[125:126], v[145:146]
	s_waitcnt vmcnt(17)
	v_fma_f64 v[125:126], v[151:152], v[127:128], v[125:126]
	buffer_load_dword v146, off, s[0:3], 0 offset:180
	buffer_load_dword v147, off, s[0:3], 0 offset:200
	;; [unrolled: 1-line block ×7, first 2 shown]
	s_waitcnt vmcnt(23) lgkmcnt(0)
	v_fma_f64 v[125:126], v[149:150], v[129:130], v[125:126]
	s_waitcnt vmcnt(18)
	v_fma_f64 v[133:134], v[133:134], v[131:132], v[125:126]
	ds_read2_b64 v[125:128], v124 offset0:77 offset1:78
	ds_read2_b64 v[129:132], v124 offset0:79 offset1:80
	buffer_load_dword v148, off, s[0:3], 0 offset:204
	s_waitcnt vmcnt(18) lgkmcnt(1)
	v_fma_f64 v[125:126], v[157:158], v[125:126], v[133:134]
	s_waitcnt vmcnt(17)
	v_fma_f64 v[125:126], v[155:156], v[127:128], v[125:126]
	buffer_load_dword v134, off, s[0:3], 0 offset:212
	buffer_load_dword v149, off, s[0:3], 0 offset:232
	;; [unrolled: 1-line block ×8, first 2 shown]
	s_waitcnt vmcnt(24) lgkmcnt(0)
	v_fma_f64 v[125:126], v[135:136], v[129:130], v[125:126]
	s_waitcnt vmcnt(19)
	v_fma_f64 v[135:136], v[137:138], v[131:132], v[125:126]
	ds_read2_b64 v[125:128], v124 offset0:81 offset1:82
	ds_read2_b64 v[129:132], v124 offset0:83 offset1:84
	s_waitcnt vmcnt(18) lgkmcnt(1)
	v_fma_f64 v[125:126], v[143:144], v[125:126], v[135:136]
	s_waitcnt vmcnt(17)
	v_fma_f64 v[125:126], v[141:142], v[127:128], v[125:126]
	buffer_load_dword v136, off, s[0:3], 0 offset:244
	buffer_load_dword v137, off, s[0:3], 0 offset:264
	;; [unrolled: 1-line block ×7, first 2 shown]
	s_waitcnt vmcnt(23) lgkmcnt(0)
	v_fma_f64 v[125:126], v[139:140], v[129:130], v[125:126]
	s_waitcnt vmcnt(18)
	v_fma_f64 v[138:139], v[145:146], v[131:132], v[125:126]
	ds_read2_b64 v[125:128], v124 offset0:85 offset1:86
	ds_read2_b64 v[129:132], v124 offset0:87 offset1:88
	s_waitcnt vmcnt(17) lgkmcnt(1)
	v_fma_f64 v[125:126], v[153:154], v[125:126], v[138:139]
	buffer_load_dword v138, off, s[0:3], 0 offset:268
	s_waitcnt vmcnt(17)
	v_fma_f64 v[125:126], v[151:152], v[127:128], v[125:126]
	buffer_load_dword v140, off, s[0:3], 0 offset:276
	buffer_load_dword v145, off, s[0:3], 0 offset:296
	;; [unrolled: 1-line block ×7, first 2 shown]
	s_waitcnt vmcnt(23) lgkmcnt(0)
	v_fma_f64 v[125:126], v[147:148], v[129:130], v[125:126]
	s_waitcnt vmcnt(18)
	v_fma_f64 v[133:134], v[133:134], v[131:132], v[125:126]
	ds_read2_b64 v[125:128], v124 offset0:89 offset1:90
	ds_read2_b64 v[129:132], v124 offset0:91 offset1:92
	buffer_load_dword v146, off, s[0:3], 0 offset:300
	s_waitcnt vmcnt(18) lgkmcnt(1)
	v_fma_f64 v[125:126], v[157:158], v[125:126], v[133:134]
	s_waitcnt vmcnt(17)
	v_fma_f64 v[125:126], v[155:156], v[127:128], v[125:126]
	buffer_load_dword v134, off, s[0:3], 0 offset:308
	buffer_load_dword v147, off, s[0:3], 0 offset:328
	buffer_load_dword v155, off, s[0:3], 0 offset:320
	buffer_load_dword v157, off, s[0:3], 0 offset:312
	buffer_load_dword v133, off, s[0:3], 0 offset:304
	buffer_load_dword v158, off, s[0:3], 0 offset:316
	buffer_load_dword v156, off, s[0:3], 0 offset:324
	buffer_load_dword v148, off, s[0:3], 0 offset:332
	s_waitcnt vmcnt(24) lgkmcnt(0)
	v_fma_f64 v[125:126], v[149:150], v[129:130], v[125:126]
	s_waitcnt vmcnt(19)
	v_fma_f64 v[135:136], v[135:136], v[131:132], v[125:126]
	ds_read2_b64 v[125:128], v124 offset0:93 offset1:94
	ds_read2_b64 v[129:132], v124 offset0:95 offset1:96
	s_waitcnt vmcnt(18) lgkmcnt(1)
	v_fma_f64 v[125:126], v[143:144], v[125:126], v[135:136]
	s_waitcnt vmcnt(17)
	v_fma_f64 v[125:126], v[141:142], v[127:128], v[125:126]
	buffer_load_dword v136, off, s[0:3], 0 offset:340
	buffer_load_dword v141, off, s[0:3], 0 offset:360
	;; [unrolled: 1-line block ×8, first 2 shown]
	s_waitcnt vmcnt(24) lgkmcnt(0)
	v_fma_f64 v[125:126], v[137:138], v[129:130], v[125:126]
	s_waitcnt vmcnt(19)
	v_fma_f64 v[137:138], v[139:140], v[131:132], v[125:126]
	ds_read2_b64 v[125:128], v124 offset0:97 offset1:98
	ds_read2_b64 v[129:132], v124 offset0:99 offset1:100
	s_waitcnt vmcnt(18) lgkmcnt(1)
	v_fma_f64 v[125:126], v[153:154], v[125:126], v[137:138]
	s_waitcnt vmcnt(17)
	v_fma_f64 v[125:126], v[151:152], v[127:128], v[125:126]
	buffer_load_dword v138, off, s[0:3], 0 offset:372
	buffer_load_dword v139, off, s[0:3], 0 offset:392
	;; [unrolled: 1-line block ×7, first 2 shown]
	s_waitcnt vmcnt(23) lgkmcnt(0)
	v_fma_f64 v[125:126], v[145:146], v[129:130], v[125:126]
	s_waitcnt vmcnt(18)
	v_fma_f64 v[133:134], v[133:134], v[131:132], v[125:126]
	ds_read2_b64 v[125:128], v124 offset0:101 offset1:102
	ds_read2_b64 v[129:132], v124 offset0:103 offset1:104
	buffer_load_dword v140, off, s[0:3], 0 offset:396
	s_waitcnt vmcnt(18) lgkmcnt(1)
	v_fma_f64 v[125:126], v[157:158], v[125:126], v[133:134]
	s_waitcnt vmcnt(17)
	v_fma_f64 v[125:126], v[155:156], v[127:128], v[125:126]
	buffer_load_dword v134, off, s[0:3], 0 offset:404
	buffer_load_dword v145, off, s[0:3], 0 offset:424
	;; [unrolled: 1-line block ×8, first 2 shown]
	s_waitcnt vmcnt(24) lgkmcnt(0)
	v_fma_f64 v[125:126], v[147:148], v[129:130], v[125:126]
	s_waitcnt vmcnt(19)
	v_fma_f64 v[135:136], v[135:136], v[131:132], v[125:126]
	ds_read2_b64 v[125:128], v124 offset0:105 offset1:106
	ds_read2_b64 v[129:132], v124 offset0:107 offset1:108
	s_waitcnt vmcnt(18) lgkmcnt(1)
	v_fma_f64 v[125:126], v[149:150], v[125:126], v[135:136]
	s_waitcnt vmcnt(17)
	v_fma_f64 v[125:126], v[143:144], v[127:128], v[125:126]
	buffer_load_dword v136, off, s[0:3], 0 offset:436
	buffer_load_dword v143, off, s[0:3], 0 offset:456
	;; [unrolled: 1-line block ×8, first 2 shown]
	s_waitcnt vmcnt(24) lgkmcnt(0)
	v_fma_f64 v[125:126], v[141:142], v[129:130], v[125:126]
	s_waitcnt vmcnt(19)
	v_fma_f64 v[137:138], v[137:138], v[131:132], v[125:126]
	ds_read2_b64 v[125:128], v124 offset0:109 offset1:110
	ds_read2_b64 v[129:132], v124 offset0:111 offset1:112
	s_waitcnt vmcnt(18) lgkmcnt(1)
	v_fma_f64 v[125:126], v[153:154], v[125:126], v[137:138]
	s_waitcnt vmcnt(17)
	v_fma_f64 v[125:126], v[151:152], v[127:128], v[125:126]
	buffer_load_dword v138, off, s[0:3], 0 offset:468
	buffer_load_dword v141, off, s[0:3], 0 offset:480
	;; [unrolled: 1-line block ×6, first 2 shown]
	s_waitcnt vmcnt(22) lgkmcnt(0)
	v_fma_f64 v[125:126], v[139:140], v[129:130], v[125:126]
	s_waitcnt vmcnt(17)
	v_fma_f64 v[133:134], v[133:134], v[131:132], v[125:126]
	ds_read2_b64 v[125:128], v124 offset0:113 offset1:114
	buffer_load_dword v139, off, s[0:3], 0 offset:16
	buffer_load_dword v140, off, s[0:3], 0 offset:20
	ds_read2_b64 v[129:132], v124 offset0:115 offset1:116
	s_waitcnt vmcnt(18) lgkmcnt(1)
	v_fma_f64 v[125:126], v[157:158], v[125:126], v[133:134]
	s_waitcnt vmcnt(17)
	v_fma_f64 v[125:126], v[155:156], v[127:128], v[125:126]
	s_waitcnt vmcnt(16) lgkmcnt(0)
	v_fma_f64 v[125:126], v[145:146], v[129:130], v[125:126]
	s_waitcnt vmcnt(11)
	v_fma_f64 v[133:134], v[135:136], v[131:132], v[125:126]
	ds_read2_b64 v[125:128], v124 offset0:117 offset1:118
	ds_read2_b64 v[129:132], v124 offset0:119 offset1:120
	s_waitcnt vmcnt(10) lgkmcnt(1)
	v_fma_f64 v[125:126], v[149:150], v[125:126], v[133:134]
	s_waitcnt vmcnt(9)
	v_fma_f64 v[125:126], v[147:148], v[127:128], v[125:126]
	s_waitcnt vmcnt(8) lgkmcnt(0)
	v_fma_f64 v[125:126], v[143:144], v[129:130], v[125:126]
	s_waitcnt vmcnt(4)
	v_fma_f64 v[128:129], v[137:138], v[131:132], v[125:126]
	ds_read2_b64 v[124:127], v124 offset0:121 offset1:122
	s_waitcnt vmcnt(3) lgkmcnt(0)
	v_fma_f64 v[124:125], v[151:152], v[124:125], v[128:129]
	s_waitcnt vmcnt(2)
	v_fma_f64 v[124:125], v[141:142], v[126:127], v[124:125]
	s_waitcnt vmcnt(0)
	v_add_f64 v[124:125], v[139:140], -v[124:125]
	buffer_store_dword v125, off, s[0:3], 0 offset:20
	buffer_store_dword v124, off, s[0:3], 0 offset:16
	s_and_saveexec_b64 s[4:5], vcc
	s_cbranch_execz .LBB60_371
; %bb.370:
	buffer_load_dword v124, off, s[0:3], 0 offset:8
	buffer_load_dword v125, off, s[0:3], 0 offset:12
	v_mov_b32_e32 v126, 0
	buffer_store_dword v126, off, s[0:3], 0 offset:8
	buffer_store_dword v126, off, s[0:3], 0 offset:12
	s_waitcnt vmcnt(2)
	ds_write_b64 v123, v[124:125]
.LBB60_371:
	s_or_b64 exec, exec, s[4:5]
	s_waitcnt lgkmcnt(0)
	; wave barrier
	buffer_load_dword v133, off, s[0:3], 0 offset:16
	buffer_load_dword v134, off, s[0:3], 0 offset:20
	;; [unrolled: 1-line block ×21, first 2 shown]
	v_mov_b32_e32 v124, 0
	ds_read_b128 v[125:128], v124 offset:512
	ds_read_b128 v[129:132], v124 offset:528
	buffer_load_dword v150, off, s[0:3], 0 offset:100
	v_cmp_ne_u32_e32 vcc, 0, v0
	s_waitcnt vmcnt(20) lgkmcnt(1)
	v_fma_f64 v[125:126], v[133:134], v[125:126], 0
	s_waitcnt vmcnt(18)
	v_fma_f64 v[125:126], v[135:136], v[127:128], v[125:126]
	buffer_load_dword v134, off, s[0:3], 0 offset:108
	buffer_load_dword v135, off, s[0:3], 0 offset:128
	;; [unrolled: 1-line block ×7, first 2 shown]
	s_waitcnt vmcnt(23) lgkmcnt(0)
	v_fma_f64 v[125:126], v[137:138], v[129:130], v[125:126]
	s_waitcnt vmcnt(21)
	v_fma_f64 v[136:137], v[139:140], v[131:132], v[125:126]
	ds_read_b128 v[125:128], v124 offset:544
	ds_read_b128 v[129:132], v124 offset:560
	s_waitcnt vmcnt(19) lgkmcnt(1)
	v_fma_f64 v[125:126], v[141:142], v[125:126], v[136:137]
	buffer_load_dword v136, off, s[0:3], 0 offset:132
	s_waitcnt vmcnt(18)
	v_fma_f64 v[125:126], v[143:144], v[127:128], v[125:126]
	buffer_load_dword v138, off, s[0:3], 0 offset:140
	buffer_load_dword v139, off, s[0:3], 0 offset:160
	;; [unrolled: 1-line block ×8, first 2 shown]
	s_waitcnt vmcnt(24) lgkmcnt(0)
	v_fma_f64 v[125:126], v[145:146], v[129:130], v[125:126]
	s_waitcnt vmcnt(19)
	v_fma_f64 v[145:146], v[147:148], v[131:132], v[125:126]
	ds_read_b128 v[125:128], v124 offset:576
	ds_read_b128 v[129:132], v124 offset:592
	s_waitcnt vmcnt(18) lgkmcnt(1)
	v_fma_f64 v[125:126], v[153:154], v[125:126], v[145:146]
	s_waitcnt vmcnt(17)
	v_fma_f64 v[125:126], v[151:152], v[127:128], v[125:126]
	buffer_load_dword v146, off, s[0:3], 0 offset:172
	buffer_load_dword v147, off, s[0:3], 0 offset:192
	buffer_load_dword v151, off, s[0:3], 0 offset:184
	buffer_load_dword v153, off, s[0:3], 0 offset:176
	buffer_load_dword v145, off, s[0:3], 0 offset:168
	buffer_load_dword v154, off, s[0:3], 0 offset:180
	buffer_load_dword v152, off, s[0:3], 0 offset:188
	s_waitcnt vmcnt(23) lgkmcnt(0)
	v_fma_f64 v[125:126], v[149:150], v[129:130], v[125:126]
	s_waitcnt vmcnt(18)
	v_fma_f64 v[133:134], v[133:134], v[131:132], v[125:126]
	ds_read_b128 v[125:128], v124 offset:608
	ds_read_b128 v[129:132], v124 offset:624
	buffer_load_dword v148, off, s[0:3], 0 offset:196
	s_waitcnt vmcnt(18) lgkmcnt(1)
	v_fma_f64 v[125:126], v[157:158], v[125:126], v[133:134]
	s_waitcnt vmcnt(17)
	v_fma_f64 v[125:126], v[155:156], v[127:128], v[125:126]
	buffer_load_dword v134, off, s[0:3], 0 offset:204
	buffer_load_dword v149, off, s[0:3], 0 offset:224
	;; [unrolled: 1-line block ×8, first 2 shown]
	s_waitcnt vmcnt(24) lgkmcnt(0)
	v_fma_f64 v[125:126], v[135:136], v[129:130], v[125:126]
	s_waitcnt vmcnt(19)
	v_fma_f64 v[135:136], v[137:138], v[131:132], v[125:126]
	ds_read_b128 v[125:128], v124 offset:640
	ds_read_b128 v[129:132], v124 offset:656
	s_waitcnt vmcnt(18) lgkmcnt(1)
	v_fma_f64 v[125:126], v[143:144], v[125:126], v[135:136]
	s_waitcnt vmcnt(17)
	v_fma_f64 v[125:126], v[141:142], v[127:128], v[125:126]
	buffer_load_dword v136, off, s[0:3], 0 offset:236
	buffer_load_dword v137, off, s[0:3], 0 offset:256
	;; [unrolled: 1-line block ×7, first 2 shown]
	s_waitcnt vmcnt(23) lgkmcnt(0)
	v_fma_f64 v[125:126], v[139:140], v[129:130], v[125:126]
	s_waitcnt vmcnt(18)
	v_fma_f64 v[138:139], v[145:146], v[131:132], v[125:126]
	ds_read_b128 v[125:128], v124 offset:672
	ds_read_b128 v[129:132], v124 offset:688
	s_waitcnt vmcnt(17) lgkmcnt(1)
	v_fma_f64 v[125:126], v[153:154], v[125:126], v[138:139]
	buffer_load_dword v138, off, s[0:3], 0 offset:260
	s_waitcnt vmcnt(17)
	v_fma_f64 v[125:126], v[151:152], v[127:128], v[125:126]
	buffer_load_dword v140, off, s[0:3], 0 offset:268
	buffer_load_dword v145, off, s[0:3], 0 offset:288
	;; [unrolled: 1-line block ×7, first 2 shown]
	s_waitcnt vmcnt(23) lgkmcnt(0)
	v_fma_f64 v[125:126], v[147:148], v[129:130], v[125:126]
	s_waitcnt vmcnt(18)
	v_fma_f64 v[133:134], v[133:134], v[131:132], v[125:126]
	ds_read_b128 v[125:128], v124 offset:704
	ds_read_b128 v[129:132], v124 offset:720
	buffer_load_dword v146, off, s[0:3], 0 offset:292
	s_waitcnt vmcnt(18) lgkmcnt(1)
	v_fma_f64 v[125:126], v[157:158], v[125:126], v[133:134]
	s_waitcnt vmcnt(17)
	v_fma_f64 v[125:126], v[155:156], v[127:128], v[125:126]
	buffer_load_dword v134, off, s[0:3], 0 offset:300
	buffer_load_dword v147, off, s[0:3], 0 offset:320
	;; [unrolled: 1-line block ×8, first 2 shown]
	s_waitcnt vmcnt(24) lgkmcnt(0)
	v_fma_f64 v[125:126], v[149:150], v[129:130], v[125:126]
	s_waitcnt vmcnt(19)
	v_fma_f64 v[135:136], v[135:136], v[131:132], v[125:126]
	ds_read_b128 v[125:128], v124 offset:736
	ds_read_b128 v[129:132], v124 offset:752
	s_waitcnt vmcnt(18) lgkmcnt(1)
	v_fma_f64 v[125:126], v[143:144], v[125:126], v[135:136]
	s_waitcnt vmcnt(17)
	v_fma_f64 v[125:126], v[141:142], v[127:128], v[125:126]
	buffer_load_dword v136, off, s[0:3], 0 offset:332
	buffer_load_dword v141, off, s[0:3], 0 offset:352
	;; [unrolled: 1-line block ×8, first 2 shown]
	s_waitcnt vmcnt(24) lgkmcnt(0)
	v_fma_f64 v[125:126], v[137:138], v[129:130], v[125:126]
	s_waitcnt vmcnt(19)
	v_fma_f64 v[137:138], v[139:140], v[131:132], v[125:126]
	ds_read_b128 v[125:128], v124 offset:768
	ds_read_b128 v[129:132], v124 offset:784
	s_waitcnt vmcnt(18) lgkmcnt(1)
	v_fma_f64 v[125:126], v[153:154], v[125:126], v[137:138]
	s_waitcnt vmcnt(17)
	v_fma_f64 v[125:126], v[151:152], v[127:128], v[125:126]
	buffer_load_dword v138, off, s[0:3], 0 offset:364
	buffer_load_dword v139, off, s[0:3], 0 offset:384
	;; [unrolled: 1-line block ×7, first 2 shown]
	s_waitcnt vmcnt(23) lgkmcnt(0)
	v_fma_f64 v[125:126], v[145:146], v[129:130], v[125:126]
	s_waitcnt vmcnt(18)
	v_fma_f64 v[133:134], v[133:134], v[131:132], v[125:126]
	ds_read_b128 v[125:128], v124 offset:800
	ds_read_b128 v[129:132], v124 offset:816
	buffer_load_dword v140, off, s[0:3], 0 offset:388
	s_waitcnt vmcnt(18) lgkmcnt(1)
	v_fma_f64 v[125:126], v[157:158], v[125:126], v[133:134]
	s_waitcnt vmcnt(17)
	v_fma_f64 v[125:126], v[155:156], v[127:128], v[125:126]
	buffer_load_dword v134, off, s[0:3], 0 offset:396
	buffer_load_dword v145, off, s[0:3], 0 offset:416
	buffer_load_dword v155, off, s[0:3], 0 offset:408
	buffer_load_dword v157, off, s[0:3], 0 offset:400
	buffer_load_dword v133, off, s[0:3], 0 offset:392
	buffer_load_dword v158, off, s[0:3], 0 offset:404
	buffer_load_dword v156, off, s[0:3], 0 offset:412
	buffer_load_dword v146, off, s[0:3], 0 offset:420
	s_waitcnt vmcnt(24) lgkmcnt(0)
	v_fma_f64 v[125:126], v[147:148], v[129:130], v[125:126]
	s_waitcnt vmcnt(19)
	v_fma_f64 v[135:136], v[135:136], v[131:132], v[125:126]
	ds_read_b128 v[125:128], v124 offset:832
	ds_read_b128 v[129:132], v124 offset:848
	s_waitcnt vmcnt(18) lgkmcnt(1)
	v_fma_f64 v[125:126], v[149:150], v[125:126], v[135:136]
	s_waitcnt vmcnt(17)
	v_fma_f64 v[125:126], v[143:144], v[127:128], v[125:126]
	buffer_load_dword v136, off, s[0:3], 0 offset:428
	buffer_load_dword v143, off, s[0:3], 0 offset:448
	buffer_load_dword v147, off, s[0:3], 0 offset:440
	buffer_load_dword v149, off, s[0:3], 0 offset:432
	buffer_load_dword v135, off, s[0:3], 0 offset:424
	buffer_load_dword v150, off, s[0:3], 0 offset:436
	buffer_load_dword v148, off, s[0:3], 0 offset:444
	buffer_load_dword v144, off, s[0:3], 0 offset:452
	s_waitcnt vmcnt(24) lgkmcnt(0)
	v_fma_f64 v[125:126], v[141:142], v[129:130], v[125:126]
	s_waitcnt vmcnt(19)
	v_fma_f64 v[137:138], v[137:138], v[131:132], v[125:126]
	ds_read_b128 v[125:128], v124 offset:864
	ds_read_b128 v[129:132], v124 offset:880
	;; [unrolled: 18-line block ×3, first 2 shown]
	s_waitcnt vmcnt(18) lgkmcnt(1)
	v_fma_f64 v[125:126], v[157:158], v[125:126], v[133:134]
	buffer_load_dword v133, off, s[0:3], 0 offset:8
	buffer_load_dword v134, off, s[0:3], 0 offset:12
	s_waitcnt vmcnt(19)
	v_fma_f64 v[125:126], v[155:156], v[127:128], v[125:126]
	s_waitcnt vmcnt(18) lgkmcnt(0)
	v_fma_f64 v[125:126], v[145:146], v[129:130], v[125:126]
	s_waitcnt vmcnt(13)
	v_fma_f64 v[135:136], v[135:136], v[131:132], v[125:126]
	ds_read_b128 v[125:128], v124 offset:928
	ds_read_b128 v[129:132], v124 offset:944
	s_waitcnt vmcnt(12) lgkmcnt(1)
	v_fma_f64 v[125:126], v[149:150], v[125:126], v[135:136]
	s_waitcnt vmcnt(11)
	v_fma_f64 v[125:126], v[147:148], v[127:128], v[125:126]
	s_waitcnt vmcnt(10) lgkmcnt(0)
	v_fma_f64 v[125:126], v[143:144], v[129:130], v[125:126]
	s_waitcnt vmcnt(5)
	v_fma_f64 v[129:130], v[137:138], v[131:132], v[125:126]
	ds_read_b128 v[125:128], v124 offset:960
	ds_read_b64 v[131:132], v124 offset:976
	s_waitcnt vmcnt(4) lgkmcnt(1)
	v_fma_f64 v[125:126], v[153:154], v[125:126], v[129:130]
	s_waitcnt vmcnt(3)
	v_fma_f64 v[125:126], v[151:152], v[127:128], v[125:126]
	s_waitcnt vmcnt(2) lgkmcnt(0)
	v_fma_f64 v[125:126], v[141:142], v[131:132], v[125:126]
	s_waitcnt vmcnt(0)
	v_add_f64 v[125:126], v[133:134], -v[125:126]
	buffer_store_dword v126, off, s[0:3], 0 offset:12
	buffer_store_dword v125, off, s[0:3], 0 offset:8
	s_and_saveexec_b64 s[4:5], vcc
	s_cbranch_execz .LBB60_373
; %bb.372:
	buffer_load_dword v125, off, s[0:3], 0
	buffer_load_dword v126, off, s[0:3], 0 offset:4
	s_waitcnt vmcnt(0)
	ds_write_b64 v123, v[125:126]
	buffer_store_dword v124, off, s[0:3], 0
	buffer_store_dword v124, off, s[0:3], 0 offset:4
.LBB60_373:
	s_or_b64 exec, exec, s[4:5]
	s_waitcnt lgkmcnt(0)
	; wave barrier
	buffer_load_dword v133, off, s[0:3], 0 offset:8
	buffer_load_dword v134, off, s[0:3], 0 offset:12
	;; [unrolled: 1-line block ×21, first 2 shown]
	ds_read2_b64 v[125:128], v124 offset0:63 offset1:64
	ds_read2_b64 v[129:132], v124 offset0:65 offset1:66
	buffer_load_dword v150, off, s[0:3], 0 offset:92
	s_and_b64 vcc, exec, s[22:23]
	s_waitcnt vmcnt(20) lgkmcnt(1)
	v_fma_f64 v[125:126], v[133:134], v[125:126], 0
	s_waitcnt vmcnt(18)
	v_fma_f64 v[125:126], v[135:136], v[127:128], v[125:126]
	buffer_load_dword v134, off, s[0:3], 0 offset:100
	buffer_load_dword v135, off, s[0:3], 0 offset:120
	buffer_load_dword v155, off, s[0:3], 0 offset:112
	buffer_load_dword v157, off, s[0:3], 0 offset:104
	buffer_load_dword v133, off, s[0:3], 0 offset:96
	buffer_load_dword v158, off, s[0:3], 0 offset:108
	buffer_load_dword v156, off, s[0:3], 0 offset:116
	s_waitcnt vmcnt(23) lgkmcnt(0)
	v_fma_f64 v[125:126], v[137:138], v[129:130], v[125:126]
	s_waitcnt vmcnt(21)
	v_fma_f64 v[136:137], v[139:140], v[131:132], v[125:126]
	ds_read2_b64 v[125:128], v124 offset0:67 offset1:68
	ds_read2_b64 v[129:132], v124 offset0:69 offset1:70
	s_waitcnt vmcnt(19) lgkmcnt(1)
	v_fma_f64 v[125:126], v[141:142], v[125:126], v[136:137]
	buffer_load_dword v136, off, s[0:3], 0 offset:124
	s_waitcnt vmcnt(18)
	v_fma_f64 v[125:126], v[143:144], v[127:128], v[125:126]
	buffer_load_dword v138, off, s[0:3], 0 offset:132
	buffer_load_dword v139, off, s[0:3], 0 offset:152
	;; [unrolled: 1-line block ×8, first 2 shown]
	s_waitcnt vmcnt(24) lgkmcnt(0)
	v_fma_f64 v[125:126], v[145:146], v[129:130], v[125:126]
	s_waitcnt vmcnt(19)
	v_fma_f64 v[145:146], v[147:148], v[131:132], v[125:126]
	ds_read2_b64 v[125:128], v124 offset0:71 offset1:72
	ds_read2_b64 v[129:132], v124 offset0:73 offset1:74
	s_waitcnt vmcnt(18) lgkmcnt(1)
	v_fma_f64 v[125:126], v[153:154], v[125:126], v[145:146]
	s_waitcnt vmcnt(17)
	v_fma_f64 v[125:126], v[151:152], v[127:128], v[125:126]
	buffer_load_dword v146, off, s[0:3], 0 offset:164
	buffer_load_dword v147, off, s[0:3], 0 offset:184
	;; [unrolled: 1-line block ×7, first 2 shown]
	s_waitcnt vmcnt(23) lgkmcnt(0)
	v_fma_f64 v[125:126], v[149:150], v[129:130], v[125:126]
	s_waitcnt vmcnt(18)
	v_fma_f64 v[133:134], v[133:134], v[131:132], v[125:126]
	ds_read2_b64 v[125:128], v124 offset0:75 offset1:76
	ds_read2_b64 v[129:132], v124 offset0:77 offset1:78
	buffer_load_dword v148, off, s[0:3], 0 offset:188
	s_waitcnt vmcnt(18) lgkmcnt(1)
	v_fma_f64 v[125:126], v[157:158], v[125:126], v[133:134]
	s_waitcnt vmcnt(17)
	v_fma_f64 v[125:126], v[155:156], v[127:128], v[125:126]
	buffer_load_dword v134, off, s[0:3], 0 offset:196
	buffer_load_dword v149, off, s[0:3], 0 offset:216
	;; [unrolled: 1-line block ×8, first 2 shown]
	s_waitcnt vmcnt(24) lgkmcnt(0)
	v_fma_f64 v[125:126], v[135:136], v[129:130], v[125:126]
	s_waitcnt vmcnt(19)
	v_fma_f64 v[135:136], v[137:138], v[131:132], v[125:126]
	ds_read2_b64 v[125:128], v124 offset0:79 offset1:80
	ds_read2_b64 v[129:132], v124 offset0:81 offset1:82
	s_waitcnt vmcnt(18) lgkmcnt(1)
	v_fma_f64 v[125:126], v[143:144], v[125:126], v[135:136]
	s_waitcnt vmcnt(17)
	v_fma_f64 v[125:126], v[141:142], v[127:128], v[125:126]
	buffer_load_dword v136, off, s[0:3], 0 offset:228
	buffer_load_dword v137, off, s[0:3], 0 offset:248
	;; [unrolled: 1-line block ×7, first 2 shown]
	s_waitcnt vmcnt(23) lgkmcnt(0)
	v_fma_f64 v[125:126], v[139:140], v[129:130], v[125:126]
	s_waitcnt vmcnt(18)
	v_fma_f64 v[138:139], v[145:146], v[131:132], v[125:126]
	ds_read2_b64 v[125:128], v124 offset0:83 offset1:84
	ds_read2_b64 v[129:132], v124 offset0:85 offset1:86
	s_waitcnt vmcnt(17) lgkmcnt(1)
	v_fma_f64 v[125:126], v[153:154], v[125:126], v[138:139]
	buffer_load_dword v138, off, s[0:3], 0 offset:252
	s_waitcnt vmcnt(17)
	v_fma_f64 v[125:126], v[151:152], v[127:128], v[125:126]
	buffer_load_dword v140, off, s[0:3], 0 offset:260
	buffer_load_dword v145, off, s[0:3], 0 offset:280
	;; [unrolled: 1-line block ×7, first 2 shown]
	s_waitcnt vmcnt(23) lgkmcnt(0)
	v_fma_f64 v[125:126], v[147:148], v[129:130], v[125:126]
	s_waitcnt vmcnt(18)
	v_fma_f64 v[133:134], v[133:134], v[131:132], v[125:126]
	ds_read2_b64 v[125:128], v124 offset0:87 offset1:88
	ds_read2_b64 v[129:132], v124 offset0:89 offset1:90
	buffer_load_dword v146, off, s[0:3], 0 offset:284
	s_waitcnt vmcnt(18) lgkmcnt(1)
	v_fma_f64 v[125:126], v[157:158], v[125:126], v[133:134]
	s_waitcnt vmcnt(17)
	v_fma_f64 v[125:126], v[155:156], v[127:128], v[125:126]
	buffer_load_dword v134, off, s[0:3], 0 offset:292
	buffer_load_dword v147, off, s[0:3], 0 offset:312
	;; [unrolled: 1-line block ×8, first 2 shown]
	s_waitcnt vmcnt(24) lgkmcnt(0)
	v_fma_f64 v[125:126], v[149:150], v[129:130], v[125:126]
	s_waitcnt vmcnt(19)
	v_fma_f64 v[135:136], v[135:136], v[131:132], v[125:126]
	ds_read2_b64 v[125:128], v124 offset0:91 offset1:92
	ds_read2_b64 v[129:132], v124 offset0:93 offset1:94
	s_waitcnt vmcnt(18) lgkmcnt(1)
	v_fma_f64 v[125:126], v[143:144], v[125:126], v[135:136]
	s_waitcnt vmcnt(17)
	v_fma_f64 v[125:126], v[141:142], v[127:128], v[125:126]
	buffer_load_dword v136, off, s[0:3], 0 offset:324
	buffer_load_dword v141, off, s[0:3], 0 offset:344
	;; [unrolled: 1-line block ×8, first 2 shown]
	s_waitcnt vmcnt(24) lgkmcnt(0)
	v_fma_f64 v[125:126], v[137:138], v[129:130], v[125:126]
	s_waitcnt vmcnt(19)
	v_fma_f64 v[137:138], v[139:140], v[131:132], v[125:126]
	ds_read2_b64 v[125:128], v124 offset0:95 offset1:96
	ds_read2_b64 v[129:132], v124 offset0:97 offset1:98
	s_waitcnt vmcnt(18) lgkmcnt(1)
	v_fma_f64 v[125:126], v[153:154], v[125:126], v[137:138]
	s_waitcnt vmcnt(17)
	v_fma_f64 v[125:126], v[151:152], v[127:128], v[125:126]
	buffer_load_dword v138, off, s[0:3], 0 offset:356
	buffer_load_dword v139, off, s[0:3], 0 offset:376
	;; [unrolled: 1-line block ×7, first 2 shown]
	s_waitcnt vmcnt(23) lgkmcnt(0)
	v_fma_f64 v[125:126], v[145:146], v[129:130], v[125:126]
	s_waitcnt vmcnt(18)
	v_fma_f64 v[133:134], v[133:134], v[131:132], v[125:126]
	ds_read2_b64 v[125:128], v124 offset0:99 offset1:100
	ds_read2_b64 v[129:132], v124 offset0:101 offset1:102
	buffer_load_dword v140, off, s[0:3], 0 offset:380
	s_waitcnt vmcnt(18) lgkmcnt(1)
	v_fma_f64 v[125:126], v[157:158], v[125:126], v[133:134]
	s_waitcnt vmcnt(17)
	v_fma_f64 v[125:126], v[155:156], v[127:128], v[125:126]
	buffer_load_dword v134, off, s[0:3], 0 offset:388
	buffer_load_dword v145, off, s[0:3], 0 offset:408
	;; [unrolled: 1-line block ×8, first 2 shown]
	s_waitcnt vmcnt(24) lgkmcnt(0)
	v_fma_f64 v[125:126], v[147:148], v[129:130], v[125:126]
	s_waitcnt vmcnt(19)
	v_fma_f64 v[135:136], v[135:136], v[131:132], v[125:126]
	ds_read2_b64 v[125:128], v124 offset0:103 offset1:104
	ds_read2_b64 v[129:132], v124 offset0:105 offset1:106
	s_waitcnt vmcnt(18) lgkmcnt(1)
	v_fma_f64 v[125:126], v[149:150], v[125:126], v[135:136]
	s_waitcnt vmcnt(17)
	v_fma_f64 v[125:126], v[143:144], v[127:128], v[125:126]
	buffer_load_dword v136, off, s[0:3], 0 offset:420
	buffer_load_dword v143, off, s[0:3], 0 offset:440
	;; [unrolled: 1-line block ×8, first 2 shown]
	s_waitcnt vmcnt(24) lgkmcnt(0)
	v_fma_f64 v[125:126], v[141:142], v[129:130], v[125:126]
	s_waitcnt vmcnt(19)
	v_fma_f64 v[137:138], v[137:138], v[131:132], v[125:126]
	ds_read2_b64 v[125:128], v124 offset0:107 offset1:108
	ds_read2_b64 v[129:132], v124 offset0:109 offset1:110
	s_waitcnt vmcnt(18) lgkmcnt(1)
	v_fma_f64 v[125:126], v[153:154], v[125:126], v[137:138]
	s_waitcnt vmcnt(17)
	v_fma_f64 v[126:127], v[151:152], v[127:128], v[125:126]
	buffer_load_dword v138, off, s[0:3], 0 offset:452
	buffer_load_dword v125, off, s[0:3], 0 offset:472
	;; [unrolled: 1-line block ×7, first 2 shown]
	s_waitcnt vmcnt(23) lgkmcnt(0)
	v_fma_f64 v[126:127], v[139:140], v[129:130], v[126:127]
	s_waitcnt vmcnt(18)
	v_fma_f64 v[139:140], v[133:134], v[131:132], v[126:127]
	ds_read2_b64 v[127:130], v124 offset0:111 offset1:112
	ds_read2_b64 v[131:134], v124 offset0:113 offset1:114
	buffer_load_dword v126, off, s[0:3], 0 offset:476
	s_waitcnt vmcnt(18) lgkmcnt(1)
	v_fma_f64 v[127:128], v[157:158], v[127:128], v[139:140]
	buffer_load_dword v140, off, s[0:3], 0 offset:484
	buffer_load_dword v139, off, s[0:3], 0 offset:480
	buffer_load_dword v153, off, s[0:3], 0
	buffer_load_dword v154, off, s[0:3], 0 offset:4
	s_waitcnt vmcnt(21)
	v_fma_f64 v[127:128], v[155:156], v[129:130], v[127:128]
	s_waitcnt vmcnt(20) lgkmcnt(0)
	v_fma_f64 v[127:128], v[145:146], v[131:132], v[127:128]
	s_waitcnt vmcnt(15)
	v_fma_f64 v[135:136], v[135:136], v[133:134], v[127:128]
	ds_read2_b64 v[127:130], v124 offset0:115 offset1:116
	ds_read2_b64 v[131:134], v124 offset0:117 offset1:118
	s_waitcnt vmcnt(14) lgkmcnt(1)
	v_fma_f64 v[127:128], v[149:150], v[127:128], v[135:136]
	s_waitcnt vmcnt(13)
	v_fma_f64 v[127:128], v[147:148], v[129:130], v[127:128]
	s_waitcnt vmcnt(12) lgkmcnt(0)
	v_fma_f64 v[127:128], v[143:144], v[131:132], v[127:128]
	s_waitcnt vmcnt(7)
	v_fma_f64 v[135:136], v[137:138], v[133:134], v[127:128]
	ds_read2_b64 v[127:130], v124 offset0:119 offset1:120
	ds_read2_b64 v[131:134], v124 offset0:121 offset1:122
	s_waitcnt vmcnt(6) lgkmcnt(1)
	v_fma_f64 v[123:124], v[151:152], v[127:128], v[135:136]
	s_waitcnt vmcnt(5)
	v_fma_f64 v[123:124], v[141:142], v[129:130], v[123:124]
	s_waitcnt vmcnt(4) lgkmcnt(0)
	v_fma_f64 v[123:124], v[125:126], v[131:132], v[123:124]
	s_waitcnt vmcnt(2)
	v_fma_f64 v[123:124], v[139:140], v[133:134], v[123:124]
	s_waitcnt vmcnt(0)
	v_add_f64 v[123:124], v[153:154], -v[123:124]
	buffer_store_dword v124, off, s[0:3], 0 offset:4
	buffer_store_dword v123, off, s[0:3], 0
	s_cbranch_vccz .LBB60_494
; %bb.374:
	v_mov_b32_e32 v0, 0
	global_load_dword v123, v0, s[20:21] offset:236
	s_waitcnt vmcnt(0)
	v_add_u32_e32 v123, -1, v123
	v_cmp_ne_u32_e32 vcc, 59, v123
	s_cbranch_vccz .LBB60_376
; %bb.375:
	v_lshlrev_b32_e32 v123, 3, v123
	buffer_load_dword v124, v123, s[0:3], 0 offen
	buffer_load_dword v127, v123, s[0:3], 0 offen offset:4
	s_waitcnt vmcnt(1)
	buffer_store_dword v124, off, s[0:3], 0 offset:472
	s_waitcnt vmcnt(1)
	buffer_store_dword v127, off, s[0:3], 0 offset:476
	buffer_store_dword v125, v123, s[0:3], 0 offen
	buffer_store_dword v126, v123, s[0:3], 0 offen offset:4
.LBB60_376:
	global_load_dword v0, v0, s[20:21] offset:232
	s_waitcnt vmcnt(0)
	v_add_u32_e32 v0, -1, v0
	v_cmp_eq_u32_e32 vcc, 58, v0
	s_cbranch_vccnz .LBB60_378
; %bb.377:
	v_lshlrev_b32_e32 v0, 3, v0
	buffer_load_dword v123, v0, s[0:3], 0 offen
	buffer_load_dword v124, v0, s[0:3], 0 offen offset:4
	buffer_load_dword v125, off, s[0:3], 0 offset:468
	buffer_load_dword v126, off, s[0:3], 0 offset:464
	s_waitcnt vmcnt(3)
	buffer_store_dword v123, off, s[0:3], 0 offset:464
	s_waitcnt vmcnt(3)
	buffer_store_dword v124, off, s[0:3], 0 offset:468
	s_waitcnt vmcnt(3)
	buffer_store_dword v125, v0, s[0:3], 0 offen offset:4
	s_waitcnt vmcnt(3)
	buffer_store_dword v126, v0, s[0:3], 0 offen
.LBB60_378:
	v_mov_b32_e32 v0, 0
	global_load_dword v123, v0, s[20:21] offset:228
	s_waitcnt vmcnt(0)
	v_add_u32_e32 v123, -1, v123
	v_cmp_eq_u32_e32 vcc, 57, v123
	s_cbranch_vccnz .LBB60_380
; %bb.379:
	v_lshlrev_b32_e32 v123, 3, v123
	buffer_load_dword v124, v123, s[0:3], 0 offen
	buffer_load_dword v125, v123, s[0:3], 0 offen offset:4
	buffer_load_dword v126, off, s[0:3], 0 offset:456
	buffer_load_dword v127, off, s[0:3], 0 offset:460
	s_waitcnt vmcnt(3)
	buffer_store_dword v124, off, s[0:3], 0 offset:456
	s_waitcnt vmcnt(3)
	buffer_store_dword v125, off, s[0:3], 0 offset:460
	s_waitcnt vmcnt(3)
	buffer_store_dword v126, v123, s[0:3], 0 offen
	s_waitcnt vmcnt(3)
	buffer_store_dword v127, v123, s[0:3], 0 offen offset:4
.LBB60_380:
	global_load_dword v0, v0, s[20:21] offset:224
	s_waitcnt vmcnt(0)
	v_add_u32_e32 v0, -1, v0
	v_cmp_eq_u32_e32 vcc, 56, v0
	s_cbranch_vccnz .LBB60_382
; %bb.381:
	v_lshlrev_b32_e32 v0, 3, v0
	buffer_load_dword v123, v0, s[0:3], 0 offen
	buffer_load_dword v124, v0, s[0:3], 0 offen offset:4
	buffer_load_dword v125, off, s[0:3], 0 offset:452
	buffer_load_dword v126, off, s[0:3], 0 offset:448
	s_waitcnt vmcnt(3)
	buffer_store_dword v123, off, s[0:3], 0 offset:448
	s_waitcnt vmcnt(3)
	buffer_store_dword v124, off, s[0:3], 0 offset:452
	s_waitcnt vmcnt(3)
	buffer_store_dword v125, v0, s[0:3], 0 offen offset:4
	s_waitcnt vmcnt(3)
	buffer_store_dword v126, v0, s[0:3], 0 offen
.LBB60_382:
	v_mov_b32_e32 v0, 0
	global_load_dword v123, v0, s[20:21] offset:220
	s_waitcnt vmcnt(0)
	v_add_u32_e32 v123, -1, v123
	v_cmp_eq_u32_e32 vcc, 55, v123
	s_cbranch_vccnz .LBB60_384
; %bb.383:
	v_lshlrev_b32_e32 v123, 3, v123
	buffer_load_dword v124, v123, s[0:3], 0 offen
	buffer_load_dword v125, v123, s[0:3], 0 offen offset:4
	buffer_load_dword v126, off, s[0:3], 0 offset:440
	buffer_load_dword v127, off, s[0:3], 0 offset:444
	s_waitcnt vmcnt(3)
	buffer_store_dword v124, off, s[0:3], 0 offset:440
	s_waitcnt vmcnt(3)
	buffer_store_dword v125, off, s[0:3], 0 offset:444
	s_waitcnt vmcnt(3)
	buffer_store_dword v126, v123, s[0:3], 0 offen
	s_waitcnt vmcnt(3)
	buffer_store_dword v127, v123, s[0:3], 0 offen offset:4
.LBB60_384:
	;; [unrolled: 41-line block ×29, first 2 shown]
	global_load_dword v0, v0, s[20:21]
	s_nop 0
	buffer_load_dword v123, off, s[0:3], 0
	buffer_load_dword v124, off, s[0:3], 0 offset:4
	s_waitcnt vmcnt(2)
	v_add_u32_e32 v0, -1, v0
	v_cmp_eq_u32_e32 vcc, 0, v0
	s_cbranch_vccnz .LBB60_494
; %bb.493:
	v_lshlrev_b32_e32 v0, 3, v0
	buffer_load_dword v125, v0, s[0:3], 0 offen offset:4
	buffer_load_dword v126, v0, s[0:3], 0 offen
	s_waitcnt vmcnt(1)
	buffer_store_dword v125, off, s[0:3], 0 offset:4
	s_waitcnt vmcnt(1)
	buffer_store_dword v126, off, s[0:3], 0
	buffer_store_dword v124, v0, s[0:3], 0 offen offset:4
	buffer_store_dword v123, v0, s[0:3], 0 offen
	buffer_load_dword v123, off, s[0:3], 0
	s_nop 0
	buffer_load_dword v124, off, s[0:3], 0 offset:4
.LBB60_494:
	buffer_load_dword v125, off, s[0:3], 0 offset:8
	buffer_load_dword v126, off, s[0:3], 0 offset:12
	;; [unrolled: 1-line block ×120, first 2 shown]
	s_waitcnt vmcnt(62)
	global_store_dwordx2 v[1:2], v[123:124], off
	global_store_dwordx2 v[3:4], v[125:126], off
	;; [unrolled: 1-line block ×30, first 2 shown]
	s_waitcnt vmcnt(62)
	global_store_dwordx2 v[61:62], v[183:184], off
	global_store_dwordx2 v[63:64], v[185:186], off
	;; [unrolled: 1-line block ×15, first 2 shown]
	s_waitcnt vmcnt(62)
	global_store_dwordx2 v[91:92], v[213:214], off
	global_store_dwordx2 v[93:94], v[215:216], off
	global_store_dwordx2 v[95:96], v[217:218], off
	global_store_dwordx2 v[97:98], v[219:220], off
	global_store_dwordx2 v[99:100], v[221:222], off
	global_store_dwordx2 v[101:102], v[223:224], off
	global_store_dwordx2 v[103:104], v[225:226], off
	s_waitcnt vmcnt(62)
	global_store_dwordx2 v[105:106], v[227:228], off
	global_store_dwordx2 v[107:108], v[229:230], off
	;; [unrolled: 1-line block ×4, first 2 shown]
	s_waitcnt vmcnt(62)
	global_store_dwordx2 v[113:114], v[235:236], off
	global_store_dwordx2 v[115:116], v[237:238], off
	s_waitcnt vmcnt(62)
	global_store_dwordx2 v[117:118], v[239:240], off
	s_waitcnt vmcnt(61)
	;; [unrolled: 2-line block ×3, first 2 shown]
	global_store_dwordx2 v[121:122], v[243:244], off
	s_endpgm
	.section	.rodata,"a",@progbits
	.p2align	6, 0x0
	.amdhsa_kernel _ZN9rocsolver6v33100L18getri_kernel_smallILi61EdPdEEvT1_iilPiilS4_bb
		.amdhsa_group_segment_fixed_size 984
		.amdhsa_private_segment_fixed_size 496
		.amdhsa_kernarg_size 60
		.amdhsa_user_sgpr_count 6
		.amdhsa_user_sgpr_private_segment_buffer 1
		.amdhsa_user_sgpr_dispatch_ptr 0
		.amdhsa_user_sgpr_queue_ptr 0
		.amdhsa_user_sgpr_kernarg_segment_ptr 1
		.amdhsa_user_sgpr_dispatch_id 0
		.amdhsa_user_sgpr_flat_scratch_init 0
		.amdhsa_user_sgpr_private_segment_size 0
		.amdhsa_uses_dynamic_stack 0
		.amdhsa_system_sgpr_private_segment_wavefront_offset 1
		.amdhsa_system_sgpr_workgroup_id_x 1
		.amdhsa_system_sgpr_workgroup_id_y 0
		.amdhsa_system_sgpr_workgroup_id_z 0
		.amdhsa_system_sgpr_workgroup_info 0
		.amdhsa_system_vgpr_workitem_id 0
		.amdhsa_next_free_vgpr 245
		.amdhsa_next_free_sgpr 24
		.amdhsa_reserve_vcc 1
		.amdhsa_reserve_flat_scratch 0
		.amdhsa_float_round_mode_32 0
		.amdhsa_float_round_mode_16_64 0
		.amdhsa_float_denorm_mode_32 3
		.amdhsa_float_denorm_mode_16_64 3
		.amdhsa_dx10_clamp 1
		.amdhsa_ieee_mode 1
		.amdhsa_fp16_overflow 0
		.amdhsa_exception_fp_ieee_invalid_op 0
		.amdhsa_exception_fp_denorm_src 0
		.amdhsa_exception_fp_ieee_div_zero 0
		.amdhsa_exception_fp_ieee_overflow 0
		.amdhsa_exception_fp_ieee_underflow 0
		.amdhsa_exception_fp_ieee_inexact 0
		.amdhsa_exception_int_div_zero 0
	.end_amdhsa_kernel
	.section	.text._ZN9rocsolver6v33100L18getri_kernel_smallILi61EdPdEEvT1_iilPiilS4_bb,"axG",@progbits,_ZN9rocsolver6v33100L18getri_kernel_smallILi61EdPdEEvT1_iilPiilS4_bb,comdat
.Lfunc_end60:
	.size	_ZN9rocsolver6v33100L18getri_kernel_smallILi61EdPdEEvT1_iilPiilS4_bb, .Lfunc_end60-_ZN9rocsolver6v33100L18getri_kernel_smallILi61EdPdEEvT1_iilPiilS4_bb
                                        ; -- End function
	.set _ZN9rocsolver6v33100L18getri_kernel_smallILi61EdPdEEvT1_iilPiilS4_bb.num_vgpr, 245
	.set _ZN9rocsolver6v33100L18getri_kernel_smallILi61EdPdEEvT1_iilPiilS4_bb.num_agpr, 0
	.set _ZN9rocsolver6v33100L18getri_kernel_smallILi61EdPdEEvT1_iilPiilS4_bb.numbered_sgpr, 24
	.set _ZN9rocsolver6v33100L18getri_kernel_smallILi61EdPdEEvT1_iilPiilS4_bb.num_named_barrier, 0
	.set _ZN9rocsolver6v33100L18getri_kernel_smallILi61EdPdEEvT1_iilPiilS4_bb.private_seg_size, 496
	.set _ZN9rocsolver6v33100L18getri_kernel_smallILi61EdPdEEvT1_iilPiilS4_bb.uses_vcc, 1
	.set _ZN9rocsolver6v33100L18getri_kernel_smallILi61EdPdEEvT1_iilPiilS4_bb.uses_flat_scratch, 0
	.set _ZN9rocsolver6v33100L18getri_kernel_smallILi61EdPdEEvT1_iilPiilS4_bb.has_dyn_sized_stack, 0
	.set _ZN9rocsolver6v33100L18getri_kernel_smallILi61EdPdEEvT1_iilPiilS4_bb.has_recursion, 0
	.set _ZN9rocsolver6v33100L18getri_kernel_smallILi61EdPdEEvT1_iilPiilS4_bb.has_indirect_call, 0
	.section	.AMDGPU.csdata,"",@progbits
; Kernel info:
; codeLenInByte = 88472
; TotalNumSgprs: 28
; NumVgprs: 245
; ScratchSize: 496
; MemoryBound: 1
; FloatMode: 240
; IeeeMode: 1
; LDSByteSize: 984 bytes/workgroup (compile time only)
; SGPRBlocks: 3
; VGPRBlocks: 61
; NumSGPRsForWavesPerEU: 28
; NumVGPRsForWavesPerEU: 245
; Occupancy: 1
; WaveLimiterHint : 1
; COMPUTE_PGM_RSRC2:SCRATCH_EN: 1
; COMPUTE_PGM_RSRC2:USER_SGPR: 6
; COMPUTE_PGM_RSRC2:TRAP_HANDLER: 0
; COMPUTE_PGM_RSRC2:TGID_X_EN: 1
; COMPUTE_PGM_RSRC2:TGID_Y_EN: 0
; COMPUTE_PGM_RSRC2:TGID_Z_EN: 0
; COMPUTE_PGM_RSRC2:TIDIG_COMP_CNT: 0
	.section	.text._ZN9rocsolver6v33100L18getri_kernel_smallILi62EdPdEEvT1_iilPiilS4_bb,"axG",@progbits,_ZN9rocsolver6v33100L18getri_kernel_smallILi62EdPdEEvT1_iilPiilS4_bb,comdat
	.globl	_ZN9rocsolver6v33100L18getri_kernel_smallILi62EdPdEEvT1_iilPiilS4_bb ; -- Begin function _ZN9rocsolver6v33100L18getri_kernel_smallILi62EdPdEEvT1_iilPiilS4_bb
	.p2align	8
	.type	_ZN9rocsolver6v33100L18getri_kernel_smallILi62EdPdEEvT1_iilPiilS4_bb,@function
_ZN9rocsolver6v33100L18getri_kernel_smallILi62EdPdEEvT1_iilPiilS4_bb: ; @_ZN9rocsolver6v33100L18getri_kernel_smallILi62EdPdEEvT1_iilPiilS4_bb
; %bb.0:
	s_add_u32 s0, s0, s7
	s_addc_u32 s1, s1, 0
	v_cmp_gt_u32_e32 vcc, 62, v0
	s_and_saveexec_b64 s[8:9], vcc
	s_cbranch_execz .LBB61_256
; %bb.1:
	s_load_dword s12, s[4:5], 0x38
	s_load_dwordx4 s[16:19], s[4:5], 0x10
	s_load_dwordx4 s[8:11], s[4:5], 0x28
                                        ; implicit-def: $sgpr20_sgpr21
	s_waitcnt lgkmcnt(0)
	s_bitcmp1_b32 s12, 8
	s_cselect_b64 s[22:23], -1, 0
	s_ashr_i32 s7, s6, 31
	s_bfe_u32 s12, s12, 0x10008
	s_cmp_eq_u32 s12, 0
	s_cbranch_scc1 .LBB61_3
; %bb.2:
	s_load_dword s12, s[4:5], 0x20
	s_mul_i32 s13, s8, s7
	s_mul_hi_u32 s14, s8, s6
	s_mul_i32 s9, s9, s6
	s_add_i32 s14, s14, s13
	s_add_i32 s9, s14, s9
	s_mul_i32 s8, s8, s6
	s_waitcnt lgkmcnt(0)
	s_ashr_i32 s13, s12, 31
	s_lshl_b64 s[8:9], s[8:9], 2
	s_add_u32 s14, s18, s8
	s_addc_u32 s15, s19, s9
	s_lshl_b64 s[8:9], s[12:13], 2
	s_add_u32 s20, s14, s8
	s_addc_u32 s21, s15, s9
.LBB61_3:
	s_load_dwordx4 s[12:15], s[4:5], 0x0
	s_load_dword s8, s[4:5], 0x38
	s_mul_i32 s9, s16, s7
	s_mul_hi_u32 s18, s16, s6
	s_add_i32 s9, s18, s9
	s_waitcnt lgkmcnt(0)
	s_ashr_i32 s5, s14, 31
	s_mov_b32 s4, s14
	s_mul_i32 s14, s17, s6
	s_add_i32 s17, s9, s14
	s_mul_i32 s16, s16, s6
	s_lshl_b64 s[16:17], s[16:17], 3
	s_add_u32 s9, s12, s16
	s_addc_u32 s12, s13, s17
	s_lshl_b64 s[4:5], s[4:5], 3
	s_add_u32 s4, s9, s4
	s_addc_u32 s5, s12, s5
	v_lshlrev_b32_e32 v180, 3, v0
	s_add_i32 s9, s15, s15
	v_mov_b32_e32 v2, s5
	v_add_co_u32_e32 v1, vcc, s4, v180
	s_ashr_i32 s13, s15, 31
	s_mov_b32 s12, s15
	v_add_u32_e32 v7, s9, v0
	v_addc_co_u32_e32 v2, vcc, 0, v2, vcc
	s_lshl_b64 s[12:13], s[12:13], 3
	v_ashrrev_i32_e32 v8, 31, v7
	v_mov_b32_e32 v4, s13
	v_add_co_u32_e32 v3, vcc, s12, v1
	v_lshlrev_b64 v[5:6], 3, v[7:8]
	v_addc_co_u32_e32 v4, vcc, v2, v4, vcc
	v_add_u32_e32 v9, s15, v7
	v_mov_b32_e32 v8, s5
	v_add_co_u32_e32 v5, vcc, s4, v5
	v_ashrrev_i32_e32 v10, 31, v9
	v_addc_co_u32_e32 v6, vcc, v8, v6, vcc
	v_lshlrev_b64 v[7:8], 3, v[9:10]
	v_add_u32_e32 v11, s15, v9
	v_mov_b32_e32 v10, s5
	v_add_co_u32_e32 v7, vcc, s4, v7
	v_ashrrev_i32_e32 v12, 31, v11
	v_addc_co_u32_e32 v8, vcc, v10, v8, vcc
	v_lshlrev_b64 v[9:10], 3, v[11:12]
	;; [unrolled: 6-line block ×17, first 2 shown]
	v_mov_b32_e32 v42, s5
	v_add_co_u32_e32 v39, vcc, s4, v39
	global_load_dwordx2 v[45:46], v180, s[4:5]
	global_load_dwordx2 v[47:48], v[3:4], off
	global_load_dwordx2 v[49:50], v[5:6], off
	;; [unrolled: 1-line block ×16, first 2 shown]
	v_addc_co_u32_e32 v40, vcc, v42, v40, vcc
	global_load_dwordx2 v[79:80], v[35:36], off
	global_load_dwordx2 v[81:82], v[37:38], off
	;; [unrolled: 1-line block ×3, first 2 shown]
	v_add_u32_e32 v43, s15, v41
	v_ashrrev_i32_e32 v44, 31, v43
	v_lshlrev_b64 v[41:42], 3, v[43:44]
	v_mov_b32_e32 v44, s5
	v_add_co_u32_e32 v41, vcc, s4, v41
	v_addc_co_u32_e32 v42, vcc, v44, v42, vcc
	global_load_dwordx2 v[85:86], v[41:42], off
	v_add_u32_e32 v87, s15, v43
	v_ashrrev_i32_e32 v88, 31, v87
	v_lshlrev_b64 v[43:44], 3, v[87:88]
	v_mov_b32_e32 v88, s5
	v_add_co_u32_e32 v43, vcc, s4, v43
	v_addc_co_u32_e32 v44, vcc, v88, v44, vcc
	global_load_dwordx2 v[124:125], v[43:44], off
	s_waitcnt vmcnt(21)
	buffer_store_dword v46, off, s[0:3], 0 offset:4
	buffer_store_dword v45, off, s[0:3], 0
	s_waitcnt vmcnt(22)
	buffer_store_dword v48, off, s[0:3], 0 offset:12
	buffer_store_dword v47, off, s[0:3], 0 offset:8
	s_waitcnt vmcnt(23)
	buffer_store_dword v50, off, s[0:3], 0 offset:20
	buffer_store_dword v49, off, s[0:3], 0 offset:16
	;; [unrolled: 3-line block ×20, first 2 shown]
	v_add_u32_e32 v47, s15, v87
	v_ashrrev_i32_e32 v48, 31, v47
	v_lshlrev_b64 v[45:46], 3, v[47:48]
	v_add_u32_e32 v49, s15, v47
	v_mov_b32_e32 v48, s5
	v_add_co_u32_e32 v45, vcc, s4, v45
	v_ashrrev_i32_e32 v50, 31, v49
	v_addc_co_u32_e32 v46, vcc, v48, v46, vcc
	v_lshlrev_b64 v[47:48], 3, v[49:50]
	v_add_u32_e32 v51, s15, v49
	v_mov_b32_e32 v50, s5
	v_add_co_u32_e32 v47, vcc, s4, v47
	v_ashrrev_i32_e32 v52, 31, v51
	v_addc_co_u32_e32 v48, vcc, v50, v48, vcc
	;; [unrolled: 6-line block ×37, first 2 shown]
	v_lshlrev_b64 v[119:120], 3, v[121:122]
	v_add_u32_e32 v123, s15, v121
	global_load_dwordx2 v[130:131], v[45:46], off
	global_load_dwordx2 v[128:129], v[47:48], off
	;; [unrolled: 1-line block ×3, first 2 shown]
	v_mov_b32_e32 v122, s5
	s_waitcnt vmcnt(45)
	buffer_store_dword v124, off, s[0:3], 0 offset:168
	v_add_co_u32_e32 v119, vcc, s4, v119
	v_ashrrev_i32_e32 v124, 31, v123
	v_addc_co_u32_e32 v120, vcc, v122, v120, vcc
	v_lshlrev_b64 v[121:122], 3, v[123:124]
	v_mov_b32_e32 v124, s5
	v_add_co_u32_e32 v121, vcc, s4, v121
	global_load_dwordx2 v[138:139], v[51:52], off
	global_load_dwordx2 v[136:137], v[53:54], off
	;; [unrolled: 1-line block ×32, first 2 shown]
	v_addc_co_u32_e32 v122, vcc, v124, v122, vcc
	global_load_dwordx2 v[197:198], v[115:116], off
	global_load_dwordx2 v[199:200], v[117:118], off
	;; [unrolled: 1-line block ×4, first 2 shown]
	v_add_u32_e32 v123, s15, v123
	v_ashrrev_i32_e32 v124, 31, v123
	v_lshlrev_b64 v[123:124], 3, v[123:124]
	v_mov_b32_e32 v205, s5
	v_add_co_u32_e32 v123, vcc, s4, v123
	v_addc_co_u32_e32 v124, vcc, v205, v124, vcc
	global_load_dwordx2 v[205:206], v[123:124], off
	s_bitcmp0_b32 s8, 0
	s_mov_b64 s[8:9], -1
	buffer_store_dword v125, off, s[0:3], 0 offset:172
	s_waitcnt vmcnt(41)
	buffer_store_dword v130, off, s[0:3], 0 offset:176
	buffer_store_dword v131, off, s[0:3], 0 offset:180
	s_waitcnt vmcnt(42)
	buffer_store_dword v128, off, s[0:3], 0 offset:184
	;; [unrolled: 3-line block ×24, first 2 shown]
	buffer_store_dword v179, off, s[0:3], 0 offset:364
	buffer_store_dword v176, off, s[0:3], 0 offset:368
	;; [unrolled: 1-line block ×3, first 2 shown]
	s_waitcnt vmcnt(62)
	buffer_store_dword v174, off, s[0:3], 0 offset:376
	buffer_store_dword v175, off, s[0:3], 0 offset:380
	;; [unrolled: 1-line block ×8, first 2 shown]
	s_waitcnt vmcnt(62)
	buffer_store_dword v185, off, s[0:3], 0 offset:408
	buffer_store_dword v186, off, s[0:3], 0 offset:412
	;; [unrolled: 1-line block ×16, first 2 shown]
	s_waitcnt vmcnt(62)
	buffer_store_dword v201, off, s[0:3], 0 offset:472
	buffer_store_dword v202, off, s[0:3], 0 offset:476
	;; [unrolled: 1-line block ×6, first 2 shown]
	s_cbranch_scc1 .LBB61_254
; %bb.4:
	v_cmp_eq_u32_e64 s[4:5], 0, v0
	s_and_saveexec_b64 s[8:9], s[4:5]
; %bb.5:
	v_mov_b32_e32 v125, 0
	ds_write_b32 v125, v125 offset:992
; %bb.6:
	s_or_b64 exec, exec, s[8:9]
	v_mov_b32_e32 v125, 0
	v_lshl_add_u32 v125, v0, 3, v125
	s_waitcnt lgkmcnt(0)
	; wave barrier
	buffer_load_dword v126, v125, s[0:3], 0 offen
	buffer_load_dword v127, v125, s[0:3], 0 offen offset:4
	s_waitcnt vmcnt(0)
	v_cmp_eq_f64_e32 vcc, 0, v[126:127]
	s_and_saveexec_b64 s[12:13], vcc
	s_cbranch_execz .LBB61_10
; %bb.7:
	v_mov_b32_e32 v126, 0
	ds_read_b32 v128, v126 offset:992
	v_add_u32_e32 v127, 1, v0
	s_waitcnt lgkmcnt(0)
	v_readfirstlane_b32 s8, v128
	s_cmp_eq_u32 s8, 0
	s_cselect_b64 s[14:15], -1, 0
	v_cmp_gt_i32_e32 vcc, s8, v127
	s_or_b64 s[14:15], s[14:15], vcc
	s_and_b64 exec, exec, s[14:15]
	s_cbranch_execz .LBB61_10
; %bb.8:
	s_mov_b64 s[14:15], 0
	v_mov_b32_e32 v128, s8
.LBB61_9:                               ; =>This Inner Loop Header: Depth=1
	ds_cmpst_rtn_b32 v128, v126, v128, v127 offset:992
	s_waitcnt lgkmcnt(0)
	v_cmp_ne_u32_e32 vcc, 0, v128
	v_cmp_le_i32_e64 s[8:9], v128, v127
	s_and_b64 s[8:9], vcc, s[8:9]
	s_and_b64 s[8:9], exec, s[8:9]
	s_or_b64 s[14:15], s[8:9], s[14:15]
	s_andn2_b64 exec, exec, s[14:15]
	s_cbranch_execnz .LBB61_9
.LBB61_10:
	s_or_b64 exec, exec, s[12:13]
	v_mov_b32_e32 v127, 0
	; wave barrier
	ds_read_b32 v126, v127 offset:992
	s_and_saveexec_b64 s[8:9], s[4:5]
	s_cbranch_execz .LBB61_12
; %bb.11:
	s_lshl_b64 s[12:13], s[6:7], 2
	s_add_u32 s12, s10, s12
	s_addc_u32 s13, s11, s13
	s_waitcnt lgkmcnt(0)
	global_store_dword v127, v126, s[12:13]
.LBB61_12:
	s_or_b64 exec, exec, s[8:9]
	s_waitcnt lgkmcnt(0)
	v_cmp_ne_u32_e32 vcc, 0, v126
	s_mov_b64 s[8:9], 0
	s_cbranch_vccnz .LBB61_254
; %bb.13:
	buffer_load_dword v126, v125, s[0:3], 0 offen
	buffer_load_dword v127, v125, s[0:3], 0 offen offset:4
	s_waitcnt vmcnt(0)
	v_div_scale_f64 v[128:129], s[8:9], v[126:127], v[126:127], 1.0
	v_rcp_f64_e32 v[130:131], v[128:129]
	v_fma_f64 v[132:133], -v[128:129], v[130:131], 1.0
	v_fma_f64 v[130:131], v[130:131], v[132:133], v[130:131]
	v_div_scale_f64 v[132:133], vcc, 1.0, v[126:127], 1.0
	v_fma_f64 v[134:135], -v[128:129], v[130:131], 1.0
	v_fma_f64 v[130:131], v[130:131], v[134:135], v[130:131]
	v_mul_f64 v[134:135], v[132:133], v[130:131]
	v_fma_f64 v[128:129], -v[128:129], v[134:135], v[132:133]
	v_div_fmas_f64 v[128:129], v[128:129], v[130:131], v[134:135]
	v_div_fixup_f64 v[128:129], v[128:129], v[126:127], 1.0
	v_add_u32_e32 v127, 0x1f0, v180
	buffer_store_dword v129, v125, s[0:3], 0 offen offset:4
	buffer_store_dword v128, v125, s[0:3], 0 offen
	buffer_load_dword v131, off, s[0:3], 0 offset:12
	buffer_load_dword v130, off, s[0:3], 0 offset:8
	v_xor_b32_e32 v129, 0x80000000, v129
	s_waitcnt vmcnt(0)
	ds_write2_b64 v180, v[128:129], v[130:131] offset1:62
	s_waitcnt lgkmcnt(0)
	; wave barrier
	s_and_saveexec_b64 s[8:9], s[4:5]
	s_cbranch_execz .LBB61_15
; %bb.14:
	buffer_load_dword v128, v125, s[0:3], 0 offen
	buffer_load_dword v129, v125, s[0:3], 0 offen offset:4
	ds_read_b64 v[130:131], v127
	v_mov_b32_e32 v126, 0
	ds_read_b64 v[132:133], v126 offset:8
	s_waitcnt vmcnt(0) lgkmcnt(1)
	v_fma_f64 v[128:129], v[128:129], v[130:131], 0
	s_waitcnt lgkmcnt(0)
	v_mul_f64 v[128:129], v[128:129], v[132:133]
	buffer_store_dword v128, off, s[0:3], 0 offset:8
	buffer_store_dword v129, off, s[0:3], 0 offset:12
.LBB61_15:
	s_or_b64 exec, exec, s[8:9]
	; wave barrier
	buffer_load_dword v128, off, s[0:3], 0 offset:16
	buffer_load_dword v129, off, s[0:3], 0 offset:20
	v_cmp_gt_u32_e32 vcc, 2, v0
	s_waitcnt vmcnt(0)
	ds_write_b64 v127, v[128:129]
	s_waitcnt lgkmcnt(0)
	; wave barrier
	s_and_saveexec_b64 s[8:9], vcc
	s_cbranch_execz .LBB61_17
; %bb.16:
	buffer_load_dword v128, v125, s[0:3], 0 offen
	buffer_load_dword v129, v125, s[0:3], 0 offen offset:4
	s_nop 0
	buffer_load_dword v125, off, s[0:3], 0 offset:8
	buffer_load_dword v126, off, s[0:3], 0 offset:12
	ds_read_b64 v[130:131], v127
	s_waitcnt vmcnt(2) lgkmcnt(0)
	v_fma_f64 v[132:133], v[128:129], v[130:131], 0
	v_mov_b32_e32 v128, 0
	ds_read2_b64 v[128:131], v128 offset0:2 offset1:63
	s_waitcnt vmcnt(0) lgkmcnt(0)
	v_fma_f64 v[125:126], v[125:126], v[130:131], v[132:133]
	v_cndmask_b32_e64 v126, v133, v126, s[4:5]
	v_cndmask_b32_e64 v125, v132, v125, s[4:5]
	v_mul_f64 v[125:126], v[125:126], v[128:129]
	buffer_store_dword v126, off, s[0:3], 0 offset:20
	buffer_store_dword v125, off, s[0:3], 0 offset:16
.LBB61_17:
	s_or_b64 exec, exec, s[8:9]
	; wave barrier
	buffer_load_dword v125, off, s[0:3], 0 offset:24
	buffer_load_dword v126, off, s[0:3], 0 offset:28
	v_cmp_gt_u32_e32 vcc, 3, v0
	v_add_u32_e32 v128, -1, v0
	s_waitcnt vmcnt(0)
	ds_write_b64 v127, v[125:126]
	s_waitcnt lgkmcnt(0)
	; wave barrier
	s_and_saveexec_b64 s[4:5], vcc
	s_cbranch_execz .LBB61_21
; %bb.18:
	v_mov_b32_e32 v125, 0
	v_add_u32_e32 v129, -1, v0
	v_add_u32_e32 v130, 0x1f0, v180
	v_mov_b32_e32 v131, v180
	v_mov_b32_e32 v126, 0
	s_mov_b64 s[8:9], 0
.LBB61_19:                              ; =>This Inner Loop Header: Depth=1
	buffer_load_dword v132, v131, s[0:3], 0 offen
	buffer_load_dword v133, v131, s[0:3], 0 offen offset:4
	ds_read_b64 v[134:135], v130
	v_add_u32_e32 v129, 1, v129
	v_cmp_lt_u32_e32 vcc, 1, v129
	v_add_u32_e32 v130, 8, v130
	s_or_b64 s[8:9], vcc, s[8:9]
	v_add_u32_e32 v131, 8, v131
	s_waitcnt vmcnt(0) lgkmcnt(0)
	v_fma_f64 v[125:126], v[132:133], v[134:135], v[125:126]
	s_andn2_b64 exec, exec, s[8:9]
	s_cbranch_execnz .LBB61_19
; %bb.20:
	s_or_b64 exec, exec, s[8:9]
	v_mov_b32_e32 v129, 0
	ds_read_b64 v[129:130], v129 offset:24
	s_waitcnt lgkmcnt(0)
	v_mul_f64 v[125:126], v[125:126], v[129:130]
	buffer_store_dword v126, off, s[0:3], 0 offset:28
	buffer_store_dword v125, off, s[0:3], 0 offset:24
.LBB61_21:
	s_or_b64 exec, exec, s[4:5]
	; wave barrier
	buffer_load_dword v125, off, s[0:3], 0 offset:32
	buffer_load_dword v126, off, s[0:3], 0 offset:36
	v_cmp_gt_u32_e32 vcc, 4, v0
	s_waitcnt vmcnt(0)
	ds_write_b64 v127, v[125:126]
	s_waitcnt lgkmcnt(0)
	; wave barrier
	s_and_saveexec_b64 s[4:5], vcc
	s_cbranch_execz .LBB61_25
; %bb.22:
	v_mov_b32_e32 v125, 0
	v_add_u32_e32 v129, -1, v0
	v_add_u32_e32 v130, 0x1f0, v180
	v_mov_b32_e32 v131, v180
	v_mov_b32_e32 v126, 0
	s_mov_b64 s[8:9], 0
.LBB61_23:                              ; =>This Inner Loop Header: Depth=1
	buffer_load_dword v132, v131, s[0:3], 0 offen
	buffer_load_dword v133, v131, s[0:3], 0 offen offset:4
	ds_read_b64 v[134:135], v130
	v_add_u32_e32 v129, 1, v129
	v_cmp_lt_u32_e32 vcc, 2, v129
	v_add_u32_e32 v130, 8, v130
	s_or_b64 s[8:9], vcc, s[8:9]
	v_add_u32_e32 v131, 8, v131
	s_waitcnt vmcnt(0) lgkmcnt(0)
	v_fma_f64 v[125:126], v[132:133], v[134:135], v[125:126]
	s_andn2_b64 exec, exec, s[8:9]
	s_cbranch_execnz .LBB61_23
; %bb.24:
	s_or_b64 exec, exec, s[8:9]
	v_mov_b32_e32 v129, 0
	ds_read_b64 v[129:130], v129 offset:32
	s_waitcnt lgkmcnt(0)
	v_mul_f64 v[125:126], v[125:126], v[129:130]
	buffer_store_dword v126, off, s[0:3], 0 offset:36
	buffer_store_dword v125, off, s[0:3], 0 offset:32
.LBB61_25:
	s_or_b64 exec, exec, s[4:5]
	; wave barrier
	buffer_load_dword v125, off, s[0:3], 0 offset:40
	buffer_load_dword v126, off, s[0:3], 0 offset:44
	v_cmp_gt_u32_e32 vcc, 5, v0
	;; [unrolled: 40-line block ×21, first 2 shown]
	s_waitcnt vmcnt(0)
	ds_write_b64 v127, v[125:126]
	s_waitcnt lgkmcnt(0)
	; wave barrier
	s_and_saveexec_b64 s[4:5], vcc
	s_cbranch_execz .LBB61_105
; %bb.102:
	v_mov_b32_e32 v125, 0
	v_add_u32_e32 v129, -1, v0
	v_add_u32_e32 v130, 0x1f0, v180
	v_mov_b32_e32 v131, v180
	v_mov_b32_e32 v126, 0
	s_mov_b64 s[8:9], 0
.LBB61_103:                             ; =>This Inner Loop Header: Depth=1
	buffer_load_dword v132, v131, s[0:3], 0 offen
	buffer_load_dword v133, v131, s[0:3], 0 offen offset:4
	ds_read_b64 v[134:135], v130
	v_add_u32_e32 v129, 1, v129
	v_cmp_lt_u32_e32 vcc, 22, v129
	v_add_u32_e32 v130, 8, v130
	s_or_b64 s[8:9], vcc, s[8:9]
	v_add_u32_e32 v131, 8, v131
	s_waitcnt vmcnt(0) lgkmcnt(0)
	v_fma_f64 v[125:126], v[132:133], v[134:135], v[125:126]
	s_andn2_b64 exec, exec, s[8:9]
	s_cbranch_execnz .LBB61_103
; %bb.104:
	s_or_b64 exec, exec, s[8:9]
	v_mov_b32_e32 v129, 0
	ds_read_b64 v[129:130], v129 offset:192
	s_waitcnt lgkmcnt(0)
	v_mul_f64 v[125:126], v[125:126], v[129:130]
	buffer_store_dword v126, off, s[0:3], 0 offset:196
	buffer_store_dword v125, off, s[0:3], 0 offset:192
.LBB61_105:
	s_or_b64 exec, exec, s[4:5]
	; wave barrier
	buffer_load_dword v125, off, s[0:3], 0 offset:200
	buffer_load_dword v126, off, s[0:3], 0 offset:204
	v_cmp_gt_u32_e32 vcc, 25, v0
	s_waitcnt vmcnt(0)
	ds_write_b64 v127, v[125:126]
	s_waitcnt lgkmcnt(0)
	; wave barrier
	s_and_saveexec_b64 s[4:5], vcc
	s_cbranch_execz .LBB61_109
; %bb.106:
	v_mov_b32_e32 v125, 0
	v_add_u32_e32 v129, -1, v0
	v_add_u32_e32 v130, 0x1f0, v180
	v_mov_b32_e32 v131, v180
	v_mov_b32_e32 v126, 0
	s_mov_b64 s[8:9], 0
.LBB61_107:                             ; =>This Inner Loop Header: Depth=1
	buffer_load_dword v132, v131, s[0:3], 0 offen
	buffer_load_dword v133, v131, s[0:3], 0 offen offset:4
	ds_read_b64 v[134:135], v130
	v_add_u32_e32 v129, 1, v129
	v_cmp_lt_u32_e32 vcc, 23, v129
	v_add_u32_e32 v130, 8, v130
	s_or_b64 s[8:9], vcc, s[8:9]
	v_add_u32_e32 v131, 8, v131
	s_waitcnt vmcnt(0) lgkmcnt(0)
	v_fma_f64 v[125:126], v[132:133], v[134:135], v[125:126]
	s_andn2_b64 exec, exec, s[8:9]
	s_cbranch_execnz .LBB61_107
; %bb.108:
	s_or_b64 exec, exec, s[8:9]
	v_mov_b32_e32 v129, 0
	ds_read_b64 v[129:130], v129 offset:200
	s_waitcnt lgkmcnt(0)
	v_mul_f64 v[125:126], v[125:126], v[129:130]
	buffer_store_dword v126, off, s[0:3], 0 offset:204
	buffer_store_dword v125, off, s[0:3], 0 offset:200
.LBB61_109:
	s_or_b64 exec, exec, s[4:5]
	; wave barrier
	buffer_load_dword v125, off, s[0:3], 0 offset:208
	buffer_load_dword v126, off, s[0:3], 0 offset:212
	v_cmp_gt_u32_e32 vcc, 26, v0
	;; [unrolled: 40-line block ×36, first 2 shown]
	s_waitcnt vmcnt(0)
	ds_write_b64 v127, v[125:126]
	s_waitcnt lgkmcnt(0)
	; wave barrier
	s_and_saveexec_b64 s[4:5], vcc
	s_cbranch_execz .LBB61_249
; %bb.246:
	v_mov_b32_e32 v125, 0
	v_add_u32_e32 v129, -1, v0
	v_add_u32_e32 v130, 0x1f0, v180
	v_mov_b32_e32 v131, v180
	v_mov_b32_e32 v126, 0
	s_mov_b64 s[8:9], 0
.LBB61_247:                             ; =>This Inner Loop Header: Depth=1
	buffer_load_dword v132, v131, s[0:3], 0 offen
	buffer_load_dword v133, v131, s[0:3], 0 offen offset:4
	ds_read_b64 v[134:135], v130
	v_add_u32_e32 v129, 1, v129
	v_cmp_lt_u32_e32 vcc, 58, v129
	v_add_u32_e32 v130, 8, v130
	s_or_b64 s[8:9], vcc, s[8:9]
	v_add_u32_e32 v131, 8, v131
	s_waitcnt vmcnt(0) lgkmcnt(0)
	v_fma_f64 v[125:126], v[132:133], v[134:135], v[125:126]
	s_andn2_b64 exec, exec, s[8:9]
	s_cbranch_execnz .LBB61_247
; %bb.248:
	s_or_b64 exec, exec, s[8:9]
	v_mov_b32_e32 v129, 0
	ds_read_b64 v[129:130], v129 offset:480
	s_waitcnt lgkmcnt(0)
	v_mul_f64 v[125:126], v[125:126], v[129:130]
	buffer_store_dword v126, off, s[0:3], 0 offset:484
	buffer_store_dword v125, off, s[0:3], 0 offset:480
.LBB61_249:
	s_or_b64 exec, exec, s[4:5]
	; wave barrier
	buffer_load_dword v125, off, s[0:3], 0 offset:488
	buffer_load_dword v126, off, s[0:3], 0 offset:492
	v_cmp_ne_u32_e32 vcc, 61, v0
	s_waitcnt vmcnt(0)
	ds_write_b64 v127, v[125:126]
	s_waitcnt lgkmcnt(0)
	; wave barrier
	s_and_saveexec_b64 s[4:5], vcc
	s_cbranch_execz .LBB61_253
; %bb.250:
	v_mov_b32_e32 v125, 0
	v_add_u32_e32 v127, 0x1f0, v180
	v_mov_b32_e32 v129, v180
	v_mov_b32_e32 v126, 0
	s_mov_b64 s[8:9], 0
.LBB61_251:                             ; =>This Inner Loop Header: Depth=1
	buffer_load_dword v130, v129, s[0:3], 0 offen
	buffer_load_dword v131, v129, s[0:3], 0 offen offset:4
	ds_read_b64 v[132:133], v127
	v_add_u32_e32 v128, 1, v128
	v_cmp_lt_u32_e32 vcc, 59, v128
	v_add_u32_e32 v127, 8, v127
	s_or_b64 s[8:9], vcc, s[8:9]
	v_add_u32_e32 v129, 8, v129
	s_waitcnt vmcnt(0) lgkmcnt(0)
	v_fma_f64 v[125:126], v[130:131], v[132:133], v[125:126]
	s_andn2_b64 exec, exec, s[8:9]
	s_cbranch_execnz .LBB61_251
; %bb.252:
	s_or_b64 exec, exec, s[8:9]
	v_mov_b32_e32 v127, 0
	ds_read_b64 v[127:128], v127 offset:488
	s_waitcnt lgkmcnt(0)
	v_mul_f64 v[125:126], v[125:126], v[127:128]
	buffer_store_dword v126, off, s[0:3], 0 offset:492
	buffer_store_dword v125, off, s[0:3], 0 offset:488
.LBB61_253:
	s_or_b64 exec, exec, s[4:5]
	s_mov_b64 s[8:9], -1
	; wave barrier
.LBB61_254:
	s_and_b64 vcc, exec, s[8:9]
	s_cbranch_vccz .LBB61_256
; %bb.255:
	s_lshl_b64 s[4:5], s[6:7], 2
	s_add_u32 s4, s10, s4
	s_addc_u32 s5, s11, s5
	v_mov_b32_e32 v125, 0
	global_load_dword v125, v125, s[4:5]
	s_waitcnt vmcnt(0)
	v_cmp_ne_u32_e32 vcc, 0, v125
	s_cbranch_vccz .LBB61_257
.LBB61_256:
	s_endpgm
.LBB61_257:
	v_mov_b32_e32 v125, 0x1f0
	v_lshl_add_u32 v125, v0, 3, v125
	v_cmp_eq_u32_e32 vcc, 61, v0
	s_and_saveexec_b64 s[4:5], vcc
	s_cbranch_execz .LBB61_259
; %bb.258:
	buffer_load_dword v126, off, s[0:3], 0 offset:480
	buffer_load_dword v127, off, s[0:3], 0 offset:484
	v_mov_b32_e32 v128, 0
	buffer_store_dword v128, off, s[0:3], 0 offset:480
	buffer_store_dword v128, off, s[0:3], 0 offset:484
	s_waitcnt vmcnt(2)
	ds_write_b64 v125, v[126:127]
.LBB61_259:
	s_or_b64 exec, exec, s[4:5]
	s_waitcnt lgkmcnt(0)
	; wave barrier
	buffer_load_dword v127, off, s[0:3], 0 offset:488
	buffer_load_dword v128, off, s[0:3], 0 offset:492
	;; [unrolled: 1-line block ×4, first 2 shown]
	v_mov_b32_e32 v126, 0
	ds_read_b64 v[131:132], v126 offset:984
	v_cmp_lt_u32_e32 vcc, 59, v0
	s_waitcnt vmcnt(2) lgkmcnt(0)
	v_fma_f64 v[127:128], v[127:128], v[131:132], 0
	s_waitcnt vmcnt(0)
	v_add_f64 v[127:128], v[129:130], -v[127:128]
	buffer_store_dword v127, off, s[0:3], 0 offset:480
	buffer_store_dword v128, off, s[0:3], 0 offset:484
	s_and_saveexec_b64 s[4:5], vcc
	s_cbranch_execz .LBB61_261
; %bb.260:
	buffer_load_dword v127, off, s[0:3], 0 offset:472
	buffer_load_dword v128, off, s[0:3], 0 offset:476
	s_waitcnt vmcnt(0)
	ds_write_b64 v125, v[127:128]
	buffer_store_dword v126, off, s[0:3], 0 offset:472
	buffer_store_dword v126, off, s[0:3], 0 offset:476
.LBB61_261:
	s_or_b64 exec, exec, s[4:5]
	s_waitcnt lgkmcnt(0)
	; wave barrier
	buffer_load_dword v130, off, s[0:3], 0 offset:480
	buffer_load_dword v131, off, s[0:3], 0 offset:484
	;; [unrolled: 1-line block ×6, first 2 shown]
	ds_read_b128 v[126:129], v126 offset:976
	v_cmp_lt_u32_e32 vcc, 58, v0
	s_waitcnt vmcnt(4) lgkmcnt(0)
	v_fma_f64 v[126:127], v[130:131], v[126:127], 0
	s_waitcnt vmcnt(2)
	v_fma_f64 v[126:127], v[132:133], v[128:129], v[126:127]
	s_waitcnt vmcnt(0)
	v_add_f64 v[126:127], v[134:135], -v[126:127]
	buffer_store_dword v126, off, s[0:3], 0 offset:472
	buffer_store_dword v127, off, s[0:3], 0 offset:476
	s_and_saveexec_b64 s[4:5], vcc
	s_cbranch_execz .LBB61_263
; %bb.262:
	buffer_load_dword v126, off, s[0:3], 0 offset:464
	buffer_load_dword v127, off, s[0:3], 0 offset:468
	v_mov_b32_e32 v128, 0
	buffer_store_dword v128, off, s[0:3], 0 offset:464
	buffer_store_dword v128, off, s[0:3], 0 offset:468
	s_waitcnt vmcnt(2)
	ds_write_b64 v125, v[126:127]
.LBB61_263:
	s_or_b64 exec, exec, s[4:5]
	s_waitcnt lgkmcnt(0)
	; wave barrier
	buffer_load_dword v131, off, s[0:3], 0 offset:472
	buffer_load_dword v132, off, s[0:3], 0 offset:476
	;; [unrolled: 1-line block ×8, first 2 shown]
	v_mov_b32_e32 v126, 0
	ds_read2_b64 v[127:130], v126 offset0:121 offset1:122
	ds_read_b64 v[139:140], v126 offset:984
	v_cmp_lt_u32_e32 vcc, 57, v0
	s_waitcnt vmcnt(6) lgkmcnt(1)
	v_fma_f64 v[127:128], v[131:132], v[127:128], 0
	s_waitcnt vmcnt(4)
	v_fma_f64 v[127:128], v[133:134], v[129:130], v[127:128]
	s_waitcnt vmcnt(2) lgkmcnt(0)
	v_fma_f64 v[127:128], v[135:136], v[139:140], v[127:128]
	s_waitcnt vmcnt(0)
	v_add_f64 v[127:128], v[137:138], -v[127:128]
	buffer_store_dword v127, off, s[0:3], 0 offset:464
	buffer_store_dword v128, off, s[0:3], 0 offset:468
	s_and_saveexec_b64 s[4:5], vcc
	s_cbranch_execz .LBB61_265
; %bb.264:
	buffer_load_dword v127, off, s[0:3], 0 offset:456
	buffer_load_dword v128, off, s[0:3], 0 offset:460
	s_waitcnt vmcnt(0)
	ds_write_b64 v125, v[127:128]
	buffer_store_dword v126, off, s[0:3], 0 offset:456
	buffer_store_dword v126, off, s[0:3], 0 offset:460
.LBB61_265:
	s_or_b64 exec, exec, s[4:5]
	s_waitcnt lgkmcnt(0)
	; wave barrier
	buffer_load_dword v135, off, s[0:3], 0 offset:464
	buffer_load_dword v136, off, s[0:3], 0 offset:468
	;; [unrolled: 1-line block ×10, first 2 shown]
	ds_read_b128 v[127:130], v126 offset:960
	ds_read_b128 v[131:134], v126 offset:976
	v_cmp_lt_u32_e32 vcc, 56, v0
	s_waitcnt vmcnt(8) lgkmcnt(1)
	v_fma_f64 v[126:127], v[135:136], v[127:128], 0
	s_waitcnt vmcnt(6)
	v_fma_f64 v[126:127], v[137:138], v[129:130], v[126:127]
	s_waitcnt vmcnt(4) lgkmcnt(0)
	v_fma_f64 v[126:127], v[139:140], v[131:132], v[126:127]
	s_waitcnt vmcnt(2)
	v_fma_f64 v[126:127], v[141:142], v[133:134], v[126:127]
	s_waitcnt vmcnt(0)
	v_add_f64 v[126:127], v[143:144], -v[126:127]
	buffer_store_dword v126, off, s[0:3], 0 offset:456
	buffer_store_dword v127, off, s[0:3], 0 offset:460
	s_and_saveexec_b64 s[4:5], vcc
	s_cbranch_execz .LBB61_267
; %bb.266:
	buffer_load_dword v126, off, s[0:3], 0 offset:448
	buffer_load_dword v127, off, s[0:3], 0 offset:452
	v_mov_b32_e32 v128, 0
	buffer_store_dword v128, off, s[0:3], 0 offset:448
	buffer_store_dword v128, off, s[0:3], 0 offset:452
	s_waitcnt vmcnt(2)
	ds_write_b64 v125, v[126:127]
.LBB61_267:
	s_or_b64 exec, exec, s[4:5]
	s_waitcnt lgkmcnt(0)
	; wave barrier
	buffer_load_dword v135, off, s[0:3], 0 offset:456
	buffer_load_dword v136, off, s[0:3], 0 offset:460
	buffer_load_dword v137, off, s[0:3], 0 offset:464
	buffer_load_dword v138, off, s[0:3], 0 offset:468
	buffer_load_dword v139, off, s[0:3], 0 offset:472
	buffer_load_dword v140, off, s[0:3], 0 offset:476
	buffer_load_dword v141, off, s[0:3], 0 offset:480
	buffer_load_dword v142, off, s[0:3], 0 offset:484
	buffer_load_dword v143, off, s[0:3], 0 offset:488
	buffer_load_dword v144, off, s[0:3], 0 offset:492
	buffer_load_dword v145, off, s[0:3], 0 offset:448
	buffer_load_dword v146, off, s[0:3], 0 offset:452
	v_mov_b32_e32 v126, 0
	ds_read2_b64 v[127:130], v126 offset0:119 offset1:120
	ds_read2_b64 v[131:134], v126 offset0:121 offset1:122
	v_cmp_lt_u32_e32 vcc, 55, v0
	s_waitcnt vmcnt(10) lgkmcnt(1)
	v_fma_f64 v[127:128], v[135:136], v[127:128], 0
	s_waitcnt vmcnt(8)
	v_fma_f64 v[127:128], v[137:138], v[129:130], v[127:128]
	ds_read_b64 v[129:130], v126 offset:984
	s_waitcnt vmcnt(6) lgkmcnt(1)
	v_fma_f64 v[127:128], v[139:140], v[131:132], v[127:128]
	s_waitcnt vmcnt(4)
	v_fma_f64 v[127:128], v[141:142], v[133:134], v[127:128]
	s_waitcnt vmcnt(2) lgkmcnt(0)
	v_fma_f64 v[127:128], v[143:144], v[129:130], v[127:128]
	s_waitcnt vmcnt(0)
	v_add_f64 v[127:128], v[145:146], -v[127:128]
	buffer_store_dword v127, off, s[0:3], 0 offset:448
	buffer_store_dword v128, off, s[0:3], 0 offset:452
	s_and_saveexec_b64 s[4:5], vcc
	s_cbranch_execz .LBB61_269
; %bb.268:
	buffer_load_dword v127, off, s[0:3], 0 offset:440
	buffer_load_dword v128, off, s[0:3], 0 offset:444
	s_waitcnt vmcnt(0)
	ds_write_b64 v125, v[127:128]
	buffer_store_dword v126, off, s[0:3], 0 offset:440
	buffer_store_dword v126, off, s[0:3], 0 offset:444
.LBB61_269:
	s_or_b64 exec, exec, s[4:5]
	s_waitcnt lgkmcnt(0)
	; wave barrier
	buffer_load_dword v135, off, s[0:3], 0 offset:448
	buffer_load_dword v136, off, s[0:3], 0 offset:452
	;; [unrolled: 1-line block ×14, first 2 shown]
	ds_read_b128 v[127:130], v126 offset:944
	ds_read_b128 v[131:134], v126 offset:960
	v_cmp_lt_u32_e32 vcc, 54, v0
	s_waitcnt vmcnt(12) lgkmcnt(1)
	v_fma_f64 v[127:128], v[135:136], v[127:128], 0
	s_waitcnt vmcnt(10)
	v_fma_f64 v[127:128], v[137:138], v[129:130], v[127:128]
	s_waitcnt vmcnt(8) lgkmcnt(0)
	v_fma_f64 v[127:128], v[139:140], v[131:132], v[127:128]
	s_waitcnt vmcnt(6)
	v_fma_f64 v[130:131], v[141:142], v[133:134], v[127:128]
	ds_read_b128 v[126:129], v126 offset:976
	s_waitcnt vmcnt(4) lgkmcnt(0)
	v_fma_f64 v[126:127], v[143:144], v[126:127], v[130:131]
	s_waitcnt vmcnt(2)
	v_fma_f64 v[126:127], v[145:146], v[128:129], v[126:127]
	s_waitcnt vmcnt(0)
	v_add_f64 v[126:127], v[147:148], -v[126:127]
	buffer_store_dword v126, off, s[0:3], 0 offset:440
	buffer_store_dword v127, off, s[0:3], 0 offset:444
	s_and_saveexec_b64 s[4:5], vcc
	s_cbranch_execz .LBB61_271
; %bb.270:
	buffer_load_dword v126, off, s[0:3], 0 offset:432
	buffer_load_dword v127, off, s[0:3], 0 offset:436
	v_mov_b32_e32 v128, 0
	buffer_store_dword v128, off, s[0:3], 0 offset:432
	buffer_store_dword v128, off, s[0:3], 0 offset:436
	s_waitcnt vmcnt(2)
	ds_write_b64 v125, v[126:127]
.LBB61_271:
	s_or_b64 exec, exec, s[4:5]
	s_waitcnt lgkmcnt(0)
	; wave barrier
	buffer_load_dword v135, off, s[0:3], 0 offset:440
	buffer_load_dword v136, off, s[0:3], 0 offset:444
	;; [unrolled: 1-line block ×16, first 2 shown]
	v_mov_b32_e32 v126, 0
	ds_read2_b64 v[127:130], v126 offset0:117 offset1:118
	ds_read2_b64 v[131:134], v126 offset0:119 offset1:120
	v_cmp_lt_u32_e32 vcc, 53, v0
	s_waitcnt vmcnt(14) lgkmcnt(1)
	v_fma_f64 v[127:128], v[135:136], v[127:128], 0
	s_waitcnt vmcnt(12)
	v_fma_f64 v[127:128], v[137:138], v[129:130], v[127:128]
	s_waitcnt vmcnt(10) lgkmcnt(0)
	v_fma_f64 v[127:128], v[139:140], v[131:132], v[127:128]
	s_waitcnt vmcnt(8)
	v_fma_f64 v[131:132], v[141:142], v[133:134], v[127:128]
	ds_read2_b64 v[127:130], v126 offset0:121 offset1:122
	ds_read_b64 v[133:134], v126 offset:984
	s_waitcnt vmcnt(6) lgkmcnt(1)
	v_fma_f64 v[127:128], v[143:144], v[127:128], v[131:132]
	s_waitcnt vmcnt(4)
	v_fma_f64 v[127:128], v[145:146], v[129:130], v[127:128]
	s_waitcnt vmcnt(2) lgkmcnt(0)
	v_fma_f64 v[127:128], v[147:148], v[133:134], v[127:128]
	s_waitcnt vmcnt(0)
	v_add_f64 v[127:128], v[149:150], -v[127:128]
	buffer_store_dword v127, off, s[0:3], 0 offset:432
	buffer_store_dword v128, off, s[0:3], 0 offset:436
	s_and_saveexec_b64 s[4:5], vcc
	s_cbranch_execz .LBB61_273
; %bb.272:
	buffer_load_dword v127, off, s[0:3], 0 offset:424
	buffer_load_dword v128, off, s[0:3], 0 offset:428
	s_waitcnt vmcnt(0)
	ds_write_b64 v125, v[127:128]
	buffer_store_dword v126, off, s[0:3], 0 offset:424
	buffer_store_dword v126, off, s[0:3], 0 offset:428
.LBB61_273:
	s_or_b64 exec, exec, s[4:5]
	s_waitcnt lgkmcnt(0)
	; wave barrier
	buffer_load_dword v135, off, s[0:3], 0 offset:432
	buffer_load_dword v136, off, s[0:3], 0 offset:436
	buffer_load_dword v137, off, s[0:3], 0 offset:440
	buffer_load_dword v138, off, s[0:3], 0 offset:444
	buffer_load_dword v139, off, s[0:3], 0 offset:448
	buffer_load_dword v140, off, s[0:3], 0 offset:452
	buffer_load_dword v141, off, s[0:3], 0 offset:456
	buffer_load_dword v142, off, s[0:3], 0 offset:460
	buffer_load_dword v143, off, s[0:3], 0 offset:464
	buffer_load_dword v144, off, s[0:3], 0 offset:468
	buffer_load_dword v145, off, s[0:3], 0 offset:472
	buffer_load_dword v146, off, s[0:3], 0 offset:476
	buffer_load_dword v147, off, s[0:3], 0 offset:480
	buffer_load_dword v148, off, s[0:3], 0 offset:484
	buffer_load_dword v150, off, s[0:3], 0 offset:492
	buffer_load_dword v149, off, s[0:3], 0 offset:488
	buffer_load_dword v151, off, s[0:3], 0 offset:424
	buffer_load_dword v152, off, s[0:3], 0 offset:428
	ds_read_b128 v[127:130], v126 offset:928
	ds_read_b128 v[131:134], v126 offset:944
	v_cmp_lt_u32_e32 vcc, 52, v0
	s_waitcnt vmcnt(16) lgkmcnt(1)
	v_fma_f64 v[127:128], v[135:136], v[127:128], 0
	s_waitcnt vmcnt(14)
	v_fma_f64 v[127:128], v[137:138], v[129:130], v[127:128]
	s_waitcnt vmcnt(12) lgkmcnt(0)
	v_fma_f64 v[127:128], v[139:140], v[131:132], v[127:128]
	s_waitcnt vmcnt(10)
	v_fma_f64 v[135:136], v[141:142], v[133:134], v[127:128]
	ds_read_b128 v[127:130], v126 offset:960
	ds_read_b128 v[131:134], v126 offset:976
	s_waitcnt vmcnt(8) lgkmcnt(1)
	v_fma_f64 v[126:127], v[143:144], v[127:128], v[135:136]
	s_waitcnt vmcnt(6)
	v_fma_f64 v[126:127], v[145:146], v[129:130], v[126:127]
	s_waitcnt vmcnt(4) lgkmcnt(0)
	v_fma_f64 v[126:127], v[147:148], v[131:132], v[126:127]
	s_waitcnt vmcnt(2)
	v_fma_f64 v[126:127], v[149:150], v[133:134], v[126:127]
	s_waitcnt vmcnt(0)
	v_add_f64 v[126:127], v[151:152], -v[126:127]
	buffer_store_dword v126, off, s[0:3], 0 offset:424
	buffer_store_dword v127, off, s[0:3], 0 offset:428
	s_and_saveexec_b64 s[4:5], vcc
	s_cbranch_execz .LBB61_275
; %bb.274:
	buffer_load_dword v126, off, s[0:3], 0 offset:416
	buffer_load_dword v127, off, s[0:3], 0 offset:420
	v_mov_b32_e32 v128, 0
	buffer_store_dword v128, off, s[0:3], 0 offset:416
	buffer_store_dword v128, off, s[0:3], 0 offset:420
	s_waitcnt vmcnt(2)
	ds_write_b64 v125, v[126:127]
.LBB61_275:
	s_or_b64 exec, exec, s[4:5]
	s_waitcnt lgkmcnt(0)
	; wave barrier
	buffer_load_dword v135, off, s[0:3], 0 offset:424
	buffer_load_dword v136, off, s[0:3], 0 offset:428
	;; [unrolled: 1-line block ×20, first 2 shown]
	v_mov_b32_e32 v126, 0
	ds_read2_b64 v[127:130], v126 offset0:115 offset1:116
	ds_read2_b64 v[131:134], v126 offset0:117 offset1:118
	v_cmp_lt_u32_e32 vcc, 51, v0
	s_waitcnt vmcnt(18) lgkmcnt(1)
	v_fma_f64 v[127:128], v[135:136], v[127:128], 0
	s_waitcnt vmcnt(16)
	v_fma_f64 v[127:128], v[137:138], v[129:130], v[127:128]
	s_waitcnt vmcnt(14) lgkmcnt(0)
	v_fma_f64 v[127:128], v[139:140], v[131:132], v[127:128]
	s_waitcnt vmcnt(12)
	v_fma_f64 v[135:136], v[141:142], v[133:134], v[127:128]
	ds_read2_b64 v[127:130], v126 offset0:119 offset1:120
	ds_read2_b64 v[131:134], v126 offset0:121 offset1:122
	s_waitcnt vmcnt(10) lgkmcnt(1)
	v_fma_f64 v[127:128], v[143:144], v[127:128], v[135:136]
	s_waitcnt vmcnt(8)
	v_fma_f64 v[127:128], v[145:146], v[129:130], v[127:128]
	ds_read_b64 v[129:130], v126 offset:984
	s_waitcnt vmcnt(6) lgkmcnt(1)
	v_fma_f64 v[127:128], v[147:148], v[131:132], v[127:128]
	s_waitcnt vmcnt(3)
	v_fma_f64 v[127:128], v[149:150], v[133:134], v[127:128]
	s_waitcnt vmcnt(2) lgkmcnt(0)
	v_fma_f64 v[127:128], v[151:152], v[129:130], v[127:128]
	s_waitcnt vmcnt(0)
	v_add_f64 v[127:128], v[153:154], -v[127:128]
	buffer_store_dword v127, off, s[0:3], 0 offset:416
	buffer_store_dword v128, off, s[0:3], 0 offset:420
	s_and_saveexec_b64 s[4:5], vcc
	s_cbranch_execz .LBB61_277
; %bb.276:
	buffer_load_dword v127, off, s[0:3], 0 offset:408
	buffer_load_dword v128, off, s[0:3], 0 offset:412
	s_waitcnt vmcnt(0)
	ds_write_b64 v125, v[127:128]
	buffer_store_dword v126, off, s[0:3], 0 offset:408
	buffer_store_dword v126, off, s[0:3], 0 offset:412
.LBB61_277:
	s_or_b64 exec, exec, s[4:5]
	s_waitcnt lgkmcnt(0)
	; wave barrier
	buffer_load_dword v135, off, s[0:3], 0 offset:416
	buffer_load_dword v136, off, s[0:3], 0 offset:420
	;; [unrolled: 1-line block ×20, first 2 shown]
	ds_read_b128 v[127:130], v126 offset:912
	buffer_load_dword v155, off, s[0:3], 0 offset:408
	buffer_load_dword v156, off, s[0:3], 0 offset:412
	ds_read_b128 v[131:134], v126 offset:928
	v_cmp_lt_u32_e32 vcc, 50, v0
	s_waitcnt vmcnt(20) lgkmcnt(1)
	v_fma_f64 v[127:128], v[135:136], v[127:128], 0
	s_waitcnt vmcnt(18)
	v_fma_f64 v[127:128], v[137:138], v[129:130], v[127:128]
	s_waitcnt vmcnt(16) lgkmcnt(0)
	v_fma_f64 v[127:128], v[139:140], v[131:132], v[127:128]
	s_waitcnt vmcnt(14)
	v_fma_f64 v[135:136], v[141:142], v[133:134], v[127:128]
	ds_read_b128 v[127:130], v126 offset:944
	ds_read_b128 v[131:134], v126 offset:960
	s_waitcnt vmcnt(12) lgkmcnt(1)
	v_fma_f64 v[127:128], v[143:144], v[127:128], v[135:136]
	s_waitcnt vmcnt(10)
	v_fma_f64 v[127:128], v[145:146], v[129:130], v[127:128]
	s_waitcnt vmcnt(8) lgkmcnt(0)
	v_fma_f64 v[127:128], v[147:148], v[131:132], v[127:128]
	s_waitcnt vmcnt(4)
	v_fma_f64 v[130:131], v[149:150], v[133:134], v[127:128]
	ds_read_b128 v[126:129], v126 offset:976
	s_waitcnt vmcnt(3) lgkmcnt(0)
	v_fma_f64 v[126:127], v[153:154], v[126:127], v[130:131]
	s_waitcnt vmcnt(2)
	v_fma_f64 v[126:127], v[151:152], v[128:129], v[126:127]
	s_waitcnt vmcnt(0)
	v_add_f64 v[126:127], v[155:156], -v[126:127]
	buffer_store_dword v126, off, s[0:3], 0 offset:408
	buffer_store_dword v127, off, s[0:3], 0 offset:412
	s_and_saveexec_b64 s[4:5], vcc
	s_cbranch_execz .LBB61_279
; %bb.278:
	buffer_load_dword v126, off, s[0:3], 0 offset:400
	buffer_load_dword v127, off, s[0:3], 0 offset:404
	v_mov_b32_e32 v128, 0
	buffer_store_dword v128, off, s[0:3], 0 offset:400
	buffer_store_dword v128, off, s[0:3], 0 offset:404
	s_waitcnt vmcnt(2)
	ds_write_b64 v125, v[126:127]
.LBB61_279:
	s_or_b64 exec, exec, s[4:5]
	s_waitcnt lgkmcnt(0)
	; wave barrier
	buffer_load_dword v135, off, s[0:3], 0 offset:408
	buffer_load_dword v136, off, s[0:3], 0 offset:412
	;; [unrolled: 1-line block ×21, first 2 shown]
	v_mov_b32_e32 v126, 0
	ds_read2_b64 v[127:130], v126 offset0:113 offset1:114
	ds_read2_b64 v[131:134], v126 offset0:115 offset1:116
	buffer_load_dword v152, off, s[0:3], 0 offset:492
	v_cmp_lt_u32_e32 vcc, 49, v0
	s_waitcnt vmcnt(20) lgkmcnt(1)
	v_fma_f64 v[127:128], v[135:136], v[127:128], 0
	buffer_load_dword v135, off, s[0:3], 0 offset:400
	buffer_load_dword v136, off, s[0:3], 0 offset:404
	s_waitcnt vmcnt(20)
	v_fma_f64 v[127:128], v[137:138], v[129:130], v[127:128]
	s_waitcnt vmcnt(18) lgkmcnt(0)
	v_fma_f64 v[127:128], v[139:140], v[131:132], v[127:128]
	s_waitcnt vmcnt(16)
	v_fma_f64 v[137:138], v[141:142], v[133:134], v[127:128]
	ds_read2_b64 v[127:130], v126 offset0:117 offset1:118
	ds_read2_b64 v[131:134], v126 offset0:119 offset1:120
	s_waitcnt vmcnt(14) lgkmcnt(1)
	v_fma_f64 v[127:128], v[143:144], v[127:128], v[137:138]
	s_waitcnt vmcnt(12)
	v_fma_f64 v[127:128], v[145:146], v[129:130], v[127:128]
	s_waitcnt vmcnt(10) lgkmcnt(0)
	v_fma_f64 v[127:128], v[147:148], v[131:132], v[127:128]
	s_waitcnt vmcnt(5)
	v_fma_f64 v[131:132], v[149:150], v[133:134], v[127:128]
	ds_read2_b64 v[127:130], v126 offset0:121 offset1:122
	ds_read_b64 v[133:134], v126 offset:984
	s_waitcnt vmcnt(4) lgkmcnt(1)
	v_fma_f64 v[127:128], v[155:156], v[127:128], v[131:132]
	s_waitcnt vmcnt(3)
	v_fma_f64 v[127:128], v[153:154], v[129:130], v[127:128]
	s_waitcnt vmcnt(2) lgkmcnt(0)
	v_fma_f64 v[127:128], v[151:152], v[133:134], v[127:128]
	s_waitcnt vmcnt(0)
	v_add_f64 v[127:128], v[135:136], -v[127:128]
	buffer_store_dword v128, off, s[0:3], 0 offset:404
	buffer_store_dword v127, off, s[0:3], 0 offset:400
	s_and_saveexec_b64 s[4:5], vcc
	s_cbranch_execz .LBB61_281
; %bb.280:
	buffer_load_dword v127, off, s[0:3], 0 offset:392
	buffer_load_dword v128, off, s[0:3], 0 offset:396
	s_waitcnt vmcnt(0)
	ds_write_b64 v125, v[127:128]
	buffer_store_dword v126, off, s[0:3], 0 offset:392
	buffer_store_dword v126, off, s[0:3], 0 offset:396
.LBB61_281:
	s_or_b64 exec, exec, s[4:5]
	s_waitcnt lgkmcnt(0)
	; wave barrier
	buffer_load_dword v135, off, s[0:3], 0 offset:400
	buffer_load_dword v136, off, s[0:3], 0 offset:404
	;; [unrolled: 1-line block ×21, first 2 shown]
	ds_read_b128 v[127:130], v126 offset:896
	ds_read_b128 v[131:134], v126 offset:912
	buffer_load_dword v152, off, s[0:3], 0 offset:484
	v_cmp_lt_u32_e32 vcc, 48, v0
	s_waitcnt vmcnt(20) lgkmcnt(1)
	v_fma_f64 v[127:128], v[135:136], v[127:128], 0
	buffer_load_dword v136, off, s[0:3], 0 offset:492
	buffer_load_dword v135, off, s[0:3], 0 offset:488
	s_waitcnt vmcnt(20)
	v_fma_f64 v[127:128], v[137:138], v[129:130], v[127:128]
	buffer_load_dword v137, off, s[0:3], 0 offset:392
	buffer_load_dword v138, off, s[0:3], 0 offset:396
	s_waitcnt vmcnt(20) lgkmcnt(0)
	v_fma_f64 v[127:128], v[139:140], v[131:132], v[127:128]
	s_waitcnt vmcnt(18)
	v_fma_f64 v[139:140], v[141:142], v[133:134], v[127:128]
	ds_read_b128 v[127:130], v126 offset:928
	ds_read_b128 v[131:134], v126 offset:944
	s_waitcnt vmcnt(16) lgkmcnt(1)
	v_fma_f64 v[127:128], v[143:144], v[127:128], v[139:140]
	s_waitcnt vmcnt(14)
	v_fma_f64 v[127:128], v[145:146], v[129:130], v[127:128]
	s_waitcnt vmcnt(12) lgkmcnt(0)
	v_fma_f64 v[127:128], v[147:148], v[131:132], v[127:128]
	s_waitcnt vmcnt(7)
	v_fma_f64 v[139:140], v[149:150], v[133:134], v[127:128]
	ds_read_b128 v[127:130], v126 offset:960
	ds_read_b128 v[131:134], v126 offset:976
	s_waitcnt vmcnt(6) lgkmcnt(1)
	v_fma_f64 v[126:127], v[155:156], v[127:128], v[139:140]
	s_waitcnt vmcnt(5)
	v_fma_f64 v[126:127], v[153:154], v[129:130], v[126:127]
	s_waitcnt vmcnt(4) lgkmcnt(0)
	v_fma_f64 v[126:127], v[151:152], v[131:132], v[126:127]
	s_waitcnt vmcnt(2)
	v_fma_f64 v[126:127], v[135:136], v[133:134], v[126:127]
	s_waitcnt vmcnt(0)
	v_add_f64 v[126:127], v[137:138], -v[126:127]
	buffer_store_dword v127, off, s[0:3], 0 offset:396
	buffer_store_dword v126, off, s[0:3], 0 offset:392
	s_and_saveexec_b64 s[4:5], vcc
	s_cbranch_execz .LBB61_283
; %bb.282:
	buffer_load_dword v126, off, s[0:3], 0 offset:384
	buffer_load_dword v127, off, s[0:3], 0 offset:388
	v_mov_b32_e32 v128, 0
	buffer_store_dword v128, off, s[0:3], 0 offset:384
	buffer_store_dword v128, off, s[0:3], 0 offset:388
	s_waitcnt vmcnt(2)
	ds_write_b64 v125, v[126:127]
.LBB61_283:
	s_or_b64 exec, exec, s[4:5]
	s_waitcnt lgkmcnt(0)
	; wave barrier
	buffer_load_dword v135, off, s[0:3], 0 offset:392
	buffer_load_dword v136, off, s[0:3], 0 offset:396
	;; [unrolled: 1-line block ×21, first 2 shown]
	v_mov_b32_e32 v126, 0
	ds_read2_b64 v[127:130], v126 offset0:111 offset1:112
	ds_read2_b64 v[131:134], v126 offset0:113 offset1:114
	buffer_load_dword v152, off, s[0:3], 0 offset:476
	v_cmp_lt_u32_e32 vcc, 47, v0
	s_waitcnt vmcnt(20) lgkmcnt(1)
	v_fma_f64 v[127:128], v[135:136], v[127:128], 0
	s_waitcnt vmcnt(18)
	v_fma_f64 v[127:128], v[137:138], v[129:130], v[127:128]
	buffer_load_dword v136, off, s[0:3], 0 offset:484
	buffer_load_dword v137, off, s[0:3], 0 offset:488
	;; [unrolled: 1-line block ×4, first 2 shown]
	s_waitcnt vmcnt(20) lgkmcnt(0)
	v_fma_f64 v[127:128], v[139:140], v[131:132], v[127:128]
	buffer_load_dword v139, off, s[0:3], 0 offset:384
	buffer_load_dword v140, off, s[0:3], 0 offset:388
	s_waitcnt vmcnt(20)
	v_fma_f64 v[141:142], v[141:142], v[133:134], v[127:128]
	ds_read2_b64 v[127:130], v126 offset0:115 offset1:116
	ds_read2_b64 v[131:134], v126 offset0:117 offset1:118
	s_waitcnt vmcnt(18) lgkmcnt(1)
	v_fma_f64 v[127:128], v[143:144], v[127:128], v[141:142]
	s_waitcnt vmcnt(16)
	v_fma_f64 v[127:128], v[145:146], v[129:130], v[127:128]
	s_waitcnt vmcnt(14) lgkmcnt(0)
	v_fma_f64 v[127:128], v[147:148], v[131:132], v[127:128]
	s_waitcnt vmcnt(9)
	v_fma_f64 v[141:142], v[149:150], v[133:134], v[127:128]
	ds_read2_b64 v[127:130], v126 offset0:119 offset1:120
	ds_read2_b64 v[131:134], v126 offset0:121 offset1:122
	s_waitcnt vmcnt(8) lgkmcnt(1)
	v_fma_f64 v[127:128], v[155:156], v[127:128], v[141:142]
	s_waitcnt vmcnt(7)
	v_fma_f64 v[127:128], v[153:154], v[129:130], v[127:128]
	ds_read_b64 v[129:130], v126 offset:984
	s_waitcnt vmcnt(6) lgkmcnt(1)
	v_fma_f64 v[127:128], v[151:152], v[131:132], v[127:128]
	s_waitcnt vmcnt(3)
	v_fma_f64 v[127:128], v[135:136], v[133:134], v[127:128]
	s_waitcnt vmcnt(2) lgkmcnt(0)
	v_fma_f64 v[127:128], v[137:138], v[129:130], v[127:128]
	s_waitcnt vmcnt(0)
	v_add_f64 v[127:128], v[139:140], -v[127:128]
	buffer_store_dword v128, off, s[0:3], 0 offset:388
	buffer_store_dword v127, off, s[0:3], 0 offset:384
	s_and_saveexec_b64 s[4:5], vcc
	s_cbranch_execz .LBB61_285
; %bb.284:
	buffer_load_dword v127, off, s[0:3], 0 offset:376
	buffer_load_dword v128, off, s[0:3], 0 offset:380
	s_waitcnt vmcnt(0)
	ds_write_b64 v125, v[127:128]
	buffer_store_dword v126, off, s[0:3], 0 offset:376
	buffer_store_dword v126, off, s[0:3], 0 offset:380
.LBB61_285:
	s_or_b64 exec, exec, s[4:5]
	s_waitcnt lgkmcnt(0)
	; wave barrier
	buffer_load_dword v135, off, s[0:3], 0 offset:384
	buffer_load_dword v136, off, s[0:3], 0 offset:388
	;; [unrolled: 1-line block ×22, first 2 shown]
	ds_read_b128 v[127:130], v126 offset:880
	ds_read_b128 v[131:134], v126 offset:896
	v_cmp_lt_u32_e32 vcc, 46, v0
	s_waitcnt vmcnt(20) lgkmcnt(1)
	v_fma_f64 v[127:128], v[135:136], v[127:128], 0
	s_waitcnt vmcnt(18)
	v_fma_f64 v[127:128], v[137:138], v[129:130], v[127:128]
	buffer_load_dword v136, off, s[0:3], 0 offset:476
	buffer_load_dword v137, off, s[0:3], 0 offset:488
	;; [unrolled: 1-line block ×6, first 2 shown]
	s_waitcnt vmcnt(22) lgkmcnt(0)
	v_fma_f64 v[127:128], v[139:140], v[131:132], v[127:128]
	s_waitcnt vmcnt(20)
	v_fma_f64 v[139:140], v[141:142], v[133:134], v[127:128]
	ds_read_b128 v[127:130], v126 offset:912
	buffer_load_dword v141, off, s[0:3], 0 offset:376
	buffer_load_dword v142, off, s[0:3], 0 offset:380
	ds_read_b128 v[131:134], v126 offset:928
	s_waitcnt vmcnt(20) lgkmcnt(1)
	v_fma_f64 v[127:128], v[143:144], v[127:128], v[139:140]
	s_waitcnt vmcnt(18)
	v_fma_f64 v[127:128], v[145:146], v[129:130], v[127:128]
	s_waitcnt vmcnt(16) lgkmcnt(0)
	v_fma_f64 v[127:128], v[147:148], v[131:132], v[127:128]
	s_waitcnt vmcnt(11)
	v_fma_f64 v[139:140], v[149:150], v[133:134], v[127:128]
	ds_read_b128 v[127:130], v126 offset:944
	ds_read_b128 v[131:134], v126 offset:960
	s_waitcnt vmcnt(10) lgkmcnt(1)
	v_fma_f64 v[127:128], v[155:156], v[127:128], v[139:140]
	s_waitcnt vmcnt(9)
	v_fma_f64 v[127:128], v[153:154], v[129:130], v[127:128]
	s_waitcnt vmcnt(8) lgkmcnt(0)
	v_fma_f64 v[127:128], v[151:152], v[131:132], v[127:128]
	s_waitcnt vmcnt(4)
	v_fma_f64 v[130:131], v[135:136], v[133:134], v[127:128]
	ds_read_b128 v[126:129], v126 offset:976
	s_waitcnt vmcnt(3) lgkmcnt(0)
	v_fma_f64 v[126:127], v[157:158], v[126:127], v[130:131]
	s_waitcnt vmcnt(2)
	v_fma_f64 v[126:127], v[137:138], v[128:129], v[126:127]
	s_waitcnt vmcnt(0)
	v_add_f64 v[126:127], v[141:142], -v[126:127]
	buffer_store_dword v127, off, s[0:3], 0 offset:380
	buffer_store_dword v126, off, s[0:3], 0 offset:376
	s_and_saveexec_b64 s[4:5], vcc
	s_cbranch_execz .LBB61_287
; %bb.286:
	buffer_load_dword v126, off, s[0:3], 0 offset:368
	buffer_load_dword v127, off, s[0:3], 0 offset:372
	v_mov_b32_e32 v128, 0
	buffer_store_dword v128, off, s[0:3], 0 offset:368
	buffer_store_dword v128, off, s[0:3], 0 offset:372
	s_waitcnt vmcnt(2)
	ds_write_b64 v125, v[126:127]
.LBB61_287:
	s_or_b64 exec, exec, s[4:5]
	s_waitcnt lgkmcnt(0)
	; wave barrier
	buffer_load_dword v135, off, s[0:3], 0 offset:376
	buffer_load_dword v136, off, s[0:3], 0 offset:380
	;; [unrolled: 1-line block ×22, first 2 shown]
	v_mov_b32_e32 v126, 0
	ds_read2_b64 v[127:130], v126 offset0:109 offset1:110
	ds_read2_b64 v[131:134], v126 offset0:111 offset1:112
	v_cmp_lt_u32_e32 vcc, 45, v0
	s_waitcnt vmcnt(20) lgkmcnt(1)
	v_fma_f64 v[127:128], v[135:136], v[127:128], 0
	s_waitcnt vmcnt(18)
	v_fma_f64 v[127:128], v[137:138], v[129:130], v[127:128]
	buffer_load_dword v136, off, s[0:3], 0 offset:468
	buffer_load_dword v137, off, s[0:3], 0 offset:488
	;; [unrolled: 1-line block ×8, first 2 shown]
	s_waitcnt vmcnt(24) lgkmcnt(0)
	v_fma_f64 v[127:128], v[139:140], v[131:132], v[127:128]
	s_waitcnt vmcnt(22)
	v_fma_f64 v[139:140], v[141:142], v[133:134], v[127:128]
	ds_read2_b64 v[127:130], v126 offset0:113 offset1:114
	ds_read2_b64 v[131:134], v126 offset0:115 offset1:116
	s_waitcnt vmcnt(20) lgkmcnt(1)
	v_fma_f64 v[127:128], v[143:144], v[127:128], v[139:140]
	buffer_load_dword v139, off, s[0:3], 0 offset:368
	buffer_load_dword v140, off, s[0:3], 0 offset:372
	s_waitcnt vmcnt(20)
	v_fma_f64 v[127:128], v[145:146], v[129:130], v[127:128]
	s_waitcnt vmcnt(18) lgkmcnt(0)
	v_fma_f64 v[127:128], v[147:148], v[131:132], v[127:128]
	s_waitcnt vmcnt(13)
	v_fma_f64 v[141:142], v[149:150], v[133:134], v[127:128]
	ds_read2_b64 v[127:130], v126 offset0:117 offset1:118
	ds_read2_b64 v[131:134], v126 offset0:119 offset1:120
	s_waitcnt vmcnt(12) lgkmcnt(1)
	v_fma_f64 v[127:128], v[155:156], v[127:128], v[141:142]
	s_waitcnt vmcnt(11)
	v_fma_f64 v[127:128], v[153:154], v[129:130], v[127:128]
	s_waitcnt vmcnt(10) lgkmcnt(0)
	v_fma_f64 v[127:128], v[151:152], v[131:132], v[127:128]
	s_waitcnt vmcnt(5)
	v_fma_f64 v[131:132], v[135:136], v[133:134], v[127:128]
	ds_read2_b64 v[127:130], v126 offset0:121 offset1:122
	ds_read_b64 v[133:134], v126 offset:984
	s_waitcnt vmcnt(4) lgkmcnt(1)
	v_fma_f64 v[127:128], v[159:160], v[127:128], v[131:132]
	s_waitcnt vmcnt(3)
	v_fma_f64 v[127:128], v[157:158], v[129:130], v[127:128]
	s_waitcnt vmcnt(2) lgkmcnt(0)
	v_fma_f64 v[127:128], v[137:138], v[133:134], v[127:128]
	s_waitcnt vmcnt(0)
	v_add_f64 v[127:128], v[139:140], -v[127:128]
	buffer_store_dword v128, off, s[0:3], 0 offset:372
	buffer_store_dword v127, off, s[0:3], 0 offset:368
	s_and_saveexec_b64 s[4:5], vcc
	s_cbranch_execz .LBB61_289
; %bb.288:
	buffer_load_dword v127, off, s[0:3], 0 offset:360
	buffer_load_dword v128, off, s[0:3], 0 offset:364
	s_waitcnt vmcnt(0)
	ds_write_b64 v125, v[127:128]
	buffer_store_dword v126, off, s[0:3], 0 offset:360
	buffer_store_dword v126, off, s[0:3], 0 offset:364
.LBB61_289:
	s_or_b64 exec, exec, s[4:5]
	s_waitcnt lgkmcnt(0)
	; wave barrier
	buffer_load_dword v135, off, s[0:3], 0 offset:368
	buffer_load_dword v136, off, s[0:3], 0 offset:372
	;; [unrolled: 1-line block ×22, first 2 shown]
	ds_read_b128 v[127:130], v126 offset:864
	ds_read_b128 v[131:134], v126 offset:880
	v_cmp_lt_u32_e32 vcc, 44, v0
	s_waitcnt vmcnt(20) lgkmcnt(1)
	v_fma_f64 v[127:128], v[135:136], v[127:128], 0
	s_waitcnt vmcnt(18)
	v_fma_f64 v[127:128], v[137:138], v[129:130], v[127:128]
	buffer_load_dword v136, off, s[0:3], 0 offset:460
	buffer_load_dword v137, off, s[0:3], 0 offset:480
	;; [unrolled: 1-line block ×8, first 2 shown]
	s_waitcnt vmcnt(24) lgkmcnt(0)
	v_fma_f64 v[127:128], v[139:140], v[131:132], v[127:128]
	s_waitcnt vmcnt(22)
	v_fma_f64 v[139:140], v[141:142], v[133:134], v[127:128]
	ds_read_b128 v[127:130], v126 offset:896
	ds_read_b128 v[131:134], v126 offset:912
	s_waitcnt vmcnt(20) lgkmcnt(1)
	v_fma_f64 v[127:128], v[143:144], v[127:128], v[139:140]
	buffer_load_dword v140, off, s[0:3], 0 offset:492
	buffer_load_dword v139, off, s[0:3], 0 offset:488
	;; [unrolled: 1-line block ×4, first 2 shown]
	s_waitcnt vmcnt(22)
	v_fma_f64 v[127:128], v[145:146], v[129:130], v[127:128]
	s_waitcnt vmcnt(20) lgkmcnt(0)
	v_fma_f64 v[127:128], v[147:148], v[131:132], v[127:128]
	s_waitcnt vmcnt(15)
	v_fma_f64 v[143:144], v[149:150], v[133:134], v[127:128]
	ds_read_b128 v[127:130], v126 offset:928
	ds_read_b128 v[131:134], v126 offset:944
	s_waitcnt vmcnt(14) lgkmcnt(1)
	v_fma_f64 v[127:128], v[155:156], v[127:128], v[143:144]
	s_waitcnt vmcnt(13)
	v_fma_f64 v[127:128], v[153:154], v[129:130], v[127:128]
	s_waitcnt vmcnt(12) lgkmcnt(0)
	v_fma_f64 v[127:128], v[151:152], v[131:132], v[127:128]
	s_waitcnt vmcnt(7)
	v_fma_f64 v[135:136], v[135:136], v[133:134], v[127:128]
	ds_read_b128 v[127:130], v126 offset:960
	ds_read_b128 v[131:134], v126 offset:976
	s_waitcnt vmcnt(6) lgkmcnt(1)
	v_fma_f64 v[126:127], v[159:160], v[127:128], v[135:136]
	s_waitcnt vmcnt(5)
	v_fma_f64 v[126:127], v[157:158], v[129:130], v[126:127]
	s_waitcnt vmcnt(4) lgkmcnt(0)
	v_fma_f64 v[126:127], v[137:138], v[131:132], v[126:127]
	s_waitcnt vmcnt(2)
	v_fma_f64 v[126:127], v[139:140], v[133:134], v[126:127]
	s_waitcnt vmcnt(0)
	v_add_f64 v[126:127], v[141:142], -v[126:127]
	buffer_store_dword v127, off, s[0:3], 0 offset:364
	buffer_store_dword v126, off, s[0:3], 0 offset:360
	s_and_saveexec_b64 s[4:5], vcc
	s_cbranch_execz .LBB61_291
; %bb.290:
	buffer_load_dword v126, off, s[0:3], 0 offset:352
	buffer_load_dword v127, off, s[0:3], 0 offset:356
	v_mov_b32_e32 v128, 0
	buffer_store_dword v128, off, s[0:3], 0 offset:352
	buffer_store_dword v128, off, s[0:3], 0 offset:356
	s_waitcnt vmcnt(2)
	ds_write_b64 v125, v[126:127]
.LBB61_291:
	s_or_b64 exec, exec, s[4:5]
	s_waitcnt lgkmcnt(0)
	; wave barrier
	buffer_load_dword v135, off, s[0:3], 0 offset:360
	buffer_load_dword v136, off, s[0:3], 0 offset:364
	;; [unrolled: 1-line block ×22, first 2 shown]
	v_mov_b32_e32 v126, 0
	ds_read2_b64 v[127:130], v126 offset0:107 offset1:108
	ds_read2_b64 v[131:134], v126 offset0:109 offset1:110
	v_cmp_lt_u32_e32 vcc, 43, v0
	s_waitcnt vmcnt(20) lgkmcnt(1)
	v_fma_f64 v[127:128], v[135:136], v[127:128], 0
	s_waitcnt vmcnt(18)
	v_fma_f64 v[127:128], v[137:138], v[129:130], v[127:128]
	buffer_load_dword v136, off, s[0:3], 0 offset:452
	buffer_load_dword v137, off, s[0:3], 0 offset:472
	;; [unrolled: 1-line block ×7, first 2 shown]
	s_waitcnt vmcnt(23) lgkmcnt(0)
	v_fma_f64 v[127:128], v[139:140], v[131:132], v[127:128]
	s_waitcnt vmcnt(21)
	v_fma_f64 v[138:139], v[141:142], v[133:134], v[127:128]
	ds_read2_b64 v[127:130], v126 offset0:111 offset1:112
	ds_read2_b64 v[131:134], v126 offset0:113 offset1:114
	s_waitcnt vmcnt(19) lgkmcnt(1)
	v_fma_f64 v[127:128], v[143:144], v[127:128], v[138:139]
	buffer_load_dword v138, off, s[0:3], 0 offset:476
	buffer_load_dword v140, off, s[0:3], 0 offset:484
	;; [unrolled: 1-line block ×7, first 2 shown]
	s_waitcnt vmcnt(24)
	v_fma_f64 v[127:128], v[145:146], v[129:130], v[127:128]
	s_waitcnt vmcnt(22) lgkmcnt(0)
	v_fma_f64 v[127:128], v[147:148], v[131:132], v[127:128]
	s_waitcnt vmcnt(17)
	v_fma_f64 v[145:146], v[149:150], v[133:134], v[127:128]
	ds_read2_b64 v[127:130], v126 offset0:115 offset1:116
	ds_read2_b64 v[131:134], v126 offset0:117 offset1:118
	s_waitcnt vmcnt(16) lgkmcnt(1)
	v_fma_f64 v[127:128], v[155:156], v[127:128], v[145:146]
	s_waitcnt vmcnt(15)
	v_fma_f64 v[127:128], v[153:154], v[129:130], v[127:128]
	s_waitcnt vmcnt(14) lgkmcnt(0)
	v_fma_f64 v[127:128], v[151:152], v[131:132], v[127:128]
	s_waitcnt vmcnt(9)
	v_fma_f64 v[135:136], v[135:136], v[133:134], v[127:128]
	ds_read2_b64 v[127:130], v126 offset0:119 offset1:120
	ds_read2_b64 v[131:134], v126 offset0:121 offset1:122
	s_waitcnt vmcnt(8) lgkmcnt(1)
	v_fma_f64 v[127:128], v[159:160], v[127:128], v[135:136]
	s_waitcnt vmcnt(7)
	v_fma_f64 v[127:128], v[157:158], v[129:130], v[127:128]
	ds_read_b64 v[129:130], v126 offset:984
	s_waitcnt vmcnt(6) lgkmcnt(1)
	v_fma_f64 v[127:128], v[137:138], v[131:132], v[127:128]
	s_waitcnt vmcnt(3)
	v_fma_f64 v[127:128], v[139:140], v[133:134], v[127:128]
	s_waitcnt vmcnt(2) lgkmcnt(0)
	v_fma_f64 v[127:128], v[141:142], v[129:130], v[127:128]
	s_waitcnt vmcnt(0)
	v_add_f64 v[127:128], v[143:144], -v[127:128]
	buffer_store_dword v128, off, s[0:3], 0 offset:356
	buffer_store_dword v127, off, s[0:3], 0 offset:352
	s_and_saveexec_b64 s[4:5], vcc
	s_cbranch_execz .LBB61_293
; %bb.292:
	buffer_load_dword v127, off, s[0:3], 0 offset:344
	buffer_load_dword v128, off, s[0:3], 0 offset:348
	s_waitcnt vmcnt(0)
	ds_write_b64 v125, v[127:128]
	buffer_store_dword v126, off, s[0:3], 0 offset:344
	buffer_store_dword v126, off, s[0:3], 0 offset:348
.LBB61_293:
	s_or_b64 exec, exec, s[4:5]
	s_waitcnt lgkmcnt(0)
	; wave barrier
	buffer_load_dword v135, off, s[0:3], 0 offset:352
	buffer_load_dword v136, off, s[0:3], 0 offset:356
	;; [unrolled: 1-line block ×22, first 2 shown]
	ds_read_b128 v[127:130], v126 offset:848
	ds_read_b128 v[131:134], v126 offset:864
	v_cmp_lt_u32_e32 vcc, 42, v0
	s_waitcnt vmcnt(20) lgkmcnt(1)
	v_fma_f64 v[127:128], v[135:136], v[127:128], 0
	s_waitcnt vmcnt(18)
	v_fma_f64 v[127:128], v[137:138], v[129:130], v[127:128]
	buffer_load_dword v136, off, s[0:3], 0 offset:444
	buffer_load_dword v137, off, s[0:3], 0 offset:464
	;; [unrolled: 1-line block ×7, first 2 shown]
	s_waitcnt vmcnt(23) lgkmcnt(0)
	v_fma_f64 v[127:128], v[139:140], v[131:132], v[127:128]
	s_waitcnt vmcnt(21)
	v_fma_f64 v[138:139], v[141:142], v[133:134], v[127:128]
	ds_read_b128 v[127:130], v126 offset:880
	ds_read_b128 v[131:134], v126 offset:896
	s_waitcnt vmcnt(19) lgkmcnt(1)
	v_fma_f64 v[127:128], v[143:144], v[127:128], v[138:139]
	buffer_load_dword v138, off, s[0:3], 0 offset:468
	buffer_load_dword v140, off, s[0:3], 0 offset:476
	;; [unrolled: 1-line block ×7, first 2 shown]
	s_waitcnt vmcnt(24)
	v_fma_f64 v[127:128], v[145:146], v[129:130], v[127:128]
	s_waitcnt vmcnt(22) lgkmcnt(0)
	v_fma_f64 v[127:128], v[147:148], v[131:132], v[127:128]
	s_waitcnt vmcnt(17)
	v_fma_f64 v[145:146], v[149:150], v[133:134], v[127:128]
	ds_read_b128 v[127:130], v126 offset:912
	buffer_load_dword v147, off, s[0:3], 0 offset:344
	buffer_load_dword v148, off, s[0:3], 0 offset:348
	ds_read_b128 v[131:134], v126 offset:928
	s_waitcnt vmcnt(18) lgkmcnt(1)
	v_fma_f64 v[127:128], v[155:156], v[127:128], v[145:146]
	s_waitcnt vmcnt(17)
	v_fma_f64 v[127:128], v[153:154], v[129:130], v[127:128]
	s_waitcnt vmcnt(16) lgkmcnt(0)
	v_fma_f64 v[127:128], v[151:152], v[131:132], v[127:128]
	s_waitcnt vmcnt(11)
	v_fma_f64 v[135:136], v[135:136], v[133:134], v[127:128]
	ds_read_b128 v[127:130], v126 offset:944
	ds_read_b128 v[131:134], v126 offset:960
	s_waitcnt vmcnt(10) lgkmcnt(1)
	v_fma_f64 v[127:128], v[159:160], v[127:128], v[135:136]
	s_waitcnt vmcnt(9)
	v_fma_f64 v[127:128], v[157:158], v[129:130], v[127:128]
	s_waitcnt vmcnt(8) lgkmcnt(0)
	v_fma_f64 v[127:128], v[137:138], v[131:132], v[127:128]
	s_waitcnt vmcnt(4)
	v_fma_f64 v[130:131], v[139:140], v[133:134], v[127:128]
	ds_read_b128 v[126:129], v126 offset:976
	s_waitcnt vmcnt(3) lgkmcnt(0)
	v_fma_f64 v[126:127], v[143:144], v[126:127], v[130:131]
	s_waitcnt vmcnt(2)
	v_fma_f64 v[126:127], v[141:142], v[128:129], v[126:127]
	s_waitcnt vmcnt(0)
	v_add_f64 v[126:127], v[147:148], -v[126:127]
	buffer_store_dword v127, off, s[0:3], 0 offset:348
	buffer_store_dword v126, off, s[0:3], 0 offset:344
	s_and_saveexec_b64 s[4:5], vcc
	s_cbranch_execz .LBB61_295
; %bb.294:
	buffer_load_dword v126, off, s[0:3], 0 offset:336
	buffer_load_dword v127, off, s[0:3], 0 offset:340
	v_mov_b32_e32 v128, 0
	buffer_store_dword v128, off, s[0:3], 0 offset:336
	buffer_store_dword v128, off, s[0:3], 0 offset:340
	s_waitcnt vmcnt(2)
	ds_write_b64 v125, v[126:127]
.LBB61_295:
	s_or_b64 exec, exec, s[4:5]
	s_waitcnt lgkmcnt(0)
	; wave barrier
	buffer_load_dword v135, off, s[0:3], 0 offset:344
	buffer_load_dword v136, off, s[0:3], 0 offset:348
	;; [unrolled: 1-line block ×22, first 2 shown]
	v_mov_b32_e32 v126, 0
	ds_read2_b64 v[127:130], v126 offset0:105 offset1:106
	ds_read2_b64 v[131:134], v126 offset0:107 offset1:108
	v_cmp_lt_u32_e32 vcc, 41, v0
	s_waitcnt vmcnt(20) lgkmcnt(1)
	v_fma_f64 v[127:128], v[135:136], v[127:128], 0
	s_waitcnt vmcnt(18)
	v_fma_f64 v[127:128], v[137:138], v[129:130], v[127:128]
	buffer_load_dword v136, off, s[0:3], 0 offset:436
	buffer_load_dword v137, off, s[0:3], 0 offset:456
	;; [unrolled: 1-line block ×7, first 2 shown]
	s_waitcnt vmcnt(23) lgkmcnt(0)
	v_fma_f64 v[127:128], v[139:140], v[131:132], v[127:128]
	s_waitcnt vmcnt(21)
	v_fma_f64 v[138:139], v[141:142], v[133:134], v[127:128]
	ds_read2_b64 v[127:130], v126 offset0:109 offset1:110
	ds_read2_b64 v[131:134], v126 offset0:111 offset1:112
	s_waitcnt vmcnt(19) lgkmcnt(1)
	v_fma_f64 v[127:128], v[143:144], v[127:128], v[138:139]
	buffer_load_dword v138, off, s[0:3], 0 offset:460
	s_waitcnt vmcnt(18)
	v_fma_f64 v[127:128], v[145:146], v[129:130], v[127:128]
	buffer_load_dword v140, off, s[0:3], 0 offset:468
	buffer_load_dword v141, off, s[0:3], 0 offset:488
	;; [unrolled: 1-line block ×8, first 2 shown]
	s_waitcnt vmcnt(24) lgkmcnt(0)
	v_fma_f64 v[127:128], v[147:148], v[131:132], v[127:128]
	s_waitcnt vmcnt(19)
	v_fma_f64 v[147:148], v[149:150], v[133:134], v[127:128]
	ds_read2_b64 v[127:130], v126 offset0:113 offset1:114
	ds_read2_b64 v[131:134], v126 offset0:115 offset1:116
	s_waitcnt vmcnt(18) lgkmcnt(1)
	v_fma_f64 v[127:128], v[155:156], v[127:128], v[147:148]
	buffer_load_dword v147, off, s[0:3], 0 offset:336
	buffer_load_dword v148, off, s[0:3], 0 offset:340
	s_waitcnt vmcnt(19)
	v_fma_f64 v[127:128], v[153:154], v[129:130], v[127:128]
	s_waitcnt vmcnt(18) lgkmcnt(0)
	v_fma_f64 v[127:128], v[151:152], v[131:132], v[127:128]
	s_waitcnt vmcnt(13)
	v_fma_f64 v[135:136], v[135:136], v[133:134], v[127:128]
	ds_read2_b64 v[127:130], v126 offset0:117 offset1:118
	ds_read2_b64 v[131:134], v126 offset0:119 offset1:120
	s_waitcnt vmcnt(12) lgkmcnt(1)
	v_fma_f64 v[127:128], v[159:160], v[127:128], v[135:136]
	s_waitcnt vmcnt(11)
	v_fma_f64 v[127:128], v[157:158], v[129:130], v[127:128]
	s_waitcnt vmcnt(10) lgkmcnt(0)
	v_fma_f64 v[127:128], v[137:138], v[131:132], v[127:128]
	s_waitcnt vmcnt(5)
	v_fma_f64 v[131:132], v[139:140], v[133:134], v[127:128]
	ds_read2_b64 v[127:130], v126 offset0:121 offset1:122
	ds_read_b64 v[133:134], v126 offset:984
	s_waitcnt vmcnt(4) lgkmcnt(1)
	v_fma_f64 v[127:128], v[145:146], v[127:128], v[131:132]
	s_waitcnt vmcnt(3)
	v_fma_f64 v[127:128], v[143:144], v[129:130], v[127:128]
	s_waitcnt vmcnt(2) lgkmcnt(0)
	v_fma_f64 v[127:128], v[141:142], v[133:134], v[127:128]
	s_waitcnt vmcnt(0)
	v_add_f64 v[127:128], v[147:148], -v[127:128]
	buffer_store_dword v128, off, s[0:3], 0 offset:340
	buffer_store_dword v127, off, s[0:3], 0 offset:336
	s_and_saveexec_b64 s[4:5], vcc
	s_cbranch_execz .LBB61_297
; %bb.296:
	buffer_load_dword v127, off, s[0:3], 0 offset:328
	buffer_load_dword v128, off, s[0:3], 0 offset:332
	s_waitcnt vmcnt(0)
	ds_write_b64 v125, v[127:128]
	buffer_store_dword v126, off, s[0:3], 0 offset:328
	buffer_store_dword v126, off, s[0:3], 0 offset:332
.LBB61_297:
	s_or_b64 exec, exec, s[4:5]
	s_waitcnt lgkmcnt(0)
	; wave barrier
	buffer_load_dword v135, off, s[0:3], 0 offset:336
	buffer_load_dword v136, off, s[0:3], 0 offset:340
	;; [unrolled: 1-line block ×22, first 2 shown]
	ds_read_b128 v[127:130], v126 offset:832
	ds_read_b128 v[131:134], v126 offset:848
	v_cmp_lt_u32_e32 vcc, 40, v0
	s_waitcnt vmcnt(20) lgkmcnt(1)
	v_fma_f64 v[127:128], v[135:136], v[127:128], 0
	s_waitcnt vmcnt(18)
	v_fma_f64 v[127:128], v[137:138], v[129:130], v[127:128]
	buffer_load_dword v136, off, s[0:3], 0 offset:428
	buffer_load_dword v137, off, s[0:3], 0 offset:448
	;; [unrolled: 1-line block ×7, first 2 shown]
	s_waitcnt vmcnt(23) lgkmcnt(0)
	v_fma_f64 v[127:128], v[139:140], v[131:132], v[127:128]
	s_waitcnt vmcnt(21)
	v_fma_f64 v[138:139], v[141:142], v[133:134], v[127:128]
	ds_read_b128 v[127:130], v126 offset:864
	ds_read_b128 v[131:134], v126 offset:880
	s_waitcnt vmcnt(19) lgkmcnt(1)
	v_fma_f64 v[127:128], v[143:144], v[127:128], v[138:139]
	buffer_load_dword v138, off, s[0:3], 0 offset:452
	s_waitcnt vmcnt(18)
	v_fma_f64 v[127:128], v[145:146], v[129:130], v[127:128]
	buffer_load_dword v140, off, s[0:3], 0 offset:460
	buffer_load_dword v141, off, s[0:3], 0 offset:480
	;; [unrolled: 1-line block ×8, first 2 shown]
	s_waitcnt vmcnt(24) lgkmcnt(0)
	v_fma_f64 v[127:128], v[147:148], v[131:132], v[127:128]
	s_waitcnt vmcnt(19)
	v_fma_f64 v[147:148], v[149:150], v[133:134], v[127:128]
	ds_read_b128 v[127:130], v126 offset:896
	ds_read_b128 v[131:134], v126 offset:912
	s_waitcnt vmcnt(18) lgkmcnt(1)
	v_fma_f64 v[127:128], v[155:156], v[127:128], v[147:148]
	buffer_load_dword v148, off, s[0:3], 0 offset:492
	buffer_load_dword v147, off, s[0:3], 0 offset:488
	;; [unrolled: 1-line block ×4, first 2 shown]
	s_waitcnt vmcnt(21)
	v_fma_f64 v[127:128], v[153:154], v[129:130], v[127:128]
	s_waitcnt vmcnt(20) lgkmcnt(0)
	v_fma_f64 v[127:128], v[151:152], v[131:132], v[127:128]
	s_waitcnt vmcnt(15)
	v_fma_f64 v[135:136], v[135:136], v[133:134], v[127:128]
	ds_read_b128 v[127:130], v126 offset:928
	ds_read_b128 v[131:134], v126 offset:944
	s_waitcnt vmcnt(14) lgkmcnt(1)
	v_fma_f64 v[127:128], v[159:160], v[127:128], v[135:136]
	s_waitcnt vmcnt(13)
	v_fma_f64 v[127:128], v[157:158], v[129:130], v[127:128]
	s_waitcnt vmcnt(12) lgkmcnt(0)
	v_fma_f64 v[127:128], v[137:138], v[131:132], v[127:128]
	s_waitcnt vmcnt(7)
	v_fma_f64 v[135:136], v[139:140], v[133:134], v[127:128]
	ds_read_b128 v[127:130], v126 offset:960
	ds_read_b128 v[131:134], v126 offset:976
	s_waitcnt vmcnt(6) lgkmcnt(1)
	v_fma_f64 v[126:127], v[145:146], v[127:128], v[135:136]
	s_waitcnt vmcnt(5)
	v_fma_f64 v[126:127], v[143:144], v[129:130], v[126:127]
	s_waitcnt vmcnt(4) lgkmcnt(0)
	v_fma_f64 v[126:127], v[141:142], v[131:132], v[126:127]
	s_waitcnt vmcnt(2)
	v_fma_f64 v[126:127], v[147:148], v[133:134], v[126:127]
	s_waitcnt vmcnt(0)
	v_add_f64 v[126:127], v[149:150], -v[126:127]
	buffer_store_dword v127, off, s[0:3], 0 offset:332
	buffer_store_dword v126, off, s[0:3], 0 offset:328
	s_and_saveexec_b64 s[4:5], vcc
	s_cbranch_execz .LBB61_299
; %bb.298:
	buffer_load_dword v126, off, s[0:3], 0 offset:320
	buffer_load_dword v127, off, s[0:3], 0 offset:324
	v_mov_b32_e32 v128, 0
	buffer_store_dword v128, off, s[0:3], 0 offset:320
	buffer_store_dword v128, off, s[0:3], 0 offset:324
	s_waitcnt vmcnt(2)
	ds_write_b64 v125, v[126:127]
.LBB61_299:
	s_or_b64 exec, exec, s[4:5]
	s_waitcnt lgkmcnt(0)
	; wave barrier
	buffer_load_dword v135, off, s[0:3], 0 offset:328
	buffer_load_dword v136, off, s[0:3], 0 offset:332
	;; [unrolled: 1-line block ×21, first 2 shown]
	v_mov_b32_e32 v126, 0
	ds_read2_b64 v[127:130], v126 offset0:103 offset1:104
	ds_read2_b64 v[131:134], v126 offset0:105 offset1:106
	buffer_load_dword v152, off, s[0:3], 0 offset:412
	v_cmp_lt_u32_e32 vcc, 39, v0
	s_waitcnt vmcnt(20) lgkmcnt(1)
	v_fma_f64 v[127:128], v[135:136], v[127:128], 0
	s_waitcnt vmcnt(18)
	v_fma_f64 v[127:128], v[137:138], v[129:130], v[127:128]
	buffer_load_dword v136, off, s[0:3], 0 offset:420
	buffer_load_dword v137, off, s[0:3], 0 offset:440
	;; [unrolled: 1-line block ×7, first 2 shown]
	s_waitcnt vmcnt(23) lgkmcnt(0)
	v_fma_f64 v[127:128], v[139:140], v[131:132], v[127:128]
	s_waitcnt vmcnt(21)
	v_fma_f64 v[138:139], v[141:142], v[133:134], v[127:128]
	ds_read2_b64 v[127:130], v126 offset0:107 offset1:108
	ds_read2_b64 v[131:134], v126 offset0:109 offset1:110
	s_waitcnt vmcnt(19) lgkmcnt(1)
	v_fma_f64 v[127:128], v[143:144], v[127:128], v[138:139]
	buffer_load_dword v138, off, s[0:3], 0 offset:444
	s_waitcnt vmcnt(18)
	v_fma_f64 v[127:128], v[145:146], v[129:130], v[127:128]
	buffer_load_dword v140, off, s[0:3], 0 offset:452
	buffer_load_dword v141, off, s[0:3], 0 offset:472
	;; [unrolled: 1-line block ×7, first 2 shown]
	s_waitcnt vmcnt(23) lgkmcnt(0)
	v_fma_f64 v[127:128], v[147:148], v[131:132], v[127:128]
	s_waitcnt vmcnt(18)
	v_fma_f64 v[147:148], v[149:150], v[133:134], v[127:128]
	ds_read2_b64 v[127:130], v126 offset0:111 offset1:112
	ds_read2_b64 v[131:134], v126 offset0:113 offset1:114
	buffer_load_dword v142, off, s[0:3], 0 offset:476
	s_waitcnt vmcnt(18) lgkmcnt(1)
	v_fma_f64 v[127:128], v[155:156], v[127:128], v[147:148]
	buffer_load_dword v148, off, s[0:3], 0 offset:484
	buffer_load_dword v149, off, s[0:3], 0 offset:488
	;; [unrolled: 1-line block ×4, first 2 shown]
	s_waitcnt vmcnt(21)
	v_fma_f64 v[127:128], v[153:154], v[129:130], v[127:128]
	s_waitcnt vmcnt(20) lgkmcnt(0)
	v_fma_f64 v[127:128], v[151:152], v[131:132], v[127:128]
	buffer_load_dword v151, off, s[0:3], 0 offset:320
	buffer_load_dword v152, off, s[0:3], 0 offset:324
	s_waitcnt vmcnt(17)
	v_fma_f64 v[135:136], v[135:136], v[133:134], v[127:128]
	ds_read2_b64 v[127:130], v126 offset0:115 offset1:116
	ds_read2_b64 v[131:134], v126 offset0:117 offset1:118
	s_waitcnt vmcnt(16) lgkmcnt(1)
	v_fma_f64 v[127:128], v[159:160], v[127:128], v[135:136]
	s_waitcnt vmcnt(15)
	v_fma_f64 v[127:128], v[157:158], v[129:130], v[127:128]
	s_waitcnt vmcnt(14) lgkmcnt(0)
	v_fma_f64 v[127:128], v[137:138], v[131:132], v[127:128]
	s_waitcnt vmcnt(9)
	v_fma_f64 v[135:136], v[139:140], v[133:134], v[127:128]
	ds_read2_b64 v[127:130], v126 offset0:119 offset1:120
	ds_read2_b64 v[131:134], v126 offset0:121 offset1:122
	s_waitcnt vmcnt(8) lgkmcnt(1)
	v_fma_f64 v[127:128], v[145:146], v[127:128], v[135:136]
	s_waitcnt vmcnt(7)
	v_fma_f64 v[127:128], v[143:144], v[129:130], v[127:128]
	ds_read_b64 v[129:130], v126 offset:984
	s_waitcnt vmcnt(6) lgkmcnt(1)
	v_fma_f64 v[127:128], v[141:142], v[131:132], v[127:128]
	s_waitcnt vmcnt(3)
	v_fma_f64 v[127:128], v[147:148], v[133:134], v[127:128]
	s_waitcnt vmcnt(2) lgkmcnt(0)
	v_fma_f64 v[127:128], v[149:150], v[129:130], v[127:128]
	s_waitcnt vmcnt(0)
	v_add_f64 v[127:128], v[151:152], -v[127:128]
	buffer_store_dword v128, off, s[0:3], 0 offset:324
	buffer_store_dword v127, off, s[0:3], 0 offset:320
	s_and_saveexec_b64 s[4:5], vcc
	s_cbranch_execz .LBB61_301
; %bb.300:
	buffer_load_dword v127, off, s[0:3], 0 offset:312
	buffer_load_dword v128, off, s[0:3], 0 offset:316
	s_waitcnt vmcnt(0)
	ds_write_b64 v125, v[127:128]
	buffer_store_dword v126, off, s[0:3], 0 offset:312
	buffer_store_dword v126, off, s[0:3], 0 offset:316
.LBB61_301:
	s_or_b64 exec, exec, s[4:5]
	s_waitcnt lgkmcnt(0)
	; wave barrier
	buffer_load_dword v135, off, s[0:3], 0 offset:320
	buffer_load_dword v136, off, s[0:3], 0 offset:324
	;; [unrolled: 1-line block ×21, first 2 shown]
	ds_read_b128 v[127:130], v126 offset:816
	ds_read_b128 v[131:134], v126 offset:832
	buffer_load_dword v152, off, s[0:3], 0 offset:404
	v_cmp_lt_u32_e32 vcc, 38, v0
	s_waitcnt vmcnt(20) lgkmcnt(1)
	v_fma_f64 v[127:128], v[135:136], v[127:128], 0
	s_waitcnt vmcnt(18)
	v_fma_f64 v[127:128], v[137:138], v[129:130], v[127:128]
	buffer_load_dword v136, off, s[0:3], 0 offset:412
	buffer_load_dword v137, off, s[0:3], 0 offset:432
	;; [unrolled: 1-line block ×7, first 2 shown]
	s_waitcnt vmcnt(23) lgkmcnt(0)
	v_fma_f64 v[127:128], v[139:140], v[131:132], v[127:128]
	s_waitcnt vmcnt(21)
	v_fma_f64 v[138:139], v[141:142], v[133:134], v[127:128]
	ds_read_b128 v[127:130], v126 offset:848
	ds_read_b128 v[131:134], v126 offset:864
	s_waitcnt vmcnt(19) lgkmcnt(1)
	v_fma_f64 v[127:128], v[143:144], v[127:128], v[138:139]
	buffer_load_dword v138, off, s[0:3], 0 offset:436
	s_waitcnt vmcnt(18)
	v_fma_f64 v[127:128], v[145:146], v[129:130], v[127:128]
	buffer_load_dword v140, off, s[0:3], 0 offset:444
	buffer_load_dword v141, off, s[0:3], 0 offset:464
	;; [unrolled: 1-line block ×8, first 2 shown]
	s_waitcnt vmcnt(24) lgkmcnt(0)
	v_fma_f64 v[127:128], v[147:148], v[131:132], v[127:128]
	s_waitcnt vmcnt(19)
	v_fma_f64 v[147:148], v[149:150], v[133:134], v[127:128]
	ds_read_b128 v[127:130], v126 offset:880
	ds_read_b128 v[131:134], v126 offset:896
	s_waitcnt vmcnt(18) lgkmcnt(1)
	v_fma_f64 v[127:128], v[155:156], v[127:128], v[147:148]
	s_waitcnt vmcnt(17)
	v_fma_f64 v[127:128], v[153:154], v[129:130], v[127:128]
	buffer_load_dword v148, off, s[0:3], 0 offset:476
	buffer_load_dword v149, off, s[0:3], 0 offset:488
	;; [unrolled: 1-line block ×6, first 2 shown]
	s_waitcnt vmcnt(22) lgkmcnt(0)
	v_fma_f64 v[127:128], v[151:152], v[131:132], v[127:128]
	s_waitcnt vmcnt(17)
	v_fma_f64 v[135:136], v[135:136], v[133:134], v[127:128]
	ds_read_b128 v[127:130], v126 offset:912
	buffer_load_dword v151, off, s[0:3], 0 offset:312
	buffer_load_dword v152, off, s[0:3], 0 offset:316
	ds_read_b128 v[131:134], v126 offset:928
	s_waitcnt vmcnt(18) lgkmcnt(1)
	v_fma_f64 v[127:128], v[159:160], v[127:128], v[135:136]
	s_waitcnt vmcnt(17)
	v_fma_f64 v[127:128], v[157:158], v[129:130], v[127:128]
	s_waitcnt vmcnt(16) lgkmcnt(0)
	v_fma_f64 v[127:128], v[137:138], v[131:132], v[127:128]
	s_waitcnt vmcnt(11)
	v_fma_f64 v[135:136], v[139:140], v[133:134], v[127:128]
	ds_read_b128 v[127:130], v126 offset:944
	ds_read_b128 v[131:134], v126 offset:960
	s_waitcnt vmcnt(10) lgkmcnt(1)
	v_fma_f64 v[127:128], v[145:146], v[127:128], v[135:136]
	s_waitcnt vmcnt(9)
	v_fma_f64 v[127:128], v[143:144], v[129:130], v[127:128]
	s_waitcnt vmcnt(8) lgkmcnt(0)
	v_fma_f64 v[127:128], v[141:142], v[131:132], v[127:128]
	s_waitcnt vmcnt(4)
	v_fma_f64 v[130:131], v[147:148], v[133:134], v[127:128]
	ds_read_b128 v[126:129], v126 offset:976
	s_waitcnt vmcnt(3) lgkmcnt(0)
	v_fma_f64 v[126:127], v[153:154], v[126:127], v[130:131]
	s_waitcnt vmcnt(2)
	v_fma_f64 v[126:127], v[149:150], v[128:129], v[126:127]
	s_waitcnt vmcnt(0)
	v_add_f64 v[126:127], v[151:152], -v[126:127]
	buffer_store_dword v127, off, s[0:3], 0 offset:316
	buffer_store_dword v126, off, s[0:3], 0 offset:312
	s_and_saveexec_b64 s[4:5], vcc
	s_cbranch_execz .LBB61_303
; %bb.302:
	buffer_load_dword v126, off, s[0:3], 0 offset:304
	buffer_load_dword v127, off, s[0:3], 0 offset:308
	v_mov_b32_e32 v128, 0
	buffer_store_dword v128, off, s[0:3], 0 offset:304
	buffer_store_dword v128, off, s[0:3], 0 offset:308
	s_waitcnt vmcnt(2)
	ds_write_b64 v125, v[126:127]
.LBB61_303:
	s_or_b64 exec, exec, s[4:5]
	s_waitcnt lgkmcnt(0)
	; wave barrier
	buffer_load_dword v135, off, s[0:3], 0 offset:312
	buffer_load_dword v136, off, s[0:3], 0 offset:316
	;; [unrolled: 1-line block ×21, first 2 shown]
	v_mov_b32_e32 v126, 0
	ds_read2_b64 v[127:130], v126 offset0:101 offset1:102
	ds_read2_b64 v[131:134], v126 offset0:103 offset1:104
	buffer_load_dword v152, off, s[0:3], 0 offset:396
	v_cmp_lt_u32_e32 vcc, 37, v0
	s_waitcnt vmcnt(20) lgkmcnt(1)
	v_fma_f64 v[127:128], v[135:136], v[127:128], 0
	s_waitcnt vmcnt(18)
	v_fma_f64 v[127:128], v[137:138], v[129:130], v[127:128]
	buffer_load_dword v136, off, s[0:3], 0 offset:404
	buffer_load_dword v137, off, s[0:3], 0 offset:424
	;; [unrolled: 1-line block ×7, first 2 shown]
	s_waitcnt vmcnt(23) lgkmcnt(0)
	v_fma_f64 v[127:128], v[139:140], v[131:132], v[127:128]
	s_waitcnt vmcnt(21)
	v_fma_f64 v[138:139], v[141:142], v[133:134], v[127:128]
	ds_read2_b64 v[127:130], v126 offset0:105 offset1:106
	ds_read2_b64 v[131:134], v126 offset0:107 offset1:108
	s_waitcnt vmcnt(19) lgkmcnt(1)
	v_fma_f64 v[127:128], v[143:144], v[127:128], v[138:139]
	buffer_load_dword v138, off, s[0:3], 0 offset:428
	s_waitcnt vmcnt(18)
	v_fma_f64 v[127:128], v[145:146], v[129:130], v[127:128]
	buffer_load_dword v140, off, s[0:3], 0 offset:436
	buffer_load_dword v141, off, s[0:3], 0 offset:456
	;; [unrolled: 1-line block ×8, first 2 shown]
	s_waitcnt vmcnt(24) lgkmcnt(0)
	v_fma_f64 v[127:128], v[147:148], v[131:132], v[127:128]
	s_waitcnt vmcnt(19)
	v_fma_f64 v[147:148], v[149:150], v[133:134], v[127:128]
	ds_read2_b64 v[127:130], v126 offset0:109 offset1:110
	ds_read2_b64 v[131:134], v126 offset0:111 offset1:112
	s_waitcnt vmcnt(18) lgkmcnt(1)
	v_fma_f64 v[127:128], v[155:156], v[127:128], v[147:148]
	s_waitcnt vmcnt(17)
	v_fma_f64 v[127:128], v[153:154], v[129:130], v[127:128]
	buffer_load_dword v148, off, s[0:3], 0 offset:468
	buffer_load_dword v149, off, s[0:3], 0 offset:488
	;; [unrolled: 1-line block ×8, first 2 shown]
	s_waitcnt vmcnt(24) lgkmcnt(0)
	v_fma_f64 v[127:128], v[151:152], v[131:132], v[127:128]
	s_waitcnt vmcnt(19)
	v_fma_f64 v[135:136], v[135:136], v[133:134], v[127:128]
	ds_read2_b64 v[127:130], v126 offset0:113 offset1:114
	ds_read2_b64 v[131:134], v126 offset0:115 offset1:116
	s_waitcnt vmcnt(18) lgkmcnt(1)
	v_fma_f64 v[127:128], v[159:160], v[127:128], v[135:136]
	buffer_load_dword v135, off, s[0:3], 0 offset:304
	buffer_load_dword v136, off, s[0:3], 0 offset:308
	s_waitcnt vmcnt(19)
	v_fma_f64 v[127:128], v[157:158], v[129:130], v[127:128]
	s_waitcnt vmcnt(18) lgkmcnt(0)
	v_fma_f64 v[127:128], v[137:138], v[131:132], v[127:128]
	s_waitcnt vmcnt(13)
	v_fma_f64 v[137:138], v[139:140], v[133:134], v[127:128]
	ds_read2_b64 v[127:130], v126 offset0:117 offset1:118
	ds_read2_b64 v[131:134], v126 offset0:119 offset1:120
	s_waitcnt vmcnt(12) lgkmcnt(1)
	v_fma_f64 v[127:128], v[145:146], v[127:128], v[137:138]
	s_waitcnt vmcnt(11)
	v_fma_f64 v[127:128], v[143:144], v[129:130], v[127:128]
	s_waitcnt vmcnt(10) lgkmcnt(0)
	v_fma_f64 v[127:128], v[141:142], v[131:132], v[127:128]
	s_waitcnt vmcnt(5)
	v_fma_f64 v[131:132], v[147:148], v[133:134], v[127:128]
	ds_read2_b64 v[127:130], v126 offset0:121 offset1:122
	ds_read_b64 v[133:134], v126 offset:984
	s_waitcnt vmcnt(4) lgkmcnt(1)
	v_fma_f64 v[127:128], v[155:156], v[127:128], v[131:132]
	s_waitcnt vmcnt(3)
	v_fma_f64 v[127:128], v[153:154], v[129:130], v[127:128]
	s_waitcnt vmcnt(2) lgkmcnt(0)
	v_fma_f64 v[127:128], v[149:150], v[133:134], v[127:128]
	s_waitcnt vmcnt(0)
	v_add_f64 v[127:128], v[135:136], -v[127:128]
	buffer_store_dword v128, off, s[0:3], 0 offset:308
	buffer_store_dword v127, off, s[0:3], 0 offset:304
	s_and_saveexec_b64 s[4:5], vcc
	s_cbranch_execz .LBB61_305
; %bb.304:
	buffer_load_dword v127, off, s[0:3], 0 offset:296
	buffer_load_dword v128, off, s[0:3], 0 offset:300
	s_waitcnt vmcnt(0)
	ds_write_b64 v125, v[127:128]
	buffer_store_dword v126, off, s[0:3], 0 offset:296
	buffer_store_dword v126, off, s[0:3], 0 offset:300
.LBB61_305:
	s_or_b64 exec, exec, s[4:5]
	s_waitcnt lgkmcnt(0)
	; wave barrier
	buffer_load_dword v135, off, s[0:3], 0 offset:304
	buffer_load_dword v136, off, s[0:3], 0 offset:308
	;; [unrolled: 1-line block ×21, first 2 shown]
	ds_read_b128 v[127:130], v126 offset:800
	ds_read_b128 v[131:134], v126 offset:816
	buffer_load_dword v152, off, s[0:3], 0 offset:388
	v_cmp_lt_u32_e32 vcc, 36, v0
	s_waitcnt vmcnt(20) lgkmcnt(1)
	v_fma_f64 v[127:128], v[135:136], v[127:128], 0
	s_waitcnt vmcnt(18)
	v_fma_f64 v[127:128], v[137:138], v[129:130], v[127:128]
	buffer_load_dword v136, off, s[0:3], 0 offset:396
	buffer_load_dword v137, off, s[0:3], 0 offset:416
	;; [unrolled: 1-line block ×7, first 2 shown]
	s_waitcnt vmcnt(23) lgkmcnt(0)
	v_fma_f64 v[127:128], v[139:140], v[131:132], v[127:128]
	s_waitcnt vmcnt(21)
	v_fma_f64 v[138:139], v[141:142], v[133:134], v[127:128]
	ds_read_b128 v[127:130], v126 offset:832
	ds_read_b128 v[131:134], v126 offset:848
	s_waitcnt vmcnt(19) lgkmcnt(1)
	v_fma_f64 v[127:128], v[143:144], v[127:128], v[138:139]
	buffer_load_dword v138, off, s[0:3], 0 offset:420
	s_waitcnt vmcnt(18)
	v_fma_f64 v[127:128], v[145:146], v[129:130], v[127:128]
	buffer_load_dword v140, off, s[0:3], 0 offset:428
	buffer_load_dword v141, off, s[0:3], 0 offset:448
	;; [unrolled: 1-line block ×8, first 2 shown]
	s_waitcnt vmcnt(24) lgkmcnt(0)
	v_fma_f64 v[127:128], v[147:148], v[131:132], v[127:128]
	s_waitcnt vmcnt(19)
	v_fma_f64 v[147:148], v[149:150], v[133:134], v[127:128]
	ds_read_b128 v[127:130], v126 offset:864
	ds_read_b128 v[131:134], v126 offset:880
	s_waitcnt vmcnt(18) lgkmcnt(1)
	v_fma_f64 v[127:128], v[155:156], v[127:128], v[147:148]
	s_waitcnt vmcnt(17)
	v_fma_f64 v[127:128], v[153:154], v[129:130], v[127:128]
	buffer_load_dword v148, off, s[0:3], 0 offset:460
	buffer_load_dword v149, off, s[0:3], 0 offset:480
	;; [unrolled: 1-line block ×8, first 2 shown]
	s_waitcnt vmcnt(24) lgkmcnt(0)
	v_fma_f64 v[127:128], v[151:152], v[131:132], v[127:128]
	s_waitcnt vmcnt(19)
	v_fma_f64 v[135:136], v[135:136], v[133:134], v[127:128]
	ds_read_b128 v[127:130], v126 offset:896
	ds_read_b128 v[131:134], v126 offset:912
	s_waitcnt vmcnt(18) lgkmcnt(1)
	v_fma_f64 v[127:128], v[159:160], v[127:128], v[135:136]
	buffer_load_dword v136, off, s[0:3], 0 offset:492
	buffer_load_dword v135, off, s[0:3], 0 offset:488
	;; [unrolled: 1-line block ×4, first 2 shown]
	s_waitcnt vmcnt(21)
	v_fma_f64 v[127:128], v[157:158], v[129:130], v[127:128]
	s_waitcnt vmcnt(20) lgkmcnt(0)
	v_fma_f64 v[127:128], v[137:138], v[131:132], v[127:128]
	s_waitcnt vmcnt(15)
	v_fma_f64 v[137:138], v[139:140], v[133:134], v[127:128]
	ds_read_b128 v[127:130], v126 offset:928
	ds_read_b128 v[131:134], v126 offset:944
	s_waitcnt vmcnt(14) lgkmcnt(1)
	v_fma_f64 v[127:128], v[145:146], v[127:128], v[137:138]
	s_waitcnt vmcnt(13)
	v_fma_f64 v[127:128], v[143:144], v[129:130], v[127:128]
	s_waitcnt vmcnt(12) lgkmcnt(0)
	v_fma_f64 v[127:128], v[141:142], v[131:132], v[127:128]
	s_waitcnt vmcnt(7)
	v_fma_f64 v[137:138], v[147:148], v[133:134], v[127:128]
	ds_read_b128 v[127:130], v126 offset:960
	ds_read_b128 v[131:134], v126 offset:976
	s_waitcnt vmcnt(6) lgkmcnt(1)
	v_fma_f64 v[126:127], v[155:156], v[127:128], v[137:138]
	s_waitcnt vmcnt(5)
	v_fma_f64 v[126:127], v[153:154], v[129:130], v[126:127]
	s_waitcnt vmcnt(4) lgkmcnt(0)
	v_fma_f64 v[126:127], v[149:150], v[131:132], v[126:127]
	s_waitcnt vmcnt(2)
	v_fma_f64 v[126:127], v[135:136], v[133:134], v[126:127]
	s_waitcnt vmcnt(0)
	v_add_f64 v[126:127], v[151:152], -v[126:127]
	buffer_store_dword v127, off, s[0:3], 0 offset:300
	buffer_store_dword v126, off, s[0:3], 0 offset:296
	s_and_saveexec_b64 s[4:5], vcc
	s_cbranch_execz .LBB61_307
; %bb.306:
	buffer_load_dword v126, off, s[0:3], 0 offset:288
	buffer_load_dword v127, off, s[0:3], 0 offset:292
	v_mov_b32_e32 v128, 0
	buffer_store_dword v128, off, s[0:3], 0 offset:288
	buffer_store_dword v128, off, s[0:3], 0 offset:292
	s_waitcnt vmcnt(2)
	ds_write_b64 v125, v[126:127]
.LBB61_307:
	s_or_b64 exec, exec, s[4:5]
	s_waitcnt lgkmcnt(0)
	; wave barrier
	buffer_load_dword v135, off, s[0:3], 0 offset:296
	buffer_load_dword v136, off, s[0:3], 0 offset:300
	;; [unrolled: 1-line block ×21, first 2 shown]
	v_mov_b32_e32 v126, 0
	ds_read2_b64 v[127:130], v126 offset0:99 offset1:100
	ds_read2_b64 v[131:134], v126 offset0:101 offset1:102
	buffer_load_dword v152, off, s[0:3], 0 offset:380
	v_cmp_lt_u32_e32 vcc, 35, v0
	s_waitcnt vmcnt(20) lgkmcnt(1)
	v_fma_f64 v[127:128], v[135:136], v[127:128], 0
	s_waitcnt vmcnt(18)
	v_fma_f64 v[127:128], v[137:138], v[129:130], v[127:128]
	buffer_load_dword v136, off, s[0:3], 0 offset:388
	buffer_load_dword v137, off, s[0:3], 0 offset:408
	;; [unrolled: 1-line block ×7, first 2 shown]
	s_waitcnt vmcnt(23) lgkmcnt(0)
	v_fma_f64 v[127:128], v[139:140], v[131:132], v[127:128]
	s_waitcnt vmcnt(21)
	v_fma_f64 v[138:139], v[141:142], v[133:134], v[127:128]
	ds_read2_b64 v[127:130], v126 offset0:103 offset1:104
	ds_read2_b64 v[131:134], v126 offset0:105 offset1:106
	s_waitcnt vmcnt(19) lgkmcnt(1)
	v_fma_f64 v[127:128], v[143:144], v[127:128], v[138:139]
	buffer_load_dword v138, off, s[0:3], 0 offset:412
	s_waitcnt vmcnt(18)
	v_fma_f64 v[127:128], v[145:146], v[129:130], v[127:128]
	buffer_load_dword v140, off, s[0:3], 0 offset:420
	buffer_load_dword v141, off, s[0:3], 0 offset:440
	;; [unrolled: 1-line block ×8, first 2 shown]
	s_waitcnt vmcnt(24) lgkmcnt(0)
	v_fma_f64 v[127:128], v[147:148], v[131:132], v[127:128]
	s_waitcnt vmcnt(19)
	v_fma_f64 v[147:148], v[149:150], v[133:134], v[127:128]
	ds_read2_b64 v[127:130], v126 offset0:107 offset1:108
	ds_read2_b64 v[131:134], v126 offset0:109 offset1:110
	s_waitcnt vmcnt(18) lgkmcnt(1)
	v_fma_f64 v[127:128], v[155:156], v[127:128], v[147:148]
	s_waitcnt vmcnt(17)
	v_fma_f64 v[127:128], v[153:154], v[129:130], v[127:128]
	buffer_load_dword v148, off, s[0:3], 0 offset:452
	buffer_load_dword v149, off, s[0:3], 0 offset:472
	;; [unrolled: 1-line block ×7, first 2 shown]
	s_waitcnt vmcnt(23) lgkmcnt(0)
	v_fma_f64 v[127:128], v[151:152], v[131:132], v[127:128]
	s_waitcnt vmcnt(18)
	v_fma_f64 v[135:136], v[135:136], v[133:134], v[127:128]
	ds_read2_b64 v[127:130], v126 offset0:111 offset1:112
	ds_read2_b64 v[131:134], v126 offset0:113 offset1:114
	buffer_load_dword v150, off, s[0:3], 0 offset:476
	s_waitcnt vmcnt(18) lgkmcnt(1)
	v_fma_f64 v[127:128], v[159:160], v[127:128], v[135:136]
	buffer_load_dword v136, off, s[0:3], 0 offset:484
	buffer_load_dword v151, off, s[0:3], 0 offset:488
	;; [unrolled: 1-line block ×4, first 2 shown]
	s_waitcnt vmcnt(21)
	v_fma_f64 v[127:128], v[157:158], v[129:130], v[127:128]
	s_waitcnt vmcnt(20) lgkmcnt(0)
	v_fma_f64 v[127:128], v[137:138], v[131:132], v[127:128]
	buffer_load_dword v137, off, s[0:3], 0 offset:288
	buffer_load_dword v138, off, s[0:3], 0 offset:292
	s_waitcnt vmcnt(17)
	v_fma_f64 v[139:140], v[139:140], v[133:134], v[127:128]
	ds_read2_b64 v[127:130], v126 offset0:115 offset1:116
	ds_read2_b64 v[131:134], v126 offset0:117 offset1:118
	s_waitcnt vmcnt(16) lgkmcnt(1)
	v_fma_f64 v[127:128], v[145:146], v[127:128], v[139:140]
	s_waitcnt vmcnt(15)
	v_fma_f64 v[127:128], v[143:144], v[129:130], v[127:128]
	s_waitcnt vmcnt(14) lgkmcnt(0)
	v_fma_f64 v[127:128], v[141:142], v[131:132], v[127:128]
	s_waitcnt vmcnt(9)
	v_fma_f64 v[139:140], v[147:148], v[133:134], v[127:128]
	ds_read2_b64 v[127:130], v126 offset0:119 offset1:120
	ds_read2_b64 v[131:134], v126 offset0:121 offset1:122
	s_waitcnt vmcnt(8) lgkmcnt(1)
	v_fma_f64 v[127:128], v[155:156], v[127:128], v[139:140]
	s_waitcnt vmcnt(7)
	v_fma_f64 v[127:128], v[153:154], v[129:130], v[127:128]
	ds_read_b64 v[129:130], v126 offset:984
	s_waitcnt vmcnt(6) lgkmcnt(1)
	v_fma_f64 v[127:128], v[149:150], v[131:132], v[127:128]
	s_waitcnt vmcnt(3)
	v_fma_f64 v[127:128], v[135:136], v[133:134], v[127:128]
	s_waitcnt vmcnt(2) lgkmcnt(0)
	v_fma_f64 v[127:128], v[151:152], v[129:130], v[127:128]
	s_waitcnt vmcnt(0)
	v_add_f64 v[127:128], v[137:138], -v[127:128]
	buffer_store_dword v128, off, s[0:3], 0 offset:292
	buffer_store_dword v127, off, s[0:3], 0 offset:288
	s_and_saveexec_b64 s[4:5], vcc
	s_cbranch_execz .LBB61_309
; %bb.308:
	buffer_load_dword v127, off, s[0:3], 0 offset:280
	buffer_load_dword v128, off, s[0:3], 0 offset:284
	s_waitcnt vmcnt(0)
	ds_write_b64 v125, v[127:128]
	buffer_store_dword v126, off, s[0:3], 0 offset:280
	buffer_store_dword v126, off, s[0:3], 0 offset:284
.LBB61_309:
	s_or_b64 exec, exec, s[4:5]
	s_waitcnt lgkmcnt(0)
	; wave barrier
	buffer_load_dword v135, off, s[0:3], 0 offset:288
	buffer_load_dword v136, off, s[0:3], 0 offset:292
	;; [unrolled: 1-line block ×22, first 2 shown]
	ds_read_b128 v[127:130], v126 offset:784
	ds_read_b128 v[131:134], v126 offset:800
	v_cmp_lt_u32_e32 vcc, 34, v0
	s_waitcnt vmcnt(20) lgkmcnt(1)
	v_fma_f64 v[127:128], v[135:136], v[127:128], 0
	s_waitcnt vmcnt(18)
	v_fma_f64 v[127:128], v[137:138], v[129:130], v[127:128]
	buffer_load_dword v136, off, s[0:3], 0 offset:380
	buffer_load_dword v137, off, s[0:3], 0 offset:400
	;; [unrolled: 1-line block ×7, first 2 shown]
	s_waitcnt vmcnt(23) lgkmcnt(0)
	v_fma_f64 v[127:128], v[139:140], v[131:132], v[127:128]
	s_waitcnt vmcnt(21)
	v_fma_f64 v[138:139], v[141:142], v[133:134], v[127:128]
	ds_read_b128 v[127:130], v126 offset:816
	ds_read_b128 v[131:134], v126 offset:832
	s_waitcnt vmcnt(19) lgkmcnt(1)
	v_fma_f64 v[127:128], v[143:144], v[127:128], v[138:139]
	buffer_load_dword v138, off, s[0:3], 0 offset:404
	s_waitcnt vmcnt(18)
	v_fma_f64 v[127:128], v[145:146], v[129:130], v[127:128]
	buffer_load_dword v140, off, s[0:3], 0 offset:412
	buffer_load_dword v141, off, s[0:3], 0 offset:432
	;; [unrolled: 1-line block ×8, first 2 shown]
	s_waitcnt vmcnt(24) lgkmcnt(0)
	v_fma_f64 v[127:128], v[147:148], v[131:132], v[127:128]
	s_waitcnt vmcnt(19)
	v_fma_f64 v[147:148], v[149:150], v[133:134], v[127:128]
	ds_read_b128 v[127:130], v126 offset:848
	ds_read_b128 v[131:134], v126 offset:864
	s_waitcnt vmcnt(18) lgkmcnt(1)
	v_fma_f64 v[127:128], v[155:156], v[127:128], v[147:148]
	s_waitcnt vmcnt(17)
	v_fma_f64 v[127:128], v[153:154], v[129:130], v[127:128]
	buffer_load_dword v148, off, s[0:3], 0 offset:444
	buffer_load_dword v149, off, s[0:3], 0 offset:464
	;; [unrolled: 1-line block ×8, first 2 shown]
	s_waitcnt vmcnt(24) lgkmcnt(0)
	v_fma_f64 v[127:128], v[151:152], v[131:132], v[127:128]
	s_waitcnt vmcnt(19)
	v_fma_f64 v[135:136], v[135:136], v[133:134], v[127:128]
	ds_read_b128 v[127:130], v126 offset:880
	ds_read_b128 v[131:134], v126 offset:896
	s_waitcnt vmcnt(18) lgkmcnt(1)
	v_fma_f64 v[127:128], v[159:160], v[127:128], v[135:136]
	s_waitcnt vmcnt(17)
	v_fma_f64 v[127:128], v[157:158], v[129:130], v[127:128]
	buffer_load_dword v136, off, s[0:3], 0 offset:476
	buffer_load_dword v151, off, s[0:3], 0 offset:488
	;; [unrolled: 1-line block ×6, first 2 shown]
	s_waitcnt vmcnt(22) lgkmcnt(0)
	v_fma_f64 v[127:128], v[137:138], v[131:132], v[127:128]
	s_waitcnt vmcnt(17)
	v_fma_f64 v[137:138], v[139:140], v[133:134], v[127:128]
	ds_read_b128 v[127:130], v126 offset:912
	buffer_load_dword v139, off, s[0:3], 0 offset:280
	buffer_load_dword v140, off, s[0:3], 0 offset:284
	ds_read_b128 v[131:134], v126 offset:928
	s_waitcnt vmcnt(18) lgkmcnt(1)
	v_fma_f64 v[127:128], v[145:146], v[127:128], v[137:138]
	s_waitcnt vmcnt(17)
	v_fma_f64 v[127:128], v[143:144], v[129:130], v[127:128]
	s_waitcnt vmcnt(16) lgkmcnt(0)
	v_fma_f64 v[127:128], v[141:142], v[131:132], v[127:128]
	s_waitcnt vmcnt(11)
	v_fma_f64 v[137:138], v[147:148], v[133:134], v[127:128]
	ds_read_b128 v[127:130], v126 offset:944
	ds_read_b128 v[131:134], v126 offset:960
	s_waitcnt vmcnt(10) lgkmcnt(1)
	v_fma_f64 v[127:128], v[155:156], v[127:128], v[137:138]
	s_waitcnt vmcnt(9)
	v_fma_f64 v[127:128], v[153:154], v[129:130], v[127:128]
	s_waitcnt vmcnt(8) lgkmcnt(0)
	v_fma_f64 v[127:128], v[149:150], v[131:132], v[127:128]
	s_waitcnt vmcnt(4)
	v_fma_f64 v[130:131], v[135:136], v[133:134], v[127:128]
	ds_read_b128 v[126:129], v126 offset:976
	s_waitcnt vmcnt(3) lgkmcnt(0)
	v_fma_f64 v[126:127], v[157:158], v[126:127], v[130:131]
	s_waitcnt vmcnt(2)
	v_fma_f64 v[126:127], v[151:152], v[128:129], v[126:127]
	s_waitcnt vmcnt(0)
	v_add_f64 v[126:127], v[139:140], -v[126:127]
	buffer_store_dword v127, off, s[0:3], 0 offset:284
	buffer_store_dword v126, off, s[0:3], 0 offset:280
	s_and_saveexec_b64 s[4:5], vcc
	s_cbranch_execz .LBB61_311
; %bb.310:
	buffer_load_dword v126, off, s[0:3], 0 offset:272
	buffer_load_dword v127, off, s[0:3], 0 offset:276
	v_mov_b32_e32 v128, 0
	buffer_store_dword v128, off, s[0:3], 0 offset:272
	buffer_store_dword v128, off, s[0:3], 0 offset:276
	s_waitcnt vmcnt(2)
	ds_write_b64 v125, v[126:127]
.LBB61_311:
	s_or_b64 exec, exec, s[4:5]
	s_waitcnt lgkmcnt(0)
	; wave barrier
	buffer_load_dword v135, off, s[0:3], 0 offset:280
	buffer_load_dword v136, off, s[0:3], 0 offset:284
	;; [unrolled: 1-line block ×22, first 2 shown]
	v_mov_b32_e32 v126, 0
	ds_read2_b64 v[127:130], v126 offset0:97 offset1:98
	ds_read2_b64 v[131:134], v126 offset0:99 offset1:100
	v_cmp_lt_u32_e32 vcc, 33, v0
	s_waitcnt vmcnt(20) lgkmcnt(1)
	v_fma_f64 v[127:128], v[135:136], v[127:128], 0
	s_waitcnt vmcnt(18)
	v_fma_f64 v[127:128], v[137:138], v[129:130], v[127:128]
	buffer_load_dword v136, off, s[0:3], 0 offset:372
	buffer_load_dword v137, off, s[0:3], 0 offset:392
	;; [unrolled: 1-line block ×7, first 2 shown]
	s_waitcnt vmcnt(23) lgkmcnt(0)
	v_fma_f64 v[127:128], v[139:140], v[131:132], v[127:128]
	s_waitcnt vmcnt(21)
	v_fma_f64 v[138:139], v[141:142], v[133:134], v[127:128]
	ds_read2_b64 v[127:130], v126 offset0:101 offset1:102
	ds_read2_b64 v[131:134], v126 offset0:103 offset1:104
	s_waitcnt vmcnt(19) lgkmcnt(1)
	v_fma_f64 v[127:128], v[143:144], v[127:128], v[138:139]
	buffer_load_dword v138, off, s[0:3], 0 offset:396
	s_waitcnt vmcnt(18)
	v_fma_f64 v[127:128], v[145:146], v[129:130], v[127:128]
	buffer_load_dword v140, off, s[0:3], 0 offset:404
	buffer_load_dword v141, off, s[0:3], 0 offset:424
	buffer_load_dword v143, off, s[0:3], 0 offset:416
	buffer_load_dword v145, off, s[0:3], 0 offset:408
	buffer_load_dword v139, off, s[0:3], 0 offset:400
	buffer_load_dword v146, off, s[0:3], 0 offset:412
	buffer_load_dword v144, off, s[0:3], 0 offset:420
	buffer_load_dword v142, off, s[0:3], 0 offset:428
	s_waitcnt vmcnt(24) lgkmcnt(0)
	v_fma_f64 v[127:128], v[147:148], v[131:132], v[127:128]
	s_waitcnt vmcnt(19)
	v_fma_f64 v[147:148], v[149:150], v[133:134], v[127:128]
	ds_read2_b64 v[127:130], v126 offset0:105 offset1:106
	ds_read2_b64 v[131:134], v126 offset0:107 offset1:108
	s_waitcnt vmcnt(18) lgkmcnt(1)
	v_fma_f64 v[127:128], v[155:156], v[127:128], v[147:148]
	s_waitcnt vmcnt(17)
	v_fma_f64 v[127:128], v[153:154], v[129:130], v[127:128]
	buffer_load_dword v148, off, s[0:3], 0 offset:436
	buffer_load_dword v149, off, s[0:3], 0 offset:456
	buffer_load_dword v153, off, s[0:3], 0 offset:448
	buffer_load_dword v155, off, s[0:3], 0 offset:440
	buffer_load_dword v147, off, s[0:3], 0 offset:432
	buffer_load_dword v156, off, s[0:3], 0 offset:444
	buffer_load_dword v154, off, s[0:3], 0 offset:452
	buffer_load_dword v150, off, s[0:3], 0 offset:460
	s_waitcnt vmcnt(24) lgkmcnt(0)
	v_fma_f64 v[127:128], v[151:152], v[131:132], v[127:128]
	s_waitcnt vmcnt(19)
	v_fma_f64 v[135:136], v[135:136], v[133:134], v[127:128]
	ds_read2_b64 v[127:130], v126 offset0:109 offset1:110
	ds_read2_b64 v[131:134], v126 offset0:111 offset1:112
	s_waitcnt vmcnt(18) lgkmcnt(1)
	v_fma_f64 v[127:128], v[159:160], v[127:128], v[135:136]
	;; [unrolled: 18-line block ×3, first 2 shown]
	buffer_load_dword v137, off, s[0:3], 0 offset:272
	buffer_load_dword v138, off, s[0:3], 0 offset:276
	s_waitcnt vmcnt(19)
	v_fma_f64 v[127:128], v[143:144], v[129:130], v[127:128]
	s_waitcnt vmcnt(18) lgkmcnt(0)
	v_fma_f64 v[127:128], v[141:142], v[131:132], v[127:128]
	s_waitcnt vmcnt(13)
	v_fma_f64 v[139:140], v[147:148], v[133:134], v[127:128]
	ds_read2_b64 v[127:130], v126 offset0:117 offset1:118
	ds_read2_b64 v[131:134], v126 offset0:119 offset1:120
	s_waitcnt vmcnt(12) lgkmcnt(1)
	v_fma_f64 v[127:128], v[155:156], v[127:128], v[139:140]
	s_waitcnt vmcnt(11)
	v_fma_f64 v[127:128], v[153:154], v[129:130], v[127:128]
	s_waitcnt vmcnt(10) lgkmcnt(0)
	v_fma_f64 v[127:128], v[149:150], v[131:132], v[127:128]
	s_waitcnt vmcnt(5)
	v_fma_f64 v[131:132], v[135:136], v[133:134], v[127:128]
	ds_read2_b64 v[127:130], v126 offset0:121 offset1:122
	ds_read_b64 v[133:134], v126 offset:984
	s_waitcnt vmcnt(4) lgkmcnt(1)
	v_fma_f64 v[127:128], v[159:160], v[127:128], v[131:132]
	s_waitcnt vmcnt(3)
	v_fma_f64 v[127:128], v[157:158], v[129:130], v[127:128]
	s_waitcnt vmcnt(2) lgkmcnt(0)
	v_fma_f64 v[127:128], v[151:152], v[133:134], v[127:128]
	s_waitcnt vmcnt(0)
	v_add_f64 v[127:128], v[137:138], -v[127:128]
	buffer_store_dword v128, off, s[0:3], 0 offset:276
	buffer_store_dword v127, off, s[0:3], 0 offset:272
	s_and_saveexec_b64 s[4:5], vcc
	s_cbranch_execz .LBB61_313
; %bb.312:
	buffer_load_dword v127, off, s[0:3], 0 offset:264
	buffer_load_dword v128, off, s[0:3], 0 offset:268
	s_waitcnt vmcnt(0)
	ds_write_b64 v125, v[127:128]
	buffer_store_dword v126, off, s[0:3], 0 offset:264
	buffer_store_dword v126, off, s[0:3], 0 offset:268
.LBB61_313:
	s_or_b64 exec, exec, s[4:5]
	s_waitcnt lgkmcnt(0)
	; wave barrier
	buffer_load_dword v135, off, s[0:3], 0 offset:272
	buffer_load_dword v136, off, s[0:3], 0 offset:276
	;; [unrolled: 1-line block ×22, first 2 shown]
	ds_read_b128 v[127:130], v126 offset:768
	ds_read_b128 v[131:134], v126 offset:784
	v_cmp_lt_u32_e32 vcc, 32, v0
	s_waitcnt vmcnt(20) lgkmcnt(1)
	v_fma_f64 v[127:128], v[135:136], v[127:128], 0
	s_waitcnt vmcnt(18)
	v_fma_f64 v[127:128], v[137:138], v[129:130], v[127:128]
	buffer_load_dword v136, off, s[0:3], 0 offset:364
	buffer_load_dword v137, off, s[0:3], 0 offset:384
	;; [unrolled: 1-line block ×7, first 2 shown]
	s_waitcnt vmcnt(23) lgkmcnt(0)
	v_fma_f64 v[127:128], v[139:140], v[131:132], v[127:128]
	s_waitcnt vmcnt(21)
	v_fma_f64 v[138:139], v[141:142], v[133:134], v[127:128]
	ds_read_b128 v[127:130], v126 offset:800
	ds_read_b128 v[131:134], v126 offset:816
	s_waitcnt vmcnt(19) lgkmcnt(1)
	v_fma_f64 v[127:128], v[143:144], v[127:128], v[138:139]
	buffer_load_dword v138, off, s[0:3], 0 offset:388
	s_waitcnt vmcnt(18)
	v_fma_f64 v[127:128], v[145:146], v[129:130], v[127:128]
	buffer_load_dword v140, off, s[0:3], 0 offset:396
	buffer_load_dword v141, off, s[0:3], 0 offset:416
	buffer_load_dword v143, off, s[0:3], 0 offset:408
	buffer_load_dword v145, off, s[0:3], 0 offset:400
	buffer_load_dword v139, off, s[0:3], 0 offset:392
	buffer_load_dword v146, off, s[0:3], 0 offset:404
	buffer_load_dword v144, off, s[0:3], 0 offset:412
	buffer_load_dword v142, off, s[0:3], 0 offset:420
	s_waitcnt vmcnt(24) lgkmcnt(0)
	v_fma_f64 v[127:128], v[147:148], v[131:132], v[127:128]
	s_waitcnt vmcnt(19)
	v_fma_f64 v[147:148], v[149:150], v[133:134], v[127:128]
	ds_read_b128 v[127:130], v126 offset:832
	ds_read_b128 v[131:134], v126 offset:848
	s_waitcnt vmcnt(18) lgkmcnt(1)
	v_fma_f64 v[127:128], v[155:156], v[127:128], v[147:148]
	s_waitcnt vmcnt(17)
	v_fma_f64 v[127:128], v[153:154], v[129:130], v[127:128]
	buffer_load_dword v148, off, s[0:3], 0 offset:428
	buffer_load_dword v149, off, s[0:3], 0 offset:448
	buffer_load_dword v153, off, s[0:3], 0 offset:440
	buffer_load_dword v155, off, s[0:3], 0 offset:432
	buffer_load_dword v147, off, s[0:3], 0 offset:424
	buffer_load_dword v156, off, s[0:3], 0 offset:436
	buffer_load_dword v154, off, s[0:3], 0 offset:444
	buffer_load_dword v150, off, s[0:3], 0 offset:452
	s_waitcnt vmcnt(24) lgkmcnt(0)
	v_fma_f64 v[127:128], v[151:152], v[131:132], v[127:128]
	s_waitcnt vmcnt(19)
	v_fma_f64 v[135:136], v[135:136], v[133:134], v[127:128]
	ds_read_b128 v[127:130], v126 offset:864
	ds_read_b128 v[131:134], v126 offset:880
	s_waitcnt vmcnt(18) lgkmcnt(1)
	v_fma_f64 v[127:128], v[159:160], v[127:128], v[135:136]
	;; [unrolled: 18-line block ×3, first 2 shown]
	buffer_load_dword v138, off, s[0:3], 0 offset:492
	buffer_load_dword v137, off, s[0:3], 0 offset:488
	;; [unrolled: 1-line block ×4, first 2 shown]
	s_waitcnt vmcnt(21)
	v_fma_f64 v[127:128], v[143:144], v[129:130], v[127:128]
	s_waitcnt vmcnt(20) lgkmcnt(0)
	v_fma_f64 v[127:128], v[141:142], v[131:132], v[127:128]
	s_waitcnt vmcnt(15)
	v_fma_f64 v[141:142], v[147:148], v[133:134], v[127:128]
	ds_read_b128 v[127:130], v126 offset:928
	ds_read_b128 v[131:134], v126 offset:944
	s_waitcnt vmcnt(14) lgkmcnt(1)
	v_fma_f64 v[127:128], v[155:156], v[127:128], v[141:142]
	s_waitcnt vmcnt(13)
	v_fma_f64 v[127:128], v[153:154], v[129:130], v[127:128]
	s_waitcnt vmcnt(12) lgkmcnt(0)
	v_fma_f64 v[127:128], v[149:150], v[131:132], v[127:128]
	s_waitcnt vmcnt(7)
	v_fma_f64 v[135:136], v[135:136], v[133:134], v[127:128]
	ds_read_b128 v[127:130], v126 offset:960
	ds_read_b128 v[131:134], v126 offset:976
	s_waitcnt vmcnt(6) lgkmcnt(1)
	v_fma_f64 v[126:127], v[159:160], v[127:128], v[135:136]
	s_waitcnt vmcnt(5)
	v_fma_f64 v[126:127], v[157:158], v[129:130], v[126:127]
	s_waitcnt vmcnt(4) lgkmcnt(0)
	v_fma_f64 v[126:127], v[151:152], v[131:132], v[126:127]
	s_waitcnt vmcnt(2)
	v_fma_f64 v[126:127], v[137:138], v[133:134], v[126:127]
	s_waitcnt vmcnt(0)
	v_add_f64 v[126:127], v[139:140], -v[126:127]
	buffer_store_dword v127, off, s[0:3], 0 offset:268
	buffer_store_dword v126, off, s[0:3], 0 offset:264
	s_and_saveexec_b64 s[4:5], vcc
	s_cbranch_execz .LBB61_315
; %bb.314:
	buffer_load_dword v126, off, s[0:3], 0 offset:256
	buffer_load_dword v127, off, s[0:3], 0 offset:260
	v_mov_b32_e32 v128, 0
	buffer_store_dword v128, off, s[0:3], 0 offset:256
	buffer_store_dword v128, off, s[0:3], 0 offset:260
	s_waitcnt vmcnt(2)
	ds_write_b64 v125, v[126:127]
.LBB61_315:
	s_or_b64 exec, exec, s[4:5]
	s_waitcnt lgkmcnt(0)
	; wave barrier
	buffer_load_dword v135, off, s[0:3], 0 offset:264
	buffer_load_dword v136, off, s[0:3], 0 offset:268
	;; [unrolled: 1-line block ×22, first 2 shown]
	v_mov_b32_e32 v126, 0
	ds_read2_b64 v[127:130], v126 offset0:95 offset1:96
	ds_read2_b64 v[131:134], v126 offset0:97 offset1:98
	v_cmp_lt_u32_e32 vcc, 31, v0
	s_waitcnt vmcnt(20) lgkmcnt(1)
	v_fma_f64 v[127:128], v[135:136], v[127:128], 0
	s_waitcnt vmcnt(18)
	v_fma_f64 v[127:128], v[137:138], v[129:130], v[127:128]
	buffer_load_dword v136, off, s[0:3], 0 offset:356
	buffer_load_dword v137, off, s[0:3], 0 offset:376
	;; [unrolled: 1-line block ×7, first 2 shown]
	s_waitcnt vmcnt(23) lgkmcnt(0)
	v_fma_f64 v[127:128], v[139:140], v[131:132], v[127:128]
	s_waitcnt vmcnt(21)
	v_fma_f64 v[138:139], v[141:142], v[133:134], v[127:128]
	ds_read2_b64 v[127:130], v126 offset0:99 offset1:100
	ds_read2_b64 v[131:134], v126 offset0:101 offset1:102
	s_waitcnt vmcnt(19) lgkmcnt(1)
	v_fma_f64 v[127:128], v[143:144], v[127:128], v[138:139]
	buffer_load_dword v138, off, s[0:3], 0 offset:380
	s_waitcnt vmcnt(18)
	v_fma_f64 v[127:128], v[145:146], v[129:130], v[127:128]
	buffer_load_dword v140, off, s[0:3], 0 offset:388
	buffer_load_dword v141, off, s[0:3], 0 offset:408
	;; [unrolled: 1-line block ×7, first 2 shown]
	s_waitcnt vmcnt(23) lgkmcnt(0)
	v_fma_f64 v[127:128], v[147:148], v[131:132], v[127:128]
	s_waitcnt vmcnt(18)
	v_fma_f64 v[147:148], v[149:150], v[133:134], v[127:128]
	ds_read2_b64 v[127:130], v126 offset0:103 offset1:104
	ds_read2_b64 v[131:134], v126 offset0:105 offset1:106
	buffer_load_dword v142, off, s[0:3], 0 offset:412
	s_waitcnt vmcnt(18) lgkmcnt(1)
	v_fma_f64 v[127:128], v[155:156], v[127:128], v[147:148]
	s_waitcnt vmcnt(17)
	v_fma_f64 v[127:128], v[153:154], v[129:130], v[127:128]
	buffer_load_dword v148, off, s[0:3], 0 offset:420
	buffer_load_dword v149, off, s[0:3], 0 offset:440
	;; [unrolled: 1-line block ×8, first 2 shown]
	s_waitcnt vmcnt(24) lgkmcnt(0)
	v_fma_f64 v[127:128], v[151:152], v[131:132], v[127:128]
	s_waitcnt vmcnt(19)
	v_fma_f64 v[135:136], v[135:136], v[133:134], v[127:128]
	ds_read2_b64 v[127:130], v126 offset0:107 offset1:108
	ds_read2_b64 v[131:134], v126 offset0:109 offset1:110
	s_waitcnt vmcnt(18) lgkmcnt(1)
	v_fma_f64 v[127:128], v[159:160], v[127:128], v[135:136]
	s_waitcnt vmcnt(17)
	v_fma_f64 v[127:128], v[157:158], v[129:130], v[127:128]
	buffer_load_dword v136, off, s[0:3], 0 offset:452
	buffer_load_dword v151, off, s[0:3], 0 offset:472
	;; [unrolled: 1-line block ×7, first 2 shown]
	s_waitcnt vmcnt(23) lgkmcnt(0)
	v_fma_f64 v[127:128], v[137:138], v[131:132], v[127:128]
	s_waitcnt vmcnt(18)
	v_fma_f64 v[137:138], v[139:140], v[133:134], v[127:128]
	ds_read2_b64 v[127:130], v126 offset0:111 offset1:112
	ds_read2_b64 v[131:134], v126 offset0:113 offset1:114
	buffer_load_dword v152, off, s[0:3], 0 offset:476
	s_waitcnt vmcnt(18) lgkmcnt(1)
	v_fma_f64 v[127:128], v[145:146], v[127:128], v[137:138]
	buffer_load_dword v138, off, s[0:3], 0 offset:484
	buffer_load_dword v139, off, s[0:3], 0 offset:488
	;; [unrolled: 1-line block ×4, first 2 shown]
	s_waitcnt vmcnt(21)
	v_fma_f64 v[127:128], v[143:144], v[129:130], v[127:128]
	s_waitcnt vmcnt(20) lgkmcnt(0)
	v_fma_f64 v[127:128], v[141:142], v[131:132], v[127:128]
	buffer_load_dword v141, off, s[0:3], 0 offset:256
	buffer_load_dword v142, off, s[0:3], 0 offset:260
	s_waitcnt vmcnt(17)
	v_fma_f64 v[143:144], v[147:148], v[133:134], v[127:128]
	ds_read2_b64 v[127:130], v126 offset0:115 offset1:116
	ds_read2_b64 v[131:134], v126 offset0:117 offset1:118
	s_waitcnt vmcnt(16) lgkmcnt(1)
	v_fma_f64 v[127:128], v[155:156], v[127:128], v[143:144]
	s_waitcnt vmcnt(15)
	v_fma_f64 v[127:128], v[153:154], v[129:130], v[127:128]
	s_waitcnt vmcnt(14) lgkmcnt(0)
	v_fma_f64 v[127:128], v[149:150], v[131:132], v[127:128]
	s_waitcnt vmcnt(9)
	v_fma_f64 v[135:136], v[135:136], v[133:134], v[127:128]
	ds_read2_b64 v[127:130], v126 offset0:119 offset1:120
	ds_read2_b64 v[131:134], v126 offset0:121 offset1:122
	s_waitcnt vmcnt(8) lgkmcnt(1)
	v_fma_f64 v[127:128], v[159:160], v[127:128], v[135:136]
	s_waitcnt vmcnt(7)
	v_fma_f64 v[127:128], v[157:158], v[129:130], v[127:128]
	ds_read_b64 v[129:130], v126 offset:984
	s_waitcnt vmcnt(6) lgkmcnt(1)
	v_fma_f64 v[127:128], v[151:152], v[131:132], v[127:128]
	s_waitcnt vmcnt(3)
	v_fma_f64 v[127:128], v[137:138], v[133:134], v[127:128]
	s_waitcnt vmcnt(2) lgkmcnt(0)
	v_fma_f64 v[127:128], v[139:140], v[129:130], v[127:128]
	s_waitcnt vmcnt(0)
	v_add_f64 v[127:128], v[141:142], -v[127:128]
	buffer_store_dword v128, off, s[0:3], 0 offset:260
	buffer_store_dword v127, off, s[0:3], 0 offset:256
	s_and_saveexec_b64 s[4:5], vcc
	s_cbranch_execz .LBB61_317
; %bb.316:
	buffer_load_dword v127, off, s[0:3], 0 offset:248
	buffer_load_dword v128, off, s[0:3], 0 offset:252
	s_waitcnt vmcnt(0)
	ds_write_b64 v125, v[127:128]
	buffer_store_dword v126, off, s[0:3], 0 offset:248
	buffer_store_dword v126, off, s[0:3], 0 offset:252
.LBB61_317:
	s_or_b64 exec, exec, s[4:5]
	s_waitcnt lgkmcnt(0)
	; wave barrier
	buffer_load_dword v135, off, s[0:3], 0 offset:256
	buffer_load_dword v136, off, s[0:3], 0 offset:260
	buffer_load_dword v137, off, s[0:3], 0 offset:264
	buffer_load_dword v138, off, s[0:3], 0 offset:268
	buffer_load_dword v139, off, s[0:3], 0 offset:272
	buffer_load_dword v140, off, s[0:3], 0 offset:276
	buffer_load_dword v141, off, s[0:3], 0 offset:280
	buffer_load_dword v142, off, s[0:3], 0 offset:284
	buffer_load_dword v143, off, s[0:3], 0 offset:288
	buffer_load_dword v144, off, s[0:3], 0 offset:292
	buffer_load_dword v145, off, s[0:3], 0 offset:296
	buffer_load_dword v146, off, s[0:3], 0 offset:300
	buffer_load_dword v147, off, s[0:3], 0 offset:304
	buffer_load_dword v148, off, s[0:3], 0 offset:308
	buffer_load_dword v150, off, s[0:3], 0 offset:316
	buffer_load_dword v151, off, s[0:3], 0 offset:336
	buffer_load_dword v153, off, s[0:3], 0 offset:328
	buffer_load_dword v155, off, s[0:3], 0 offset:320
	buffer_load_dword v149, off, s[0:3], 0 offset:312
	buffer_load_dword v156, off, s[0:3], 0 offset:324
	buffer_load_dword v154, off, s[0:3], 0 offset:332
	buffer_load_dword v152, off, s[0:3], 0 offset:340
	ds_read_b128 v[127:130], v126 offset:752
	ds_read_b128 v[131:134], v126 offset:768
	v_cmp_lt_u32_e32 vcc, 30, v0
	s_waitcnt vmcnt(20) lgkmcnt(1)
	v_fma_f64 v[127:128], v[135:136], v[127:128], 0
	s_waitcnt vmcnt(18)
	v_fma_f64 v[127:128], v[137:138], v[129:130], v[127:128]
	buffer_load_dword v136, off, s[0:3], 0 offset:348
	buffer_load_dword v137, off, s[0:3], 0 offset:368
	;; [unrolled: 1-line block ×7, first 2 shown]
	s_waitcnt vmcnt(23) lgkmcnt(0)
	v_fma_f64 v[127:128], v[139:140], v[131:132], v[127:128]
	s_waitcnt vmcnt(21)
	v_fma_f64 v[138:139], v[141:142], v[133:134], v[127:128]
	ds_read_b128 v[127:130], v126 offset:784
	ds_read_b128 v[131:134], v126 offset:800
	s_waitcnt vmcnt(19) lgkmcnt(1)
	v_fma_f64 v[127:128], v[143:144], v[127:128], v[138:139]
	buffer_load_dword v138, off, s[0:3], 0 offset:372
	s_waitcnt vmcnt(18)
	v_fma_f64 v[127:128], v[145:146], v[129:130], v[127:128]
	buffer_load_dword v140, off, s[0:3], 0 offset:380
	buffer_load_dword v141, off, s[0:3], 0 offset:400
	;; [unrolled: 1-line block ×7, first 2 shown]
	s_waitcnt vmcnt(23) lgkmcnt(0)
	v_fma_f64 v[127:128], v[147:148], v[131:132], v[127:128]
	s_waitcnt vmcnt(18)
	v_fma_f64 v[147:148], v[149:150], v[133:134], v[127:128]
	ds_read_b128 v[127:130], v126 offset:816
	ds_read_b128 v[131:134], v126 offset:832
	buffer_load_dword v142, off, s[0:3], 0 offset:404
	s_waitcnt vmcnt(18) lgkmcnt(1)
	v_fma_f64 v[127:128], v[155:156], v[127:128], v[147:148]
	s_waitcnt vmcnt(17)
	v_fma_f64 v[127:128], v[153:154], v[129:130], v[127:128]
	buffer_load_dword v148, off, s[0:3], 0 offset:412
	buffer_load_dword v149, off, s[0:3], 0 offset:432
	;; [unrolled: 1-line block ×8, first 2 shown]
	s_waitcnt vmcnt(24) lgkmcnt(0)
	v_fma_f64 v[127:128], v[151:152], v[131:132], v[127:128]
	s_waitcnt vmcnt(19)
	v_fma_f64 v[135:136], v[135:136], v[133:134], v[127:128]
	ds_read_b128 v[127:130], v126 offset:848
	ds_read_b128 v[131:134], v126 offset:864
	s_waitcnt vmcnt(18) lgkmcnt(1)
	v_fma_f64 v[127:128], v[159:160], v[127:128], v[135:136]
	s_waitcnt vmcnt(17)
	v_fma_f64 v[127:128], v[157:158], v[129:130], v[127:128]
	buffer_load_dword v136, off, s[0:3], 0 offset:444
	buffer_load_dword v151, off, s[0:3], 0 offset:464
	buffer_load_dword v157, off, s[0:3], 0 offset:456
	buffer_load_dword v159, off, s[0:3], 0 offset:448
	buffer_load_dword v135, off, s[0:3], 0 offset:440
	buffer_load_dword v160, off, s[0:3], 0 offset:452
	buffer_load_dword v158, off, s[0:3], 0 offset:460
	buffer_load_dword v152, off, s[0:3], 0 offset:468
	s_waitcnt vmcnt(24) lgkmcnt(0)
	v_fma_f64 v[127:128], v[137:138], v[131:132], v[127:128]
	s_waitcnt vmcnt(19)
	v_fma_f64 v[137:138], v[139:140], v[133:134], v[127:128]
	ds_read_b128 v[127:130], v126 offset:880
	ds_read_b128 v[131:134], v126 offset:896
	s_waitcnt vmcnt(18) lgkmcnt(1)
	v_fma_f64 v[127:128], v[145:146], v[127:128], v[137:138]
	s_waitcnt vmcnt(17)
	v_fma_f64 v[127:128], v[143:144], v[129:130], v[127:128]
	buffer_load_dword v138, off, s[0:3], 0 offset:476
	buffer_load_dword v139, off, s[0:3], 0 offset:488
	;; [unrolled: 1-line block ×6, first 2 shown]
	s_waitcnt vmcnt(22) lgkmcnt(0)
	v_fma_f64 v[127:128], v[141:142], v[131:132], v[127:128]
	s_waitcnt vmcnt(17)
	v_fma_f64 v[141:142], v[147:148], v[133:134], v[127:128]
	ds_read_b128 v[127:130], v126 offset:912
	buffer_load_dword v145, off, s[0:3], 0 offset:248
	buffer_load_dword v146, off, s[0:3], 0 offset:252
	ds_read_b128 v[131:134], v126 offset:928
	s_waitcnt vmcnt(18) lgkmcnt(1)
	v_fma_f64 v[127:128], v[155:156], v[127:128], v[141:142]
	s_waitcnt vmcnt(17)
	v_fma_f64 v[127:128], v[153:154], v[129:130], v[127:128]
	s_waitcnt vmcnt(16) lgkmcnt(0)
	v_fma_f64 v[127:128], v[149:150], v[131:132], v[127:128]
	s_waitcnt vmcnt(11)
	v_fma_f64 v[135:136], v[135:136], v[133:134], v[127:128]
	ds_read_b128 v[127:130], v126 offset:944
	ds_read_b128 v[131:134], v126 offset:960
	s_waitcnt vmcnt(10) lgkmcnt(1)
	v_fma_f64 v[127:128], v[159:160], v[127:128], v[135:136]
	s_waitcnt vmcnt(9)
	v_fma_f64 v[127:128], v[157:158], v[129:130], v[127:128]
	s_waitcnt vmcnt(8) lgkmcnt(0)
	v_fma_f64 v[127:128], v[151:152], v[131:132], v[127:128]
	s_waitcnt vmcnt(4)
	v_fma_f64 v[130:131], v[137:138], v[133:134], v[127:128]
	ds_read_b128 v[126:129], v126 offset:976
	s_waitcnt vmcnt(3) lgkmcnt(0)
	v_fma_f64 v[126:127], v[143:144], v[126:127], v[130:131]
	s_waitcnt vmcnt(2)
	v_fma_f64 v[126:127], v[139:140], v[128:129], v[126:127]
	s_waitcnt vmcnt(0)
	v_add_f64 v[126:127], v[145:146], -v[126:127]
	buffer_store_dword v127, off, s[0:3], 0 offset:252
	buffer_store_dword v126, off, s[0:3], 0 offset:248
	s_and_saveexec_b64 s[4:5], vcc
	s_cbranch_execz .LBB61_319
; %bb.318:
	buffer_load_dword v126, off, s[0:3], 0 offset:240
	buffer_load_dword v127, off, s[0:3], 0 offset:244
	v_mov_b32_e32 v128, 0
	buffer_store_dword v128, off, s[0:3], 0 offset:240
	buffer_store_dword v128, off, s[0:3], 0 offset:244
	s_waitcnt vmcnt(2)
	ds_write_b64 v125, v[126:127]
.LBB61_319:
	s_or_b64 exec, exec, s[4:5]
	s_waitcnt lgkmcnt(0)
	; wave barrier
	buffer_load_dword v135, off, s[0:3], 0 offset:248
	buffer_load_dword v136, off, s[0:3], 0 offset:252
	;; [unrolled: 1-line block ×22, first 2 shown]
	v_mov_b32_e32 v126, 0
	ds_read2_b64 v[127:130], v126 offset0:93 offset1:94
	ds_read2_b64 v[131:134], v126 offset0:95 offset1:96
	v_cmp_lt_u32_e32 vcc, 29, v0
	s_waitcnt vmcnt(20) lgkmcnt(1)
	v_fma_f64 v[127:128], v[135:136], v[127:128], 0
	s_waitcnt vmcnt(18)
	v_fma_f64 v[127:128], v[137:138], v[129:130], v[127:128]
	buffer_load_dword v136, off, s[0:3], 0 offset:340
	buffer_load_dword v137, off, s[0:3], 0 offset:360
	;; [unrolled: 1-line block ×7, first 2 shown]
	s_waitcnt vmcnt(23) lgkmcnt(0)
	v_fma_f64 v[127:128], v[139:140], v[131:132], v[127:128]
	s_waitcnt vmcnt(21)
	v_fma_f64 v[138:139], v[141:142], v[133:134], v[127:128]
	ds_read2_b64 v[127:130], v126 offset0:97 offset1:98
	ds_read2_b64 v[131:134], v126 offset0:99 offset1:100
	s_waitcnt vmcnt(19) lgkmcnt(1)
	v_fma_f64 v[127:128], v[143:144], v[127:128], v[138:139]
	buffer_load_dword v138, off, s[0:3], 0 offset:364
	s_waitcnt vmcnt(18)
	v_fma_f64 v[127:128], v[145:146], v[129:130], v[127:128]
	buffer_load_dword v140, off, s[0:3], 0 offset:372
	buffer_load_dword v141, off, s[0:3], 0 offset:392
	;; [unrolled: 1-line block ×7, first 2 shown]
	s_waitcnt vmcnt(23) lgkmcnt(0)
	v_fma_f64 v[127:128], v[147:148], v[131:132], v[127:128]
	s_waitcnt vmcnt(18)
	v_fma_f64 v[147:148], v[149:150], v[133:134], v[127:128]
	ds_read2_b64 v[127:130], v126 offset0:101 offset1:102
	ds_read2_b64 v[131:134], v126 offset0:103 offset1:104
	buffer_load_dword v142, off, s[0:3], 0 offset:396
	s_waitcnt vmcnt(18) lgkmcnt(1)
	v_fma_f64 v[127:128], v[155:156], v[127:128], v[147:148]
	s_waitcnt vmcnt(17)
	v_fma_f64 v[127:128], v[153:154], v[129:130], v[127:128]
	buffer_load_dword v148, off, s[0:3], 0 offset:404
	buffer_load_dword v149, off, s[0:3], 0 offset:424
	buffer_load_dword v153, off, s[0:3], 0 offset:416
	buffer_load_dword v155, off, s[0:3], 0 offset:408
	buffer_load_dword v147, off, s[0:3], 0 offset:400
	buffer_load_dword v156, off, s[0:3], 0 offset:412
	buffer_load_dword v154, off, s[0:3], 0 offset:420
	buffer_load_dword v150, off, s[0:3], 0 offset:428
	s_waitcnt vmcnt(24) lgkmcnt(0)
	v_fma_f64 v[127:128], v[151:152], v[131:132], v[127:128]
	s_waitcnt vmcnt(19)
	v_fma_f64 v[135:136], v[135:136], v[133:134], v[127:128]
	ds_read2_b64 v[127:130], v126 offset0:105 offset1:106
	ds_read2_b64 v[131:134], v126 offset0:107 offset1:108
	s_waitcnt vmcnt(18) lgkmcnt(1)
	v_fma_f64 v[127:128], v[159:160], v[127:128], v[135:136]
	s_waitcnt vmcnt(17)
	v_fma_f64 v[127:128], v[157:158], v[129:130], v[127:128]
	buffer_load_dword v136, off, s[0:3], 0 offset:436
	buffer_load_dword v151, off, s[0:3], 0 offset:456
	buffer_load_dword v157, off, s[0:3], 0 offset:448
	buffer_load_dword v159, off, s[0:3], 0 offset:440
	buffer_load_dword v135, off, s[0:3], 0 offset:432
	buffer_load_dword v160, off, s[0:3], 0 offset:444
	buffer_load_dword v158, off, s[0:3], 0 offset:452
	buffer_load_dword v152, off, s[0:3], 0 offset:460
	s_waitcnt vmcnt(24) lgkmcnt(0)
	v_fma_f64 v[127:128], v[137:138], v[131:132], v[127:128]
	s_waitcnt vmcnt(19)
	v_fma_f64 v[137:138], v[139:140], v[133:134], v[127:128]
	ds_read2_b64 v[127:130], v126 offset0:109 offset1:110
	ds_read2_b64 v[131:134], v126 offset0:111 offset1:112
	;; [unrolled: 18-line block ×3, first 2 shown]
	s_waitcnt vmcnt(18) lgkmcnt(1)
	v_fma_f64 v[127:128], v[155:156], v[127:128], v[141:142]
	buffer_load_dword v141, off, s[0:3], 0 offset:240
	buffer_load_dword v142, off, s[0:3], 0 offset:244
	s_waitcnt vmcnt(19)
	v_fma_f64 v[127:128], v[153:154], v[129:130], v[127:128]
	s_waitcnt vmcnt(18) lgkmcnt(0)
	v_fma_f64 v[127:128], v[149:150], v[131:132], v[127:128]
	s_waitcnt vmcnt(13)
	v_fma_f64 v[135:136], v[135:136], v[133:134], v[127:128]
	ds_read2_b64 v[127:130], v126 offset0:117 offset1:118
	ds_read2_b64 v[131:134], v126 offset0:119 offset1:120
	s_waitcnt vmcnt(12) lgkmcnt(1)
	v_fma_f64 v[127:128], v[159:160], v[127:128], v[135:136]
	s_waitcnt vmcnt(11)
	v_fma_f64 v[127:128], v[157:158], v[129:130], v[127:128]
	s_waitcnt vmcnt(10) lgkmcnt(0)
	v_fma_f64 v[127:128], v[151:152], v[131:132], v[127:128]
	s_waitcnt vmcnt(5)
	v_fma_f64 v[131:132], v[137:138], v[133:134], v[127:128]
	ds_read2_b64 v[127:130], v126 offset0:121 offset1:122
	ds_read_b64 v[133:134], v126 offset:984
	s_waitcnt vmcnt(4) lgkmcnt(1)
	v_fma_f64 v[127:128], v[145:146], v[127:128], v[131:132]
	s_waitcnt vmcnt(3)
	v_fma_f64 v[127:128], v[143:144], v[129:130], v[127:128]
	s_waitcnt vmcnt(2) lgkmcnt(0)
	v_fma_f64 v[127:128], v[139:140], v[133:134], v[127:128]
	s_waitcnt vmcnt(0)
	v_add_f64 v[127:128], v[141:142], -v[127:128]
	buffer_store_dword v128, off, s[0:3], 0 offset:244
	buffer_store_dword v127, off, s[0:3], 0 offset:240
	s_and_saveexec_b64 s[4:5], vcc
	s_cbranch_execz .LBB61_321
; %bb.320:
	buffer_load_dword v127, off, s[0:3], 0 offset:232
	buffer_load_dword v128, off, s[0:3], 0 offset:236
	s_waitcnt vmcnt(0)
	ds_write_b64 v125, v[127:128]
	buffer_store_dword v126, off, s[0:3], 0 offset:232
	buffer_store_dword v126, off, s[0:3], 0 offset:236
.LBB61_321:
	s_or_b64 exec, exec, s[4:5]
	s_waitcnt lgkmcnt(0)
	; wave barrier
	buffer_load_dword v135, off, s[0:3], 0 offset:240
	buffer_load_dword v136, off, s[0:3], 0 offset:244
	;; [unrolled: 1-line block ×22, first 2 shown]
	ds_read_b128 v[127:130], v126 offset:736
	ds_read_b128 v[131:134], v126 offset:752
	v_cmp_lt_u32_e32 vcc, 28, v0
	s_waitcnt vmcnt(20) lgkmcnt(1)
	v_fma_f64 v[127:128], v[135:136], v[127:128], 0
	s_waitcnt vmcnt(18)
	v_fma_f64 v[127:128], v[137:138], v[129:130], v[127:128]
	buffer_load_dword v136, off, s[0:3], 0 offset:332
	buffer_load_dword v137, off, s[0:3], 0 offset:352
	;; [unrolled: 1-line block ×7, first 2 shown]
	s_waitcnt vmcnt(23) lgkmcnt(0)
	v_fma_f64 v[127:128], v[139:140], v[131:132], v[127:128]
	s_waitcnt vmcnt(21)
	v_fma_f64 v[138:139], v[141:142], v[133:134], v[127:128]
	ds_read_b128 v[127:130], v126 offset:768
	ds_read_b128 v[131:134], v126 offset:784
	s_waitcnt vmcnt(19) lgkmcnt(1)
	v_fma_f64 v[127:128], v[143:144], v[127:128], v[138:139]
	buffer_load_dword v138, off, s[0:3], 0 offset:356
	s_waitcnt vmcnt(18)
	v_fma_f64 v[127:128], v[145:146], v[129:130], v[127:128]
	buffer_load_dword v140, off, s[0:3], 0 offset:364
	buffer_load_dword v141, off, s[0:3], 0 offset:384
	;; [unrolled: 1-line block ×7, first 2 shown]
	s_waitcnt vmcnt(23) lgkmcnt(0)
	v_fma_f64 v[127:128], v[147:148], v[131:132], v[127:128]
	s_waitcnt vmcnt(18)
	v_fma_f64 v[147:148], v[149:150], v[133:134], v[127:128]
	ds_read_b128 v[127:130], v126 offset:800
	ds_read_b128 v[131:134], v126 offset:816
	buffer_load_dword v142, off, s[0:3], 0 offset:388
	s_waitcnt vmcnt(18) lgkmcnt(1)
	v_fma_f64 v[127:128], v[155:156], v[127:128], v[147:148]
	s_waitcnt vmcnt(17)
	v_fma_f64 v[127:128], v[153:154], v[129:130], v[127:128]
	buffer_load_dword v148, off, s[0:3], 0 offset:396
	buffer_load_dword v149, off, s[0:3], 0 offset:416
	buffer_load_dword v153, off, s[0:3], 0 offset:408
	buffer_load_dword v155, off, s[0:3], 0 offset:400
	buffer_load_dword v147, off, s[0:3], 0 offset:392
	buffer_load_dword v156, off, s[0:3], 0 offset:404
	buffer_load_dword v154, off, s[0:3], 0 offset:412
	buffer_load_dword v150, off, s[0:3], 0 offset:420
	s_waitcnt vmcnt(24) lgkmcnt(0)
	v_fma_f64 v[127:128], v[151:152], v[131:132], v[127:128]
	s_waitcnt vmcnt(19)
	v_fma_f64 v[135:136], v[135:136], v[133:134], v[127:128]
	ds_read_b128 v[127:130], v126 offset:832
	ds_read_b128 v[131:134], v126 offset:848
	s_waitcnt vmcnt(18) lgkmcnt(1)
	v_fma_f64 v[127:128], v[159:160], v[127:128], v[135:136]
	s_waitcnt vmcnt(17)
	v_fma_f64 v[127:128], v[157:158], v[129:130], v[127:128]
	buffer_load_dword v136, off, s[0:3], 0 offset:428
	buffer_load_dword v151, off, s[0:3], 0 offset:448
	buffer_load_dword v157, off, s[0:3], 0 offset:440
	buffer_load_dword v159, off, s[0:3], 0 offset:432
	buffer_load_dword v135, off, s[0:3], 0 offset:424
	buffer_load_dword v160, off, s[0:3], 0 offset:436
	buffer_load_dword v158, off, s[0:3], 0 offset:444
	buffer_load_dword v152, off, s[0:3], 0 offset:452
	s_waitcnt vmcnt(24) lgkmcnt(0)
	v_fma_f64 v[127:128], v[137:138], v[131:132], v[127:128]
	s_waitcnt vmcnt(19)
	v_fma_f64 v[137:138], v[139:140], v[133:134], v[127:128]
	ds_read_b128 v[127:130], v126 offset:864
	ds_read_b128 v[131:134], v126 offset:880
	;; [unrolled: 18-line block ×3, first 2 shown]
	s_waitcnt vmcnt(18) lgkmcnt(1)
	v_fma_f64 v[127:128], v[155:156], v[127:128], v[141:142]
	buffer_load_dword v142, off, s[0:3], 0 offset:492
	buffer_load_dword v141, off, s[0:3], 0 offset:488
	;; [unrolled: 1-line block ×4, first 2 shown]
	s_waitcnt vmcnt(21)
	v_fma_f64 v[127:128], v[153:154], v[129:130], v[127:128]
	s_waitcnt vmcnt(20) lgkmcnt(0)
	v_fma_f64 v[127:128], v[149:150], v[131:132], v[127:128]
	s_waitcnt vmcnt(15)
	v_fma_f64 v[135:136], v[135:136], v[133:134], v[127:128]
	ds_read_b128 v[127:130], v126 offset:928
	ds_read_b128 v[131:134], v126 offset:944
	s_waitcnt vmcnt(14) lgkmcnt(1)
	v_fma_f64 v[127:128], v[159:160], v[127:128], v[135:136]
	s_waitcnt vmcnt(13)
	v_fma_f64 v[127:128], v[157:158], v[129:130], v[127:128]
	s_waitcnt vmcnt(12) lgkmcnt(0)
	v_fma_f64 v[127:128], v[151:152], v[131:132], v[127:128]
	s_waitcnt vmcnt(7)
	v_fma_f64 v[135:136], v[137:138], v[133:134], v[127:128]
	ds_read_b128 v[127:130], v126 offset:960
	ds_read_b128 v[131:134], v126 offset:976
	s_waitcnt vmcnt(6) lgkmcnt(1)
	v_fma_f64 v[126:127], v[145:146], v[127:128], v[135:136]
	s_waitcnt vmcnt(5)
	v_fma_f64 v[126:127], v[143:144], v[129:130], v[126:127]
	s_waitcnt vmcnt(4) lgkmcnt(0)
	v_fma_f64 v[126:127], v[139:140], v[131:132], v[126:127]
	s_waitcnt vmcnt(2)
	v_fma_f64 v[126:127], v[141:142], v[133:134], v[126:127]
	s_waitcnt vmcnt(0)
	v_add_f64 v[126:127], v[147:148], -v[126:127]
	buffer_store_dword v127, off, s[0:3], 0 offset:236
	buffer_store_dword v126, off, s[0:3], 0 offset:232
	s_and_saveexec_b64 s[4:5], vcc
	s_cbranch_execz .LBB61_323
; %bb.322:
	buffer_load_dword v126, off, s[0:3], 0 offset:224
	buffer_load_dword v127, off, s[0:3], 0 offset:228
	v_mov_b32_e32 v128, 0
	buffer_store_dword v128, off, s[0:3], 0 offset:224
	buffer_store_dword v128, off, s[0:3], 0 offset:228
	s_waitcnt vmcnt(2)
	ds_write_b64 v125, v[126:127]
.LBB61_323:
	s_or_b64 exec, exec, s[4:5]
	s_waitcnt lgkmcnt(0)
	; wave barrier
	buffer_load_dword v135, off, s[0:3], 0 offset:232
	buffer_load_dword v136, off, s[0:3], 0 offset:236
	;; [unrolled: 1-line block ×21, first 2 shown]
	v_mov_b32_e32 v126, 0
	ds_read2_b64 v[127:130], v126 offset0:91 offset1:92
	ds_read2_b64 v[131:134], v126 offset0:93 offset1:94
	buffer_load_dword v152, off, s[0:3], 0 offset:316
	v_cmp_lt_u32_e32 vcc, 27, v0
	s_waitcnt vmcnt(20) lgkmcnt(1)
	v_fma_f64 v[127:128], v[135:136], v[127:128], 0
	s_waitcnt vmcnt(18)
	v_fma_f64 v[127:128], v[137:138], v[129:130], v[127:128]
	buffer_load_dword v136, off, s[0:3], 0 offset:324
	buffer_load_dword v137, off, s[0:3], 0 offset:344
	;; [unrolled: 1-line block ×7, first 2 shown]
	s_waitcnt vmcnt(23) lgkmcnt(0)
	v_fma_f64 v[127:128], v[139:140], v[131:132], v[127:128]
	s_waitcnt vmcnt(21)
	v_fma_f64 v[138:139], v[141:142], v[133:134], v[127:128]
	ds_read2_b64 v[127:130], v126 offset0:95 offset1:96
	ds_read2_b64 v[131:134], v126 offset0:97 offset1:98
	s_waitcnt vmcnt(19) lgkmcnt(1)
	v_fma_f64 v[127:128], v[143:144], v[127:128], v[138:139]
	buffer_load_dword v138, off, s[0:3], 0 offset:348
	s_waitcnt vmcnt(18)
	v_fma_f64 v[127:128], v[145:146], v[129:130], v[127:128]
	buffer_load_dword v140, off, s[0:3], 0 offset:356
	buffer_load_dword v141, off, s[0:3], 0 offset:376
	;; [unrolled: 1-line block ×7, first 2 shown]
	s_waitcnt vmcnt(23) lgkmcnt(0)
	v_fma_f64 v[127:128], v[147:148], v[131:132], v[127:128]
	s_waitcnt vmcnt(18)
	v_fma_f64 v[147:148], v[149:150], v[133:134], v[127:128]
	ds_read2_b64 v[127:130], v126 offset0:99 offset1:100
	ds_read2_b64 v[131:134], v126 offset0:101 offset1:102
	buffer_load_dword v142, off, s[0:3], 0 offset:380
	s_waitcnt vmcnt(18) lgkmcnt(1)
	v_fma_f64 v[127:128], v[155:156], v[127:128], v[147:148]
	s_waitcnt vmcnt(17)
	v_fma_f64 v[127:128], v[153:154], v[129:130], v[127:128]
	buffer_load_dword v148, off, s[0:3], 0 offset:388
	buffer_load_dword v149, off, s[0:3], 0 offset:408
	;; [unrolled: 1-line block ×7, first 2 shown]
	s_waitcnt vmcnt(23) lgkmcnt(0)
	v_fma_f64 v[127:128], v[151:152], v[131:132], v[127:128]
	s_waitcnt vmcnt(18)
	v_fma_f64 v[135:136], v[135:136], v[133:134], v[127:128]
	ds_read2_b64 v[127:130], v126 offset0:103 offset1:104
	ds_read2_b64 v[131:134], v126 offset0:105 offset1:106
	buffer_load_dword v150, off, s[0:3], 0 offset:412
	s_waitcnt vmcnt(18) lgkmcnt(1)
	v_fma_f64 v[127:128], v[159:160], v[127:128], v[135:136]
	s_waitcnt vmcnt(17)
	v_fma_f64 v[127:128], v[157:158], v[129:130], v[127:128]
	buffer_load_dword v136, off, s[0:3], 0 offset:420
	buffer_load_dword v151, off, s[0:3], 0 offset:440
	buffer_load_dword v157, off, s[0:3], 0 offset:432
	buffer_load_dword v159, off, s[0:3], 0 offset:424
	buffer_load_dword v135, off, s[0:3], 0 offset:416
	buffer_load_dword v160, off, s[0:3], 0 offset:428
	buffer_load_dword v158, off, s[0:3], 0 offset:436
	buffer_load_dword v152, off, s[0:3], 0 offset:444
	s_waitcnt vmcnt(24) lgkmcnt(0)
	v_fma_f64 v[127:128], v[137:138], v[131:132], v[127:128]
	s_waitcnt vmcnt(19)
	v_fma_f64 v[137:138], v[139:140], v[133:134], v[127:128]
	ds_read2_b64 v[127:130], v126 offset0:107 offset1:108
	ds_read2_b64 v[131:134], v126 offset0:109 offset1:110
	s_waitcnt vmcnt(18) lgkmcnt(1)
	v_fma_f64 v[127:128], v[145:146], v[127:128], v[137:138]
	s_waitcnt vmcnt(17)
	v_fma_f64 v[127:128], v[143:144], v[129:130], v[127:128]
	buffer_load_dword v138, off, s[0:3], 0 offset:452
	buffer_load_dword v139, off, s[0:3], 0 offset:472
	;; [unrolled: 1-line block ×7, first 2 shown]
	s_waitcnt vmcnt(23) lgkmcnt(0)
	v_fma_f64 v[127:128], v[141:142], v[131:132], v[127:128]
	s_waitcnt vmcnt(18)
	v_fma_f64 v[140:141], v[147:148], v[133:134], v[127:128]
	ds_read2_b64 v[127:130], v126 offset0:111 offset1:112
	ds_read2_b64 v[131:134], v126 offset0:113 offset1:114
	s_waitcnt vmcnt(17) lgkmcnt(1)
	v_fma_f64 v[127:128], v[155:156], v[127:128], v[140:141]
	buffer_load_dword v140, off, s[0:3], 0 offset:476
	buffer_load_dword v142, off, s[0:3], 0 offset:484
	;; [unrolled: 1-line block ×5, first 2 shown]
	s_waitcnt vmcnt(21)
	v_fma_f64 v[127:128], v[153:154], v[129:130], v[127:128]
	s_waitcnt vmcnt(20) lgkmcnt(0)
	v_fma_f64 v[127:128], v[149:150], v[131:132], v[127:128]
	buffer_load_dword v149, off, s[0:3], 0 offset:224
	buffer_load_dword v150, off, s[0:3], 0 offset:228
	s_waitcnt vmcnt(17)
	v_fma_f64 v[135:136], v[135:136], v[133:134], v[127:128]
	ds_read2_b64 v[127:130], v126 offset0:115 offset1:116
	ds_read2_b64 v[131:134], v126 offset0:117 offset1:118
	s_waitcnt vmcnt(16) lgkmcnt(1)
	v_fma_f64 v[127:128], v[159:160], v[127:128], v[135:136]
	s_waitcnt vmcnt(15)
	v_fma_f64 v[127:128], v[157:158], v[129:130], v[127:128]
	s_waitcnt vmcnt(14) lgkmcnt(0)
	v_fma_f64 v[127:128], v[151:152], v[131:132], v[127:128]
	s_waitcnt vmcnt(9)
	v_fma_f64 v[135:136], v[137:138], v[133:134], v[127:128]
	ds_read2_b64 v[127:130], v126 offset0:119 offset1:120
	ds_read2_b64 v[131:134], v126 offset0:121 offset1:122
	s_waitcnt vmcnt(8) lgkmcnt(1)
	v_fma_f64 v[127:128], v[145:146], v[127:128], v[135:136]
	s_waitcnt vmcnt(7)
	v_fma_f64 v[127:128], v[143:144], v[129:130], v[127:128]
	ds_read_b64 v[129:130], v126 offset:984
	s_waitcnt vmcnt(6) lgkmcnt(1)
	v_fma_f64 v[127:128], v[139:140], v[131:132], v[127:128]
	s_waitcnt vmcnt(3)
	v_fma_f64 v[127:128], v[141:142], v[133:134], v[127:128]
	s_waitcnt vmcnt(2) lgkmcnt(0)
	v_fma_f64 v[127:128], v[147:148], v[129:130], v[127:128]
	s_waitcnt vmcnt(0)
	v_add_f64 v[127:128], v[149:150], -v[127:128]
	buffer_store_dword v128, off, s[0:3], 0 offset:228
	buffer_store_dword v127, off, s[0:3], 0 offset:224
	s_and_saveexec_b64 s[4:5], vcc
	s_cbranch_execz .LBB61_325
; %bb.324:
	buffer_load_dword v127, off, s[0:3], 0 offset:216
	buffer_load_dword v128, off, s[0:3], 0 offset:220
	s_waitcnt vmcnt(0)
	ds_write_b64 v125, v[127:128]
	buffer_store_dword v126, off, s[0:3], 0 offset:216
	buffer_store_dword v126, off, s[0:3], 0 offset:220
.LBB61_325:
	s_or_b64 exec, exec, s[4:5]
	s_waitcnt lgkmcnt(0)
	; wave barrier
	buffer_load_dword v135, off, s[0:3], 0 offset:224
	buffer_load_dword v136, off, s[0:3], 0 offset:228
	;; [unrolled: 1-line block ×21, first 2 shown]
	ds_read_b128 v[127:130], v126 offset:720
	ds_read_b128 v[131:134], v126 offset:736
	buffer_load_dword v152, off, s[0:3], 0 offset:308
	v_cmp_lt_u32_e32 vcc, 26, v0
	s_waitcnt vmcnt(20) lgkmcnt(1)
	v_fma_f64 v[127:128], v[135:136], v[127:128], 0
	s_waitcnt vmcnt(18)
	v_fma_f64 v[127:128], v[137:138], v[129:130], v[127:128]
	buffer_load_dword v136, off, s[0:3], 0 offset:316
	buffer_load_dword v137, off, s[0:3], 0 offset:336
	;; [unrolled: 1-line block ×7, first 2 shown]
	s_waitcnt vmcnt(23) lgkmcnt(0)
	v_fma_f64 v[127:128], v[139:140], v[131:132], v[127:128]
	s_waitcnt vmcnt(21)
	v_fma_f64 v[138:139], v[141:142], v[133:134], v[127:128]
	ds_read_b128 v[127:130], v126 offset:752
	ds_read_b128 v[131:134], v126 offset:768
	s_waitcnt vmcnt(19) lgkmcnt(1)
	v_fma_f64 v[127:128], v[143:144], v[127:128], v[138:139]
	buffer_load_dword v138, off, s[0:3], 0 offset:340
	s_waitcnt vmcnt(18)
	v_fma_f64 v[127:128], v[145:146], v[129:130], v[127:128]
	buffer_load_dword v140, off, s[0:3], 0 offset:348
	buffer_load_dword v141, off, s[0:3], 0 offset:368
	;; [unrolled: 1-line block ×8, first 2 shown]
	s_waitcnt vmcnt(24) lgkmcnt(0)
	v_fma_f64 v[127:128], v[147:148], v[131:132], v[127:128]
	s_waitcnt vmcnt(19)
	v_fma_f64 v[147:148], v[149:150], v[133:134], v[127:128]
	ds_read_b128 v[127:130], v126 offset:784
	ds_read_b128 v[131:134], v126 offset:800
	s_waitcnt vmcnt(18) lgkmcnt(1)
	v_fma_f64 v[127:128], v[155:156], v[127:128], v[147:148]
	s_waitcnt vmcnt(17)
	v_fma_f64 v[127:128], v[153:154], v[129:130], v[127:128]
	buffer_load_dword v148, off, s[0:3], 0 offset:380
	buffer_load_dword v149, off, s[0:3], 0 offset:400
	buffer_load_dword v153, off, s[0:3], 0 offset:392
	buffer_load_dword v155, off, s[0:3], 0 offset:384
	buffer_load_dword v147, off, s[0:3], 0 offset:376
	buffer_load_dword v156, off, s[0:3], 0 offset:388
	buffer_load_dword v154, off, s[0:3], 0 offset:396
	s_waitcnt vmcnt(23) lgkmcnt(0)
	v_fma_f64 v[127:128], v[151:152], v[131:132], v[127:128]
	s_waitcnt vmcnt(18)
	v_fma_f64 v[135:136], v[135:136], v[133:134], v[127:128]
	ds_read_b128 v[127:130], v126 offset:816
	ds_read_b128 v[131:134], v126 offset:832
	buffer_load_dword v150, off, s[0:3], 0 offset:404
	s_waitcnt vmcnt(18) lgkmcnt(1)
	v_fma_f64 v[127:128], v[159:160], v[127:128], v[135:136]
	s_waitcnt vmcnt(17)
	v_fma_f64 v[127:128], v[157:158], v[129:130], v[127:128]
	buffer_load_dword v136, off, s[0:3], 0 offset:412
	buffer_load_dword v151, off, s[0:3], 0 offset:432
	buffer_load_dword v157, off, s[0:3], 0 offset:424
	buffer_load_dword v159, off, s[0:3], 0 offset:416
	buffer_load_dword v135, off, s[0:3], 0 offset:408
	buffer_load_dword v160, off, s[0:3], 0 offset:420
	buffer_load_dword v158, off, s[0:3], 0 offset:428
	buffer_load_dword v152, off, s[0:3], 0 offset:436
	s_waitcnt vmcnt(24) lgkmcnt(0)
	v_fma_f64 v[127:128], v[137:138], v[131:132], v[127:128]
	s_waitcnt vmcnt(19)
	v_fma_f64 v[137:138], v[139:140], v[133:134], v[127:128]
	ds_read_b128 v[127:130], v126 offset:848
	ds_read_b128 v[131:134], v126 offset:864
	s_waitcnt vmcnt(18) lgkmcnt(1)
	v_fma_f64 v[127:128], v[145:146], v[127:128], v[137:138]
	s_waitcnt vmcnt(17)
	v_fma_f64 v[127:128], v[143:144], v[129:130], v[127:128]
	buffer_load_dword v138, off, s[0:3], 0 offset:444
	buffer_load_dword v139, off, s[0:3], 0 offset:464
	;; [unrolled: 1-line block ×7, first 2 shown]
	s_waitcnt vmcnt(23) lgkmcnt(0)
	v_fma_f64 v[127:128], v[141:142], v[131:132], v[127:128]
	s_waitcnt vmcnt(18)
	v_fma_f64 v[140:141], v[147:148], v[133:134], v[127:128]
	ds_read_b128 v[127:130], v126 offset:880
	ds_read_b128 v[131:134], v126 offset:896
	s_waitcnt vmcnt(17) lgkmcnt(1)
	v_fma_f64 v[127:128], v[155:156], v[127:128], v[140:141]
	buffer_load_dword v140, off, s[0:3], 0 offset:468
	s_waitcnt vmcnt(17)
	v_fma_f64 v[127:128], v[153:154], v[129:130], v[127:128]
	buffer_load_dword v142, off, s[0:3], 0 offset:476
	buffer_load_dword v147, off, s[0:3], 0 offset:488
	;; [unrolled: 1-line block ×6, first 2 shown]
	s_waitcnt vmcnt(22) lgkmcnt(0)
	v_fma_f64 v[127:128], v[149:150], v[131:132], v[127:128]
	s_waitcnt vmcnt(17)
	v_fma_f64 v[135:136], v[135:136], v[133:134], v[127:128]
	ds_read_b128 v[127:130], v126 offset:912
	buffer_load_dword v149, off, s[0:3], 0 offset:216
	buffer_load_dword v150, off, s[0:3], 0 offset:220
	ds_read_b128 v[131:134], v126 offset:928
	s_waitcnt vmcnt(18) lgkmcnt(1)
	v_fma_f64 v[127:128], v[159:160], v[127:128], v[135:136]
	s_waitcnt vmcnt(17)
	v_fma_f64 v[127:128], v[157:158], v[129:130], v[127:128]
	s_waitcnt vmcnt(16) lgkmcnt(0)
	v_fma_f64 v[127:128], v[151:152], v[131:132], v[127:128]
	s_waitcnt vmcnt(11)
	v_fma_f64 v[135:136], v[137:138], v[133:134], v[127:128]
	ds_read_b128 v[127:130], v126 offset:944
	ds_read_b128 v[131:134], v126 offset:960
	s_waitcnt vmcnt(10) lgkmcnt(1)
	v_fma_f64 v[127:128], v[145:146], v[127:128], v[135:136]
	s_waitcnt vmcnt(9)
	v_fma_f64 v[127:128], v[143:144], v[129:130], v[127:128]
	s_waitcnt vmcnt(8) lgkmcnt(0)
	v_fma_f64 v[127:128], v[139:140], v[131:132], v[127:128]
	s_waitcnt vmcnt(4)
	v_fma_f64 v[130:131], v[141:142], v[133:134], v[127:128]
	ds_read_b128 v[126:129], v126 offset:976
	s_waitcnt vmcnt(3) lgkmcnt(0)
	v_fma_f64 v[126:127], v[153:154], v[126:127], v[130:131]
	s_waitcnt vmcnt(2)
	v_fma_f64 v[126:127], v[147:148], v[128:129], v[126:127]
	s_waitcnt vmcnt(0)
	v_add_f64 v[126:127], v[149:150], -v[126:127]
	buffer_store_dword v127, off, s[0:3], 0 offset:220
	buffer_store_dword v126, off, s[0:3], 0 offset:216
	s_and_saveexec_b64 s[4:5], vcc
	s_cbranch_execz .LBB61_327
; %bb.326:
	buffer_load_dword v126, off, s[0:3], 0 offset:208
	buffer_load_dword v127, off, s[0:3], 0 offset:212
	v_mov_b32_e32 v128, 0
	buffer_store_dword v128, off, s[0:3], 0 offset:208
	buffer_store_dword v128, off, s[0:3], 0 offset:212
	s_waitcnt vmcnt(2)
	ds_write_b64 v125, v[126:127]
.LBB61_327:
	s_or_b64 exec, exec, s[4:5]
	s_waitcnt lgkmcnt(0)
	; wave barrier
	buffer_load_dword v135, off, s[0:3], 0 offset:216
	buffer_load_dword v136, off, s[0:3], 0 offset:220
	;; [unrolled: 1-line block ×21, first 2 shown]
	v_mov_b32_e32 v126, 0
	ds_read2_b64 v[127:130], v126 offset0:89 offset1:90
	ds_read2_b64 v[131:134], v126 offset0:91 offset1:92
	buffer_load_dword v152, off, s[0:3], 0 offset:300
	v_cmp_lt_u32_e32 vcc, 25, v0
	s_waitcnt vmcnt(20) lgkmcnt(1)
	v_fma_f64 v[127:128], v[135:136], v[127:128], 0
	s_waitcnt vmcnt(18)
	v_fma_f64 v[127:128], v[137:138], v[129:130], v[127:128]
	buffer_load_dword v136, off, s[0:3], 0 offset:308
	buffer_load_dword v137, off, s[0:3], 0 offset:328
	;; [unrolled: 1-line block ×7, first 2 shown]
	s_waitcnt vmcnt(23) lgkmcnt(0)
	v_fma_f64 v[127:128], v[139:140], v[131:132], v[127:128]
	s_waitcnt vmcnt(21)
	v_fma_f64 v[138:139], v[141:142], v[133:134], v[127:128]
	ds_read2_b64 v[127:130], v126 offset0:93 offset1:94
	ds_read2_b64 v[131:134], v126 offset0:95 offset1:96
	s_waitcnt vmcnt(19) lgkmcnt(1)
	v_fma_f64 v[127:128], v[143:144], v[127:128], v[138:139]
	buffer_load_dword v138, off, s[0:3], 0 offset:332
	s_waitcnt vmcnt(18)
	v_fma_f64 v[127:128], v[145:146], v[129:130], v[127:128]
	buffer_load_dword v140, off, s[0:3], 0 offset:340
	buffer_load_dword v141, off, s[0:3], 0 offset:360
	;; [unrolled: 1-line block ×8, first 2 shown]
	s_waitcnt vmcnt(24) lgkmcnt(0)
	v_fma_f64 v[127:128], v[147:148], v[131:132], v[127:128]
	s_waitcnt vmcnt(19)
	v_fma_f64 v[147:148], v[149:150], v[133:134], v[127:128]
	ds_read2_b64 v[127:130], v126 offset0:97 offset1:98
	ds_read2_b64 v[131:134], v126 offset0:99 offset1:100
	s_waitcnt vmcnt(18) lgkmcnt(1)
	v_fma_f64 v[127:128], v[155:156], v[127:128], v[147:148]
	s_waitcnt vmcnt(17)
	v_fma_f64 v[127:128], v[153:154], v[129:130], v[127:128]
	buffer_load_dword v148, off, s[0:3], 0 offset:372
	buffer_load_dword v149, off, s[0:3], 0 offset:392
	;; [unrolled: 1-line block ×7, first 2 shown]
	s_waitcnt vmcnt(23) lgkmcnt(0)
	v_fma_f64 v[127:128], v[151:152], v[131:132], v[127:128]
	s_waitcnt vmcnt(18)
	v_fma_f64 v[135:136], v[135:136], v[133:134], v[127:128]
	ds_read2_b64 v[127:130], v126 offset0:101 offset1:102
	ds_read2_b64 v[131:134], v126 offset0:103 offset1:104
	buffer_load_dword v150, off, s[0:3], 0 offset:396
	s_waitcnt vmcnt(18) lgkmcnt(1)
	v_fma_f64 v[127:128], v[159:160], v[127:128], v[135:136]
	s_waitcnt vmcnt(17)
	v_fma_f64 v[127:128], v[157:158], v[129:130], v[127:128]
	buffer_load_dword v136, off, s[0:3], 0 offset:404
	buffer_load_dword v151, off, s[0:3], 0 offset:424
	;; [unrolled: 1-line block ×8, first 2 shown]
	s_waitcnt vmcnt(24) lgkmcnt(0)
	v_fma_f64 v[127:128], v[137:138], v[131:132], v[127:128]
	s_waitcnt vmcnt(19)
	v_fma_f64 v[137:138], v[139:140], v[133:134], v[127:128]
	ds_read2_b64 v[127:130], v126 offset0:105 offset1:106
	ds_read2_b64 v[131:134], v126 offset0:107 offset1:108
	s_waitcnt vmcnt(18) lgkmcnt(1)
	v_fma_f64 v[127:128], v[145:146], v[127:128], v[137:138]
	s_waitcnt vmcnt(17)
	v_fma_f64 v[127:128], v[143:144], v[129:130], v[127:128]
	buffer_load_dword v138, off, s[0:3], 0 offset:436
	buffer_load_dword v139, off, s[0:3], 0 offset:456
	;; [unrolled: 1-line block ×7, first 2 shown]
	s_waitcnt vmcnt(23) lgkmcnt(0)
	v_fma_f64 v[127:128], v[141:142], v[131:132], v[127:128]
	s_waitcnt vmcnt(18)
	v_fma_f64 v[140:141], v[147:148], v[133:134], v[127:128]
	ds_read2_b64 v[127:130], v126 offset0:109 offset1:110
	ds_read2_b64 v[131:134], v126 offset0:111 offset1:112
	s_waitcnt vmcnt(17) lgkmcnt(1)
	v_fma_f64 v[127:128], v[155:156], v[127:128], v[140:141]
	buffer_load_dword v140, off, s[0:3], 0 offset:460
	s_waitcnt vmcnt(17)
	v_fma_f64 v[127:128], v[153:154], v[129:130], v[127:128]
	buffer_load_dword v142, off, s[0:3], 0 offset:468
	buffer_load_dword v147, off, s[0:3], 0 offset:488
	;; [unrolled: 1-line block ×8, first 2 shown]
	s_waitcnt vmcnt(24) lgkmcnt(0)
	v_fma_f64 v[127:128], v[149:150], v[131:132], v[127:128]
	s_waitcnt vmcnt(19)
	v_fma_f64 v[135:136], v[135:136], v[133:134], v[127:128]
	ds_read2_b64 v[127:130], v126 offset0:113 offset1:114
	ds_read2_b64 v[131:134], v126 offset0:115 offset1:116
	s_waitcnt vmcnt(18) lgkmcnt(1)
	v_fma_f64 v[127:128], v[159:160], v[127:128], v[135:136]
	buffer_load_dword v135, off, s[0:3], 0 offset:208
	buffer_load_dword v136, off, s[0:3], 0 offset:212
	s_waitcnt vmcnt(19)
	v_fma_f64 v[127:128], v[157:158], v[129:130], v[127:128]
	s_waitcnt vmcnt(18) lgkmcnt(0)
	v_fma_f64 v[127:128], v[151:152], v[131:132], v[127:128]
	s_waitcnt vmcnt(13)
	v_fma_f64 v[137:138], v[137:138], v[133:134], v[127:128]
	ds_read2_b64 v[127:130], v126 offset0:117 offset1:118
	ds_read2_b64 v[131:134], v126 offset0:119 offset1:120
	s_waitcnt vmcnt(12) lgkmcnt(1)
	v_fma_f64 v[127:128], v[145:146], v[127:128], v[137:138]
	s_waitcnt vmcnt(11)
	v_fma_f64 v[127:128], v[143:144], v[129:130], v[127:128]
	s_waitcnt vmcnt(10) lgkmcnt(0)
	v_fma_f64 v[127:128], v[139:140], v[131:132], v[127:128]
	s_waitcnt vmcnt(5)
	v_fma_f64 v[131:132], v[141:142], v[133:134], v[127:128]
	ds_read2_b64 v[127:130], v126 offset0:121 offset1:122
	ds_read_b64 v[133:134], v126 offset:984
	s_waitcnt vmcnt(4) lgkmcnt(1)
	v_fma_f64 v[127:128], v[155:156], v[127:128], v[131:132]
	s_waitcnt vmcnt(3)
	v_fma_f64 v[127:128], v[153:154], v[129:130], v[127:128]
	s_waitcnt vmcnt(2) lgkmcnt(0)
	v_fma_f64 v[127:128], v[147:148], v[133:134], v[127:128]
	s_waitcnt vmcnt(0)
	v_add_f64 v[127:128], v[135:136], -v[127:128]
	buffer_store_dword v128, off, s[0:3], 0 offset:212
	buffer_store_dword v127, off, s[0:3], 0 offset:208
	s_and_saveexec_b64 s[4:5], vcc
	s_cbranch_execz .LBB61_329
; %bb.328:
	buffer_load_dword v127, off, s[0:3], 0 offset:200
	buffer_load_dword v128, off, s[0:3], 0 offset:204
	s_waitcnt vmcnt(0)
	ds_write_b64 v125, v[127:128]
	buffer_store_dword v126, off, s[0:3], 0 offset:200
	buffer_store_dword v126, off, s[0:3], 0 offset:204
.LBB61_329:
	s_or_b64 exec, exec, s[4:5]
	s_waitcnt lgkmcnt(0)
	; wave barrier
	buffer_load_dword v135, off, s[0:3], 0 offset:208
	buffer_load_dword v136, off, s[0:3], 0 offset:212
	;; [unrolled: 1-line block ×21, first 2 shown]
	ds_read_b128 v[127:130], v126 offset:704
	ds_read_b128 v[131:134], v126 offset:720
	buffer_load_dword v152, off, s[0:3], 0 offset:292
	v_cmp_lt_u32_e32 vcc, 24, v0
	s_waitcnt vmcnt(20) lgkmcnt(1)
	v_fma_f64 v[127:128], v[135:136], v[127:128], 0
	s_waitcnt vmcnt(18)
	v_fma_f64 v[127:128], v[137:138], v[129:130], v[127:128]
	buffer_load_dword v136, off, s[0:3], 0 offset:300
	buffer_load_dword v137, off, s[0:3], 0 offset:320
	;; [unrolled: 1-line block ×7, first 2 shown]
	s_waitcnt vmcnt(23) lgkmcnt(0)
	v_fma_f64 v[127:128], v[139:140], v[131:132], v[127:128]
	s_waitcnt vmcnt(21)
	v_fma_f64 v[138:139], v[141:142], v[133:134], v[127:128]
	ds_read_b128 v[127:130], v126 offset:736
	ds_read_b128 v[131:134], v126 offset:752
	s_waitcnt vmcnt(19) lgkmcnt(1)
	v_fma_f64 v[127:128], v[143:144], v[127:128], v[138:139]
	buffer_load_dword v138, off, s[0:3], 0 offset:324
	s_waitcnt vmcnt(18)
	v_fma_f64 v[127:128], v[145:146], v[129:130], v[127:128]
	buffer_load_dword v140, off, s[0:3], 0 offset:332
	buffer_load_dword v141, off, s[0:3], 0 offset:352
	;; [unrolled: 1-line block ×8, first 2 shown]
	s_waitcnt vmcnt(24) lgkmcnt(0)
	v_fma_f64 v[127:128], v[147:148], v[131:132], v[127:128]
	s_waitcnt vmcnt(19)
	v_fma_f64 v[147:148], v[149:150], v[133:134], v[127:128]
	ds_read_b128 v[127:130], v126 offset:768
	ds_read_b128 v[131:134], v126 offset:784
	s_waitcnt vmcnt(18) lgkmcnt(1)
	v_fma_f64 v[127:128], v[155:156], v[127:128], v[147:148]
	s_waitcnt vmcnt(17)
	v_fma_f64 v[127:128], v[153:154], v[129:130], v[127:128]
	buffer_load_dword v148, off, s[0:3], 0 offset:364
	buffer_load_dword v149, off, s[0:3], 0 offset:384
	;; [unrolled: 1-line block ×7, first 2 shown]
	s_waitcnt vmcnt(23) lgkmcnt(0)
	v_fma_f64 v[127:128], v[151:152], v[131:132], v[127:128]
	s_waitcnt vmcnt(18)
	v_fma_f64 v[135:136], v[135:136], v[133:134], v[127:128]
	ds_read_b128 v[127:130], v126 offset:800
	ds_read_b128 v[131:134], v126 offset:816
	buffer_load_dword v150, off, s[0:3], 0 offset:388
	s_waitcnt vmcnt(18) lgkmcnt(1)
	v_fma_f64 v[127:128], v[159:160], v[127:128], v[135:136]
	s_waitcnt vmcnt(17)
	v_fma_f64 v[127:128], v[157:158], v[129:130], v[127:128]
	buffer_load_dword v136, off, s[0:3], 0 offset:396
	buffer_load_dword v151, off, s[0:3], 0 offset:416
	;; [unrolled: 1-line block ×8, first 2 shown]
	s_waitcnt vmcnt(24) lgkmcnt(0)
	v_fma_f64 v[127:128], v[137:138], v[131:132], v[127:128]
	s_waitcnt vmcnt(19)
	v_fma_f64 v[137:138], v[139:140], v[133:134], v[127:128]
	ds_read_b128 v[127:130], v126 offset:832
	ds_read_b128 v[131:134], v126 offset:848
	s_waitcnt vmcnt(18) lgkmcnt(1)
	v_fma_f64 v[127:128], v[145:146], v[127:128], v[137:138]
	s_waitcnt vmcnt(17)
	v_fma_f64 v[127:128], v[143:144], v[129:130], v[127:128]
	buffer_load_dword v138, off, s[0:3], 0 offset:428
	buffer_load_dword v139, off, s[0:3], 0 offset:448
	;; [unrolled: 1-line block ×7, first 2 shown]
	s_waitcnt vmcnt(23) lgkmcnt(0)
	v_fma_f64 v[127:128], v[141:142], v[131:132], v[127:128]
	s_waitcnt vmcnt(18)
	v_fma_f64 v[140:141], v[147:148], v[133:134], v[127:128]
	ds_read_b128 v[127:130], v126 offset:864
	ds_read_b128 v[131:134], v126 offset:880
	s_waitcnt vmcnt(17) lgkmcnt(1)
	v_fma_f64 v[127:128], v[155:156], v[127:128], v[140:141]
	buffer_load_dword v140, off, s[0:3], 0 offset:452
	s_waitcnt vmcnt(17)
	v_fma_f64 v[127:128], v[153:154], v[129:130], v[127:128]
	buffer_load_dword v142, off, s[0:3], 0 offset:460
	buffer_load_dword v147, off, s[0:3], 0 offset:480
	;; [unrolled: 1-line block ×8, first 2 shown]
	s_waitcnt vmcnt(24) lgkmcnt(0)
	v_fma_f64 v[127:128], v[149:150], v[131:132], v[127:128]
	s_waitcnt vmcnt(19)
	v_fma_f64 v[135:136], v[135:136], v[133:134], v[127:128]
	ds_read_b128 v[127:130], v126 offset:896
	ds_read_b128 v[131:134], v126 offset:912
	s_waitcnt vmcnt(18) lgkmcnt(1)
	v_fma_f64 v[127:128], v[159:160], v[127:128], v[135:136]
	buffer_load_dword v136, off, s[0:3], 0 offset:492
	buffer_load_dword v135, off, s[0:3], 0 offset:488
	;; [unrolled: 1-line block ×4, first 2 shown]
	s_waitcnt vmcnt(21)
	v_fma_f64 v[127:128], v[157:158], v[129:130], v[127:128]
	s_waitcnt vmcnt(20) lgkmcnt(0)
	v_fma_f64 v[127:128], v[151:152], v[131:132], v[127:128]
	s_waitcnt vmcnt(15)
	v_fma_f64 v[137:138], v[137:138], v[133:134], v[127:128]
	ds_read_b128 v[127:130], v126 offset:928
	ds_read_b128 v[131:134], v126 offset:944
	s_waitcnt vmcnt(14) lgkmcnt(1)
	v_fma_f64 v[127:128], v[145:146], v[127:128], v[137:138]
	s_waitcnt vmcnt(13)
	v_fma_f64 v[127:128], v[143:144], v[129:130], v[127:128]
	s_waitcnt vmcnt(12) lgkmcnt(0)
	v_fma_f64 v[127:128], v[139:140], v[131:132], v[127:128]
	s_waitcnt vmcnt(7)
	v_fma_f64 v[137:138], v[141:142], v[133:134], v[127:128]
	ds_read_b128 v[127:130], v126 offset:960
	ds_read_b128 v[131:134], v126 offset:976
	s_waitcnt vmcnt(6) lgkmcnt(1)
	v_fma_f64 v[126:127], v[155:156], v[127:128], v[137:138]
	s_waitcnt vmcnt(5)
	v_fma_f64 v[126:127], v[153:154], v[129:130], v[126:127]
	s_waitcnt vmcnt(4) lgkmcnt(0)
	v_fma_f64 v[126:127], v[147:148], v[131:132], v[126:127]
	s_waitcnt vmcnt(2)
	v_fma_f64 v[126:127], v[135:136], v[133:134], v[126:127]
	s_waitcnt vmcnt(0)
	v_add_f64 v[126:127], v[149:150], -v[126:127]
	buffer_store_dword v127, off, s[0:3], 0 offset:204
	buffer_store_dword v126, off, s[0:3], 0 offset:200
	s_and_saveexec_b64 s[4:5], vcc
	s_cbranch_execz .LBB61_331
; %bb.330:
	buffer_load_dword v126, off, s[0:3], 0 offset:192
	buffer_load_dword v127, off, s[0:3], 0 offset:196
	v_mov_b32_e32 v128, 0
	buffer_store_dword v128, off, s[0:3], 0 offset:192
	buffer_store_dword v128, off, s[0:3], 0 offset:196
	s_waitcnt vmcnt(2)
	ds_write_b64 v125, v[126:127]
.LBB61_331:
	s_or_b64 exec, exec, s[4:5]
	s_waitcnt lgkmcnt(0)
	; wave barrier
	buffer_load_dword v135, off, s[0:3], 0 offset:200
	buffer_load_dword v136, off, s[0:3], 0 offset:204
	;; [unrolled: 1-line block ×21, first 2 shown]
	v_mov_b32_e32 v126, 0
	ds_read2_b64 v[127:130], v126 offset0:87 offset1:88
	ds_read2_b64 v[131:134], v126 offset0:89 offset1:90
	buffer_load_dword v152, off, s[0:3], 0 offset:284
	v_cmp_lt_u32_e32 vcc, 23, v0
	s_waitcnt vmcnt(20) lgkmcnt(1)
	v_fma_f64 v[127:128], v[135:136], v[127:128], 0
	s_waitcnt vmcnt(18)
	v_fma_f64 v[127:128], v[137:138], v[129:130], v[127:128]
	buffer_load_dword v136, off, s[0:3], 0 offset:292
	buffer_load_dword v137, off, s[0:3], 0 offset:312
	buffer_load_dword v157, off, s[0:3], 0 offset:304
	buffer_load_dword v159, off, s[0:3], 0 offset:296
	buffer_load_dword v135, off, s[0:3], 0 offset:288
	buffer_load_dword v160, off, s[0:3], 0 offset:300
	buffer_load_dword v158, off, s[0:3], 0 offset:308
	s_waitcnt vmcnt(23) lgkmcnt(0)
	v_fma_f64 v[127:128], v[139:140], v[131:132], v[127:128]
	s_waitcnt vmcnt(21)
	v_fma_f64 v[138:139], v[141:142], v[133:134], v[127:128]
	ds_read2_b64 v[127:130], v126 offset0:91 offset1:92
	ds_read2_b64 v[131:134], v126 offset0:93 offset1:94
	s_waitcnt vmcnt(19) lgkmcnt(1)
	v_fma_f64 v[127:128], v[143:144], v[127:128], v[138:139]
	buffer_load_dword v138, off, s[0:3], 0 offset:316
	s_waitcnt vmcnt(18)
	v_fma_f64 v[127:128], v[145:146], v[129:130], v[127:128]
	buffer_load_dword v140, off, s[0:3], 0 offset:324
	buffer_load_dword v141, off, s[0:3], 0 offset:344
	;; [unrolled: 1-line block ×8, first 2 shown]
	s_waitcnt vmcnt(24) lgkmcnt(0)
	v_fma_f64 v[127:128], v[147:148], v[131:132], v[127:128]
	s_waitcnt vmcnt(19)
	v_fma_f64 v[147:148], v[149:150], v[133:134], v[127:128]
	ds_read2_b64 v[127:130], v126 offset0:95 offset1:96
	ds_read2_b64 v[131:134], v126 offset0:97 offset1:98
	s_waitcnt vmcnt(18) lgkmcnt(1)
	v_fma_f64 v[127:128], v[155:156], v[127:128], v[147:148]
	s_waitcnt vmcnt(17)
	v_fma_f64 v[127:128], v[153:154], v[129:130], v[127:128]
	buffer_load_dword v148, off, s[0:3], 0 offset:356
	buffer_load_dword v149, off, s[0:3], 0 offset:376
	;; [unrolled: 1-line block ×7, first 2 shown]
	s_waitcnt vmcnt(23) lgkmcnt(0)
	v_fma_f64 v[127:128], v[151:152], v[131:132], v[127:128]
	s_waitcnt vmcnt(18)
	v_fma_f64 v[135:136], v[135:136], v[133:134], v[127:128]
	ds_read2_b64 v[127:130], v126 offset0:99 offset1:100
	ds_read2_b64 v[131:134], v126 offset0:101 offset1:102
	buffer_load_dword v150, off, s[0:3], 0 offset:380
	s_waitcnt vmcnt(18) lgkmcnt(1)
	v_fma_f64 v[127:128], v[159:160], v[127:128], v[135:136]
	s_waitcnt vmcnt(17)
	v_fma_f64 v[127:128], v[157:158], v[129:130], v[127:128]
	buffer_load_dword v136, off, s[0:3], 0 offset:388
	buffer_load_dword v151, off, s[0:3], 0 offset:408
	;; [unrolled: 1-line block ×7, first 2 shown]
	s_waitcnt vmcnt(23) lgkmcnt(0)
	v_fma_f64 v[127:128], v[137:138], v[131:132], v[127:128]
	s_waitcnt vmcnt(18)
	v_fma_f64 v[137:138], v[139:140], v[133:134], v[127:128]
	ds_read2_b64 v[127:130], v126 offset0:103 offset1:104
	ds_read2_b64 v[131:134], v126 offset0:105 offset1:106
	buffer_load_dword v152, off, s[0:3], 0 offset:412
	s_waitcnt vmcnt(18) lgkmcnt(1)
	v_fma_f64 v[127:128], v[145:146], v[127:128], v[137:138]
	s_waitcnt vmcnt(17)
	v_fma_f64 v[127:128], v[143:144], v[129:130], v[127:128]
	buffer_load_dword v138, off, s[0:3], 0 offset:420
	buffer_load_dword v139, off, s[0:3], 0 offset:440
	;; [unrolled: 1-line block ×7, first 2 shown]
	s_waitcnt vmcnt(23) lgkmcnt(0)
	v_fma_f64 v[127:128], v[141:142], v[131:132], v[127:128]
	s_waitcnt vmcnt(18)
	v_fma_f64 v[140:141], v[147:148], v[133:134], v[127:128]
	ds_read2_b64 v[127:130], v126 offset0:107 offset1:108
	ds_read2_b64 v[131:134], v126 offset0:109 offset1:110
	s_waitcnt vmcnt(17) lgkmcnt(1)
	v_fma_f64 v[127:128], v[155:156], v[127:128], v[140:141]
	buffer_load_dword v140, off, s[0:3], 0 offset:444
	s_waitcnt vmcnt(17)
	v_fma_f64 v[127:128], v[153:154], v[129:130], v[127:128]
	buffer_load_dword v142, off, s[0:3], 0 offset:452
	buffer_load_dword v147, off, s[0:3], 0 offset:472
	;; [unrolled: 1-line block ×7, first 2 shown]
	s_waitcnt vmcnt(23) lgkmcnt(0)
	v_fma_f64 v[127:128], v[149:150], v[131:132], v[127:128]
	s_waitcnt vmcnt(18)
	v_fma_f64 v[135:136], v[135:136], v[133:134], v[127:128]
	ds_read2_b64 v[127:130], v126 offset0:111 offset1:112
	ds_read2_b64 v[131:134], v126 offset0:113 offset1:114
	buffer_load_dword v148, off, s[0:3], 0 offset:476
	s_waitcnt vmcnt(18) lgkmcnt(1)
	v_fma_f64 v[127:128], v[159:160], v[127:128], v[135:136]
	buffer_load_dword v136, off, s[0:3], 0 offset:484
	buffer_load_dword v149, off, s[0:3], 0 offset:488
	;; [unrolled: 1-line block ×4, first 2 shown]
	s_waitcnt vmcnt(21)
	v_fma_f64 v[127:128], v[157:158], v[129:130], v[127:128]
	s_waitcnt vmcnt(20) lgkmcnt(0)
	v_fma_f64 v[127:128], v[151:152], v[131:132], v[127:128]
	buffer_load_dword v151, off, s[0:3], 0 offset:192
	buffer_load_dword v152, off, s[0:3], 0 offset:196
	s_waitcnt vmcnt(17)
	v_fma_f64 v[137:138], v[137:138], v[133:134], v[127:128]
	ds_read2_b64 v[127:130], v126 offset0:115 offset1:116
	ds_read2_b64 v[131:134], v126 offset0:117 offset1:118
	s_waitcnt vmcnt(16) lgkmcnt(1)
	v_fma_f64 v[127:128], v[145:146], v[127:128], v[137:138]
	s_waitcnt vmcnt(15)
	v_fma_f64 v[127:128], v[143:144], v[129:130], v[127:128]
	s_waitcnt vmcnt(14) lgkmcnt(0)
	v_fma_f64 v[127:128], v[139:140], v[131:132], v[127:128]
	s_waitcnt vmcnt(9)
	v_fma_f64 v[137:138], v[141:142], v[133:134], v[127:128]
	ds_read2_b64 v[127:130], v126 offset0:119 offset1:120
	ds_read2_b64 v[131:134], v126 offset0:121 offset1:122
	s_waitcnt vmcnt(8) lgkmcnt(1)
	v_fma_f64 v[127:128], v[155:156], v[127:128], v[137:138]
	s_waitcnt vmcnt(7)
	v_fma_f64 v[127:128], v[153:154], v[129:130], v[127:128]
	ds_read_b64 v[129:130], v126 offset:984
	s_waitcnt vmcnt(6) lgkmcnt(1)
	v_fma_f64 v[127:128], v[147:148], v[131:132], v[127:128]
	s_waitcnt vmcnt(3)
	v_fma_f64 v[127:128], v[135:136], v[133:134], v[127:128]
	s_waitcnt vmcnt(2) lgkmcnt(0)
	v_fma_f64 v[127:128], v[149:150], v[129:130], v[127:128]
	s_waitcnt vmcnt(0)
	v_add_f64 v[127:128], v[151:152], -v[127:128]
	buffer_store_dword v128, off, s[0:3], 0 offset:196
	buffer_store_dword v127, off, s[0:3], 0 offset:192
	s_and_saveexec_b64 s[4:5], vcc
	s_cbranch_execz .LBB61_333
; %bb.332:
	buffer_load_dword v127, off, s[0:3], 0 offset:184
	buffer_load_dword v128, off, s[0:3], 0 offset:188
	s_waitcnt vmcnt(0)
	ds_write_b64 v125, v[127:128]
	buffer_store_dword v126, off, s[0:3], 0 offset:184
	buffer_store_dword v126, off, s[0:3], 0 offset:188
.LBB61_333:
	s_or_b64 exec, exec, s[4:5]
	s_waitcnt lgkmcnt(0)
	; wave barrier
	buffer_load_dword v135, off, s[0:3], 0 offset:192
	buffer_load_dword v136, off, s[0:3], 0 offset:196
	;; [unrolled: 1-line block ×22, first 2 shown]
	ds_read_b128 v[127:130], v126 offset:688
	ds_read_b128 v[131:134], v126 offset:704
	v_cmp_lt_u32_e32 vcc, 22, v0
	s_waitcnt vmcnt(20) lgkmcnt(1)
	v_fma_f64 v[127:128], v[135:136], v[127:128], 0
	s_waitcnt vmcnt(18)
	v_fma_f64 v[127:128], v[137:138], v[129:130], v[127:128]
	buffer_load_dword v136, off, s[0:3], 0 offset:284
	buffer_load_dword v137, off, s[0:3], 0 offset:304
	;; [unrolled: 1-line block ×7, first 2 shown]
	s_waitcnt vmcnt(23) lgkmcnt(0)
	v_fma_f64 v[127:128], v[139:140], v[131:132], v[127:128]
	s_waitcnt vmcnt(21)
	v_fma_f64 v[138:139], v[141:142], v[133:134], v[127:128]
	ds_read_b128 v[127:130], v126 offset:720
	ds_read_b128 v[131:134], v126 offset:736
	s_waitcnt vmcnt(19) lgkmcnt(1)
	v_fma_f64 v[127:128], v[143:144], v[127:128], v[138:139]
	buffer_load_dword v138, off, s[0:3], 0 offset:308
	s_waitcnt vmcnt(18)
	v_fma_f64 v[127:128], v[145:146], v[129:130], v[127:128]
	buffer_load_dword v140, off, s[0:3], 0 offset:316
	buffer_load_dword v141, off, s[0:3], 0 offset:336
	;; [unrolled: 1-line block ×8, first 2 shown]
	s_waitcnt vmcnt(24) lgkmcnt(0)
	v_fma_f64 v[127:128], v[147:148], v[131:132], v[127:128]
	s_waitcnt vmcnt(19)
	v_fma_f64 v[147:148], v[149:150], v[133:134], v[127:128]
	ds_read_b128 v[127:130], v126 offset:752
	ds_read_b128 v[131:134], v126 offset:768
	s_waitcnt vmcnt(18) lgkmcnt(1)
	v_fma_f64 v[127:128], v[155:156], v[127:128], v[147:148]
	s_waitcnt vmcnt(17)
	v_fma_f64 v[127:128], v[153:154], v[129:130], v[127:128]
	buffer_load_dword v148, off, s[0:3], 0 offset:348
	buffer_load_dword v149, off, s[0:3], 0 offset:368
	buffer_load_dword v153, off, s[0:3], 0 offset:360
	buffer_load_dword v155, off, s[0:3], 0 offset:352
	buffer_load_dword v147, off, s[0:3], 0 offset:344
	buffer_load_dword v156, off, s[0:3], 0 offset:356
	buffer_load_dword v154, off, s[0:3], 0 offset:364
	buffer_load_dword v150, off, s[0:3], 0 offset:372
	s_waitcnt vmcnt(24) lgkmcnt(0)
	v_fma_f64 v[127:128], v[151:152], v[131:132], v[127:128]
	s_waitcnt vmcnt(19)
	v_fma_f64 v[135:136], v[135:136], v[133:134], v[127:128]
	ds_read_b128 v[127:130], v126 offset:784
	ds_read_b128 v[131:134], v126 offset:800
	s_waitcnt vmcnt(18) lgkmcnt(1)
	v_fma_f64 v[127:128], v[159:160], v[127:128], v[135:136]
	s_waitcnt vmcnt(17)
	v_fma_f64 v[127:128], v[157:158], v[129:130], v[127:128]
	buffer_load_dword v136, off, s[0:3], 0 offset:380
	buffer_load_dword v151, off, s[0:3], 0 offset:400
	;; [unrolled: 1-line block ×7, first 2 shown]
	s_waitcnt vmcnt(23) lgkmcnt(0)
	v_fma_f64 v[127:128], v[137:138], v[131:132], v[127:128]
	s_waitcnt vmcnt(18)
	v_fma_f64 v[137:138], v[139:140], v[133:134], v[127:128]
	ds_read_b128 v[127:130], v126 offset:816
	ds_read_b128 v[131:134], v126 offset:832
	buffer_load_dword v152, off, s[0:3], 0 offset:404
	s_waitcnt vmcnt(18) lgkmcnt(1)
	v_fma_f64 v[127:128], v[145:146], v[127:128], v[137:138]
	s_waitcnt vmcnt(17)
	v_fma_f64 v[127:128], v[143:144], v[129:130], v[127:128]
	buffer_load_dword v138, off, s[0:3], 0 offset:412
	buffer_load_dword v139, off, s[0:3], 0 offset:432
	;; [unrolled: 1-line block ×7, first 2 shown]
	s_waitcnt vmcnt(23) lgkmcnt(0)
	v_fma_f64 v[127:128], v[141:142], v[131:132], v[127:128]
	s_waitcnt vmcnt(18)
	v_fma_f64 v[140:141], v[147:148], v[133:134], v[127:128]
	ds_read_b128 v[127:130], v126 offset:848
	ds_read_b128 v[131:134], v126 offset:864
	s_waitcnt vmcnt(17) lgkmcnt(1)
	v_fma_f64 v[127:128], v[155:156], v[127:128], v[140:141]
	buffer_load_dword v140, off, s[0:3], 0 offset:436
	s_waitcnt vmcnt(17)
	v_fma_f64 v[127:128], v[153:154], v[129:130], v[127:128]
	buffer_load_dword v142, off, s[0:3], 0 offset:444
	buffer_load_dword v147, off, s[0:3], 0 offset:464
	;; [unrolled: 1-line block ×8, first 2 shown]
	s_waitcnt vmcnt(24) lgkmcnt(0)
	v_fma_f64 v[127:128], v[149:150], v[131:132], v[127:128]
	s_waitcnt vmcnt(19)
	v_fma_f64 v[135:136], v[135:136], v[133:134], v[127:128]
	ds_read_b128 v[127:130], v126 offset:880
	ds_read_b128 v[131:134], v126 offset:896
	s_waitcnt vmcnt(18) lgkmcnt(1)
	v_fma_f64 v[127:128], v[159:160], v[127:128], v[135:136]
	s_waitcnt vmcnt(17)
	v_fma_f64 v[127:128], v[157:158], v[129:130], v[127:128]
	buffer_load_dword v136, off, s[0:3], 0 offset:476
	buffer_load_dword v149, off, s[0:3], 0 offset:488
	;; [unrolled: 1-line block ×6, first 2 shown]
	s_waitcnt vmcnt(22) lgkmcnt(0)
	v_fma_f64 v[127:128], v[151:152], v[131:132], v[127:128]
	s_waitcnt vmcnt(17)
	v_fma_f64 v[137:138], v[137:138], v[133:134], v[127:128]
	ds_read_b128 v[127:130], v126 offset:912
	buffer_load_dword v151, off, s[0:3], 0 offset:184
	buffer_load_dword v152, off, s[0:3], 0 offset:188
	ds_read_b128 v[131:134], v126 offset:928
	s_waitcnt vmcnt(18) lgkmcnt(1)
	v_fma_f64 v[127:128], v[145:146], v[127:128], v[137:138]
	s_waitcnt vmcnt(17)
	v_fma_f64 v[127:128], v[143:144], v[129:130], v[127:128]
	s_waitcnt vmcnt(16) lgkmcnt(0)
	v_fma_f64 v[127:128], v[139:140], v[131:132], v[127:128]
	s_waitcnt vmcnt(11)
	v_fma_f64 v[137:138], v[141:142], v[133:134], v[127:128]
	ds_read_b128 v[127:130], v126 offset:944
	ds_read_b128 v[131:134], v126 offset:960
	s_waitcnt vmcnt(10) lgkmcnt(1)
	v_fma_f64 v[127:128], v[155:156], v[127:128], v[137:138]
	s_waitcnt vmcnt(9)
	v_fma_f64 v[127:128], v[153:154], v[129:130], v[127:128]
	s_waitcnt vmcnt(8) lgkmcnt(0)
	v_fma_f64 v[127:128], v[147:148], v[131:132], v[127:128]
	s_waitcnt vmcnt(4)
	v_fma_f64 v[130:131], v[135:136], v[133:134], v[127:128]
	ds_read_b128 v[126:129], v126 offset:976
	s_waitcnt vmcnt(3) lgkmcnt(0)
	v_fma_f64 v[126:127], v[157:158], v[126:127], v[130:131]
	s_waitcnt vmcnt(2)
	v_fma_f64 v[126:127], v[149:150], v[128:129], v[126:127]
	s_waitcnt vmcnt(0)
	v_add_f64 v[126:127], v[151:152], -v[126:127]
	buffer_store_dword v127, off, s[0:3], 0 offset:188
	buffer_store_dword v126, off, s[0:3], 0 offset:184
	s_and_saveexec_b64 s[4:5], vcc
	s_cbranch_execz .LBB61_335
; %bb.334:
	buffer_load_dword v126, off, s[0:3], 0 offset:176
	buffer_load_dword v127, off, s[0:3], 0 offset:180
	v_mov_b32_e32 v128, 0
	buffer_store_dword v128, off, s[0:3], 0 offset:176
	buffer_store_dword v128, off, s[0:3], 0 offset:180
	s_waitcnt vmcnt(2)
	ds_write_b64 v125, v[126:127]
.LBB61_335:
	s_or_b64 exec, exec, s[4:5]
	s_waitcnt lgkmcnt(0)
	; wave barrier
	buffer_load_dword v135, off, s[0:3], 0 offset:184
	buffer_load_dword v136, off, s[0:3], 0 offset:188
	;; [unrolled: 1-line block ×22, first 2 shown]
	v_mov_b32_e32 v126, 0
	ds_read2_b64 v[127:130], v126 offset0:85 offset1:86
	ds_read2_b64 v[131:134], v126 offset0:87 offset1:88
	v_cmp_lt_u32_e32 vcc, 21, v0
	s_waitcnt vmcnt(20) lgkmcnt(1)
	v_fma_f64 v[127:128], v[135:136], v[127:128], 0
	s_waitcnt vmcnt(18)
	v_fma_f64 v[127:128], v[137:138], v[129:130], v[127:128]
	buffer_load_dword v136, off, s[0:3], 0 offset:276
	buffer_load_dword v137, off, s[0:3], 0 offset:296
	;; [unrolled: 1-line block ×7, first 2 shown]
	s_waitcnt vmcnt(23) lgkmcnt(0)
	v_fma_f64 v[127:128], v[139:140], v[131:132], v[127:128]
	s_waitcnt vmcnt(21)
	v_fma_f64 v[138:139], v[141:142], v[133:134], v[127:128]
	ds_read2_b64 v[127:130], v126 offset0:89 offset1:90
	ds_read2_b64 v[131:134], v126 offset0:91 offset1:92
	s_waitcnt vmcnt(19) lgkmcnt(1)
	v_fma_f64 v[127:128], v[143:144], v[127:128], v[138:139]
	buffer_load_dword v138, off, s[0:3], 0 offset:300
	s_waitcnt vmcnt(18)
	v_fma_f64 v[127:128], v[145:146], v[129:130], v[127:128]
	buffer_load_dword v140, off, s[0:3], 0 offset:308
	buffer_load_dword v141, off, s[0:3], 0 offset:328
	buffer_load_dword v143, off, s[0:3], 0 offset:320
	buffer_load_dword v145, off, s[0:3], 0 offset:312
	buffer_load_dword v139, off, s[0:3], 0 offset:304
	buffer_load_dword v146, off, s[0:3], 0 offset:316
	buffer_load_dword v144, off, s[0:3], 0 offset:324
	buffer_load_dword v142, off, s[0:3], 0 offset:332
	s_waitcnt vmcnt(24) lgkmcnt(0)
	v_fma_f64 v[127:128], v[147:148], v[131:132], v[127:128]
	s_waitcnt vmcnt(19)
	v_fma_f64 v[147:148], v[149:150], v[133:134], v[127:128]
	ds_read2_b64 v[127:130], v126 offset0:93 offset1:94
	ds_read2_b64 v[131:134], v126 offset0:95 offset1:96
	s_waitcnt vmcnt(18) lgkmcnt(1)
	v_fma_f64 v[127:128], v[155:156], v[127:128], v[147:148]
	s_waitcnt vmcnt(17)
	v_fma_f64 v[127:128], v[153:154], v[129:130], v[127:128]
	buffer_load_dword v148, off, s[0:3], 0 offset:340
	buffer_load_dword v149, off, s[0:3], 0 offset:360
	;; [unrolled: 1-line block ×8, first 2 shown]
	s_waitcnt vmcnt(24) lgkmcnt(0)
	v_fma_f64 v[127:128], v[151:152], v[131:132], v[127:128]
	s_waitcnt vmcnt(19)
	v_fma_f64 v[135:136], v[135:136], v[133:134], v[127:128]
	ds_read2_b64 v[127:130], v126 offset0:97 offset1:98
	ds_read2_b64 v[131:134], v126 offset0:99 offset1:100
	s_waitcnt vmcnt(18) lgkmcnt(1)
	v_fma_f64 v[127:128], v[159:160], v[127:128], v[135:136]
	s_waitcnt vmcnt(17)
	v_fma_f64 v[127:128], v[157:158], v[129:130], v[127:128]
	buffer_load_dword v136, off, s[0:3], 0 offset:372
	buffer_load_dword v151, off, s[0:3], 0 offset:392
	;; [unrolled: 1-line block ×7, first 2 shown]
	s_waitcnt vmcnt(23) lgkmcnt(0)
	v_fma_f64 v[127:128], v[137:138], v[131:132], v[127:128]
	s_waitcnt vmcnt(18)
	v_fma_f64 v[137:138], v[139:140], v[133:134], v[127:128]
	ds_read2_b64 v[127:130], v126 offset0:101 offset1:102
	ds_read2_b64 v[131:134], v126 offset0:103 offset1:104
	buffer_load_dword v152, off, s[0:3], 0 offset:396
	s_waitcnt vmcnt(18) lgkmcnt(1)
	v_fma_f64 v[127:128], v[145:146], v[127:128], v[137:138]
	s_waitcnt vmcnt(17)
	v_fma_f64 v[127:128], v[143:144], v[129:130], v[127:128]
	buffer_load_dword v138, off, s[0:3], 0 offset:404
	buffer_load_dword v139, off, s[0:3], 0 offset:424
	;; [unrolled: 1-line block ×7, first 2 shown]
	s_waitcnt vmcnt(23) lgkmcnt(0)
	v_fma_f64 v[127:128], v[141:142], v[131:132], v[127:128]
	s_waitcnt vmcnt(18)
	v_fma_f64 v[140:141], v[147:148], v[133:134], v[127:128]
	ds_read2_b64 v[127:130], v126 offset0:105 offset1:106
	ds_read2_b64 v[131:134], v126 offset0:107 offset1:108
	s_waitcnt vmcnt(17) lgkmcnt(1)
	v_fma_f64 v[127:128], v[155:156], v[127:128], v[140:141]
	buffer_load_dword v140, off, s[0:3], 0 offset:428
	s_waitcnt vmcnt(17)
	v_fma_f64 v[127:128], v[153:154], v[129:130], v[127:128]
	buffer_load_dword v142, off, s[0:3], 0 offset:436
	buffer_load_dword v147, off, s[0:3], 0 offset:456
	;; [unrolled: 1-line block ×8, first 2 shown]
	s_waitcnt vmcnt(24) lgkmcnt(0)
	v_fma_f64 v[127:128], v[149:150], v[131:132], v[127:128]
	s_waitcnt vmcnt(19)
	v_fma_f64 v[135:136], v[135:136], v[133:134], v[127:128]
	ds_read2_b64 v[127:130], v126 offset0:109 offset1:110
	ds_read2_b64 v[131:134], v126 offset0:111 offset1:112
	s_waitcnt vmcnt(18) lgkmcnt(1)
	v_fma_f64 v[127:128], v[159:160], v[127:128], v[135:136]
	s_waitcnt vmcnt(17)
	v_fma_f64 v[127:128], v[157:158], v[129:130], v[127:128]
	buffer_load_dword v136, off, s[0:3], 0 offset:468
	buffer_load_dword v149, off, s[0:3], 0 offset:488
	buffer_load_dword v157, off, s[0:3], 0 offset:480
	buffer_load_dword v159, off, s[0:3], 0 offset:472
	buffer_load_dword v135, off, s[0:3], 0 offset:464
	buffer_load_dword v160, off, s[0:3], 0 offset:476
	buffer_load_dword v158, off, s[0:3], 0 offset:484
	buffer_load_dword v150, off, s[0:3], 0 offset:492
	s_waitcnt vmcnt(24) lgkmcnt(0)
	v_fma_f64 v[127:128], v[151:152], v[131:132], v[127:128]
	s_waitcnt vmcnt(19)
	v_fma_f64 v[137:138], v[137:138], v[133:134], v[127:128]
	ds_read2_b64 v[127:130], v126 offset0:113 offset1:114
	ds_read2_b64 v[131:134], v126 offset0:115 offset1:116
	s_waitcnt vmcnt(18) lgkmcnt(1)
	v_fma_f64 v[127:128], v[145:146], v[127:128], v[137:138]
	buffer_load_dword v137, off, s[0:3], 0 offset:176
	buffer_load_dword v138, off, s[0:3], 0 offset:180
	s_waitcnt vmcnt(19)
	v_fma_f64 v[127:128], v[143:144], v[129:130], v[127:128]
	s_waitcnt vmcnt(18) lgkmcnt(0)
	v_fma_f64 v[127:128], v[139:140], v[131:132], v[127:128]
	s_waitcnt vmcnt(13)
	v_fma_f64 v[139:140], v[141:142], v[133:134], v[127:128]
	ds_read2_b64 v[127:130], v126 offset0:117 offset1:118
	ds_read2_b64 v[131:134], v126 offset0:119 offset1:120
	s_waitcnt vmcnt(12) lgkmcnt(1)
	v_fma_f64 v[127:128], v[155:156], v[127:128], v[139:140]
	s_waitcnt vmcnt(11)
	v_fma_f64 v[127:128], v[153:154], v[129:130], v[127:128]
	s_waitcnt vmcnt(10) lgkmcnt(0)
	v_fma_f64 v[127:128], v[147:148], v[131:132], v[127:128]
	s_waitcnt vmcnt(5)
	v_fma_f64 v[131:132], v[135:136], v[133:134], v[127:128]
	ds_read2_b64 v[127:130], v126 offset0:121 offset1:122
	ds_read_b64 v[133:134], v126 offset:984
	s_waitcnt vmcnt(4) lgkmcnt(1)
	v_fma_f64 v[127:128], v[159:160], v[127:128], v[131:132]
	s_waitcnt vmcnt(3)
	v_fma_f64 v[127:128], v[157:158], v[129:130], v[127:128]
	s_waitcnt vmcnt(2) lgkmcnt(0)
	v_fma_f64 v[127:128], v[149:150], v[133:134], v[127:128]
	s_waitcnt vmcnt(0)
	v_add_f64 v[127:128], v[137:138], -v[127:128]
	buffer_store_dword v128, off, s[0:3], 0 offset:180
	buffer_store_dword v127, off, s[0:3], 0 offset:176
	s_and_saveexec_b64 s[4:5], vcc
	s_cbranch_execz .LBB61_337
; %bb.336:
	buffer_load_dword v127, off, s[0:3], 0 offset:168
	buffer_load_dword v128, off, s[0:3], 0 offset:172
	s_waitcnt vmcnt(0)
	ds_write_b64 v125, v[127:128]
	buffer_store_dword v126, off, s[0:3], 0 offset:168
	buffer_store_dword v126, off, s[0:3], 0 offset:172
.LBB61_337:
	s_or_b64 exec, exec, s[4:5]
	s_waitcnt lgkmcnt(0)
	; wave barrier
	buffer_load_dword v135, off, s[0:3], 0 offset:176
	buffer_load_dword v136, off, s[0:3], 0 offset:180
	buffer_load_dword v137, off, s[0:3], 0 offset:184
	buffer_load_dword v138, off, s[0:3], 0 offset:188
	buffer_load_dword v139, off, s[0:3], 0 offset:192
	buffer_load_dword v140, off, s[0:3], 0 offset:196
	buffer_load_dword v141, off, s[0:3], 0 offset:200
	buffer_load_dword v142, off, s[0:3], 0 offset:204
	buffer_load_dword v143, off, s[0:3], 0 offset:208
	buffer_load_dword v144, off, s[0:3], 0 offset:212
	buffer_load_dword v145, off, s[0:3], 0 offset:216
	buffer_load_dword v146, off, s[0:3], 0 offset:220
	buffer_load_dword v147, off, s[0:3], 0 offset:224
	buffer_load_dword v148, off, s[0:3], 0 offset:228
	buffer_load_dword v150, off, s[0:3], 0 offset:236
	buffer_load_dword v151, off, s[0:3], 0 offset:256
	buffer_load_dword v153, off, s[0:3], 0 offset:248
	buffer_load_dword v155, off, s[0:3], 0 offset:240
	buffer_load_dword v149, off, s[0:3], 0 offset:232
	buffer_load_dword v156, off, s[0:3], 0 offset:244
	buffer_load_dword v154, off, s[0:3], 0 offset:252
	buffer_load_dword v152, off, s[0:3], 0 offset:260
	ds_read_b128 v[127:130], v126 offset:672
	ds_read_b128 v[131:134], v126 offset:688
	v_cmp_lt_u32_e32 vcc, 20, v0
	s_waitcnt vmcnt(20) lgkmcnt(1)
	v_fma_f64 v[127:128], v[135:136], v[127:128], 0
	s_waitcnt vmcnt(18)
	v_fma_f64 v[127:128], v[137:138], v[129:130], v[127:128]
	buffer_load_dword v136, off, s[0:3], 0 offset:268
	buffer_load_dword v137, off, s[0:3], 0 offset:288
	;; [unrolled: 1-line block ×7, first 2 shown]
	s_waitcnt vmcnt(23) lgkmcnt(0)
	v_fma_f64 v[127:128], v[139:140], v[131:132], v[127:128]
	s_waitcnt vmcnt(21)
	v_fma_f64 v[138:139], v[141:142], v[133:134], v[127:128]
	ds_read_b128 v[127:130], v126 offset:704
	ds_read_b128 v[131:134], v126 offset:720
	s_waitcnt vmcnt(19) lgkmcnt(1)
	v_fma_f64 v[127:128], v[143:144], v[127:128], v[138:139]
	buffer_load_dword v138, off, s[0:3], 0 offset:292
	s_waitcnt vmcnt(18)
	v_fma_f64 v[127:128], v[145:146], v[129:130], v[127:128]
	buffer_load_dword v140, off, s[0:3], 0 offset:300
	buffer_load_dword v141, off, s[0:3], 0 offset:320
	;; [unrolled: 1-line block ×8, first 2 shown]
	s_waitcnt vmcnt(24) lgkmcnt(0)
	v_fma_f64 v[127:128], v[147:148], v[131:132], v[127:128]
	s_waitcnt vmcnt(19)
	v_fma_f64 v[147:148], v[149:150], v[133:134], v[127:128]
	ds_read_b128 v[127:130], v126 offset:736
	ds_read_b128 v[131:134], v126 offset:752
	s_waitcnt vmcnt(18) lgkmcnt(1)
	v_fma_f64 v[127:128], v[155:156], v[127:128], v[147:148]
	s_waitcnt vmcnt(17)
	v_fma_f64 v[127:128], v[153:154], v[129:130], v[127:128]
	buffer_load_dword v148, off, s[0:3], 0 offset:332
	buffer_load_dword v149, off, s[0:3], 0 offset:352
	;; [unrolled: 1-line block ×8, first 2 shown]
	s_waitcnt vmcnt(24) lgkmcnt(0)
	v_fma_f64 v[127:128], v[151:152], v[131:132], v[127:128]
	s_waitcnt vmcnt(19)
	v_fma_f64 v[135:136], v[135:136], v[133:134], v[127:128]
	ds_read_b128 v[127:130], v126 offset:768
	ds_read_b128 v[131:134], v126 offset:784
	s_waitcnt vmcnt(18) lgkmcnt(1)
	v_fma_f64 v[127:128], v[159:160], v[127:128], v[135:136]
	s_waitcnt vmcnt(17)
	v_fma_f64 v[127:128], v[157:158], v[129:130], v[127:128]
	buffer_load_dword v136, off, s[0:3], 0 offset:364
	buffer_load_dword v151, off, s[0:3], 0 offset:384
	;; [unrolled: 1-line block ×7, first 2 shown]
	s_waitcnt vmcnt(23) lgkmcnt(0)
	v_fma_f64 v[127:128], v[137:138], v[131:132], v[127:128]
	s_waitcnt vmcnt(18)
	v_fma_f64 v[137:138], v[139:140], v[133:134], v[127:128]
	ds_read_b128 v[127:130], v126 offset:800
	ds_read_b128 v[131:134], v126 offset:816
	buffer_load_dword v152, off, s[0:3], 0 offset:388
	s_waitcnt vmcnt(18) lgkmcnt(1)
	v_fma_f64 v[127:128], v[145:146], v[127:128], v[137:138]
	s_waitcnt vmcnt(17)
	v_fma_f64 v[127:128], v[143:144], v[129:130], v[127:128]
	buffer_load_dword v138, off, s[0:3], 0 offset:396
	buffer_load_dword v139, off, s[0:3], 0 offset:416
	;; [unrolled: 1-line block ×7, first 2 shown]
	s_waitcnt vmcnt(23) lgkmcnt(0)
	v_fma_f64 v[127:128], v[141:142], v[131:132], v[127:128]
	s_waitcnt vmcnt(18)
	v_fma_f64 v[140:141], v[147:148], v[133:134], v[127:128]
	ds_read_b128 v[127:130], v126 offset:832
	ds_read_b128 v[131:134], v126 offset:848
	s_waitcnt vmcnt(17) lgkmcnt(1)
	v_fma_f64 v[127:128], v[155:156], v[127:128], v[140:141]
	buffer_load_dword v140, off, s[0:3], 0 offset:420
	s_waitcnt vmcnt(17)
	v_fma_f64 v[127:128], v[153:154], v[129:130], v[127:128]
	buffer_load_dword v142, off, s[0:3], 0 offset:428
	buffer_load_dword v147, off, s[0:3], 0 offset:448
	;; [unrolled: 1-line block ×8, first 2 shown]
	s_waitcnt vmcnt(24) lgkmcnt(0)
	v_fma_f64 v[127:128], v[149:150], v[131:132], v[127:128]
	s_waitcnt vmcnt(19)
	v_fma_f64 v[135:136], v[135:136], v[133:134], v[127:128]
	ds_read_b128 v[127:130], v126 offset:864
	ds_read_b128 v[131:134], v126 offset:880
	s_waitcnt vmcnt(18) lgkmcnt(1)
	v_fma_f64 v[127:128], v[159:160], v[127:128], v[135:136]
	s_waitcnt vmcnt(17)
	v_fma_f64 v[127:128], v[157:158], v[129:130], v[127:128]
	buffer_load_dword v136, off, s[0:3], 0 offset:460
	buffer_load_dword v149, off, s[0:3], 0 offset:480
	;; [unrolled: 1-line block ×8, first 2 shown]
	s_waitcnt vmcnt(24) lgkmcnt(0)
	v_fma_f64 v[127:128], v[151:152], v[131:132], v[127:128]
	s_waitcnt vmcnt(19)
	v_fma_f64 v[137:138], v[137:138], v[133:134], v[127:128]
	ds_read_b128 v[127:130], v126 offset:896
	ds_read_b128 v[131:134], v126 offset:912
	s_waitcnt vmcnt(18) lgkmcnt(1)
	v_fma_f64 v[127:128], v[145:146], v[127:128], v[137:138]
	buffer_load_dword v138, off, s[0:3], 0 offset:492
	buffer_load_dword v137, off, s[0:3], 0 offset:488
	s_waitcnt vmcnt(19)
	v_fma_f64 v[127:128], v[143:144], v[129:130], v[127:128]
	buffer_load_dword v143, off, s[0:3], 0 offset:168
	buffer_load_dword v144, off, s[0:3], 0 offset:172
	s_waitcnt vmcnt(20) lgkmcnt(0)
	v_fma_f64 v[127:128], v[139:140], v[131:132], v[127:128]
	s_waitcnt vmcnt(15)
	v_fma_f64 v[139:140], v[141:142], v[133:134], v[127:128]
	ds_read_b128 v[127:130], v126 offset:928
	ds_read_b128 v[131:134], v126 offset:944
	s_waitcnt vmcnt(14) lgkmcnt(1)
	v_fma_f64 v[127:128], v[155:156], v[127:128], v[139:140]
	s_waitcnt vmcnt(13)
	v_fma_f64 v[127:128], v[153:154], v[129:130], v[127:128]
	s_waitcnt vmcnt(12) lgkmcnt(0)
	v_fma_f64 v[127:128], v[147:148], v[131:132], v[127:128]
	s_waitcnt vmcnt(7)
	v_fma_f64 v[135:136], v[135:136], v[133:134], v[127:128]
	ds_read_b128 v[127:130], v126 offset:960
	ds_read_b128 v[131:134], v126 offset:976
	s_waitcnt vmcnt(6) lgkmcnt(1)
	v_fma_f64 v[126:127], v[159:160], v[127:128], v[135:136]
	s_waitcnt vmcnt(5)
	v_fma_f64 v[126:127], v[157:158], v[129:130], v[126:127]
	s_waitcnt vmcnt(4) lgkmcnt(0)
	v_fma_f64 v[126:127], v[149:150], v[131:132], v[126:127]
	s_waitcnt vmcnt(2)
	v_fma_f64 v[126:127], v[137:138], v[133:134], v[126:127]
	s_waitcnt vmcnt(0)
	v_add_f64 v[126:127], v[143:144], -v[126:127]
	buffer_store_dword v127, off, s[0:3], 0 offset:172
	buffer_store_dword v126, off, s[0:3], 0 offset:168
	s_and_saveexec_b64 s[4:5], vcc
	s_cbranch_execz .LBB61_339
; %bb.338:
	buffer_load_dword v126, off, s[0:3], 0 offset:160
	buffer_load_dword v127, off, s[0:3], 0 offset:164
	v_mov_b32_e32 v128, 0
	buffer_store_dword v128, off, s[0:3], 0 offset:160
	buffer_store_dword v128, off, s[0:3], 0 offset:164
	s_waitcnt vmcnt(2)
	ds_write_b64 v125, v[126:127]
.LBB61_339:
	s_or_b64 exec, exec, s[4:5]
	s_waitcnt lgkmcnt(0)
	; wave barrier
	buffer_load_dword v135, off, s[0:3], 0 offset:168
	buffer_load_dword v136, off, s[0:3], 0 offset:172
	buffer_load_dword v137, off, s[0:3], 0 offset:176
	buffer_load_dword v138, off, s[0:3], 0 offset:180
	buffer_load_dword v139, off, s[0:3], 0 offset:184
	buffer_load_dword v140, off, s[0:3], 0 offset:188
	buffer_load_dword v141, off, s[0:3], 0 offset:192
	buffer_load_dword v142, off, s[0:3], 0 offset:196
	buffer_load_dword v143, off, s[0:3], 0 offset:200
	buffer_load_dword v144, off, s[0:3], 0 offset:204
	buffer_load_dword v145, off, s[0:3], 0 offset:208
	buffer_load_dword v146, off, s[0:3], 0 offset:212
	buffer_load_dword v147, off, s[0:3], 0 offset:216
	buffer_load_dword v148, off, s[0:3], 0 offset:220
	buffer_load_dword v150, off, s[0:3], 0 offset:228
	buffer_load_dword v151, off, s[0:3], 0 offset:248
	buffer_load_dword v153, off, s[0:3], 0 offset:240
	buffer_load_dword v155, off, s[0:3], 0 offset:232
	buffer_load_dword v149, off, s[0:3], 0 offset:224
	buffer_load_dword v156, off, s[0:3], 0 offset:236
	buffer_load_dword v154, off, s[0:3], 0 offset:244
	buffer_load_dword v152, off, s[0:3], 0 offset:252
	v_mov_b32_e32 v126, 0
	ds_read2_b64 v[127:130], v126 offset0:83 offset1:84
	ds_read2_b64 v[131:134], v126 offset0:85 offset1:86
	v_cmp_lt_u32_e32 vcc, 19, v0
	s_waitcnt vmcnt(20) lgkmcnt(1)
	v_fma_f64 v[127:128], v[135:136], v[127:128], 0
	s_waitcnt vmcnt(18)
	v_fma_f64 v[127:128], v[137:138], v[129:130], v[127:128]
	buffer_load_dword v136, off, s[0:3], 0 offset:260
	buffer_load_dword v137, off, s[0:3], 0 offset:280
	;; [unrolled: 1-line block ×7, first 2 shown]
	s_waitcnt vmcnt(23) lgkmcnt(0)
	v_fma_f64 v[127:128], v[139:140], v[131:132], v[127:128]
	s_waitcnt vmcnt(21)
	v_fma_f64 v[138:139], v[141:142], v[133:134], v[127:128]
	ds_read2_b64 v[127:130], v126 offset0:87 offset1:88
	ds_read2_b64 v[131:134], v126 offset0:89 offset1:90
	s_waitcnt vmcnt(19) lgkmcnt(1)
	v_fma_f64 v[127:128], v[143:144], v[127:128], v[138:139]
	buffer_load_dword v138, off, s[0:3], 0 offset:284
	s_waitcnt vmcnt(18)
	v_fma_f64 v[127:128], v[145:146], v[129:130], v[127:128]
	buffer_load_dword v140, off, s[0:3], 0 offset:292
	buffer_load_dword v141, off, s[0:3], 0 offset:312
	;; [unrolled: 1-line block ×7, first 2 shown]
	s_waitcnt vmcnt(23) lgkmcnt(0)
	v_fma_f64 v[127:128], v[147:148], v[131:132], v[127:128]
	s_waitcnt vmcnt(18)
	v_fma_f64 v[147:148], v[149:150], v[133:134], v[127:128]
	ds_read2_b64 v[127:130], v126 offset0:91 offset1:92
	ds_read2_b64 v[131:134], v126 offset0:93 offset1:94
	buffer_load_dword v142, off, s[0:3], 0 offset:316
	s_waitcnt vmcnt(18) lgkmcnt(1)
	v_fma_f64 v[127:128], v[155:156], v[127:128], v[147:148]
	s_waitcnt vmcnt(17)
	v_fma_f64 v[127:128], v[153:154], v[129:130], v[127:128]
	buffer_load_dword v148, off, s[0:3], 0 offset:324
	buffer_load_dword v149, off, s[0:3], 0 offset:344
	;; [unrolled: 1-line block ×8, first 2 shown]
	s_waitcnt vmcnt(24) lgkmcnt(0)
	v_fma_f64 v[127:128], v[151:152], v[131:132], v[127:128]
	s_waitcnt vmcnt(19)
	v_fma_f64 v[135:136], v[135:136], v[133:134], v[127:128]
	ds_read2_b64 v[127:130], v126 offset0:95 offset1:96
	ds_read2_b64 v[131:134], v126 offset0:97 offset1:98
	s_waitcnt vmcnt(18) lgkmcnt(1)
	v_fma_f64 v[127:128], v[159:160], v[127:128], v[135:136]
	s_waitcnt vmcnt(17)
	v_fma_f64 v[127:128], v[157:158], v[129:130], v[127:128]
	buffer_load_dword v136, off, s[0:3], 0 offset:356
	buffer_load_dword v151, off, s[0:3], 0 offset:376
	buffer_load_dword v157, off, s[0:3], 0 offset:368
	buffer_load_dword v159, off, s[0:3], 0 offset:360
	buffer_load_dword v135, off, s[0:3], 0 offset:352
	buffer_load_dword v160, off, s[0:3], 0 offset:364
	buffer_load_dword v158, off, s[0:3], 0 offset:372
	s_waitcnt vmcnt(23) lgkmcnt(0)
	v_fma_f64 v[127:128], v[137:138], v[131:132], v[127:128]
	s_waitcnt vmcnt(18)
	v_fma_f64 v[137:138], v[139:140], v[133:134], v[127:128]
	ds_read2_b64 v[127:130], v126 offset0:99 offset1:100
	ds_read2_b64 v[131:134], v126 offset0:101 offset1:102
	buffer_load_dword v152, off, s[0:3], 0 offset:380
	s_waitcnt vmcnt(18) lgkmcnt(1)
	v_fma_f64 v[127:128], v[145:146], v[127:128], v[137:138]
	s_waitcnt vmcnt(17)
	v_fma_f64 v[127:128], v[143:144], v[129:130], v[127:128]
	buffer_load_dword v138, off, s[0:3], 0 offset:388
	buffer_load_dword v139, off, s[0:3], 0 offset:408
	;; [unrolled: 1-line block ×7, first 2 shown]
	s_waitcnt vmcnt(23) lgkmcnt(0)
	v_fma_f64 v[127:128], v[141:142], v[131:132], v[127:128]
	s_waitcnt vmcnt(18)
	v_fma_f64 v[140:141], v[147:148], v[133:134], v[127:128]
	ds_read2_b64 v[127:130], v126 offset0:103 offset1:104
	ds_read2_b64 v[131:134], v126 offset0:105 offset1:106
	s_waitcnt vmcnt(17) lgkmcnt(1)
	v_fma_f64 v[127:128], v[155:156], v[127:128], v[140:141]
	buffer_load_dword v140, off, s[0:3], 0 offset:412
	s_waitcnt vmcnt(17)
	v_fma_f64 v[127:128], v[153:154], v[129:130], v[127:128]
	buffer_load_dword v142, off, s[0:3], 0 offset:420
	buffer_load_dword v147, off, s[0:3], 0 offset:440
	;; [unrolled: 1-line block ×8, first 2 shown]
	s_waitcnt vmcnt(24) lgkmcnt(0)
	v_fma_f64 v[127:128], v[149:150], v[131:132], v[127:128]
	s_waitcnt vmcnt(19)
	v_fma_f64 v[135:136], v[135:136], v[133:134], v[127:128]
	ds_read2_b64 v[127:130], v126 offset0:107 offset1:108
	ds_read2_b64 v[131:134], v126 offset0:109 offset1:110
	s_waitcnt vmcnt(18) lgkmcnt(1)
	v_fma_f64 v[127:128], v[159:160], v[127:128], v[135:136]
	s_waitcnt vmcnt(17)
	v_fma_f64 v[127:128], v[157:158], v[129:130], v[127:128]
	buffer_load_dword v136, off, s[0:3], 0 offset:452
	buffer_load_dword v149, off, s[0:3], 0 offset:472
	;; [unrolled: 1-line block ×7, first 2 shown]
	s_waitcnt vmcnt(23) lgkmcnt(0)
	v_fma_f64 v[127:128], v[151:152], v[131:132], v[127:128]
	s_waitcnt vmcnt(18)
	v_fma_f64 v[137:138], v[137:138], v[133:134], v[127:128]
	ds_read2_b64 v[127:130], v126 offset0:111 offset1:112
	ds_read2_b64 v[131:134], v126 offset0:113 offset1:114
	buffer_load_dword v150, off, s[0:3], 0 offset:476
	s_waitcnt vmcnt(18) lgkmcnt(1)
	v_fma_f64 v[127:128], v[145:146], v[127:128], v[137:138]
	s_waitcnt vmcnt(17)
	v_fma_f64 v[127:128], v[143:144], v[129:130], v[127:128]
	buffer_load_dword v138, off, s[0:3], 0 offset:484
	buffer_load_dword v143, off, s[0:3], 0 offset:488
	;; [unrolled: 1-line block ×4, first 2 shown]
	s_waitcnt vmcnt(20) lgkmcnt(0)
	v_fma_f64 v[127:128], v[139:140], v[131:132], v[127:128]
	buffer_load_dword v139, off, s[0:3], 0 offset:160
	buffer_load_dword v140, off, s[0:3], 0 offset:164
	s_waitcnt vmcnt(17)
	v_fma_f64 v[141:142], v[141:142], v[133:134], v[127:128]
	ds_read2_b64 v[127:130], v126 offset0:115 offset1:116
	ds_read2_b64 v[131:134], v126 offset0:117 offset1:118
	s_waitcnt vmcnt(16) lgkmcnt(1)
	v_fma_f64 v[127:128], v[155:156], v[127:128], v[141:142]
	s_waitcnt vmcnt(15)
	v_fma_f64 v[127:128], v[153:154], v[129:130], v[127:128]
	s_waitcnt vmcnt(14) lgkmcnt(0)
	v_fma_f64 v[127:128], v[147:148], v[131:132], v[127:128]
	s_waitcnt vmcnt(9)
	v_fma_f64 v[135:136], v[135:136], v[133:134], v[127:128]
	ds_read2_b64 v[127:130], v126 offset0:119 offset1:120
	ds_read2_b64 v[131:134], v126 offset0:121 offset1:122
	s_waitcnt vmcnt(8) lgkmcnt(1)
	v_fma_f64 v[127:128], v[159:160], v[127:128], v[135:136]
	s_waitcnt vmcnt(7)
	v_fma_f64 v[127:128], v[157:158], v[129:130], v[127:128]
	ds_read_b64 v[129:130], v126 offset:984
	s_waitcnt vmcnt(6) lgkmcnt(1)
	v_fma_f64 v[127:128], v[149:150], v[131:132], v[127:128]
	s_waitcnt vmcnt(3)
	v_fma_f64 v[127:128], v[137:138], v[133:134], v[127:128]
	s_waitcnt vmcnt(2) lgkmcnt(0)
	v_fma_f64 v[127:128], v[143:144], v[129:130], v[127:128]
	s_waitcnt vmcnt(0)
	v_add_f64 v[127:128], v[139:140], -v[127:128]
	buffer_store_dword v128, off, s[0:3], 0 offset:164
	buffer_store_dword v127, off, s[0:3], 0 offset:160
	s_and_saveexec_b64 s[4:5], vcc
	s_cbranch_execz .LBB61_341
; %bb.340:
	buffer_load_dword v127, off, s[0:3], 0 offset:152
	buffer_load_dword v128, off, s[0:3], 0 offset:156
	s_waitcnt vmcnt(0)
	ds_write_b64 v125, v[127:128]
	buffer_store_dword v126, off, s[0:3], 0 offset:152
	buffer_store_dword v126, off, s[0:3], 0 offset:156
.LBB61_341:
	s_or_b64 exec, exec, s[4:5]
	s_waitcnt lgkmcnt(0)
	; wave barrier
	buffer_load_dword v135, off, s[0:3], 0 offset:160
	buffer_load_dword v136, off, s[0:3], 0 offset:164
	buffer_load_dword v137, off, s[0:3], 0 offset:168
	buffer_load_dword v138, off, s[0:3], 0 offset:172
	buffer_load_dword v139, off, s[0:3], 0 offset:176
	buffer_load_dword v140, off, s[0:3], 0 offset:180
	buffer_load_dword v141, off, s[0:3], 0 offset:184
	buffer_load_dword v142, off, s[0:3], 0 offset:188
	buffer_load_dword v143, off, s[0:3], 0 offset:192
	buffer_load_dword v144, off, s[0:3], 0 offset:196
	buffer_load_dword v145, off, s[0:3], 0 offset:200
	buffer_load_dword v146, off, s[0:3], 0 offset:204
	buffer_load_dword v147, off, s[0:3], 0 offset:208
	buffer_load_dword v148, off, s[0:3], 0 offset:212
	buffer_load_dword v150, off, s[0:3], 0 offset:220
	buffer_load_dword v151, off, s[0:3], 0 offset:240
	buffer_load_dword v153, off, s[0:3], 0 offset:232
	buffer_load_dword v155, off, s[0:3], 0 offset:224
	buffer_load_dword v149, off, s[0:3], 0 offset:216
	buffer_load_dword v156, off, s[0:3], 0 offset:228
	buffer_load_dword v154, off, s[0:3], 0 offset:236
	buffer_load_dword v152, off, s[0:3], 0 offset:244
	ds_read_b128 v[127:130], v126 offset:656
	ds_read_b128 v[131:134], v126 offset:672
	v_cmp_lt_u32_e32 vcc, 18, v0
	s_waitcnt vmcnt(20) lgkmcnt(1)
	v_fma_f64 v[127:128], v[135:136], v[127:128], 0
	s_waitcnt vmcnt(18)
	v_fma_f64 v[127:128], v[137:138], v[129:130], v[127:128]
	buffer_load_dword v136, off, s[0:3], 0 offset:252
	buffer_load_dword v137, off, s[0:3], 0 offset:272
	;; [unrolled: 1-line block ×7, first 2 shown]
	s_waitcnt vmcnt(23) lgkmcnt(0)
	v_fma_f64 v[127:128], v[139:140], v[131:132], v[127:128]
	s_waitcnt vmcnt(21)
	v_fma_f64 v[138:139], v[141:142], v[133:134], v[127:128]
	ds_read_b128 v[127:130], v126 offset:688
	ds_read_b128 v[131:134], v126 offset:704
	s_waitcnt vmcnt(19) lgkmcnt(1)
	v_fma_f64 v[127:128], v[143:144], v[127:128], v[138:139]
	buffer_load_dword v138, off, s[0:3], 0 offset:276
	s_waitcnt vmcnt(18)
	v_fma_f64 v[127:128], v[145:146], v[129:130], v[127:128]
	buffer_load_dword v140, off, s[0:3], 0 offset:284
	buffer_load_dword v141, off, s[0:3], 0 offset:304
	;; [unrolled: 1-line block ×7, first 2 shown]
	s_waitcnt vmcnt(23) lgkmcnt(0)
	v_fma_f64 v[127:128], v[147:148], v[131:132], v[127:128]
	s_waitcnt vmcnt(18)
	v_fma_f64 v[147:148], v[149:150], v[133:134], v[127:128]
	ds_read_b128 v[127:130], v126 offset:720
	ds_read_b128 v[131:134], v126 offset:736
	buffer_load_dword v142, off, s[0:3], 0 offset:308
	s_waitcnt vmcnt(18) lgkmcnt(1)
	v_fma_f64 v[127:128], v[155:156], v[127:128], v[147:148]
	s_waitcnt vmcnt(17)
	v_fma_f64 v[127:128], v[153:154], v[129:130], v[127:128]
	buffer_load_dword v148, off, s[0:3], 0 offset:316
	buffer_load_dword v149, off, s[0:3], 0 offset:336
	;; [unrolled: 1-line block ×8, first 2 shown]
	s_waitcnt vmcnt(24) lgkmcnt(0)
	v_fma_f64 v[127:128], v[151:152], v[131:132], v[127:128]
	s_waitcnt vmcnt(19)
	v_fma_f64 v[135:136], v[135:136], v[133:134], v[127:128]
	ds_read_b128 v[127:130], v126 offset:752
	ds_read_b128 v[131:134], v126 offset:768
	s_waitcnt vmcnt(18) lgkmcnt(1)
	v_fma_f64 v[127:128], v[159:160], v[127:128], v[135:136]
	s_waitcnt vmcnt(17)
	v_fma_f64 v[127:128], v[157:158], v[129:130], v[127:128]
	buffer_load_dword v136, off, s[0:3], 0 offset:348
	buffer_load_dword v151, off, s[0:3], 0 offset:368
	buffer_load_dword v157, off, s[0:3], 0 offset:360
	buffer_load_dword v159, off, s[0:3], 0 offset:352
	buffer_load_dword v135, off, s[0:3], 0 offset:344
	buffer_load_dword v160, off, s[0:3], 0 offset:356
	buffer_load_dword v158, off, s[0:3], 0 offset:364
	buffer_load_dword v152, off, s[0:3], 0 offset:372
	s_waitcnt vmcnt(24) lgkmcnt(0)
	v_fma_f64 v[127:128], v[137:138], v[131:132], v[127:128]
	s_waitcnt vmcnt(19)
	v_fma_f64 v[137:138], v[139:140], v[133:134], v[127:128]
	ds_read_b128 v[127:130], v126 offset:784
	ds_read_b128 v[131:134], v126 offset:800
	s_waitcnt vmcnt(18) lgkmcnt(1)
	v_fma_f64 v[127:128], v[145:146], v[127:128], v[137:138]
	s_waitcnt vmcnt(17)
	v_fma_f64 v[127:128], v[143:144], v[129:130], v[127:128]
	buffer_load_dword v138, off, s[0:3], 0 offset:380
	buffer_load_dword v139, off, s[0:3], 0 offset:400
	;; [unrolled: 1-line block ×7, first 2 shown]
	s_waitcnt vmcnt(23) lgkmcnt(0)
	v_fma_f64 v[127:128], v[141:142], v[131:132], v[127:128]
	s_waitcnt vmcnt(18)
	v_fma_f64 v[140:141], v[147:148], v[133:134], v[127:128]
	ds_read_b128 v[127:130], v126 offset:816
	ds_read_b128 v[131:134], v126 offset:832
	s_waitcnt vmcnt(17) lgkmcnt(1)
	v_fma_f64 v[127:128], v[155:156], v[127:128], v[140:141]
	buffer_load_dword v140, off, s[0:3], 0 offset:404
	s_waitcnt vmcnt(17)
	v_fma_f64 v[127:128], v[153:154], v[129:130], v[127:128]
	buffer_load_dword v142, off, s[0:3], 0 offset:412
	buffer_load_dword v147, off, s[0:3], 0 offset:432
	;; [unrolled: 1-line block ×8, first 2 shown]
	s_waitcnt vmcnt(24) lgkmcnt(0)
	v_fma_f64 v[127:128], v[149:150], v[131:132], v[127:128]
	s_waitcnt vmcnt(19)
	v_fma_f64 v[135:136], v[135:136], v[133:134], v[127:128]
	ds_read_b128 v[127:130], v126 offset:848
	ds_read_b128 v[131:134], v126 offset:864
	s_waitcnt vmcnt(18) lgkmcnt(1)
	v_fma_f64 v[127:128], v[159:160], v[127:128], v[135:136]
	s_waitcnt vmcnt(17)
	v_fma_f64 v[127:128], v[157:158], v[129:130], v[127:128]
	buffer_load_dword v136, off, s[0:3], 0 offset:444
	buffer_load_dword v149, off, s[0:3], 0 offset:464
	;; [unrolled: 1-line block ×8, first 2 shown]
	s_waitcnt vmcnt(24) lgkmcnt(0)
	v_fma_f64 v[127:128], v[151:152], v[131:132], v[127:128]
	s_waitcnt vmcnt(19)
	v_fma_f64 v[137:138], v[137:138], v[133:134], v[127:128]
	ds_read_b128 v[127:130], v126 offset:880
	ds_read_b128 v[131:134], v126 offset:896
	s_waitcnt vmcnt(18) lgkmcnt(1)
	v_fma_f64 v[127:128], v[145:146], v[127:128], v[137:138]
	s_waitcnt vmcnt(17)
	v_fma_f64 v[127:128], v[143:144], v[129:130], v[127:128]
	buffer_load_dword v138, off, s[0:3], 0 offset:476
	buffer_load_dword v143, off, s[0:3], 0 offset:488
	;; [unrolled: 1-line block ×6, first 2 shown]
	s_waitcnt vmcnt(22) lgkmcnt(0)
	v_fma_f64 v[127:128], v[139:140], v[131:132], v[127:128]
	s_waitcnt vmcnt(17)
	v_fma_f64 v[139:140], v[141:142], v[133:134], v[127:128]
	ds_read_b128 v[127:130], v126 offset:912
	buffer_load_dword v141, off, s[0:3], 0 offset:152
	buffer_load_dword v142, off, s[0:3], 0 offset:156
	ds_read_b128 v[131:134], v126 offset:928
	s_waitcnt vmcnt(18) lgkmcnt(1)
	v_fma_f64 v[127:128], v[155:156], v[127:128], v[139:140]
	s_waitcnt vmcnt(17)
	v_fma_f64 v[127:128], v[153:154], v[129:130], v[127:128]
	s_waitcnt vmcnt(16) lgkmcnt(0)
	v_fma_f64 v[127:128], v[147:148], v[131:132], v[127:128]
	s_waitcnt vmcnt(11)
	v_fma_f64 v[135:136], v[135:136], v[133:134], v[127:128]
	ds_read_b128 v[127:130], v126 offset:944
	ds_read_b128 v[131:134], v126 offset:960
	s_waitcnt vmcnt(10) lgkmcnt(1)
	v_fma_f64 v[127:128], v[159:160], v[127:128], v[135:136]
	s_waitcnt vmcnt(9)
	v_fma_f64 v[127:128], v[157:158], v[129:130], v[127:128]
	s_waitcnt vmcnt(8) lgkmcnt(0)
	v_fma_f64 v[127:128], v[149:150], v[131:132], v[127:128]
	s_waitcnt vmcnt(4)
	v_fma_f64 v[130:131], v[137:138], v[133:134], v[127:128]
	ds_read_b128 v[126:129], v126 offset:976
	s_waitcnt vmcnt(3) lgkmcnt(0)
	v_fma_f64 v[126:127], v[145:146], v[126:127], v[130:131]
	s_waitcnt vmcnt(2)
	v_fma_f64 v[126:127], v[143:144], v[128:129], v[126:127]
	s_waitcnt vmcnt(0)
	v_add_f64 v[126:127], v[141:142], -v[126:127]
	buffer_store_dword v127, off, s[0:3], 0 offset:156
	buffer_store_dword v126, off, s[0:3], 0 offset:152
	s_and_saveexec_b64 s[4:5], vcc
	s_cbranch_execz .LBB61_343
; %bb.342:
	buffer_load_dword v126, off, s[0:3], 0 offset:144
	buffer_load_dword v127, off, s[0:3], 0 offset:148
	v_mov_b32_e32 v128, 0
	buffer_store_dword v128, off, s[0:3], 0 offset:144
	buffer_store_dword v128, off, s[0:3], 0 offset:148
	s_waitcnt vmcnt(2)
	ds_write_b64 v125, v[126:127]
.LBB61_343:
	s_or_b64 exec, exec, s[4:5]
	s_waitcnt lgkmcnt(0)
	; wave barrier
	buffer_load_dword v135, off, s[0:3], 0 offset:152
	buffer_load_dword v136, off, s[0:3], 0 offset:156
	;; [unrolled: 1-line block ×22, first 2 shown]
	v_mov_b32_e32 v126, 0
	ds_read2_b64 v[127:130], v126 offset0:81 offset1:82
	ds_read2_b64 v[131:134], v126 offset0:83 offset1:84
	v_cmp_lt_u32_e32 vcc, 17, v0
	s_waitcnt vmcnt(20) lgkmcnt(1)
	v_fma_f64 v[127:128], v[135:136], v[127:128], 0
	s_waitcnt vmcnt(18)
	v_fma_f64 v[127:128], v[137:138], v[129:130], v[127:128]
	buffer_load_dword v136, off, s[0:3], 0 offset:244
	buffer_load_dword v137, off, s[0:3], 0 offset:264
	;; [unrolled: 1-line block ×7, first 2 shown]
	s_waitcnt vmcnt(23) lgkmcnt(0)
	v_fma_f64 v[127:128], v[139:140], v[131:132], v[127:128]
	s_waitcnt vmcnt(21)
	v_fma_f64 v[138:139], v[141:142], v[133:134], v[127:128]
	ds_read2_b64 v[127:130], v126 offset0:85 offset1:86
	ds_read2_b64 v[131:134], v126 offset0:87 offset1:88
	s_waitcnt vmcnt(19) lgkmcnt(1)
	v_fma_f64 v[127:128], v[143:144], v[127:128], v[138:139]
	buffer_load_dword v138, off, s[0:3], 0 offset:268
	s_waitcnt vmcnt(18)
	v_fma_f64 v[127:128], v[145:146], v[129:130], v[127:128]
	buffer_load_dword v140, off, s[0:3], 0 offset:276
	buffer_load_dword v141, off, s[0:3], 0 offset:296
	;; [unrolled: 1-line block ×7, first 2 shown]
	s_waitcnt vmcnt(23) lgkmcnt(0)
	v_fma_f64 v[127:128], v[147:148], v[131:132], v[127:128]
	s_waitcnt vmcnt(18)
	v_fma_f64 v[147:148], v[149:150], v[133:134], v[127:128]
	ds_read2_b64 v[127:130], v126 offset0:89 offset1:90
	ds_read2_b64 v[131:134], v126 offset0:91 offset1:92
	buffer_load_dword v142, off, s[0:3], 0 offset:300
	s_waitcnt vmcnt(18) lgkmcnt(1)
	v_fma_f64 v[127:128], v[155:156], v[127:128], v[147:148]
	s_waitcnt vmcnt(17)
	v_fma_f64 v[127:128], v[153:154], v[129:130], v[127:128]
	buffer_load_dword v148, off, s[0:3], 0 offset:308
	buffer_load_dword v149, off, s[0:3], 0 offset:328
	;; [unrolled: 1-line block ×8, first 2 shown]
	s_waitcnt vmcnt(24) lgkmcnt(0)
	v_fma_f64 v[127:128], v[151:152], v[131:132], v[127:128]
	s_waitcnt vmcnt(19)
	v_fma_f64 v[135:136], v[135:136], v[133:134], v[127:128]
	ds_read2_b64 v[127:130], v126 offset0:93 offset1:94
	ds_read2_b64 v[131:134], v126 offset0:95 offset1:96
	s_waitcnt vmcnt(18) lgkmcnt(1)
	v_fma_f64 v[127:128], v[159:160], v[127:128], v[135:136]
	s_waitcnt vmcnt(17)
	v_fma_f64 v[127:128], v[157:158], v[129:130], v[127:128]
	buffer_load_dword v136, off, s[0:3], 0 offset:340
	buffer_load_dword v151, off, s[0:3], 0 offset:360
	;; [unrolled: 1-line block ×8, first 2 shown]
	s_waitcnt vmcnt(24) lgkmcnt(0)
	v_fma_f64 v[127:128], v[137:138], v[131:132], v[127:128]
	s_waitcnt vmcnt(19)
	v_fma_f64 v[137:138], v[139:140], v[133:134], v[127:128]
	ds_read2_b64 v[127:130], v126 offset0:97 offset1:98
	ds_read2_b64 v[131:134], v126 offset0:99 offset1:100
	s_waitcnt vmcnt(18) lgkmcnt(1)
	v_fma_f64 v[127:128], v[145:146], v[127:128], v[137:138]
	s_waitcnt vmcnt(17)
	v_fma_f64 v[127:128], v[143:144], v[129:130], v[127:128]
	buffer_load_dword v138, off, s[0:3], 0 offset:372
	buffer_load_dword v139, off, s[0:3], 0 offset:392
	;; [unrolled: 1-line block ×7, first 2 shown]
	s_waitcnt vmcnt(23) lgkmcnt(0)
	v_fma_f64 v[127:128], v[141:142], v[131:132], v[127:128]
	s_waitcnt vmcnt(18)
	v_fma_f64 v[140:141], v[147:148], v[133:134], v[127:128]
	ds_read2_b64 v[127:130], v126 offset0:101 offset1:102
	ds_read2_b64 v[131:134], v126 offset0:103 offset1:104
	s_waitcnt vmcnt(17) lgkmcnt(1)
	v_fma_f64 v[127:128], v[155:156], v[127:128], v[140:141]
	buffer_load_dword v140, off, s[0:3], 0 offset:396
	s_waitcnt vmcnt(17)
	v_fma_f64 v[127:128], v[153:154], v[129:130], v[127:128]
	buffer_load_dword v142, off, s[0:3], 0 offset:404
	buffer_load_dword v147, off, s[0:3], 0 offset:424
	buffer_load_dword v153, off, s[0:3], 0 offset:416
	buffer_load_dword v155, off, s[0:3], 0 offset:408
	buffer_load_dword v141, off, s[0:3], 0 offset:400
	buffer_load_dword v156, off, s[0:3], 0 offset:412
	buffer_load_dword v154, off, s[0:3], 0 offset:420
	buffer_load_dword v148, off, s[0:3], 0 offset:428
	s_waitcnt vmcnt(24) lgkmcnt(0)
	v_fma_f64 v[127:128], v[149:150], v[131:132], v[127:128]
	s_waitcnt vmcnt(19)
	v_fma_f64 v[135:136], v[135:136], v[133:134], v[127:128]
	ds_read2_b64 v[127:130], v126 offset0:105 offset1:106
	ds_read2_b64 v[131:134], v126 offset0:107 offset1:108
	s_waitcnt vmcnt(18) lgkmcnt(1)
	v_fma_f64 v[127:128], v[159:160], v[127:128], v[135:136]
	s_waitcnt vmcnt(17)
	v_fma_f64 v[127:128], v[157:158], v[129:130], v[127:128]
	buffer_load_dword v136, off, s[0:3], 0 offset:436
	buffer_load_dword v149, off, s[0:3], 0 offset:456
	buffer_load_dword v157, off, s[0:3], 0 offset:448
	buffer_load_dword v159, off, s[0:3], 0 offset:440
	buffer_load_dword v135, off, s[0:3], 0 offset:432
	buffer_load_dword v160, off, s[0:3], 0 offset:444
	buffer_load_dword v158, off, s[0:3], 0 offset:452
	buffer_load_dword v150, off, s[0:3], 0 offset:460
	s_waitcnt vmcnt(24) lgkmcnt(0)
	v_fma_f64 v[127:128], v[151:152], v[131:132], v[127:128]
	s_waitcnt vmcnt(19)
	v_fma_f64 v[137:138], v[137:138], v[133:134], v[127:128]
	ds_read2_b64 v[127:130], v126 offset0:109 offset1:110
	ds_read2_b64 v[131:134], v126 offset0:111 offset1:112
	s_waitcnt vmcnt(18) lgkmcnt(1)
	v_fma_f64 v[127:128], v[145:146], v[127:128], v[137:138]
	;; [unrolled: 18-line block ×3, first 2 shown]
	buffer_load_dword v139, off, s[0:3], 0 offset:144
	buffer_load_dword v140, off, s[0:3], 0 offset:148
	s_waitcnt vmcnt(19)
	v_fma_f64 v[127:128], v[153:154], v[129:130], v[127:128]
	s_waitcnt vmcnt(18) lgkmcnt(0)
	v_fma_f64 v[127:128], v[147:148], v[131:132], v[127:128]
	s_waitcnt vmcnt(13)
	v_fma_f64 v[135:136], v[135:136], v[133:134], v[127:128]
	ds_read2_b64 v[127:130], v126 offset0:117 offset1:118
	ds_read2_b64 v[131:134], v126 offset0:119 offset1:120
	s_waitcnt vmcnt(12) lgkmcnt(1)
	v_fma_f64 v[127:128], v[159:160], v[127:128], v[135:136]
	s_waitcnt vmcnt(11)
	v_fma_f64 v[127:128], v[157:158], v[129:130], v[127:128]
	s_waitcnt vmcnt(10) lgkmcnt(0)
	v_fma_f64 v[127:128], v[149:150], v[131:132], v[127:128]
	s_waitcnt vmcnt(5)
	v_fma_f64 v[131:132], v[137:138], v[133:134], v[127:128]
	ds_read2_b64 v[127:130], v126 offset0:121 offset1:122
	ds_read_b64 v[133:134], v126 offset:984
	s_waitcnt vmcnt(4) lgkmcnt(1)
	v_fma_f64 v[127:128], v[151:152], v[127:128], v[131:132]
	s_waitcnt vmcnt(3)
	v_fma_f64 v[127:128], v[145:146], v[129:130], v[127:128]
	s_waitcnt vmcnt(2) lgkmcnt(0)
	v_fma_f64 v[127:128], v[143:144], v[133:134], v[127:128]
	s_waitcnt vmcnt(0)
	v_add_f64 v[127:128], v[139:140], -v[127:128]
	buffer_store_dword v128, off, s[0:3], 0 offset:148
	buffer_store_dword v127, off, s[0:3], 0 offset:144
	s_and_saveexec_b64 s[4:5], vcc
	s_cbranch_execz .LBB61_345
; %bb.344:
	buffer_load_dword v127, off, s[0:3], 0 offset:136
	buffer_load_dword v128, off, s[0:3], 0 offset:140
	s_waitcnt vmcnt(0)
	ds_write_b64 v125, v[127:128]
	buffer_store_dword v126, off, s[0:3], 0 offset:136
	buffer_store_dword v126, off, s[0:3], 0 offset:140
.LBB61_345:
	s_or_b64 exec, exec, s[4:5]
	s_waitcnt lgkmcnt(0)
	; wave barrier
	buffer_load_dword v135, off, s[0:3], 0 offset:144
	buffer_load_dword v136, off, s[0:3], 0 offset:148
	;; [unrolled: 1-line block ×22, first 2 shown]
	ds_read_b128 v[127:130], v126 offset:640
	ds_read_b128 v[131:134], v126 offset:656
	v_cmp_lt_u32_e32 vcc, 16, v0
	s_waitcnt vmcnt(20) lgkmcnt(1)
	v_fma_f64 v[127:128], v[135:136], v[127:128], 0
	s_waitcnt vmcnt(18)
	v_fma_f64 v[127:128], v[137:138], v[129:130], v[127:128]
	buffer_load_dword v136, off, s[0:3], 0 offset:236
	buffer_load_dword v137, off, s[0:3], 0 offset:256
	;; [unrolled: 1-line block ×7, first 2 shown]
	s_waitcnt vmcnt(23) lgkmcnt(0)
	v_fma_f64 v[127:128], v[139:140], v[131:132], v[127:128]
	s_waitcnt vmcnt(21)
	v_fma_f64 v[138:139], v[141:142], v[133:134], v[127:128]
	ds_read_b128 v[127:130], v126 offset:672
	ds_read_b128 v[131:134], v126 offset:688
	s_waitcnt vmcnt(19) lgkmcnt(1)
	v_fma_f64 v[127:128], v[143:144], v[127:128], v[138:139]
	buffer_load_dword v138, off, s[0:3], 0 offset:260
	s_waitcnt vmcnt(18)
	v_fma_f64 v[127:128], v[145:146], v[129:130], v[127:128]
	buffer_load_dword v140, off, s[0:3], 0 offset:268
	buffer_load_dword v141, off, s[0:3], 0 offset:288
	;; [unrolled: 1-line block ×7, first 2 shown]
	s_waitcnt vmcnt(23) lgkmcnt(0)
	v_fma_f64 v[127:128], v[147:148], v[131:132], v[127:128]
	s_waitcnt vmcnt(18)
	v_fma_f64 v[147:148], v[149:150], v[133:134], v[127:128]
	ds_read_b128 v[127:130], v126 offset:704
	ds_read_b128 v[131:134], v126 offset:720
	buffer_load_dword v142, off, s[0:3], 0 offset:292
	s_waitcnt vmcnt(18) lgkmcnt(1)
	v_fma_f64 v[127:128], v[155:156], v[127:128], v[147:148]
	s_waitcnt vmcnt(17)
	v_fma_f64 v[127:128], v[153:154], v[129:130], v[127:128]
	buffer_load_dword v148, off, s[0:3], 0 offset:300
	buffer_load_dword v149, off, s[0:3], 0 offset:320
	;; [unrolled: 1-line block ×8, first 2 shown]
	s_waitcnt vmcnt(24) lgkmcnt(0)
	v_fma_f64 v[127:128], v[151:152], v[131:132], v[127:128]
	s_waitcnt vmcnt(19)
	v_fma_f64 v[135:136], v[135:136], v[133:134], v[127:128]
	ds_read_b128 v[127:130], v126 offset:736
	ds_read_b128 v[131:134], v126 offset:752
	s_waitcnt vmcnt(18) lgkmcnt(1)
	v_fma_f64 v[127:128], v[159:160], v[127:128], v[135:136]
	s_waitcnt vmcnt(17)
	v_fma_f64 v[127:128], v[157:158], v[129:130], v[127:128]
	buffer_load_dword v136, off, s[0:3], 0 offset:332
	buffer_load_dword v151, off, s[0:3], 0 offset:352
	;; [unrolled: 1-line block ×8, first 2 shown]
	s_waitcnt vmcnt(24) lgkmcnt(0)
	v_fma_f64 v[127:128], v[137:138], v[131:132], v[127:128]
	s_waitcnt vmcnt(19)
	v_fma_f64 v[137:138], v[139:140], v[133:134], v[127:128]
	ds_read_b128 v[127:130], v126 offset:768
	ds_read_b128 v[131:134], v126 offset:784
	s_waitcnt vmcnt(18) lgkmcnt(1)
	v_fma_f64 v[127:128], v[145:146], v[127:128], v[137:138]
	s_waitcnt vmcnt(17)
	v_fma_f64 v[127:128], v[143:144], v[129:130], v[127:128]
	buffer_load_dword v138, off, s[0:3], 0 offset:364
	buffer_load_dword v139, off, s[0:3], 0 offset:384
	;; [unrolled: 1-line block ×7, first 2 shown]
	s_waitcnt vmcnt(23) lgkmcnt(0)
	v_fma_f64 v[127:128], v[141:142], v[131:132], v[127:128]
	s_waitcnt vmcnt(18)
	v_fma_f64 v[140:141], v[147:148], v[133:134], v[127:128]
	ds_read_b128 v[127:130], v126 offset:800
	ds_read_b128 v[131:134], v126 offset:816
	s_waitcnt vmcnt(17) lgkmcnt(1)
	v_fma_f64 v[127:128], v[155:156], v[127:128], v[140:141]
	buffer_load_dword v140, off, s[0:3], 0 offset:388
	s_waitcnt vmcnt(17)
	v_fma_f64 v[127:128], v[153:154], v[129:130], v[127:128]
	buffer_load_dword v142, off, s[0:3], 0 offset:396
	buffer_load_dword v147, off, s[0:3], 0 offset:416
	buffer_load_dword v153, off, s[0:3], 0 offset:408
	buffer_load_dword v155, off, s[0:3], 0 offset:400
	buffer_load_dword v141, off, s[0:3], 0 offset:392
	buffer_load_dword v156, off, s[0:3], 0 offset:404
	buffer_load_dword v154, off, s[0:3], 0 offset:412
	buffer_load_dword v148, off, s[0:3], 0 offset:420
	s_waitcnt vmcnt(24) lgkmcnt(0)
	v_fma_f64 v[127:128], v[149:150], v[131:132], v[127:128]
	s_waitcnt vmcnt(19)
	v_fma_f64 v[135:136], v[135:136], v[133:134], v[127:128]
	ds_read_b128 v[127:130], v126 offset:832
	ds_read_b128 v[131:134], v126 offset:848
	s_waitcnt vmcnt(18) lgkmcnt(1)
	v_fma_f64 v[127:128], v[159:160], v[127:128], v[135:136]
	s_waitcnt vmcnt(17)
	v_fma_f64 v[127:128], v[157:158], v[129:130], v[127:128]
	buffer_load_dword v136, off, s[0:3], 0 offset:428
	buffer_load_dword v149, off, s[0:3], 0 offset:448
	buffer_load_dword v157, off, s[0:3], 0 offset:440
	buffer_load_dword v159, off, s[0:3], 0 offset:432
	buffer_load_dword v135, off, s[0:3], 0 offset:424
	buffer_load_dword v160, off, s[0:3], 0 offset:436
	buffer_load_dword v158, off, s[0:3], 0 offset:444
	buffer_load_dword v150, off, s[0:3], 0 offset:452
	s_waitcnt vmcnt(24) lgkmcnt(0)
	v_fma_f64 v[127:128], v[151:152], v[131:132], v[127:128]
	s_waitcnt vmcnt(19)
	v_fma_f64 v[137:138], v[137:138], v[133:134], v[127:128]
	ds_read_b128 v[127:130], v126 offset:864
	ds_read_b128 v[131:134], v126 offset:880
	s_waitcnt vmcnt(18) lgkmcnt(1)
	v_fma_f64 v[127:128], v[145:146], v[127:128], v[137:138]
	;; [unrolled: 18-line block ×3, first 2 shown]
	buffer_load_dword v140, off, s[0:3], 0 offset:492
	buffer_load_dword v139, off, s[0:3], 0 offset:488
	;; [unrolled: 1-line block ×4, first 2 shown]
	s_waitcnt vmcnt(21)
	v_fma_f64 v[127:128], v[153:154], v[129:130], v[127:128]
	s_waitcnt vmcnt(20) lgkmcnt(0)
	v_fma_f64 v[127:128], v[147:148], v[131:132], v[127:128]
	s_waitcnt vmcnt(15)
	v_fma_f64 v[135:136], v[135:136], v[133:134], v[127:128]
	ds_read_b128 v[127:130], v126 offset:928
	ds_read_b128 v[131:134], v126 offset:944
	s_waitcnt vmcnt(14) lgkmcnt(1)
	v_fma_f64 v[127:128], v[159:160], v[127:128], v[135:136]
	s_waitcnt vmcnt(13)
	v_fma_f64 v[127:128], v[157:158], v[129:130], v[127:128]
	s_waitcnt vmcnt(12) lgkmcnt(0)
	v_fma_f64 v[127:128], v[149:150], v[131:132], v[127:128]
	s_waitcnt vmcnt(7)
	v_fma_f64 v[135:136], v[137:138], v[133:134], v[127:128]
	ds_read_b128 v[127:130], v126 offset:960
	ds_read_b128 v[131:134], v126 offset:976
	s_waitcnt vmcnt(6) lgkmcnt(1)
	v_fma_f64 v[126:127], v[151:152], v[127:128], v[135:136]
	s_waitcnt vmcnt(5)
	v_fma_f64 v[126:127], v[145:146], v[129:130], v[126:127]
	s_waitcnt vmcnt(4) lgkmcnt(0)
	v_fma_f64 v[126:127], v[143:144], v[131:132], v[126:127]
	s_waitcnt vmcnt(2)
	v_fma_f64 v[126:127], v[139:140], v[133:134], v[126:127]
	s_waitcnt vmcnt(0)
	v_add_f64 v[126:127], v[141:142], -v[126:127]
	buffer_store_dword v127, off, s[0:3], 0 offset:140
	buffer_store_dword v126, off, s[0:3], 0 offset:136
	s_and_saveexec_b64 s[4:5], vcc
	s_cbranch_execz .LBB61_347
; %bb.346:
	buffer_load_dword v126, off, s[0:3], 0 offset:128
	buffer_load_dword v127, off, s[0:3], 0 offset:132
	v_mov_b32_e32 v128, 0
	buffer_store_dword v128, off, s[0:3], 0 offset:128
	buffer_store_dword v128, off, s[0:3], 0 offset:132
	s_waitcnt vmcnt(2)
	ds_write_b64 v125, v[126:127]
.LBB61_347:
	s_or_b64 exec, exec, s[4:5]
	s_waitcnt lgkmcnt(0)
	; wave barrier
	buffer_load_dword v135, off, s[0:3], 0 offset:136
	buffer_load_dword v136, off, s[0:3], 0 offset:140
	;; [unrolled: 1-line block ×21, first 2 shown]
	v_mov_b32_e32 v126, 0
	ds_read2_b64 v[127:130], v126 offset0:79 offset1:80
	ds_read2_b64 v[131:134], v126 offset0:81 offset1:82
	buffer_load_dword v152, off, s[0:3], 0 offset:220
	v_cmp_lt_u32_e32 vcc, 15, v0
	s_waitcnt vmcnt(20) lgkmcnt(1)
	v_fma_f64 v[127:128], v[135:136], v[127:128], 0
	s_waitcnt vmcnt(18)
	v_fma_f64 v[127:128], v[137:138], v[129:130], v[127:128]
	buffer_load_dword v136, off, s[0:3], 0 offset:228
	buffer_load_dword v137, off, s[0:3], 0 offset:248
	;; [unrolled: 1-line block ×7, first 2 shown]
	s_waitcnt vmcnt(23) lgkmcnt(0)
	v_fma_f64 v[127:128], v[139:140], v[131:132], v[127:128]
	s_waitcnt vmcnt(21)
	v_fma_f64 v[138:139], v[141:142], v[133:134], v[127:128]
	ds_read2_b64 v[127:130], v126 offset0:83 offset1:84
	ds_read2_b64 v[131:134], v126 offset0:85 offset1:86
	s_waitcnt vmcnt(19) lgkmcnt(1)
	v_fma_f64 v[127:128], v[143:144], v[127:128], v[138:139]
	buffer_load_dword v138, off, s[0:3], 0 offset:252
	s_waitcnt vmcnt(18)
	v_fma_f64 v[127:128], v[145:146], v[129:130], v[127:128]
	buffer_load_dword v140, off, s[0:3], 0 offset:260
	buffer_load_dword v141, off, s[0:3], 0 offset:280
	;; [unrolled: 1-line block ×7, first 2 shown]
	s_waitcnt vmcnt(23) lgkmcnt(0)
	v_fma_f64 v[127:128], v[147:148], v[131:132], v[127:128]
	s_waitcnt vmcnt(18)
	v_fma_f64 v[147:148], v[149:150], v[133:134], v[127:128]
	ds_read2_b64 v[127:130], v126 offset0:87 offset1:88
	ds_read2_b64 v[131:134], v126 offset0:89 offset1:90
	buffer_load_dword v142, off, s[0:3], 0 offset:284
	s_waitcnt vmcnt(18) lgkmcnt(1)
	v_fma_f64 v[127:128], v[155:156], v[127:128], v[147:148]
	s_waitcnt vmcnt(17)
	v_fma_f64 v[127:128], v[153:154], v[129:130], v[127:128]
	buffer_load_dword v148, off, s[0:3], 0 offset:292
	buffer_load_dword v149, off, s[0:3], 0 offset:312
	;; [unrolled: 1-line block ×7, first 2 shown]
	s_waitcnt vmcnt(23) lgkmcnt(0)
	v_fma_f64 v[127:128], v[151:152], v[131:132], v[127:128]
	s_waitcnt vmcnt(18)
	v_fma_f64 v[135:136], v[135:136], v[133:134], v[127:128]
	ds_read2_b64 v[127:130], v126 offset0:91 offset1:92
	ds_read2_b64 v[131:134], v126 offset0:93 offset1:94
	buffer_load_dword v150, off, s[0:3], 0 offset:316
	s_waitcnt vmcnt(18) lgkmcnt(1)
	v_fma_f64 v[127:128], v[159:160], v[127:128], v[135:136]
	s_waitcnt vmcnt(17)
	v_fma_f64 v[127:128], v[157:158], v[129:130], v[127:128]
	buffer_load_dword v136, off, s[0:3], 0 offset:324
	buffer_load_dword v151, off, s[0:3], 0 offset:344
	;; [unrolled: 1-line block ×8, first 2 shown]
	s_waitcnt vmcnt(24) lgkmcnt(0)
	v_fma_f64 v[127:128], v[137:138], v[131:132], v[127:128]
	s_waitcnt vmcnt(19)
	v_fma_f64 v[137:138], v[139:140], v[133:134], v[127:128]
	ds_read2_b64 v[127:130], v126 offset0:95 offset1:96
	ds_read2_b64 v[131:134], v126 offset0:97 offset1:98
	s_waitcnt vmcnt(18) lgkmcnt(1)
	v_fma_f64 v[127:128], v[145:146], v[127:128], v[137:138]
	s_waitcnt vmcnt(17)
	v_fma_f64 v[127:128], v[143:144], v[129:130], v[127:128]
	buffer_load_dword v138, off, s[0:3], 0 offset:356
	buffer_load_dword v139, off, s[0:3], 0 offset:376
	;; [unrolled: 1-line block ×7, first 2 shown]
	s_waitcnt vmcnt(23) lgkmcnt(0)
	v_fma_f64 v[127:128], v[141:142], v[131:132], v[127:128]
	s_waitcnt vmcnt(18)
	v_fma_f64 v[140:141], v[147:148], v[133:134], v[127:128]
	ds_read2_b64 v[127:130], v126 offset0:99 offset1:100
	ds_read2_b64 v[131:134], v126 offset0:101 offset1:102
	s_waitcnt vmcnt(17) lgkmcnt(1)
	v_fma_f64 v[127:128], v[155:156], v[127:128], v[140:141]
	buffer_load_dword v140, off, s[0:3], 0 offset:380
	s_waitcnt vmcnt(17)
	v_fma_f64 v[127:128], v[153:154], v[129:130], v[127:128]
	buffer_load_dword v142, off, s[0:3], 0 offset:388
	buffer_load_dword v147, off, s[0:3], 0 offset:408
	;; [unrolled: 1-line block ×7, first 2 shown]
	s_waitcnt vmcnt(23) lgkmcnt(0)
	v_fma_f64 v[127:128], v[149:150], v[131:132], v[127:128]
	s_waitcnt vmcnt(18)
	v_fma_f64 v[135:136], v[135:136], v[133:134], v[127:128]
	ds_read2_b64 v[127:130], v126 offset0:103 offset1:104
	ds_read2_b64 v[131:134], v126 offset0:105 offset1:106
	buffer_load_dword v148, off, s[0:3], 0 offset:412
	s_waitcnt vmcnt(18) lgkmcnt(1)
	v_fma_f64 v[127:128], v[159:160], v[127:128], v[135:136]
	s_waitcnt vmcnt(17)
	v_fma_f64 v[127:128], v[157:158], v[129:130], v[127:128]
	buffer_load_dword v136, off, s[0:3], 0 offset:420
	buffer_load_dword v149, off, s[0:3], 0 offset:440
	;; [unrolled: 1-line block ×8, first 2 shown]
	s_waitcnt vmcnt(24) lgkmcnt(0)
	v_fma_f64 v[127:128], v[151:152], v[131:132], v[127:128]
	s_waitcnt vmcnt(19)
	v_fma_f64 v[137:138], v[137:138], v[133:134], v[127:128]
	ds_read2_b64 v[127:130], v126 offset0:107 offset1:108
	ds_read2_b64 v[131:134], v126 offset0:109 offset1:110
	s_waitcnt vmcnt(18) lgkmcnt(1)
	v_fma_f64 v[127:128], v[145:146], v[127:128], v[137:138]
	s_waitcnt vmcnt(17)
	v_fma_f64 v[127:128], v[143:144], v[129:130], v[127:128]
	buffer_load_dword v138, off, s[0:3], 0 offset:452
	buffer_load_dword v143, off, s[0:3], 0 offset:472
	;; [unrolled: 1-line block ×7, first 2 shown]
	s_waitcnt vmcnt(23) lgkmcnt(0)
	v_fma_f64 v[127:128], v[139:140], v[131:132], v[127:128]
	s_waitcnt vmcnt(18)
	v_fma_f64 v[139:140], v[141:142], v[133:134], v[127:128]
	ds_read2_b64 v[127:130], v126 offset0:111 offset1:112
	ds_read2_b64 v[131:134], v126 offset0:113 offset1:114
	buffer_load_dword v144, off, s[0:3], 0 offset:476
	s_waitcnt vmcnt(18) lgkmcnt(1)
	v_fma_f64 v[127:128], v[155:156], v[127:128], v[139:140]
	buffer_load_dword v140, off, s[0:3], 0 offset:484
	buffer_load_dword v141, off, s[0:3], 0 offset:488
	;; [unrolled: 1-line block ×4, first 2 shown]
	s_waitcnt vmcnt(21)
	v_fma_f64 v[127:128], v[153:154], v[129:130], v[127:128]
	s_waitcnt vmcnt(20) lgkmcnt(0)
	v_fma_f64 v[127:128], v[147:148], v[131:132], v[127:128]
	buffer_load_dword v147, off, s[0:3], 0 offset:128
	buffer_load_dword v148, off, s[0:3], 0 offset:132
	s_waitcnt vmcnt(17)
	v_fma_f64 v[135:136], v[135:136], v[133:134], v[127:128]
	ds_read2_b64 v[127:130], v126 offset0:115 offset1:116
	ds_read2_b64 v[131:134], v126 offset0:117 offset1:118
	s_waitcnt vmcnt(16) lgkmcnt(1)
	v_fma_f64 v[127:128], v[159:160], v[127:128], v[135:136]
	s_waitcnt vmcnt(15)
	v_fma_f64 v[127:128], v[157:158], v[129:130], v[127:128]
	s_waitcnt vmcnt(14) lgkmcnt(0)
	v_fma_f64 v[127:128], v[149:150], v[131:132], v[127:128]
	s_waitcnt vmcnt(9)
	v_fma_f64 v[135:136], v[137:138], v[133:134], v[127:128]
	ds_read2_b64 v[127:130], v126 offset0:119 offset1:120
	ds_read2_b64 v[131:134], v126 offset0:121 offset1:122
	s_waitcnt vmcnt(8) lgkmcnt(1)
	v_fma_f64 v[127:128], v[151:152], v[127:128], v[135:136]
	s_waitcnt vmcnt(7)
	v_fma_f64 v[127:128], v[145:146], v[129:130], v[127:128]
	ds_read_b64 v[129:130], v126 offset:984
	s_waitcnt vmcnt(6) lgkmcnt(1)
	v_fma_f64 v[127:128], v[143:144], v[131:132], v[127:128]
	s_waitcnt vmcnt(3)
	v_fma_f64 v[127:128], v[139:140], v[133:134], v[127:128]
	s_waitcnt vmcnt(2) lgkmcnt(0)
	v_fma_f64 v[127:128], v[141:142], v[129:130], v[127:128]
	s_waitcnt vmcnt(0)
	v_add_f64 v[127:128], v[147:148], -v[127:128]
	buffer_store_dword v128, off, s[0:3], 0 offset:132
	buffer_store_dword v127, off, s[0:3], 0 offset:128
	s_and_saveexec_b64 s[4:5], vcc
	s_cbranch_execz .LBB61_349
; %bb.348:
	buffer_load_dword v127, off, s[0:3], 0 offset:120
	buffer_load_dword v128, off, s[0:3], 0 offset:124
	s_waitcnt vmcnt(0)
	ds_write_b64 v125, v[127:128]
	buffer_store_dword v126, off, s[0:3], 0 offset:120
	buffer_store_dword v126, off, s[0:3], 0 offset:124
.LBB61_349:
	s_or_b64 exec, exec, s[4:5]
	s_waitcnt lgkmcnt(0)
	; wave barrier
	buffer_load_dword v135, off, s[0:3], 0 offset:128
	buffer_load_dword v136, off, s[0:3], 0 offset:132
	;; [unrolled: 1-line block ×21, first 2 shown]
	ds_read_b128 v[127:130], v126 offset:624
	ds_read_b128 v[131:134], v126 offset:640
	buffer_load_dword v152, off, s[0:3], 0 offset:212
	v_cmp_lt_u32_e32 vcc, 14, v0
	s_waitcnt vmcnt(20) lgkmcnt(1)
	v_fma_f64 v[127:128], v[135:136], v[127:128], 0
	s_waitcnt vmcnt(18)
	v_fma_f64 v[127:128], v[137:138], v[129:130], v[127:128]
	buffer_load_dword v136, off, s[0:3], 0 offset:220
	buffer_load_dword v137, off, s[0:3], 0 offset:240
	;; [unrolled: 1-line block ×7, first 2 shown]
	s_waitcnt vmcnt(23) lgkmcnt(0)
	v_fma_f64 v[127:128], v[139:140], v[131:132], v[127:128]
	s_waitcnt vmcnt(21)
	v_fma_f64 v[138:139], v[141:142], v[133:134], v[127:128]
	ds_read_b128 v[127:130], v126 offset:656
	ds_read_b128 v[131:134], v126 offset:672
	s_waitcnt vmcnt(19) lgkmcnt(1)
	v_fma_f64 v[127:128], v[143:144], v[127:128], v[138:139]
	buffer_load_dword v138, off, s[0:3], 0 offset:244
	s_waitcnt vmcnt(18)
	v_fma_f64 v[127:128], v[145:146], v[129:130], v[127:128]
	buffer_load_dword v140, off, s[0:3], 0 offset:252
	buffer_load_dword v141, off, s[0:3], 0 offset:272
	;; [unrolled: 1-line block ×8, first 2 shown]
	s_waitcnt vmcnt(24) lgkmcnt(0)
	v_fma_f64 v[127:128], v[147:148], v[131:132], v[127:128]
	s_waitcnt vmcnt(19)
	v_fma_f64 v[147:148], v[149:150], v[133:134], v[127:128]
	ds_read_b128 v[127:130], v126 offset:688
	ds_read_b128 v[131:134], v126 offset:704
	s_waitcnt vmcnt(18) lgkmcnt(1)
	v_fma_f64 v[127:128], v[155:156], v[127:128], v[147:148]
	s_waitcnt vmcnt(17)
	v_fma_f64 v[127:128], v[153:154], v[129:130], v[127:128]
	buffer_load_dword v148, off, s[0:3], 0 offset:284
	buffer_load_dword v149, off, s[0:3], 0 offset:304
	;; [unrolled: 1-line block ×7, first 2 shown]
	s_waitcnt vmcnt(23) lgkmcnt(0)
	v_fma_f64 v[127:128], v[151:152], v[131:132], v[127:128]
	s_waitcnt vmcnt(18)
	v_fma_f64 v[135:136], v[135:136], v[133:134], v[127:128]
	ds_read_b128 v[127:130], v126 offset:720
	ds_read_b128 v[131:134], v126 offset:736
	buffer_load_dword v150, off, s[0:3], 0 offset:308
	s_waitcnt vmcnt(18) lgkmcnt(1)
	v_fma_f64 v[127:128], v[159:160], v[127:128], v[135:136]
	s_waitcnt vmcnt(17)
	v_fma_f64 v[127:128], v[157:158], v[129:130], v[127:128]
	buffer_load_dword v136, off, s[0:3], 0 offset:316
	buffer_load_dword v151, off, s[0:3], 0 offset:336
	;; [unrolled: 1-line block ×8, first 2 shown]
	s_waitcnt vmcnt(24) lgkmcnt(0)
	v_fma_f64 v[127:128], v[137:138], v[131:132], v[127:128]
	s_waitcnt vmcnt(19)
	v_fma_f64 v[137:138], v[139:140], v[133:134], v[127:128]
	ds_read_b128 v[127:130], v126 offset:752
	ds_read_b128 v[131:134], v126 offset:768
	s_waitcnt vmcnt(18) lgkmcnt(1)
	v_fma_f64 v[127:128], v[145:146], v[127:128], v[137:138]
	s_waitcnt vmcnt(17)
	v_fma_f64 v[127:128], v[143:144], v[129:130], v[127:128]
	buffer_load_dword v138, off, s[0:3], 0 offset:348
	buffer_load_dword v139, off, s[0:3], 0 offset:368
	;; [unrolled: 1-line block ×7, first 2 shown]
	s_waitcnt vmcnt(23) lgkmcnt(0)
	v_fma_f64 v[127:128], v[141:142], v[131:132], v[127:128]
	s_waitcnt vmcnt(18)
	v_fma_f64 v[140:141], v[147:148], v[133:134], v[127:128]
	ds_read_b128 v[127:130], v126 offset:784
	ds_read_b128 v[131:134], v126 offset:800
	s_waitcnt vmcnt(17) lgkmcnt(1)
	v_fma_f64 v[127:128], v[155:156], v[127:128], v[140:141]
	buffer_load_dword v140, off, s[0:3], 0 offset:372
	s_waitcnt vmcnt(17)
	v_fma_f64 v[127:128], v[153:154], v[129:130], v[127:128]
	buffer_load_dword v142, off, s[0:3], 0 offset:380
	buffer_load_dword v147, off, s[0:3], 0 offset:400
	;; [unrolled: 1-line block ×7, first 2 shown]
	s_waitcnt vmcnt(23) lgkmcnt(0)
	v_fma_f64 v[127:128], v[149:150], v[131:132], v[127:128]
	s_waitcnt vmcnt(18)
	v_fma_f64 v[135:136], v[135:136], v[133:134], v[127:128]
	ds_read_b128 v[127:130], v126 offset:816
	ds_read_b128 v[131:134], v126 offset:832
	buffer_load_dword v148, off, s[0:3], 0 offset:404
	s_waitcnt vmcnt(18) lgkmcnt(1)
	v_fma_f64 v[127:128], v[159:160], v[127:128], v[135:136]
	s_waitcnt vmcnt(17)
	v_fma_f64 v[127:128], v[157:158], v[129:130], v[127:128]
	buffer_load_dword v136, off, s[0:3], 0 offset:412
	buffer_load_dword v149, off, s[0:3], 0 offset:432
	;; [unrolled: 1-line block ×8, first 2 shown]
	s_waitcnt vmcnt(24) lgkmcnt(0)
	v_fma_f64 v[127:128], v[151:152], v[131:132], v[127:128]
	s_waitcnt vmcnt(19)
	v_fma_f64 v[137:138], v[137:138], v[133:134], v[127:128]
	ds_read_b128 v[127:130], v126 offset:848
	ds_read_b128 v[131:134], v126 offset:864
	s_waitcnt vmcnt(18) lgkmcnt(1)
	v_fma_f64 v[127:128], v[145:146], v[127:128], v[137:138]
	s_waitcnt vmcnt(17)
	v_fma_f64 v[127:128], v[143:144], v[129:130], v[127:128]
	buffer_load_dword v138, off, s[0:3], 0 offset:444
	buffer_load_dword v143, off, s[0:3], 0 offset:464
	;; [unrolled: 1-line block ×8, first 2 shown]
	s_waitcnt vmcnt(24) lgkmcnt(0)
	v_fma_f64 v[127:128], v[139:140], v[131:132], v[127:128]
	s_waitcnt vmcnt(19)
	v_fma_f64 v[139:140], v[141:142], v[133:134], v[127:128]
	ds_read_b128 v[127:130], v126 offset:880
	ds_read_b128 v[131:134], v126 offset:896
	s_waitcnt vmcnt(18) lgkmcnt(1)
	v_fma_f64 v[127:128], v[155:156], v[127:128], v[139:140]
	s_waitcnt vmcnt(17)
	v_fma_f64 v[127:128], v[153:154], v[129:130], v[127:128]
	buffer_load_dword v140, off, s[0:3], 0 offset:476
	buffer_load_dword v141, off, s[0:3], 0 offset:488
	;; [unrolled: 1-line block ×6, first 2 shown]
	s_waitcnt vmcnt(22) lgkmcnt(0)
	v_fma_f64 v[127:128], v[147:148], v[131:132], v[127:128]
	s_waitcnt vmcnt(17)
	v_fma_f64 v[135:136], v[135:136], v[133:134], v[127:128]
	ds_read_b128 v[127:130], v126 offset:912
	buffer_load_dword v147, off, s[0:3], 0 offset:120
	buffer_load_dword v148, off, s[0:3], 0 offset:124
	ds_read_b128 v[131:134], v126 offset:928
	s_waitcnt vmcnt(18) lgkmcnt(1)
	v_fma_f64 v[127:128], v[159:160], v[127:128], v[135:136]
	s_waitcnt vmcnt(17)
	v_fma_f64 v[127:128], v[157:158], v[129:130], v[127:128]
	s_waitcnt vmcnt(16) lgkmcnt(0)
	v_fma_f64 v[127:128], v[149:150], v[131:132], v[127:128]
	s_waitcnt vmcnt(11)
	v_fma_f64 v[135:136], v[137:138], v[133:134], v[127:128]
	ds_read_b128 v[127:130], v126 offset:944
	ds_read_b128 v[131:134], v126 offset:960
	s_waitcnt vmcnt(10) lgkmcnt(1)
	v_fma_f64 v[127:128], v[151:152], v[127:128], v[135:136]
	s_waitcnt vmcnt(9)
	v_fma_f64 v[127:128], v[145:146], v[129:130], v[127:128]
	s_waitcnt vmcnt(8) lgkmcnt(0)
	v_fma_f64 v[127:128], v[143:144], v[131:132], v[127:128]
	s_waitcnt vmcnt(4)
	v_fma_f64 v[130:131], v[139:140], v[133:134], v[127:128]
	ds_read_b128 v[126:129], v126 offset:976
	s_waitcnt vmcnt(3) lgkmcnt(0)
	v_fma_f64 v[126:127], v[153:154], v[126:127], v[130:131]
	s_waitcnt vmcnt(2)
	v_fma_f64 v[126:127], v[141:142], v[128:129], v[126:127]
	s_waitcnt vmcnt(0)
	v_add_f64 v[126:127], v[147:148], -v[126:127]
	buffer_store_dword v127, off, s[0:3], 0 offset:124
	buffer_store_dword v126, off, s[0:3], 0 offset:120
	s_and_saveexec_b64 s[4:5], vcc
	s_cbranch_execz .LBB61_351
; %bb.350:
	buffer_load_dword v126, off, s[0:3], 0 offset:112
	buffer_load_dword v127, off, s[0:3], 0 offset:116
	v_mov_b32_e32 v128, 0
	buffer_store_dword v128, off, s[0:3], 0 offset:112
	buffer_store_dword v128, off, s[0:3], 0 offset:116
	s_waitcnt vmcnt(2)
	ds_write_b64 v125, v[126:127]
.LBB61_351:
	s_or_b64 exec, exec, s[4:5]
	s_waitcnt lgkmcnt(0)
	; wave barrier
	buffer_load_dword v135, off, s[0:3], 0 offset:120
	buffer_load_dword v136, off, s[0:3], 0 offset:124
	;; [unrolled: 1-line block ×21, first 2 shown]
	v_mov_b32_e32 v126, 0
	ds_read2_b64 v[127:130], v126 offset0:77 offset1:78
	ds_read2_b64 v[131:134], v126 offset0:79 offset1:80
	buffer_load_dword v152, off, s[0:3], 0 offset:204
	v_cmp_lt_u32_e32 vcc, 13, v0
	s_waitcnt vmcnt(20) lgkmcnt(1)
	v_fma_f64 v[127:128], v[135:136], v[127:128], 0
	s_waitcnt vmcnt(18)
	v_fma_f64 v[127:128], v[137:138], v[129:130], v[127:128]
	buffer_load_dword v136, off, s[0:3], 0 offset:212
	buffer_load_dword v137, off, s[0:3], 0 offset:232
	;; [unrolled: 1-line block ×7, first 2 shown]
	s_waitcnt vmcnt(23) lgkmcnt(0)
	v_fma_f64 v[127:128], v[139:140], v[131:132], v[127:128]
	s_waitcnt vmcnt(21)
	v_fma_f64 v[138:139], v[141:142], v[133:134], v[127:128]
	ds_read2_b64 v[127:130], v126 offset0:81 offset1:82
	ds_read2_b64 v[131:134], v126 offset0:83 offset1:84
	s_waitcnt vmcnt(19) lgkmcnt(1)
	v_fma_f64 v[127:128], v[143:144], v[127:128], v[138:139]
	buffer_load_dword v138, off, s[0:3], 0 offset:236
	s_waitcnt vmcnt(18)
	v_fma_f64 v[127:128], v[145:146], v[129:130], v[127:128]
	buffer_load_dword v140, off, s[0:3], 0 offset:244
	buffer_load_dword v141, off, s[0:3], 0 offset:264
	;; [unrolled: 1-line block ×8, first 2 shown]
	s_waitcnt vmcnt(24) lgkmcnt(0)
	v_fma_f64 v[127:128], v[147:148], v[131:132], v[127:128]
	s_waitcnt vmcnt(19)
	v_fma_f64 v[147:148], v[149:150], v[133:134], v[127:128]
	ds_read2_b64 v[127:130], v126 offset0:85 offset1:86
	ds_read2_b64 v[131:134], v126 offset0:87 offset1:88
	s_waitcnt vmcnt(18) lgkmcnt(1)
	v_fma_f64 v[127:128], v[155:156], v[127:128], v[147:148]
	s_waitcnt vmcnt(17)
	v_fma_f64 v[127:128], v[153:154], v[129:130], v[127:128]
	buffer_load_dword v148, off, s[0:3], 0 offset:276
	buffer_load_dword v149, off, s[0:3], 0 offset:296
	;; [unrolled: 1-line block ×7, first 2 shown]
	s_waitcnt vmcnt(23) lgkmcnt(0)
	v_fma_f64 v[127:128], v[151:152], v[131:132], v[127:128]
	s_waitcnt vmcnt(18)
	v_fma_f64 v[135:136], v[135:136], v[133:134], v[127:128]
	ds_read2_b64 v[127:130], v126 offset0:89 offset1:90
	ds_read2_b64 v[131:134], v126 offset0:91 offset1:92
	buffer_load_dword v150, off, s[0:3], 0 offset:300
	s_waitcnt vmcnt(18) lgkmcnt(1)
	v_fma_f64 v[127:128], v[159:160], v[127:128], v[135:136]
	s_waitcnt vmcnt(17)
	v_fma_f64 v[127:128], v[157:158], v[129:130], v[127:128]
	buffer_load_dword v136, off, s[0:3], 0 offset:308
	buffer_load_dword v151, off, s[0:3], 0 offset:328
	;; [unrolled: 1-line block ×8, first 2 shown]
	s_waitcnt vmcnt(24) lgkmcnt(0)
	v_fma_f64 v[127:128], v[137:138], v[131:132], v[127:128]
	s_waitcnt vmcnt(19)
	v_fma_f64 v[137:138], v[139:140], v[133:134], v[127:128]
	ds_read2_b64 v[127:130], v126 offset0:93 offset1:94
	ds_read2_b64 v[131:134], v126 offset0:95 offset1:96
	s_waitcnt vmcnt(18) lgkmcnt(1)
	v_fma_f64 v[127:128], v[145:146], v[127:128], v[137:138]
	s_waitcnt vmcnt(17)
	v_fma_f64 v[127:128], v[143:144], v[129:130], v[127:128]
	buffer_load_dword v138, off, s[0:3], 0 offset:340
	buffer_load_dword v139, off, s[0:3], 0 offset:360
	buffer_load_dword v143, off, s[0:3], 0 offset:352
	buffer_load_dword v145, off, s[0:3], 0 offset:344
	buffer_load_dword v137, off, s[0:3], 0 offset:336
	buffer_load_dword v146, off, s[0:3], 0 offset:348
	buffer_load_dword v144, off, s[0:3], 0 offset:356
	s_waitcnt vmcnt(23) lgkmcnt(0)
	v_fma_f64 v[127:128], v[141:142], v[131:132], v[127:128]
	s_waitcnt vmcnt(18)
	v_fma_f64 v[140:141], v[147:148], v[133:134], v[127:128]
	ds_read2_b64 v[127:130], v126 offset0:97 offset1:98
	ds_read2_b64 v[131:134], v126 offset0:99 offset1:100
	s_waitcnt vmcnt(17) lgkmcnt(1)
	v_fma_f64 v[127:128], v[155:156], v[127:128], v[140:141]
	buffer_load_dword v140, off, s[0:3], 0 offset:364
	s_waitcnt vmcnt(17)
	v_fma_f64 v[127:128], v[153:154], v[129:130], v[127:128]
	buffer_load_dword v142, off, s[0:3], 0 offset:372
	buffer_load_dword v147, off, s[0:3], 0 offset:392
	;; [unrolled: 1-line block ×7, first 2 shown]
	s_waitcnt vmcnt(23) lgkmcnt(0)
	v_fma_f64 v[127:128], v[149:150], v[131:132], v[127:128]
	s_waitcnt vmcnt(18)
	v_fma_f64 v[135:136], v[135:136], v[133:134], v[127:128]
	ds_read2_b64 v[127:130], v126 offset0:101 offset1:102
	ds_read2_b64 v[131:134], v126 offset0:103 offset1:104
	buffer_load_dword v148, off, s[0:3], 0 offset:396
	s_waitcnt vmcnt(18) lgkmcnt(1)
	v_fma_f64 v[127:128], v[159:160], v[127:128], v[135:136]
	s_waitcnt vmcnt(17)
	v_fma_f64 v[127:128], v[157:158], v[129:130], v[127:128]
	buffer_load_dword v136, off, s[0:3], 0 offset:404
	buffer_load_dword v149, off, s[0:3], 0 offset:424
	buffer_load_dword v157, off, s[0:3], 0 offset:416
	buffer_load_dword v159, off, s[0:3], 0 offset:408
	buffer_load_dword v135, off, s[0:3], 0 offset:400
	buffer_load_dword v160, off, s[0:3], 0 offset:412
	buffer_load_dword v158, off, s[0:3], 0 offset:420
	buffer_load_dword v150, off, s[0:3], 0 offset:428
	s_waitcnt vmcnt(24) lgkmcnt(0)
	v_fma_f64 v[127:128], v[151:152], v[131:132], v[127:128]
	s_waitcnt vmcnt(19)
	v_fma_f64 v[137:138], v[137:138], v[133:134], v[127:128]
	ds_read2_b64 v[127:130], v126 offset0:105 offset1:106
	ds_read2_b64 v[131:134], v126 offset0:107 offset1:108
	s_waitcnt vmcnt(18) lgkmcnt(1)
	v_fma_f64 v[127:128], v[145:146], v[127:128], v[137:138]
	s_waitcnt vmcnt(17)
	v_fma_f64 v[127:128], v[143:144], v[129:130], v[127:128]
	buffer_load_dword v138, off, s[0:3], 0 offset:436
	buffer_load_dword v143, off, s[0:3], 0 offset:456
	buffer_load_dword v145, off, s[0:3], 0 offset:448
	buffer_load_dword v151, off, s[0:3], 0 offset:440
	buffer_load_dword v137, off, s[0:3], 0 offset:432
	buffer_load_dword v152, off, s[0:3], 0 offset:444
	buffer_load_dword v146, off, s[0:3], 0 offset:452
	buffer_load_dword v144, off, s[0:3], 0 offset:460
	s_waitcnt vmcnt(24) lgkmcnt(0)
	v_fma_f64 v[127:128], v[139:140], v[131:132], v[127:128]
	s_waitcnt vmcnt(19)
	v_fma_f64 v[139:140], v[141:142], v[133:134], v[127:128]
	ds_read2_b64 v[127:130], v126 offset0:109 offset1:110
	ds_read2_b64 v[131:134], v126 offset0:111 offset1:112
	;; [unrolled: 18-line block ×3, first 2 shown]
	s_waitcnt vmcnt(18) lgkmcnt(1)
	v_fma_f64 v[127:128], v[159:160], v[127:128], v[135:136]
	buffer_load_dword v135, off, s[0:3], 0 offset:112
	buffer_load_dword v136, off, s[0:3], 0 offset:116
	s_waitcnt vmcnt(19)
	v_fma_f64 v[127:128], v[157:158], v[129:130], v[127:128]
	s_waitcnt vmcnt(18) lgkmcnt(0)
	v_fma_f64 v[127:128], v[149:150], v[131:132], v[127:128]
	s_waitcnt vmcnt(13)
	v_fma_f64 v[137:138], v[137:138], v[133:134], v[127:128]
	ds_read2_b64 v[127:130], v126 offset0:117 offset1:118
	ds_read2_b64 v[131:134], v126 offset0:119 offset1:120
	s_waitcnt vmcnt(12) lgkmcnt(1)
	v_fma_f64 v[127:128], v[151:152], v[127:128], v[137:138]
	s_waitcnt vmcnt(11)
	v_fma_f64 v[127:128], v[145:146], v[129:130], v[127:128]
	s_waitcnt vmcnt(10) lgkmcnt(0)
	v_fma_f64 v[127:128], v[143:144], v[131:132], v[127:128]
	s_waitcnt vmcnt(5)
	v_fma_f64 v[131:132], v[139:140], v[133:134], v[127:128]
	ds_read2_b64 v[127:130], v126 offset0:121 offset1:122
	ds_read_b64 v[133:134], v126 offset:984
	s_waitcnt vmcnt(4) lgkmcnt(1)
	v_fma_f64 v[127:128], v[155:156], v[127:128], v[131:132]
	s_waitcnt vmcnt(3)
	v_fma_f64 v[127:128], v[153:154], v[129:130], v[127:128]
	s_waitcnt vmcnt(2) lgkmcnt(0)
	v_fma_f64 v[127:128], v[141:142], v[133:134], v[127:128]
	s_waitcnt vmcnt(0)
	v_add_f64 v[127:128], v[135:136], -v[127:128]
	buffer_store_dword v128, off, s[0:3], 0 offset:116
	buffer_store_dword v127, off, s[0:3], 0 offset:112
	s_and_saveexec_b64 s[4:5], vcc
	s_cbranch_execz .LBB61_353
; %bb.352:
	buffer_load_dword v127, off, s[0:3], 0 offset:104
	buffer_load_dword v128, off, s[0:3], 0 offset:108
	s_waitcnt vmcnt(0)
	ds_write_b64 v125, v[127:128]
	buffer_store_dword v126, off, s[0:3], 0 offset:104
	buffer_store_dword v126, off, s[0:3], 0 offset:108
.LBB61_353:
	s_or_b64 exec, exec, s[4:5]
	s_waitcnt lgkmcnt(0)
	; wave barrier
	buffer_load_dword v135, off, s[0:3], 0 offset:112
	buffer_load_dword v136, off, s[0:3], 0 offset:116
	;; [unrolled: 1-line block ×21, first 2 shown]
	ds_read_b128 v[127:130], v126 offset:608
	ds_read_b128 v[131:134], v126 offset:624
	buffer_load_dword v152, off, s[0:3], 0 offset:196
	v_cmp_lt_u32_e32 vcc, 12, v0
	s_waitcnt vmcnt(20) lgkmcnt(1)
	v_fma_f64 v[127:128], v[135:136], v[127:128], 0
	s_waitcnt vmcnt(18)
	v_fma_f64 v[127:128], v[137:138], v[129:130], v[127:128]
	buffer_load_dword v136, off, s[0:3], 0 offset:204
	buffer_load_dword v137, off, s[0:3], 0 offset:224
	;; [unrolled: 1-line block ×7, first 2 shown]
	s_waitcnt vmcnt(23) lgkmcnt(0)
	v_fma_f64 v[127:128], v[139:140], v[131:132], v[127:128]
	s_waitcnt vmcnt(21)
	v_fma_f64 v[138:139], v[141:142], v[133:134], v[127:128]
	ds_read_b128 v[127:130], v126 offset:640
	ds_read_b128 v[131:134], v126 offset:656
	s_waitcnt vmcnt(19) lgkmcnt(1)
	v_fma_f64 v[127:128], v[143:144], v[127:128], v[138:139]
	buffer_load_dword v138, off, s[0:3], 0 offset:228
	s_waitcnt vmcnt(18)
	v_fma_f64 v[127:128], v[145:146], v[129:130], v[127:128]
	buffer_load_dword v140, off, s[0:3], 0 offset:236
	buffer_load_dword v141, off, s[0:3], 0 offset:256
	;; [unrolled: 1-line block ×8, first 2 shown]
	s_waitcnt vmcnt(24) lgkmcnt(0)
	v_fma_f64 v[127:128], v[147:148], v[131:132], v[127:128]
	s_waitcnt vmcnt(19)
	v_fma_f64 v[147:148], v[149:150], v[133:134], v[127:128]
	ds_read_b128 v[127:130], v126 offset:672
	ds_read_b128 v[131:134], v126 offset:688
	s_waitcnt vmcnt(18) lgkmcnt(1)
	v_fma_f64 v[127:128], v[155:156], v[127:128], v[147:148]
	s_waitcnt vmcnt(17)
	v_fma_f64 v[127:128], v[153:154], v[129:130], v[127:128]
	buffer_load_dword v148, off, s[0:3], 0 offset:268
	buffer_load_dword v149, off, s[0:3], 0 offset:288
	;; [unrolled: 1-line block ×7, first 2 shown]
	s_waitcnt vmcnt(23) lgkmcnt(0)
	v_fma_f64 v[127:128], v[151:152], v[131:132], v[127:128]
	s_waitcnt vmcnt(18)
	v_fma_f64 v[135:136], v[135:136], v[133:134], v[127:128]
	ds_read_b128 v[127:130], v126 offset:704
	ds_read_b128 v[131:134], v126 offset:720
	buffer_load_dword v150, off, s[0:3], 0 offset:292
	s_waitcnt vmcnt(18) lgkmcnt(1)
	v_fma_f64 v[127:128], v[159:160], v[127:128], v[135:136]
	s_waitcnt vmcnt(17)
	v_fma_f64 v[127:128], v[157:158], v[129:130], v[127:128]
	buffer_load_dword v136, off, s[0:3], 0 offset:300
	buffer_load_dword v151, off, s[0:3], 0 offset:320
	;; [unrolled: 1-line block ×8, first 2 shown]
	s_waitcnt vmcnt(24) lgkmcnt(0)
	v_fma_f64 v[127:128], v[137:138], v[131:132], v[127:128]
	s_waitcnt vmcnt(19)
	v_fma_f64 v[137:138], v[139:140], v[133:134], v[127:128]
	ds_read_b128 v[127:130], v126 offset:736
	ds_read_b128 v[131:134], v126 offset:752
	s_waitcnt vmcnt(18) lgkmcnt(1)
	v_fma_f64 v[127:128], v[145:146], v[127:128], v[137:138]
	s_waitcnt vmcnt(17)
	v_fma_f64 v[127:128], v[143:144], v[129:130], v[127:128]
	buffer_load_dword v138, off, s[0:3], 0 offset:332
	buffer_load_dword v139, off, s[0:3], 0 offset:352
	;; [unrolled: 1-line block ×7, first 2 shown]
	s_waitcnt vmcnt(23) lgkmcnt(0)
	v_fma_f64 v[127:128], v[141:142], v[131:132], v[127:128]
	s_waitcnt vmcnt(18)
	v_fma_f64 v[140:141], v[147:148], v[133:134], v[127:128]
	ds_read_b128 v[127:130], v126 offset:768
	ds_read_b128 v[131:134], v126 offset:784
	s_waitcnt vmcnt(17) lgkmcnt(1)
	v_fma_f64 v[127:128], v[155:156], v[127:128], v[140:141]
	buffer_load_dword v140, off, s[0:3], 0 offset:356
	s_waitcnt vmcnt(17)
	v_fma_f64 v[127:128], v[153:154], v[129:130], v[127:128]
	buffer_load_dword v142, off, s[0:3], 0 offset:364
	buffer_load_dword v147, off, s[0:3], 0 offset:384
	;; [unrolled: 1-line block ×7, first 2 shown]
	s_waitcnt vmcnt(23) lgkmcnt(0)
	v_fma_f64 v[127:128], v[149:150], v[131:132], v[127:128]
	s_waitcnt vmcnt(18)
	v_fma_f64 v[135:136], v[135:136], v[133:134], v[127:128]
	ds_read_b128 v[127:130], v126 offset:800
	ds_read_b128 v[131:134], v126 offset:816
	buffer_load_dword v148, off, s[0:3], 0 offset:388
	s_waitcnt vmcnt(18) lgkmcnt(1)
	v_fma_f64 v[127:128], v[159:160], v[127:128], v[135:136]
	s_waitcnt vmcnt(17)
	v_fma_f64 v[127:128], v[157:158], v[129:130], v[127:128]
	buffer_load_dword v136, off, s[0:3], 0 offset:396
	buffer_load_dword v149, off, s[0:3], 0 offset:416
	buffer_load_dword v157, off, s[0:3], 0 offset:408
	buffer_load_dword v159, off, s[0:3], 0 offset:400
	buffer_load_dword v135, off, s[0:3], 0 offset:392
	buffer_load_dword v160, off, s[0:3], 0 offset:404
	buffer_load_dword v158, off, s[0:3], 0 offset:412
	buffer_load_dword v150, off, s[0:3], 0 offset:420
	s_waitcnt vmcnt(24) lgkmcnt(0)
	v_fma_f64 v[127:128], v[151:152], v[131:132], v[127:128]
	s_waitcnt vmcnt(19)
	v_fma_f64 v[137:138], v[137:138], v[133:134], v[127:128]
	ds_read_b128 v[127:130], v126 offset:832
	ds_read_b128 v[131:134], v126 offset:848
	s_waitcnt vmcnt(18) lgkmcnt(1)
	v_fma_f64 v[127:128], v[145:146], v[127:128], v[137:138]
	s_waitcnt vmcnt(17)
	v_fma_f64 v[127:128], v[143:144], v[129:130], v[127:128]
	buffer_load_dword v138, off, s[0:3], 0 offset:428
	buffer_load_dword v143, off, s[0:3], 0 offset:448
	buffer_load_dword v145, off, s[0:3], 0 offset:440
	buffer_load_dword v151, off, s[0:3], 0 offset:432
	buffer_load_dword v137, off, s[0:3], 0 offset:424
	buffer_load_dword v152, off, s[0:3], 0 offset:436
	buffer_load_dword v146, off, s[0:3], 0 offset:444
	buffer_load_dword v144, off, s[0:3], 0 offset:452
	s_waitcnt vmcnt(24) lgkmcnt(0)
	v_fma_f64 v[127:128], v[139:140], v[131:132], v[127:128]
	s_waitcnt vmcnt(19)
	v_fma_f64 v[139:140], v[141:142], v[133:134], v[127:128]
	ds_read_b128 v[127:130], v126 offset:864
	ds_read_b128 v[131:134], v126 offset:880
	;; [unrolled: 18-line block ×3, first 2 shown]
	s_waitcnt vmcnt(18) lgkmcnt(1)
	v_fma_f64 v[127:128], v[159:160], v[127:128], v[135:136]
	buffer_load_dword v136, off, s[0:3], 0 offset:492
	buffer_load_dword v135, off, s[0:3], 0 offset:488
	;; [unrolled: 1-line block ×4, first 2 shown]
	s_waitcnt vmcnt(21)
	v_fma_f64 v[127:128], v[157:158], v[129:130], v[127:128]
	s_waitcnt vmcnt(20) lgkmcnt(0)
	v_fma_f64 v[127:128], v[149:150], v[131:132], v[127:128]
	s_waitcnt vmcnt(15)
	v_fma_f64 v[137:138], v[137:138], v[133:134], v[127:128]
	ds_read_b128 v[127:130], v126 offset:928
	ds_read_b128 v[131:134], v126 offset:944
	s_waitcnt vmcnt(14) lgkmcnt(1)
	v_fma_f64 v[127:128], v[151:152], v[127:128], v[137:138]
	s_waitcnt vmcnt(13)
	v_fma_f64 v[127:128], v[145:146], v[129:130], v[127:128]
	s_waitcnt vmcnt(12) lgkmcnt(0)
	v_fma_f64 v[127:128], v[143:144], v[131:132], v[127:128]
	s_waitcnt vmcnt(7)
	v_fma_f64 v[137:138], v[139:140], v[133:134], v[127:128]
	ds_read_b128 v[127:130], v126 offset:960
	ds_read_b128 v[131:134], v126 offset:976
	s_waitcnt vmcnt(6) lgkmcnt(1)
	v_fma_f64 v[126:127], v[155:156], v[127:128], v[137:138]
	s_waitcnt vmcnt(5)
	v_fma_f64 v[126:127], v[153:154], v[129:130], v[126:127]
	s_waitcnt vmcnt(4) lgkmcnt(0)
	v_fma_f64 v[126:127], v[141:142], v[131:132], v[126:127]
	s_waitcnt vmcnt(2)
	v_fma_f64 v[126:127], v[135:136], v[133:134], v[126:127]
	s_waitcnt vmcnt(0)
	v_add_f64 v[126:127], v[147:148], -v[126:127]
	buffer_store_dword v127, off, s[0:3], 0 offset:108
	buffer_store_dword v126, off, s[0:3], 0 offset:104
	s_and_saveexec_b64 s[4:5], vcc
	s_cbranch_execz .LBB61_355
; %bb.354:
	buffer_load_dword v126, off, s[0:3], 0 offset:96
	buffer_load_dword v127, off, s[0:3], 0 offset:100
	v_mov_b32_e32 v128, 0
	buffer_store_dword v128, off, s[0:3], 0 offset:96
	buffer_store_dword v128, off, s[0:3], 0 offset:100
	s_waitcnt vmcnt(2)
	ds_write_b64 v125, v[126:127]
.LBB61_355:
	s_or_b64 exec, exec, s[4:5]
	s_waitcnt lgkmcnt(0)
	; wave barrier
	buffer_load_dword v135, off, s[0:3], 0 offset:104
	buffer_load_dword v136, off, s[0:3], 0 offset:108
	;; [unrolled: 1-line block ×21, first 2 shown]
	v_mov_b32_e32 v126, 0
	ds_read2_b64 v[127:130], v126 offset0:75 offset1:76
	ds_read2_b64 v[131:134], v126 offset0:77 offset1:78
	buffer_load_dword v152, off, s[0:3], 0 offset:188
	v_cmp_lt_u32_e32 vcc, 11, v0
	s_waitcnt vmcnt(20) lgkmcnt(1)
	v_fma_f64 v[127:128], v[135:136], v[127:128], 0
	s_waitcnt vmcnt(18)
	v_fma_f64 v[127:128], v[137:138], v[129:130], v[127:128]
	buffer_load_dword v136, off, s[0:3], 0 offset:196
	buffer_load_dword v137, off, s[0:3], 0 offset:216
	;; [unrolled: 1-line block ×7, first 2 shown]
	s_waitcnt vmcnt(23) lgkmcnt(0)
	v_fma_f64 v[127:128], v[139:140], v[131:132], v[127:128]
	s_waitcnt vmcnt(21)
	v_fma_f64 v[138:139], v[141:142], v[133:134], v[127:128]
	ds_read2_b64 v[127:130], v126 offset0:79 offset1:80
	ds_read2_b64 v[131:134], v126 offset0:81 offset1:82
	s_waitcnt vmcnt(19) lgkmcnt(1)
	v_fma_f64 v[127:128], v[143:144], v[127:128], v[138:139]
	buffer_load_dword v138, off, s[0:3], 0 offset:220
	s_waitcnt vmcnt(18)
	v_fma_f64 v[127:128], v[145:146], v[129:130], v[127:128]
	buffer_load_dword v140, off, s[0:3], 0 offset:228
	buffer_load_dword v141, off, s[0:3], 0 offset:248
	;; [unrolled: 1-line block ×8, first 2 shown]
	s_waitcnt vmcnt(24) lgkmcnt(0)
	v_fma_f64 v[127:128], v[147:148], v[131:132], v[127:128]
	s_waitcnt vmcnt(19)
	v_fma_f64 v[147:148], v[149:150], v[133:134], v[127:128]
	ds_read2_b64 v[127:130], v126 offset0:83 offset1:84
	ds_read2_b64 v[131:134], v126 offset0:85 offset1:86
	s_waitcnt vmcnt(18) lgkmcnt(1)
	v_fma_f64 v[127:128], v[155:156], v[127:128], v[147:148]
	s_waitcnt vmcnt(17)
	v_fma_f64 v[127:128], v[153:154], v[129:130], v[127:128]
	buffer_load_dword v148, off, s[0:3], 0 offset:260
	buffer_load_dword v149, off, s[0:3], 0 offset:280
	;; [unrolled: 1-line block ×7, first 2 shown]
	s_waitcnt vmcnt(23) lgkmcnt(0)
	v_fma_f64 v[127:128], v[151:152], v[131:132], v[127:128]
	s_waitcnt vmcnt(18)
	v_fma_f64 v[135:136], v[135:136], v[133:134], v[127:128]
	ds_read2_b64 v[127:130], v126 offset0:87 offset1:88
	ds_read2_b64 v[131:134], v126 offset0:89 offset1:90
	buffer_load_dword v150, off, s[0:3], 0 offset:284
	s_waitcnt vmcnt(18) lgkmcnt(1)
	v_fma_f64 v[127:128], v[159:160], v[127:128], v[135:136]
	s_waitcnt vmcnt(17)
	v_fma_f64 v[127:128], v[157:158], v[129:130], v[127:128]
	buffer_load_dword v136, off, s[0:3], 0 offset:292
	buffer_load_dword v151, off, s[0:3], 0 offset:312
	;; [unrolled: 1-line block ×7, first 2 shown]
	s_waitcnt vmcnt(23) lgkmcnt(0)
	v_fma_f64 v[127:128], v[137:138], v[131:132], v[127:128]
	s_waitcnt vmcnt(18)
	v_fma_f64 v[137:138], v[139:140], v[133:134], v[127:128]
	ds_read2_b64 v[127:130], v126 offset0:91 offset1:92
	ds_read2_b64 v[131:134], v126 offset0:93 offset1:94
	buffer_load_dword v152, off, s[0:3], 0 offset:316
	s_waitcnt vmcnt(18) lgkmcnt(1)
	v_fma_f64 v[127:128], v[145:146], v[127:128], v[137:138]
	s_waitcnt vmcnt(17)
	v_fma_f64 v[127:128], v[143:144], v[129:130], v[127:128]
	buffer_load_dword v138, off, s[0:3], 0 offset:324
	buffer_load_dword v139, off, s[0:3], 0 offset:344
	;; [unrolled: 1-line block ×7, first 2 shown]
	s_waitcnt vmcnt(23) lgkmcnt(0)
	v_fma_f64 v[127:128], v[141:142], v[131:132], v[127:128]
	s_waitcnt vmcnt(18)
	v_fma_f64 v[140:141], v[147:148], v[133:134], v[127:128]
	ds_read2_b64 v[127:130], v126 offset0:95 offset1:96
	ds_read2_b64 v[131:134], v126 offset0:97 offset1:98
	s_waitcnt vmcnt(17) lgkmcnt(1)
	v_fma_f64 v[127:128], v[155:156], v[127:128], v[140:141]
	buffer_load_dword v140, off, s[0:3], 0 offset:348
	s_waitcnt vmcnt(17)
	v_fma_f64 v[127:128], v[153:154], v[129:130], v[127:128]
	buffer_load_dword v142, off, s[0:3], 0 offset:356
	buffer_load_dword v147, off, s[0:3], 0 offset:376
	;; [unrolled: 1-line block ×7, first 2 shown]
	s_waitcnt vmcnt(23) lgkmcnt(0)
	v_fma_f64 v[127:128], v[149:150], v[131:132], v[127:128]
	s_waitcnt vmcnt(18)
	v_fma_f64 v[135:136], v[135:136], v[133:134], v[127:128]
	ds_read2_b64 v[127:130], v126 offset0:99 offset1:100
	ds_read2_b64 v[131:134], v126 offset0:101 offset1:102
	buffer_load_dword v148, off, s[0:3], 0 offset:380
	s_waitcnt vmcnt(18) lgkmcnt(1)
	v_fma_f64 v[127:128], v[159:160], v[127:128], v[135:136]
	s_waitcnt vmcnt(17)
	v_fma_f64 v[127:128], v[157:158], v[129:130], v[127:128]
	buffer_load_dword v136, off, s[0:3], 0 offset:388
	buffer_load_dword v149, off, s[0:3], 0 offset:408
	;; [unrolled: 1-line block ×7, first 2 shown]
	s_waitcnt vmcnt(23) lgkmcnt(0)
	v_fma_f64 v[127:128], v[151:152], v[131:132], v[127:128]
	s_waitcnt vmcnt(18)
	v_fma_f64 v[137:138], v[137:138], v[133:134], v[127:128]
	ds_read2_b64 v[127:130], v126 offset0:103 offset1:104
	ds_read2_b64 v[131:134], v126 offset0:105 offset1:106
	buffer_load_dword v150, off, s[0:3], 0 offset:412
	s_waitcnt vmcnt(18) lgkmcnt(1)
	v_fma_f64 v[127:128], v[145:146], v[127:128], v[137:138]
	s_waitcnt vmcnt(17)
	v_fma_f64 v[127:128], v[143:144], v[129:130], v[127:128]
	buffer_load_dword v138, off, s[0:3], 0 offset:420
	buffer_load_dword v143, off, s[0:3], 0 offset:440
	;; [unrolled: 1-line block ×8, first 2 shown]
	s_waitcnt vmcnt(24) lgkmcnt(0)
	v_fma_f64 v[127:128], v[139:140], v[131:132], v[127:128]
	s_waitcnt vmcnt(19)
	v_fma_f64 v[139:140], v[141:142], v[133:134], v[127:128]
	ds_read2_b64 v[127:130], v126 offset0:107 offset1:108
	ds_read2_b64 v[131:134], v126 offset0:109 offset1:110
	s_waitcnt vmcnt(18) lgkmcnt(1)
	v_fma_f64 v[127:128], v[155:156], v[127:128], v[139:140]
	s_waitcnt vmcnt(17)
	v_fma_f64 v[127:128], v[153:154], v[129:130], v[127:128]
	buffer_load_dword v140, off, s[0:3], 0 offset:452
	buffer_load_dword v141, off, s[0:3], 0 offset:472
	;; [unrolled: 1-line block ×7, first 2 shown]
	s_waitcnt vmcnt(23) lgkmcnt(0)
	v_fma_f64 v[127:128], v[147:148], v[131:132], v[127:128]
	s_waitcnt vmcnt(18)
	v_fma_f64 v[135:136], v[135:136], v[133:134], v[127:128]
	ds_read2_b64 v[127:130], v126 offset0:111 offset1:112
	ds_read2_b64 v[131:134], v126 offset0:113 offset1:114
	buffer_load_dword v142, off, s[0:3], 0 offset:476
	s_waitcnt vmcnt(18) lgkmcnt(1)
	v_fma_f64 v[127:128], v[159:160], v[127:128], v[135:136]
	buffer_load_dword v136, off, s[0:3], 0 offset:484
	buffer_load_dword v147, off, s[0:3], 0 offset:488
	;; [unrolled: 1-line block ×4, first 2 shown]
	s_waitcnt vmcnt(21)
	v_fma_f64 v[127:128], v[157:158], v[129:130], v[127:128]
	s_waitcnt vmcnt(20) lgkmcnt(0)
	v_fma_f64 v[127:128], v[149:150], v[131:132], v[127:128]
	buffer_load_dword v149, off, s[0:3], 0 offset:96
	buffer_load_dword v150, off, s[0:3], 0 offset:100
	s_waitcnt vmcnt(17)
	v_fma_f64 v[137:138], v[137:138], v[133:134], v[127:128]
	ds_read2_b64 v[127:130], v126 offset0:115 offset1:116
	ds_read2_b64 v[131:134], v126 offset0:117 offset1:118
	s_waitcnt vmcnt(16) lgkmcnt(1)
	v_fma_f64 v[127:128], v[151:152], v[127:128], v[137:138]
	s_waitcnt vmcnt(15)
	v_fma_f64 v[127:128], v[145:146], v[129:130], v[127:128]
	s_waitcnt vmcnt(14) lgkmcnt(0)
	v_fma_f64 v[127:128], v[143:144], v[131:132], v[127:128]
	s_waitcnt vmcnt(9)
	v_fma_f64 v[137:138], v[139:140], v[133:134], v[127:128]
	ds_read2_b64 v[127:130], v126 offset0:119 offset1:120
	ds_read2_b64 v[131:134], v126 offset0:121 offset1:122
	s_waitcnt vmcnt(8) lgkmcnt(1)
	v_fma_f64 v[127:128], v[155:156], v[127:128], v[137:138]
	s_waitcnt vmcnt(7)
	v_fma_f64 v[127:128], v[153:154], v[129:130], v[127:128]
	ds_read_b64 v[129:130], v126 offset:984
	s_waitcnt vmcnt(6) lgkmcnt(1)
	v_fma_f64 v[127:128], v[141:142], v[131:132], v[127:128]
	s_waitcnt vmcnt(3)
	v_fma_f64 v[127:128], v[135:136], v[133:134], v[127:128]
	s_waitcnt vmcnt(2) lgkmcnt(0)
	v_fma_f64 v[127:128], v[147:148], v[129:130], v[127:128]
	s_waitcnt vmcnt(0)
	v_add_f64 v[127:128], v[149:150], -v[127:128]
	buffer_store_dword v128, off, s[0:3], 0 offset:100
	buffer_store_dword v127, off, s[0:3], 0 offset:96
	s_and_saveexec_b64 s[4:5], vcc
	s_cbranch_execz .LBB61_357
; %bb.356:
	buffer_load_dword v127, off, s[0:3], 0 offset:88
	buffer_load_dword v128, off, s[0:3], 0 offset:92
	s_waitcnt vmcnt(0)
	ds_write_b64 v125, v[127:128]
	buffer_store_dword v126, off, s[0:3], 0 offset:88
	buffer_store_dword v126, off, s[0:3], 0 offset:92
.LBB61_357:
	s_or_b64 exec, exec, s[4:5]
	s_waitcnt lgkmcnt(0)
	; wave barrier
	buffer_load_dword v135, off, s[0:3], 0 offset:96
	buffer_load_dword v136, off, s[0:3], 0 offset:100
	;; [unrolled: 1-line block ×22, first 2 shown]
	ds_read_b128 v[127:130], v126 offset:592
	ds_read_b128 v[131:134], v126 offset:608
	v_cmp_lt_u32_e32 vcc, 10, v0
	s_waitcnt vmcnt(20) lgkmcnt(1)
	v_fma_f64 v[127:128], v[135:136], v[127:128], 0
	s_waitcnt vmcnt(18)
	v_fma_f64 v[127:128], v[137:138], v[129:130], v[127:128]
	buffer_load_dword v136, off, s[0:3], 0 offset:188
	buffer_load_dword v137, off, s[0:3], 0 offset:208
	;; [unrolled: 1-line block ×7, first 2 shown]
	s_waitcnt vmcnt(23) lgkmcnt(0)
	v_fma_f64 v[127:128], v[139:140], v[131:132], v[127:128]
	s_waitcnt vmcnt(21)
	v_fma_f64 v[138:139], v[141:142], v[133:134], v[127:128]
	ds_read_b128 v[127:130], v126 offset:624
	ds_read_b128 v[131:134], v126 offset:640
	s_waitcnt vmcnt(19) lgkmcnt(1)
	v_fma_f64 v[127:128], v[143:144], v[127:128], v[138:139]
	buffer_load_dword v138, off, s[0:3], 0 offset:212
	s_waitcnt vmcnt(18)
	v_fma_f64 v[127:128], v[145:146], v[129:130], v[127:128]
	buffer_load_dword v140, off, s[0:3], 0 offset:220
	buffer_load_dword v141, off, s[0:3], 0 offset:240
	;; [unrolled: 1-line block ×8, first 2 shown]
	s_waitcnt vmcnt(24) lgkmcnt(0)
	v_fma_f64 v[127:128], v[147:148], v[131:132], v[127:128]
	s_waitcnt vmcnt(19)
	v_fma_f64 v[147:148], v[149:150], v[133:134], v[127:128]
	ds_read_b128 v[127:130], v126 offset:656
	ds_read_b128 v[131:134], v126 offset:672
	s_waitcnt vmcnt(18) lgkmcnt(1)
	v_fma_f64 v[127:128], v[155:156], v[127:128], v[147:148]
	s_waitcnt vmcnt(17)
	v_fma_f64 v[127:128], v[153:154], v[129:130], v[127:128]
	buffer_load_dword v148, off, s[0:3], 0 offset:252
	buffer_load_dword v149, off, s[0:3], 0 offset:272
	;; [unrolled: 1-line block ×8, first 2 shown]
	s_waitcnt vmcnt(24) lgkmcnt(0)
	v_fma_f64 v[127:128], v[151:152], v[131:132], v[127:128]
	s_waitcnt vmcnt(19)
	v_fma_f64 v[135:136], v[135:136], v[133:134], v[127:128]
	ds_read_b128 v[127:130], v126 offset:688
	ds_read_b128 v[131:134], v126 offset:704
	s_waitcnt vmcnt(18) lgkmcnt(1)
	v_fma_f64 v[127:128], v[159:160], v[127:128], v[135:136]
	s_waitcnt vmcnt(17)
	v_fma_f64 v[127:128], v[157:158], v[129:130], v[127:128]
	buffer_load_dword v136, off, s[0:3], 0 offset:284
	buffer_load_dword v151, off, s[0:3], 0 offset:304
	;; [unrolled: 1-line block ×7, first 2 shown]
	s_waitcnt vmcnt(23) lgkmcnt(0)
	v_fma_f64 v[127:128], v[137:138], v[131:132], v[127:128]
	s_waitcnt vmcnt(18)
	v_fma_f64 v[137:138], v[139:140], v[133:134], v[127:128]
	ds_read_b128 v[127:130], v126 offset:720
	ds_read_b128 v[131:134], v126 offset:736
	buffer_load_dword v152, off, s[0:3], 0 offset:308
	s_waitcnt vmcnt(18) lgkmcnt(1)
	v_fma_f64 v[127:128], v[145:146], v[127:128], v[137:138]
	s_waitcnt vmcnt(17)
	v_fma_f64 v[127:128], v[143:144], v[129:130], v[127:128]
	buffer_load_dword v138, off, s[0:3], 0 offset:316
	buffer_load_dword v139, off, s[0:3], 0 offset:336
	;; [unrolled: 1-line block ×7, first 2 shown]
	s_waitcnt vmcnt(23) lgkmcnt(0)
	v_fma_f64 v[127:128], v[141:142], v[131:132], v[127:128]
	s_waitcnt vmcnt(18)
	v_fma_f64 v[140:141], v[147:148], v[133:134], v[127:128]
	ds_read_b128 v[127:130], v126 offset:752
	ds_read_b128 v[131:134], v126 offset:768
	s_waitcnt vmcnt(17) lgkmcnt(1)
	v_fma_f64 v[127:128], v[155:156], v[127:128], v[140:141]
	buffer_load_dword v140, off, s[0:3], 0 offset:340
	s_waitcnt vmcnt(17)
	v_fma_f64 v[127:128], v[153:154], v[129:130], v[127:128]
	buffer_load_dword v142, off, s[0:3], 0 offset:348
	buffer_load_dword v147, off, s[0:3], 0 offset:368
	;; [unrolled: 1-line block ×8, first 2 shown]
	s_waitcnt vmcnt(24) lgkmcnt(0)
	v_fma_f64 v[127:128], v[149:150], v[131:132], v[127:128]
	s_waitcnt vmcnt(19)
	v_fma_f64 v[135:136], v[135:136], v[133:134], v[127:128]
	ds_read_b128 v[127:130], v126 offset:784
	ds_read_b128 v[131:134], v126 offset:800
	s_waitcnt vmcnt(18) lgkmcnt(1)
	v_fma_f64 v[127:128], v[159:160], v[127:128], v[135:136]
	s_waitcnt vmcnt(17)
	v_fma_f64 v[127:128], v[157:158], v[129:130], v[127:128]
	buffer_load_dword v136, off, s[0:3], 0 offset:380
	buffer_load_dword v149, off, s[0:3], 0 offset:400
	;; [unrolled: 1-line block ×7, first 2 shown]
	s_waitcnt vmcnt(23) lgkmcnt(0)
	v_fma_f64 v[127:128], v[151:152], v[131:132], v[127:128]
	s_waitcnt vmcnt(18)
	v_fma_f64 v[137:138], v[137:138], v[133:134], v[127:128]
	ds_read_b128 v[127:130], v126 offset:816
	ds_read_b128 v[131:134], v126 offset:832
	buffer_load_dword v150, off, s[0:3], 0 offset:404
	s_waitcnt vmcnt(18) lgkmcnt(1)
	v_fma_f64 v[127:128], v[145:146], v[127:128], v[137:138]
	s_waitcnt vmcnt(17)
	v_fma_f64 v[127:128], v[143:144], v[129:130], v[127:128]
	buffer_load_dword v138, off, s[0:3], 0 offset:412
	buffer_load_dword v143, off, s[0:3], 0 offset:432
	;; [unrolled: 1-line block ×8, first 2 shown]
	s_waitcnt vmcnt(24) lgkmcnt(0)
	v_fma_f64 v[127:128], v[139:140], v[131:132], v[127:128]
	s_waitcnt vmcnt(19)
	v_fma_f64 v[139:140], v[141:142], v[133:134], v[127:128]
	ds_read_b128 v[127:130], v126 offset:848
	ds_read_b128 v[131:134], v126 offset:864
	s_waitcnt vmcnt(18) lgkmcnt(1)
	v_fma_f64 v[127:128], v[155:156], v[127:128], v[139:140]
	s_waitcnt vmcnt(17)
	v_fma_f64 v[127:128], v[153:154], v[129:130], v[127:128]
	buffer_load_dword v140, off, s[0:3], 0 offset:444
	buffer_load_dword v141, off, s[0:3], 0 offset:464
	;; [unrolled: 1-line block ×8, first 2 shown]
	s_waitcnt vmcnt(24) lgkmcnt(0)
	v_fma_f64 v[127:128], v[147:148], v[131:132], v[127:128]
	s_waitcnt vmcnt(19)
	v_fma_f64 v[135:136], v[135:136], v[133:134], v[127:128]
	ds_read_b128 v[127:130], v126 offset:880
	ds_read_b128 v[131:134], v126 offset:896
	s_waitcnt vmcnt(18) lgkmcnt(1)
	v_fma_f64 v[127:128], v[159:160], v[127:128], v[135:136]
	s_waitcnt vmcnt(17)
	v_fma_f64 v[127:128], v[157:158], v[129:130], v[127:128]
	buffer_load_dword v136, off, s[0:3], 0 offset:476
	buffer_load_dword v147, off, s[0:3], 0 offset:488
	;; [unrolled: 1-line block ×6, first 2 shown]
	s_waitcnt vmcnt(22) lgkmcnt(0)
	v_fma_f64 v[127:128], v[149:150], v[131:132], v[127:128]
	s_waitcnt vmcnt(17)
	v_fma_f64 v[137:138], v[137:138], v[133:134], v[127:128]
	ds_read_b128 v[127:130], v126 offset:912
	buffer_load_dword v149, off, s[0:3], 0 offset:88
	buffer_load_dword v150, off, s[0:3], 0 offset:92
	ds_read_b128 v[131:134], v126 offset:928
	s_waitcnt vmcnt(18) lgkmcnt(1)
	v_fma_f64 v[127:128], v[151:152], v[127:128], v[137:138]
	s_waitcnt vmcnt(17)
	v_fma_f64 v[127:128], v[145:146], v[129:130], v[127:128]
	s_waitcnt vmcnt(16) lgkmcnt(0)
	v_fma_f64 v[127:128], v[143:144], v[131:132], v[127:128]
	s_waitcnt vmcnt(11)
	v_fma_f64 v[137:138], v[139:140], v[133:134], v[127:128]
	ds_read_b128 v[127:130], v126 offset:944
	ds_read_b128 v[131:134], v126 offset:960
	s_waitcnt vmcnt(10) lgkmcnt(1)
	v_fma_f64 v[127:128], v[155:156], v[127:128], v[137:138]
	s_waitcnt vmcnt(9)
	v_fma_f64 v[127:128], v[153:154], v[129:130], v[127:128]
	s_waitcnt vmcnt(8) lgkmcnt(0)
	v_fma_f64 v[127:128], v[141:142], v[131:132], v[127:128]
	s_waitcnt vmcnt(4)
	v_fma_f64 v[130:131], v[135:136], v[133:134], v[127:128]
	ds_read_b128 v[126:129], v126 offset:976
	s_waitcnt vmcnt(3) lgkmcnt(0)
	v_fma_f64 v[126:127], v[157:158], v[126:127], v[130:131]
	s_waitcnt vmcnt(2)
	v_fma_f64 v[126:127], v[147:148], v[128:129], v[126:127]
	s_waitcnt vmcnt(0)
	v_add_f64 v[126:127], v[149:150], -v[126:127]
	buffer_store_dword v127, off, s[0:3], 0 offset:92
	buffer_store_dword v126, off, s[0:3], 0 offset:88
	s_and_saveexec_b64 s[4:5], vcc
	s_cbranch_execz .LBB61_359
; %bb.358:
	buffer_load_dword v126, off, s[0:3], 0 offset:80
	buffer_load_dword v127, off, s[0:3], 0 offset:84
	v_mov_b32_e32 v128, 0
	buffer_store_dword v128, off, s[0:3], 0 offset:80
	buffer_store_dword v128, off, s[0:3], 0 offset:84
	s_waitcnt vmcnt(2)
	ds_write_b64 v125, v[126:127]
.LBB61_359:
	s_or_b64 exec, exec, s[4:5]
	s_waitcnt lgkmcnt(0)
	; wave barrier
	buffer_load_dword v135, off, s[0:3], 0 offset:88
	buffer_load_dword v136, off, s[0:3], 0 offset:92
	;; [unrolled: 1-line block ×22, first 2 shown]
	v_mov_b32_e32 v126, 0
	ds_read2_b64 v[127:130], v126 offset0:73 offset1:74
	ds_read2_b64 v[131:134], v126 offset0:75 offset1:76
	v_cmp_lt_u32_e32 vcc, 9, v0
	s_waitcnt vmcnt(20) lgkmcnt(1)
	v_fma_f64 v[127:128], v[135:136], v[127:128], 0
	s_waitcnt vmcnt(18)
	v_fma_f64 v[127:128], v[137:138], v[129:130], v[127:128]
	buffer_load_dword v136, off, s[0:3], 0 offset:180
	buffer_load_dword v137, off, s[0:3], 0 offset:200
	;; [unrolled: 1-line block ×7, first 2 shown]
	s_waitcnt vmcnt(23) lgkmcnt(0)
	v_fma_f64 v[127:128], v[139:140], v[131:132], v[127:128]
	s_waitcnt vmcnt(21)
	v_fma_f64 v[138:139], v[141:142], v[133:134], v[127:128]
	ds_read2_b64 v[127:130], v126 offset0:77 offset1:78
	ds_read2_b64 v[131:134], v126 offset0:79 offset1:80
	s_waitcnt vmcnt(19) lgkmcnt(1)
	v_fma_f64 v[127:128], v[143:144], v[127:128], v[138:139]
	buffer_load_dword v138, off, s[0:3], 0 offset:204
	s_waitcnt vmcnt(18)
	v_fma_f64 v[127:128], v[145:146], v[129:130], v[127:128]
	buffer_load_dword v140, off, s[0:3], 0 offset:212
	buffer_load_dword v141, off, s[0:3], 0 offset:232
	;; [unrolled: 1-line block ×8, first 2 shown]
	s_waitcnt vmcnt(24) lgkmcnt(0)
	v_fma_f64 v[127:128], v[147:148], v[131:132], v[127:128]
	s_waitcnt vmcnt(19)
	v_fma_f64 v[147:148], v[149:150], v[133:134], v[127:128]
	ds_read2_b64 v[127:130], v126 offset0:81 offset1:82
	ds_read2_b64 v[131:134], v126 offset0:83 offset1:84
	s_waitcnt vmcnt(18) lgkmcnt(1)
	v_fma_f64 v[127:128], v[155:156], v[127:128], v[147:148]
	s_waitcnt vmcnt(17)
	v_fma_f64 v[127:128], v[153:154], v[129:130], v[127:128]
	buffer_load_dword v148, off, s[0:3], 0 offset:244
	buffer_load_dword v149, off, s[0:3], 0 offset:264
	;; [unrolled: 1-line block ×8, first 2 shown]
	s_waitcnt vmcnt(24) lgkmcnt(0)
	v_fma_f64 v[127:128], v[151:152], v[131:132], v[127:128]
	s_waitcnt vmcnt(19)
	v_fma_f64 v[135:136], v[135:136], v[133:134], v[127:128]
	ds_read2_b64 v[127:130], v126 offset0:85 offset1:86
	ds_read2_b64 v[131:134], v126 offset0:87 offset1:88
	s_waitcnt vmcnt(18) lgkmcnt(1)
	v_fma_f64 v[127:128], v[159:160], v[127:128], v[135:136]
	s_waitcnt vmcnt(17)
	v_fma_f64 v[127:128], v[157:158], v[129:130], v[127:128]
	buffer_load_dword v136, off, s[0:3], 0 offset:276
	buffer_load_dword v151, off, s[0:3], 0 offset:296
	;; [unrolled: 1-line block ×7, first 2 shown]
	s_waitcnt vmcnt(23) lgkmcnt(0)
	v_fma_f64 v[127:128], v[137:138], v[131:132], v[127:128]
	s_waitcnt vmcnt(18)
	v_fma_f64 v[137:138], v[139:140], v[133:134], v[127:128]
	ds_read2_b64 v[127:130], v126 offset0:89 offset1:90
	ds_read2_b64 v[131:134], v126 offset0:91 offset1:92
	buffer_load_dword v152, off, s[0:3], 0 offset:300
	s_waitcnt vmcnt(18) lgkmcnt(1)
	v_fma_f64 v[127:128], v[145:146], v[127:128], v[137:138]
	s_waitcnt vmcnt(17)
	v_fma_f64 v[127:128], v[143:144], v[129:130], v[127:128]
	buffer_load_dword v138, off, s[0:3], 0 offset:308
	buffer_load_dword v139, off, s[0:3], 0 offset:328
	;; [unrolled: 1-line block ×7, first 2 shown]
	s_waitcnt vmcnt(23) lgkmcnt(0)
	v_fma_f64 v[127:128], v[141:142], v[131:132], v[127:128]
	s_waitcnt vmcnt(18)
	v_fma_f64 v[140:141], v[147:148], v[133:134], v[127:128]
	ds_read2_b64 v[127:130], v126 offset0:93 offset1:94
	ds_read2_b64 v[131:134], v126 offset0:95 offset1:96
	s_waitcnt vmcnt(17) lgkmcnt(1)
	v_fma_f64 v[127:128], v[155:156], v[127:128], v[140:141]
	buffer_load_dword v140, off, s[0:3], 0 offset:332
	s_waitcnt vmcnt(17)
	v_fma_f64 v[127:128], v[153:154], v[129:130], v[127:128]
	buffer_load_dword v142, off, s[0:3], 0 offset:340
	buffer_load_dword v147, off, s[0:3], 0 offset:360
	;; [unrolled: 1-line block ×8, first 2 shown]
	s_waitcnt vmcnt(24) lgkmcnt(0)
	v_fma_f64 v[127:128], v[149:150], v[131:132], v[127:128]
	s_waitcnt vmcnt(19)
	v_fma_f64 v[135:136], v[135:136], v[133:134], v[127:128]
	ds_read2_b64 v[127:130], v126 offset0:97 offset1:98
	ds_read2_b64 v[131:134], v126 offset0:99 offset1:100
	s_waitcnt vmcnt(18) lgkmcnt(1)
	v_fma_f64 v[127:128], v[159:160], v[127:128], v[135:136]
	s_waitcnt vmcnt(17)
	v_fma_f64 v[127:128], v[157:158], v[129:130], v[127:128]
	buffer_load_dword v136, off, s[0:3], 0 offset:372
	buffer_load_dword v149, off, s[0:3], 0 offset:392
	;; [unrolled: 1-line block ×7, first 2 shown]
	s_waitcnt vmcnt(23) lgkmcnt(0)
	v_fma_f64 v[127:128], v[151:152], v[131:132], v[127:128]
	s_waitcnt vmcnt(18)
	v_fma_f64 v[137:138], v[137:138], v[133:134], v[127:128]
	ds_read2_b64 v[127:130], v126 offset0:101 offset1:102
	ds_read2_b64 v[131:134], v126 offset0:103 offset1:104
	buffer_load_dword v150, off, s[0:3], 0 offset:396
	s_waitcnt vmcnt(18) lgkmcnt(1)
	v_fma_f64 v[127:128], v[145:146], v[127:128], v[137:138]
	s_waitcnt vmcnt(17)
	v_fma_f64 v[127:128], v[143:144], v[129:130], v[127:128]
	buffer_load_dword v138, off, s[0:3], 0 offset:404
	buffer_load_dword v143, off, s[0:3], 0 offset:424
	buffer_load_dword v145, off, s[0:3], 0 offset:416
	buffer_load_dword v151, off, s[0:3], 0 offset:408
	buffer_load_dword v137, off, s[0:3], 0 offset:400
	buffer_load_dword v152, off, s[0:3], 0 offset:412
	buffer_load_dword v146, off, s[0:3], 0 offset:420
	buffer_load_dword v144, off, s[0:3], 0 offset:428
	s_waitcnt vmcnt(24) lgkmcnt(0)
	v_fma_f64 v[127:128], v[139:140], v[131:132], v[127:128]
	s_waitcnt vmcnt(19)
	v_fma_f64 v[139:140], v[141:142], v[133:134], v[127:128]
	ds_read2_b64 v[127:130], v126 offset0:105 offset1:106
	ds_read2_b64 v[131:134], v126 offset0:107 offset1:108
	s_waitcnt vmcnt(18) lgkmcnt(1)
	v_fma_f64 v[127:128], v[155:156], v[127:128], v[139:140]
	s_waitcnt vmcnt(17)
	v_fma_f64 v[127:128], v[153:154], v[129:130], v[127:128]
	buffer_load_dword v140, off, s[0:3], 0 offset:436
	buffer_load_dword v141, off, s[0:3], 0 offset:456
	buffer_load_dword v153, off, s[0:3], 0 offset:448
	buffer_load_dword v155, off, s[0:3], 0 offset:440
	buffer_load_dword v139, off, s[0:3], 0 offset:432
	buffer_load_dword v156, off, s[0:3], 0 offset:444
	buffer_load_dword v154, off, s[0:3], 0 offset:452
	buffer_load_dword v142, off, s[0:3], 0 offset:460
	s_waitcnt vmcnt(24) lgkmcnt(0)
	v_fma_f64 v[127:128], v[147:148], v[131:132], v[127:128]
	s_waitcnt vmcnt(19)
	v_fma_f64 v[135:136], v[135:136], v[133:134], v[127:128]
	ds_read2_b64 v[127:130], v126 offset0:109 offset1:110
	ds_read2_b64 v[131:134], v126 offset0:111 offset1:112
	;; [unrolled: 18-line block ×3, first 2 shown]
	s_waitcnt vmcnt(18) lgkmcnt(1)
	v_fma_f64 v[127:128], v[151:152], v[127:128], v[137:138]
	buffer_load_dword v137, off, s[0:3], 0 offset:80
	buffer_load_dword v138, off, s[0:3], 0 offset:84
	s_waitcnt vmcnt(19)
	v_fma_f64 v[127:128], v[145:146], v[129:130], v[127:128]
	s_waitcnt vmcnt(18) lgkmcnt(0)
	v_fma_f64 v[127:128], v[143:144], v[131:132], v[127:128]
	s_waitcnt vmcnt(13)
	v_fma_f64 v[139:140], v[139:140], v[133:134], v[127:128]
	ds_read2_b64 v[127:130], v126 offset0:117 offset1:118
	ds_read2_b64 v[131:134], v126 offset0:119 offset1:120
	s_waitcnt vmcnt(12) lgkmcnt(1)
	v_fma_f64 v[127:128], v[155:156], v[127:128], v[139:140]
	s_waitcnt vmcnt(11)
	v_fma_f64 v[127:128], v[153:154], v[129:130], v[127:128]
	s_waitcnt vmcnt(10) lgkmcnt(0)
	v_fma_f64 v[127:128], v[141:142], v[131:132], v[127:128]
	s_waitcnt vmcnt(5)
	v_fma_f64 v[131:132], v[135:136], v[133:134], v[127:128]
	ds_read2_b64 v[127:130], v126 offset0:121 offset1:122
	ds_read_b64 v[133:134], v126 offset:984
	s_waitcnt vmcnt(4) lgkmcnt(1)
	v_fma_f64 v[127:128], v[159:160], v[127:128], v[131:132]
	s_waitcnt vmcnt(3)
	v_fma_f64 v[127:128], v[157:158], v[129:130], v[127:128]
	s_waitcnt vmcnt(2) lgkmcnt(0)
	v_fma_f64 v[127:128], v[147:148], v[133:134], v[127:128]
	s_waitcnt vmcnt(0)
	v_add_f64 v[127:128], v[137:138], -v[127:128]
	buffer_store_dword v128, off, s[0:3], 0 offset:84
	buffer_store_dword v127, off, s[0:3], 0 offset:80
	s_and_saveexec_b64 s[4:5], vcc
	s_cbranch_execz .LBB61_361
; %bb.360:
	buffer_load_dword v127, off, s[0:3], 0 offset:72
	buffer_load_dword v128, off, s[0:3], 0 offset:76
	s_waitcnt vmcnt(0)
	ds_write_b64 v125, v[127:128]
	buffer_store_dword v126, off, s[0:3], 0 offset:72
	buffer_store_dword v126, off, s[0:3], 0 offset:76
.LBB61_361:
	s_or_b64 exec, exec, s[4:5]
	s_waitcnt lgkmcnt(0)
	; wave barrier
	buffer_load_dword v135, off, s[0:3], 0 offset:80
	buffer_load_dword v136, off, s[0:3], 0 offset:84
	;; [unrolled: 1-line block ×22, first 2 shown]
	ds_read_b128 v[127:130], v126 offset:576
	ds_read_b128 v[131:134], v126 offset:592
	v_cmp_lt_u32_e32 vcc, 8, v0
	s_waitcnt vmcnt(20) lgkmcnt(1)
	v_fma_f64 v[127:128], v[135:136], v[127:128], 0
	s_waitcnt vmcnt(18)
	v_fma_f64 v[127:128], v[137:138], v[129:130], v[127:128]
	buffer_load_dword v136, off, s[0:3], 0 offset:172
	buffer_load_dword v137, off, s[0:3], 0 offset:192
	buffer_load_dword v157, off, s[0:3], 0 offset:184
	buffer_load_dword v159, off, s[0:3], 0 offset:176
	buffer_load_dword v135, off, s[0:3], 0 offset:168
	buffer_load_dword v160, off, s[0:3], 0 offset:180
	buffer_load_dword v158, off, s[0:3], 0 offset:188
	s_waitcnt vmcnt(23) lgkmcnt(0)
	v_fma_f64 v[127:128], v[139:140], v[131:132], v[127:128]
	s_waitcnt vmcnt(21)
	v_fma_f64 v[138:139], v[141:142], v[133:134], v[127:128]
	ds_read_b128 v[127:130], v126 offset:608
	ds_read_b128 v[131:134], v126 offset:624
	s_waitcnt vmcnt(19) lgkmcnt(1)
	v_fma_f64 v[127:128], v[143:144], v[127:128], v[138:139]
	buffer_load_dword v138, off, s[0:3], 0 offset:196
	s_waitcnt vmcnt(18)
	v_fma_f64 v[127:128], v[145:146], v[129:130], v[127:128]
	buffer_load_dword v140, off, s[0:3], 0 offset:204
	buffer_load_dword v141, off, s[0:3], 0 offset:224
	;; [unrolled: 1-line block ×8, first 2 shown]
	s_waitcnt vmcnt(24) lgkmcnt(0)
	v_fma_f64 v[127:128], v[147:148], v[131:132], v[127:128]
	s_waitcnt vmcnt(19)
	v_fma_f64 v[147:148], v[149:150], v[133:134], v[127:128]
	ds_read_b128 v[127:130], v126 offset:640
	ds_read_b128 v[131:134], v126 offset:656
	s_waitcnt vmcnt(18) lgkmcnt(1)
	v_fma_f64 v[127:128], v[155:156], v[127:128], v[147:148]
	s_waitcnt vmcnt(17)
	v_fma_f64 v[127:128], v[153:154], v[129:130], v[127:128]
	buffer_load_dword v148, off, s[0:3], 0 offset:236
	buffer_load_dword v149, off, s[0:3], 0 offset:256
	;; [unrolled: 1-line block ×8, first 2 shown]
	s_waitcnt vmcnt(24) lgkmcnt(0)
	v_fma_f64 v[127:128], v[151:152], v[131:132], v[127:128]
	s_waitcnt vmcnt(19)
	v_fma_f64 v[135:136], v[135:136], v[133:134], v[127:128]
	ds_read_b128 v[127:130], v126 offset:672
	ds_read_b128 v[131:134], v126 offset:688
	s_waitcnt vmcnt(18) lgkmcnt(1)
	v_fma_f64 v[127:128], v[159:160], v[127:128], v[135:136]
	s_waitcnt vmcnt(17)
	v_fma_f64 v[127:128], v[157:158], v[129:130], v[127:128]
	buffer_load_dword v136, off, s[0:3], 0 offset:268
	buffer_load_dword v151, off, s[0:3], 0 offset:288
	;; [unrolled: 1-line block ×7, first 2 shown]
	s_waitcnt vmcnt(23) lgkmcnt(0)
	v_fma_f64 v[127:128], v[137:138], v[131:132], v[127:128]
	s_waitcnt vmcnt(18)
	v_fma_f64 v[137:138], v[139:140], v[133:134], v[127:128]
	ds_read_b128 v[127:130], v126 offset:704
	ds_read_b128 v[131:134], v126 offset:720
	buffer_load_dword v152, off, s[0:3], 0 offset:292
	s_waitcnt vmcnt(18) lgkmcnt(1)
	v_fma_f64 v[127:128], v[145:146], v[127:128], v[137:138]
	s_waitcnt vmcnt(17)
	v_fma_f64 v[127:128], v[143:144], v[129:130], v[127:128]
	buffer_load_dword v138, off, s[0:3], 0 offset:300
	buffer_load_dword v139, off, s[0:3], 0 offset:320
	buffer_load_dword v143, off, s[0:3], 0 offset:312
	buffer_load_dword v145, off, s[0:3], 0 offset:304
	buffer_load_dword v137, off, s[0:3], 0 offset:296
	buffer_load_dword v146, off, s[0:3], 0 offset:308
	buffer_load_dword v144, off, s[0:3], 0 offset:316
	s_waitcnt vmcnt(23) lgkmcnt(0)
	v_fma_f64 v[127:128], v[141:142], v[131:132], v[127:128]
	s_waitcnt vmcnt(18)
	v_fma_f64 v[140:141], v[147:148], v[133:134], v[127:128]
	ds_read_b128 v[127:130], v126 offset:736
	ds_read_b128 v[131:134], v126 offset:752
	s_waitcnt vmcnt(17) lgkmcnt(1)
	v_fma_f64 v[127:128], v[155:156], v[127:128], v[140:141]
	buffer_load_dword v140, off, s[0:3], 0 offset:324
	s_waitcnt vmcnt(17)
	v_fma_f64 v[127:128], v[153:154], v[129:130], v[127:128]
	buffer_load_dword v142, off, s[0:3], 0 offset:332
	buffer_load_dword v147, off, s[0:3], 0 offset:352
	;; [unrolled: 1-line block ×8, first 2 shown]
	s_waitcnt vmcnt(24) lgkmcnt(0)
	v_fma_f64 v[127:128], v[149:150], v[131:132], v[127:128]
	s_waitcnt vmcnt(19)
	v_fma_f64 v[135:136], v[135:136], v[133:134], v[127:128]
	ds_read_b128 v[127:130], v126 offset:768
	ds_read_b128 v[131:134], v126 offset:784
	s_waitcnt vmcnt(18) lgkmcnt(1)
	v_fma_f64 v[127:128], v[159:160], v[127:128], v[135:136]
	s_waitcnt vmcnt(17)
	v_fma_f64 v[127:128], v[157:158], v[129:130], v[127:128]
	buffer_load_dword v136, off, s[0:3], 0 offset:364
	buffer_load_dword v149, off, s[0:3], 0 offset:384
	;; [unrolled: 1-line block ×7, first 2 shown]
	s_waitcnt vmcnt(23) lgkmcnt(0)
	v_fma_f64 v[127:128], v[151:152], v[131:132], v[127:128]
	s_waitcnt vmcnt(18)
	v_fma_f64 v[137:138], v[137:138], v[133:134], v[127:128]
	ds_read_b128 v[127:130], v126 offset:800
	ds_read_b128 v[131:134], v126 offset:816
	buffer_load_dword v150, off, s[0:3], 0 offset:388
	s_waitcnt vmcnt(18) lgkmcnt(1)
	v_fma_f64 v[127:128], v[145:146], v[127:128], v[137:138]
	s_waitcnt vmcnt(17)
	v_fma_f64 v[127:128], v[143:144], v[129:130], v[127:128]
	buffer_load_dword v138, off, s[0:3], 0 offset:396
	buffer_load_dword v143, off, s[0:3], 0 offset:416
	buffer_load_dword v145, off, s[0:3], 0 offset:408
	buffer_load_dword v151, off, s[0:3], 0 offset:400
	buffer_load_dword v137, off, s[0:3], 0 offset:392
	buffer_load_dword v152, off, s[0:3], 0 offset:404
	buffer_load_dword v146, off, s[0:3], 0 offset:412
	buffer_load_dword v144, off, s[0:3], 0 offset:420
	s_waitcnt vmcnt(24) lgkmcnt(0)
	v_fma_f64 v[127:128], v[139:140], v[131:132], v[127:128]
	s_waitcnt vmcnt(19)
	v_fma_f64 v[139:140], v[141:142], v[133:134], v[127:128]
	ds_read_b128 v[127:130], v126 offset:832
	ds_read_b128 v[131:134], v126 offset:848
	s_waitcnt vmcnt(18) lgkmcnt(1)
	v_fma_f64 v[127:128], v[155:156], v[127:128], v[139:140]
	s_waitcnt vmcnt(17)
	v_fma_f64 v[127:128], v[153:154], v[129:130], v[127:128]
	buffer_load_dword v140, off, s[0:3], 0 offset:428
	buffer_load_dword v141, off, s[0:3], 0 offset:448
	buffer_load_dword v153, off, s[0:3], 0 offset:440
	buffer_load_dword v155, off, s[0:3], 0 offset:432
	buffer_load_dword v139, off, s[0:3], 0 offset:424
	buffer_load_dword v156, off, s[0:3], 0 offset:436
	buffer_load_dword v154, off, s[0:3], 0 offset:444
	buffer_load_dword v142, off, s[0:3], 0 offset:452
	s_waitcnt vmcnt(24) lgkmcnt(0)
	v_fma_f64 v[127:128], v[147:148], v[131:132], v[127:128]
	s_waitcnt vmcnt(19)
	v_fma_f64 v[135:136], v[135:136], v[133:134], v[127:128]
	ds_read_b128 v[127:130], v126 offset:864
	ds_read_b128 v[131:134], v126 offset:880
	;; [unrolled: 18-line block ×3, first 2 shown]
	s_waitcnt vmcnt(18) lgkmcnt(1)
	v_fma_f64 v[127:128], v[151:152], v[127:128], v[137:138]
	buffer_load_dword v138, off, s[0:3], 0 offset:492
	buffer_load_dword v137, off, s[0:3], 0 offset:488
	s_waitcnt vmcnt(19)
	v_fma_f64 v[127:128], v[145:146], v[129:130], v[127:128]
	buffer_load_dword v145, off, s[0:3], 0 offset:72
	buffer_load_dword v146, off, s[0:3], 0 offset:76
	s_waitcnt vmcnt(20) lgkmcnt(0)
	v_fma_f64 v[127:128], v[143:144], v[131:132], v[127:128]
	s_waitcnt vmcnt(15)
	v_fma_f64 v[139:140], v[139:140], v[133:134], v[127:128]
	ds_read_b128 v[127:130], v126 offset:928
	ds_read_b128 v[131:134], v126 offset:944
	s_waitcnt vmcnt(14) lgkmcnt(1)
	v_fma_f64 v[127:128], v[155:156], v[127:128], v[139:140]
	s_waitcnt vmcnt(13)
	v_fma_f64 v[127:128], v[153:154], v[129:130], v[127:128]
	s_waitcnt vmcnt(12) lgkmcnt(0)
	v_fma_f64 v[127:128], v[141:142], v[131:132], v[127:128]
	s_waitcnt vmcnt(7)
	v_fma_f64 v[135:136], v[135:136], v[133:134], v[127:128]
	ds_read_b128 v[127:130], v126 offset:960
	ds_read_b128 v[131:134], v126 offset:976
	s_waitcnt vmcnt(6) lgkmcnt(1)
	v_fma_f64 v[126:127], v[159:160], v[127:128], v[135:136]
	s_waitcnt vmcnt(5)
	v_fma_f64 v[126:127], v[157:158], v[129:130], v[126:127]
	s_waitcnt vmcnt(4) lgkmcnt(0)
	v_fma_f64 v[126:127], v[147:148], v[131:132], v[126:127]
	s_waitcnt vmcnt(2)
	v_fma_f64 v[126:127], v[137:138], v[133:134], v[126:127]
	s_waitcnt vmcnt(0)
	v_add_f64 v[126:127], v[145:146], -v[126:127]
	buffer_store_dword v127, off, s[0:3], 0 offset:76
	buffer_store_dword v126, off, s[0:3], 0 offset:72
	s_and_saveexec_b64 s[4:5], vcc
	s_cbranch_execz .LBB61_363
; %bb.362:
	buffer_load_dword v126, off, s[0:3], 0 offset:64
	buffer_load_dword v127, off, s[0:3], 0 offset:68
	v_mov_b32_e32 v128, 0
	buffer_store_dword v128, off, s[0:3], 0 offset:64
	buffer_store_dword v128, off, s[0:3], 0 offset:68
	s_waitcnt vmcnt(2)
	ds_write_b64 v125, v[126:127]
.LBB61_363:
	s_or_b64 exec, exec, s[4:5]
	s_waitcnt lgkmcnt(0)
	; wave barrier
	buffer_load_dword v135, off, s[0:3], 0 offset:72
	buffer_load_dword v136, off, s[0:3], 0 offset:76
	;; [unrolled: 1-line block ×22, first 2 shown]
	v_mov_b32_e32 v126, 0
	ds_read2_b64 v[127:130], v126 offset0:71 offset1:72
	ds_read2_b64 v[131:134], v126 offset0:73 offset1:74
	v_cmp_lt_u32_e32 vcc, 7, v0
	s_waitcnt vmcnt(20) lgkmcnt(1)
	v_fma_f64 v[127:128], v[135:136], v[127:128], 0
	s_waitcnt vmcnt(18)
	v_fma_f64 v[127:128], v[137:138], v[129:130], v[127:128]
	buffer_load_dword v136, off, s[0:3], 0 offset:164
	buffer_load_dword v137, off, s[0:3], 0 offset:184
	;; [unrolled: 1-line block ×7, first 2 shown]
	s_waitcnt vmcnt(23) lgkmcnt(0)
	v_fma_f64 v[127:128], v[139:140], v[131:132], v[127:128]
	s_waitcnt vmcnt(21)
	v_fma_f64 v[138:139], v[141:142], v[133:134], v[127:128]
	ds_read2_b64 v[127:130], v126 offset0:75 offset1:76
	ds_read2_b64 v[131:134], v126 offset0:77 offset1:78
	s_waitcnt vmcnt(19) lgkmcnt(1)
	v_fma_f64 v[127:128], v[143:144], v[127:128], v[138:139]
	buffer_load_dword v138, off, s[0:3], 0 offset:188
	s_waitcnt vmcnt(18)
	v_fma_f64 v[127:128], v[145:146], v[129:130], v[127:128]
	buffer_load_dword v140, off, s[0:3], 0 offset:196
	buffer_load_dword v141, off, s[0:3], 0 offset:216
	;; [unrolled: 1-line block ×7, first 2 shown]
	s_waitcnt vmcnt(23) lgkmcnt(0)
	v_fma_f64 v[127:128], v[147:148], v[131:132], v[127:128]
	s_waitcnt vmcnt(18)
	v_fma_f64 v[147:148], v[149:150], v[133:134], v[127:128]
	ds_read2_b64 v[127:130], v126 offset0:79 offset1:80
	ds_read2_b64 v[131:134], v126 offset0:81 offset1:82
	buffer_load_dword v142, off, s[0:3], 0 offset:220
	s_waitcnt vmcnt(18) lgkmcnt(1)
	v_fma_f64 v[127:128], v[155:156], v[127:128], v[147:148]
	s_waitcnt vmcnt(17)
	v_fma_f64 v[127:128], v[153:154], v[129:130], v[127:128]
	buffer_load_dword v148, off, s[0:3], 0 offset:228
	buffer_load_dword v149, off, s[0:3], 0 offset:248
	buffer_load_dword v153, off, s[0:3], 0 offset:240
	buffer_load_dword v155, off, s[0:3], 0 offset:232
	buffer_load_dword v147, off, s[0:3], 0 offset:224
	buffer_load_dword v156, off, s[0:3], 0 offset:236
	buffer_load_dword v154, off, s[0:3], 0 offset:244
	buffer_load_dword v150, off, s[0:3], 0 offset:252
	s_waitcnt vmcnt(24) lgkmcnt(0)
	v_fma_f64 v[127:128], v[151:152], v[131:132], v[127:128]
	s_waitcnt vmcnt(19)
	v_fma_f64 v[135:136], v[135:136], v[133:134], v[127:128]
	ds_read2_b64 v[127:130], v126 offset0:83 offset1:84
	ds_read2_b64 v[131:134], v126 offset0:85 offset1:86
	s_waitcnt vmcnt(18) lgkmcnt(1)
	v_fma_f64 v[127:128], v[159:160], v[127:128], v[135:136]
	s_waitcnt vmcnt(17)
	v_fma_f64 v[127:128], v[157:158], v[129:130], v[127:128]
	buffer_load_dword v136, off, s[0:3], 0 offset:260
	buffer_load_dword v151, off, s[0:3], 0 offset:280
	;; [unrolled: 1-line block ×7, first 2 shown]
	s_waitcnt vmcnt(23) lgkmcnt(0)
	v_fma_f64 v[127:128], v[137:138], v[131:132], v[127:128]
	s_waitcnt vmcnt(18)
	v_fma_f64 v[137:138], v[139:140], v[133:134], v[127:128]
	ds_read2_b64 v[127:130], v126 offset0:87 offset1:88
	ds_read2_b64 v[131:134], v126 offset0:89 offset1:90
	buffer_load_dword v152, off, s[0:3], 0 offset:284
	s_waitcnt vmcnt(18) lgkmcnt(1)
	v_fma_f64 v[127:128], v[145:146], v[127:128], v[137:138]
	s_waitcnt vmcnt(17)
	v_fma_f64 v[127:128], v[143:144], v[129:130], v[127:128]
	buffer_load_dword v138, off, s[0:3], 0 offset:292
	buffer_load_dword v139, off, s[0:3], 0 offset:312
	;; [unrolled: 1-line block ×7, first 2 shown]
	s_waitcnt vmcnt(23) lgkmcnt(0)
	v_fma_f64 v[127:128], v[141:142], v[131:132], v[127:128]
	s_waitcnt vmcnt(18)
	v_fma_f64 v[140:141], v[147:148], v[133:134], v[127:128]
	ds_read2_b64 v[127:130], v126 offset0:91 offset1:92
	ds_read2_b64 v[131:134], v126 offset0:93 offset1:94
	s_waitcnt vmcnt(17) lgkmcnt(1)
	v_fma_f64 v[127:128], v[155:156], v[127:128], v[140:141]
	buffer_load_dword v140, off, s[0:3], 0 offset:316
	s_waitcnt vmcnt(17)
	v_fma_f64 v[127:128], v[153:154], v[129:130], v[127:128]
	buffer_load_dword v142, off, s[0:3], 0 offset:324
	buffer_load_dword v147, off, s[0:3], 0 offset:344
	buffer_load_dword v153, off, s[0:3], 0 offset:336
	buffer_load_dword v155, off, s[0:3], 0 offset:328
	buffer_load_dword v141, off, s[0:3], 0 offset:320
	buffer_load_dword v156, off, s[0:3], 0 offset:332
	buffer_load_dword v154, off, s[0:3], 0 offset:340
	buffer_load_dword v148, off, s[0:3], 0 offset:348
	s_waitcnt vmcnt(24) lgkmcnt(0)
	v_fma_f64 v[127:128], v[149:150], v[131:132], v[127:128]
	s_waitcnt vmcnt(19)
	v_fma_f64 v[135:136], v[135:136], v[133:134], v[127:128]
	ds_read2_b64 v[127:130], v126 offset0:95 offset1:96
	ds_read2_b64 v[131:134], v126 offset0:97 offset1:98
	s_waitcnt vmcnt(18) lgkmcnt(1)
	v_fma_f64 v[127:128], v[159:160], v[127:128], v[135:136]
	s_waitcnt vmcnt(17)
	v_fma_f64 v[127:128], v[157:158], v[129:130], v[127:128]
	buffer_load_dword v136, off, s[0:3], 0 offset:356
	buffer_load_dword v149, off, s[0:3], 0 offset:376
	;; [unrolled: 1-line block ×7, first 2 shown]
	s_waitcnt vmcnt(23) lgkmcnt(0)
	v_fma_f64 v[127:128], v[151:152], v[131:132], v[127:128]
	s_waitcnt vmcnt(18)
	v_fma_f64 v[137:138], v[137:138], v[133:134], v[127:128]
	ds_read2_b64 v[127:130], v126 offset0:99 offset1:100
	ds_read2_b64 v[131:134], v126 offset0:101 offset1:102
	buffer_load_dword v150, off, s[0:3], 0 offset:380
	s_waitcnt vmcnt(18) lgkmcnt(1)
	v_fma_f64 v[127:128], v[145:146], v[127:128], v[137:138]
	s_waitcnt vmcnt(17)
	v_fma_f64 v[127:128], v[143:144], v[129:130], v[127:128]
	buffer_load_dword v138, off, s[0:3], 0 offset:388
	buffer_load_dword v143, off, s[0:3], 0 offset:408
	;; [unrolled: 1-line block ×7, first 2 shown]
	s_waitcnt vmcnt(23) lgkmcnt(0)
	v_fma_f64 v[127:128], v[139:140], v[131:132], v[127:128]
	s_waitcnt vmcnt(18)
	v_fma_f64 v[139:140], v[141:142], v[133:134], v[127:128]
	ds_read2_b64 v[127:130], v126 offset0:103 offset1:104
	ds_read2_b64 v[131:134], v126 offset0:105 offset1:106
	buffer_load_dword v144, off, s[0:3], 0 offset:412
	s_waitcnt vmcnt(18) lgkmcnt(1)
	v_fma_f64 v[127:128], v[155:156], v[127:128], v[139:140]
	s_waitcnt vmcnt(17)
	v_fma_f64 v[127:128], v[153:154], v[129:130], v[127:128]
	buffer_load_dword v140, off, s[0:3], 0 offset:420
	buffer_load_dword v141, off, s[0:3], 0 offset:440
	buffer_load_dword v153, off, s[0:3], 0 offset:432
	buffer_load_dword v155, off, s[0:3], 0 offset:424
	buffer_load_dword v139, off, s[0:3], 0 offset:416
	buffer_load_dword v156, off, s[0:3], 0 offset:428
	buffer_load_dword v154, off, s[0:3], 0 offset:436
	buffer_load_dword v142, off, s[0:3], 0 offset:444
	s_waitcnt vmcnt(24) lgkmcnt(0)
	v_fma_f64 v[127:128], v[147:148], v[131:132], v[127:128]
	s_waitcnt vmcnt(19)
	v_fma_f64 v[135:136], v[135:136], v[133:134], v[127:128]
	ds_read2_b64 v[127:130], v126 offset0:107 offset1:108
	ds_read2_b64 v[131:134], v126 offset0:109 offset1:110
	s_waitcnt vmcnt(18) lgkmcnt(1)
	v_fma_f64 v[127:128], v[159:160], v[127:128], v[135:136]
	s_waitcnt vmcnt(17)
	v_fma_f64 v[127:128], v[157:158], v[129:130], v[127:128]
	buffer_load_dword v136, off, s[0:3], 0 offset:452
	buffer_load_dword v147, off, s[0:3], 0 offset:472
	;; [unrolled: 1-line block ×7, first 2 shown]
	s_waitcnt vmcnt(23) lgkmcnt(0)
	v_fma_f64 v[127:128], v[149:150], v[131:132], v[127:128]
	s_waitcnt vmcnt(18)
	v_fma_f64 v[137:138], v[137:138], v[133:134], v[127:128]
	ds_read2_b64 v[127:130], v126 offset0:111 offset1:112
	ds_read2_b64 v[131:134], v126 offset0:113 offset1:114
	buffer_load_dword v148, off, s[0:3], 0 offset:476
	s_waitcnt vmcnt(18) lgkmcnt(1)
	v_fma_f64 v[127:128], v[151:152], v[127:128], v[137:138]
	s_waitcnt vmcnt(17)
	v_fma_f64 v[127:128], v[145:146], v[129:130], v[127:128]
	buffer_load_dword v138, off, s[0:3], 0 offset:484
	buffer_load_dword v145, off, s[0:3], 0 offset:488
	;; [unrolled: 1-line block ×4, first 2 shown]
	s_waitcnt vmcnt(20) lgkmcnt(0)
	v_fma_f64 v[127:128], v[143:144], v[131:132], v[127:128]
	buffer_load_dword v143, off, s[0:3], 0 offset:64
	buffer_load_dword v144, off, s[0:3], 0 offset:68
	s_waitcnt vmcnt(17)
	v_fma_f64 v[139:140], v[139:140], v[133:134], v[127:128]
	ds_read2_b64 v[127:130], v126 offset0:115 offset1:116
	ds_read2_b64 v[131:134], v126 offset0:117 offset1:118
	s_waitcnt vmcnt(16) lgkmcnt(1)
	v_fma_f64 v[127:128], v[155:156], v[127:128], v[139:140]
	s_waitcnt vmcnt(15)
	v_fma_f64 v[127:128], v[153:154], v[129:130], v[127:128]
	s_waitcnt vmcnt(14) lgkmcnt(0)
	v_fma_f64 v[127:128], v[141:142], v[131:132], v[127:128]
	s_waitcnt vmcnt(9)
	v_fma_f64 v[135:136], v[135:136], v[133:134], v[127:128]
	ds_read2_b64 v[127:130], v126 offset0:119 offset1:120
	ds_read2_b64 v[131:134], v126 offset0:121 offset1:122
	s_waitcnt vmcnt(8) lgkmcnt(1)
	v_fma_f64 v[127:128], v[159:160], v[127:128], v[135:136]
	s_waitcnt vmcnt(7)
	v_fma_f64 v[127:128], v[157:158], v[129:130], v[127:128]
	ds_read_b64 v[129:130], v126 offset:984
	s_waitcnt vmcnt(6) lgkmcnt(1)
	v_fma_f64 v[127:128], v[147:148], v[131:132], v[127:128]
	s_waitcnt vmcnt(3)
	v_fma_f64 v[127:128], v[137:138], v[133:134], v[127:128]
	s_waitcnt vmcnt(2) lgkmcnt(0)
	v_fma_f64 v[127:128], v[145:146], v[129:130], v[127:128]
	s_waitcnt vmcnt(0)
	v_add_f64 v[127:128], v[143:144], -v[127:128]
	buffer_store_dword v128, off, s[0:3], 0 offset:68
	buffer_store_dword v127, off, s[0:3], 0 offset:64
	s_and_saveexec_b64 s[4:5], vcc
	s_cbranch_execz .LBB61_365
; %bb.364:
	buffer_load_dword v127, off, s[0:3], 0 offset:56
	buffer_load_dword v128, off, s[0:3], 0 offset:60
	s_waitcnt vmcnt(0)
	ds_write_b64 v125, v[127:128]
	buffer_store_dword v126, off, s[0:3], 0 offset:56
	buffer_store_dword v126, off, s[0:3], 0 offset:60
.LBB61_365:
	s_or_b64 exec, exec, s[4:5]
	s_waitcnt lgkmcnt(0)
	; wave barrier
	buffer_load_dword v135, off, s[0:3], 0 offset:64
	buffer_load_dword v136, off, s[0:3], 0 offset:68
	;; [unrolled: 1-line block ×22, first 2 shown]
	ds_read_b128 v[127:130], v126 offset:560
	ds_read_b128 v[131:134], v126 offset:576
	v_cmp_lt_u32_e32 vcc, 6, v0
	s_waitcnt vmcnt(20) lgkmcnt(1)
	v_fma_f64 v[127:128], v[135:136], v[127:128], 0
	s_waitcnt vmcnt(18)
	v_fma_f64 v[127:128], v[137:138], v[129:130], v[127:128]
	buffer_load_dword v136, off, s[0:3], 0 offset:156
	buffer_load_dword v137, off, s[0:3], 0 offset:176
	buffer_load_dword v157, off, s[0:3], 0 offset:168
	buffer_load_dword v159, off, s[0:3], 0 offset:160
	buffer_load_dword v135, off, s[0:3], 0 offset:152
	buffer_load_dword v160, off, s[0:3], 0 offset:164
	buffer_load_dword v158, off, s[0:3], 0 offset:172
	s_waitcnt vmcnt(23) lgkmcnt(0)
	v_fma_f64 v[127:128], v[139:140], v[131:132], v[127:128]
	s_waitcnt vmcnt(21)
	v_fma_f64 v[138:139], v[141:142], v[133:134], v[127:128]
	ds_read_b128 v[127:130], v126 offset:592
	ds_read_b128 v[131:134], v126 offset:608
	s_waitcnt vmcnt(19) lgkmcnt(1)
	v_fma_f64 v[127:128], v[143:144], v[127:128], v[138:139]
	buffer_load_dword v138, off, s[0:3], 0 offset:180
	s_waitcnt vmcnt(18)
	v_fma_f64 v[127:128], v[145:146], v[129:130], v[127:128]
	buffer_load_dword v140, off, s[0:3], 0 offset:188
	buffer_load_dword v141, off, s[0:3], 0 offset:208
	;; [unrolled: 1-line block ×7, first 2 shown]
	s_waitcnt vmcnt(23) lgkmcnt(0)
	v_fma_f64 v[127:128], v[147:148], v[131:132], v[127:128]
	s_waitcnt vmcnt(18)
	v_fma_f64 v[147:148], v[149:150], v[133:134], v[127:128]
	ds_read_b128 v[127:130], v126 offset:624
	ds_read_b128 v[131:134], v126 offset:640
	buffer_load_dword v142, off, s[0:3], 0 offset:212
	s_waitcnt vmcnt(18) lgkmcnt(1)
	v_fma_f64 v[127:128], v[155:156], v[127:128], v[147:148]
	s_waitcnt vmcnt(17)
	v_fma_f64 v[127:128], v[153:154], v[129:130], v[127:128]
	buffer_load_dword v148, off, s[0:3], 0 offset:220
	buffer_load_dword v149, off, s[0:3], 0 offset:240
	;; [unrolled: 1-line block ×8, first 2 shown]
	s_waitcnt vmcnt(24) lgkmcnt(0)
	v_fma_f64 v[127:128], v[151:152], v[131:132], v[127:128]
	s_waitcnt vmcnt(19)
	v_fma_f64 v[135:136], v[135:136], v[133:134], v[127:128]
	ds_read_b128 v[127:130], v126 offset:656
	ds_read_b128 v[131:134], v126 offset:672
	s_waitcnt vmcnt(18) lgkmcnt(1)
	v_fma_f64 v[127:128], v[159:160], v[127:128], v[135:136]
	s_waitcnt vmcnt(17)
	v_fma_f64 v[127:128], v[157:158], v[129:130], v[127:128]
	buffer_load_dword v136, off, s[0:3], 0 offset:252
	buffer_load_dword v151, off, s[0:3], 0 offset:272
	;; [unrolled: 1-line block ×8, first 2 shown]
	s_waitcnt vmcnt(24) lgkmcnt(0)
	v_fma_f64 v[127:128], v[137:138], v[131:132], v[127:128]
	s_waitcnt vmcnt(19)
	v_fma_f64 v[137:138], v[139:140], v[133:134], v[127:128]
	ds_read_b128 v[127:130], v126 offset:688
	ds_read_b128 v[131:134], v126 offset:704
	s_waitcnt vmcnt(18) lgkmcnt(1)
	v_fma_f64 v[127:128], v[145:146], v[127:128], v[137:138]
	s_waitcnt vmcnt(17)
	v_fma_f64 v[127:128], v[143:144], v[129:130], v[127:128]
	buffer_load_dword v138, off, s[0:3], 0 offset:284
	buffer_load_dword v139, off, s[0:3], 0 offset:304
	;; [unrolled: 1-line block ×7, first 2 shown]
	s_waitcnt vmcnt(23) lgkmcnt(0)
	v_fma_f64 v[127:128], v[141:142], v[131:132], v[127:128]
	s_waitcnt vmcnt(18)
	v_fma_f64 v[140:141], v[147:148], v[133:134], v[127:128]
	ds_read_b128 v[127:130], v126 offset:720
	ds_read_b128 v[131:134], v126 offset:736
	s_waitcnt vmcnt(17) lgkmcnt(1)
	v_fma_f64 v[127:128], v[155:156], v[127:128], v[140:141]
	buffer_load_dword v140, off, s[0:3], 0 offset:308
	s_waitcnt vmcnt(17)
	v_fma_f64 v[127:128], v[153:154], v[129:130], v[127:128]
	buffer_load_dword v142, off, s[0:3], 0 offset:316
	buffer_load_dword v147, off, s[0:3], 0 offset:336
	;; [unrolled: 1-line block ×8, first 2 shown]
	s_waitcnt vmcnt(24) lgkmcnt(0)
	v_fma_f64 v[127:128], v[149:150], v[131:132], v[127:128]
	s_waitcnt vmcnt(19)
	v_fma_f64 v[135:136], v[135:136], v[133:134], v[127:128]
	ds_read_b128 v[127:130], v126 offset:752
	ds_read_b128 v[131:134], v126 offset:768
	s_waitcnt vmcnt(18) lgkmcnt(1)
	v_fma_f64 v[127:128], v[159:160], v[127:128], v[135:136]
	s_waitcnt vmcnt(17)
	v_fma_f64 v[127:128], v[157:158], v[129:130], v[127:128]
	buffer_load_dword v136, off, s[0:3], 0 offset:348
	buffer_load_dword v149, off, s[0:3], 0 offset:368
	;; [unrolled: 1-line block ×8, first 2 shown]
	s_waitcnt vmcnt(24) lgkmcnt(0)
	v_fma_f64 v[127:128], v[151:152], v[131:132], v[127:128]
	s_waitcnt vmcnt(19)
	v_fma_f64 v[137:138], v[137:138], v[133:134], v[127:128]
	ds_read_b128 v[127:130], v126 offset:784
	ds_read_b128 v[131:134], v126 offset:800
	s_waitcnt vmcnt(18) lgkmcnt(1)
	v_fma_f64 v[127:128], v[145:146], v[127:128], v[137:138]
	s_waitcnt vmcnt(17)
	v_fma_f64 v[127:128], v[143:144], v[129:130], v[127:128]
	buffer_load_dword v138, off, s[0:3], 0 offset:380
	buffer_load_dword v143, off, s[0:3], 0 offset:400
	buffer_load_dword v145, off, s[0:3], 0 offset:392
	buffer_load_dword v151, off, s[0:3], 0 offset:384
	buffer_load_dword v137, off, s[0:3], 0 offset:376
	buffer_load_dword v152, off, s[0:3], 0 offset:388
	buffer_load_dword v146, off, s[0:3], 0 offset:396
	s_waitcnt vmcnt(23) lgkmcnt(0)
	v_fma_f64 v[127:128], v[139:140], v[131:132], v[127:128]
	s_waitcnt vmcnt(18)
	v_fma_f64 v[139:140], v[141:142], v[133:134], v[127:128]
	ds_read_b128 v[127:130], v126 offset:816
	ds_read_b128 v[131:134], v126 offset:832
	buffer_load_dword v144, off, s[0:3], 0 offset:404
	s_waitcnt vmcnt(18) lgkmcnt(1)
	v_fma_f64 v[127:128], v[155:156], v[127:128], v[139:140]
	s_waitcnt vmcnt(17)
	v_fma_f64 v[127:128], v[153:154], v[129:130], v[127:128]
	buffer_load_dword v140, off, s[0:3], 0 offset:412
	buffer_load_dword v141, off, s[0:3], 0 offset:432
	buffer_load_dword v153, off, s[0:3], 0 offset:424
	buffer_load_dword v155, off, s[0:3], 0 offset:416
	buffer_load_dword v139, off, s[0:3], 0 offset:408
	buffer_load_dword v156, off, s[0:3], 0 offset:420
	buffer_load_dword v154, off, s[0:3], 0 offset:428
	buffer_load_dword v142, off, s[0:3], 0 offset:436
	s_waitcnt vmcnt(24) lgkmcnt(0)
	v_fma_f64 v[127:128], v[147:148], v[131:132], v[127:128]
	s_waitcnt vmcnt(19)
	v_fma_f64 v[135:136], v[135:136], v[133:134], v[127:128]
	ds_read_b128 v[127:130], v126 offset:848
	ds_read_b128 v[131:134], v126 offset:864
	s_waitcnt vmcnt(18) lgkmcnt(1)
	v_fma_f64 v[127:128], v[159:160], v[127:128], v[135:136]
	s_waitcnt vmcnt(17)
	v_fma_f64 v[127:128], v[157:158], v[129:130], v[127:128]
	buffer_load_dword v136, off, s[0:3], 0 offset:444
	buffer_load_dword v147, off, s[0:3], 0 offset:464
	;; [unrolled: 1-line block ×8, first 2 shown]
	s_waitcnt vmcnt(24) lgkmcnt(0)
	v_fma_f64 v[127:128], v[149:150], v[131:132], v[127:128]
	s_waitcnt vmcnt(19)
	v_fma_f64 v[137:138], v[137:138], v[133:134], v[127:128]
	ds_read_b128 v[127:130], v126 offset:880
	ds_read_b128 v[131:134], v126 offset:896
	s_waitcnt vmcnt(18) lgkmcnt(1)
	v_fma_f64 v[127:128], v[151:152], v[127:128], v[137:138]
	s_waitcnt vmcnt(17)
	v_fma_f64 v[127:128], v[145:146], v[129:130], v[127:128]
	buffer_load_dword v138, off, s[0:3], 0 offset:476
	buffer_load_dword v145, off, s[0:3], 0 offset:488
	;; [unrolled: 1-line block ×6, first 2 shown]
	s_waitcnt vmcnt(22) lgkmcnt(0)
	v_fma_f64 v[127:128], v[143:144], v[131:132], v[127:128]
	s_waitcnt vmcnt(17)
	v_fma_f64 v[139:140], v[139:140], v[133:134], v[127:128]
	ds_read_b128 v[127:130], v126 offset:912
	buffer_load_dword v143, off, s[0:3], 0 offset:56
	buffer_load_dword v144, off, s[0:3], 0 offset:60
	ds_read_b128 v[131:134], v126 offset:928
	s_waitcnt vmcnt(18) lgkmcnt(1)
	v_fma_f64 v[127:128], v[155:156], v[127:128], v[139:140]
	s_waitcnt vmcnt(17)
	v_fma_f64 v[127:128], v[153:154], v[129:130], v[127:128]
	s_waitcnt vmcnt(16) lgkmcnt(0)
	v_fma_f64 v[127:128], v[141:142], v[131:132], v[127:128]
	s_waitcnt vmcnt(11)
	v_fma_f64 v[135:136], v[135:136], v[133:134], v[127:128]
	ds_read_b128 v[127:130], v126 offset:944
	ds_read_b128 v[131:134], v126 offset:960
	s_waitcnt vmcnt(10) lgkmcnt(1)
	v_fma_f64 v[127:128], v[159:160], v[127:128], v[135:136]
	s_waitcnt vmcnt(9)
	v_fma_f64 v[127:128], v[157:158], v[129:130], v[127:128]
	s_waitcnt vmcnt(8) lgkmcnt(0)
	v_fma_f64 v[127:128], v[147:148], v[131:132], v[127:128]
	s_waitcnt vmcnt(4)
	v_fma_f64 v[130:131], v[137:138], v[133:134], v[127:128]
	ds_read_b128 v[126:129], v126 offset:976
	s_waitcnt vmcnt(3) lgkmcnt(0)
	v_fma_f64 v[126:127], v[149:150], v[126:127], v[130:131]
	s_waitcnt vmcnt(2)
	v_fma_f64 v[126:127], v[145:146], v[128:129], v[126:127]
	s_waitcnt vmcnt(0)
	v_add_f64 v[126:127], v[143:144], -v[126:127]
	buffer_store_dword v127, off, s[0:3], 0 offset:60
	buffer_store_dword v126, off, s[0:3], 0 offset:56
	s_and_saveexec_b64 s[4:5], vcc
	s_cbranch_execz .LBB61_367
; %bb.366:
	buffer_load_dword v126, off, s[0:3], 0 offset:48
	buffer_load_dword v127, off, s[0:3], 0 offset:52
	v_mov_b32_e32 v128, 0
	buffer_store_dword v128, off, s[0:3], 0 offset:48
	buffer_store_dword v128, off, s[0:3], 0 offset:52
	s_waitcnt vmcnt(2)
	ds_write_b64 v125, v[126:127]
.LBB61_367:
	s_or_b64 exec, exec, s[4:5]
	s_waitcnt lgkmcnt(0)
	; wave barrier
	buffer_load_dword v135, off, s[0:3], 0 offset:56
	buffer_load_dword v136, off, s[0:3], 0 offset:60
	;; [unrolled: 1-line block ×22, first 2 shown]
	v_mov_b32_e32 v126, 0
	ds_read2_b64 v[127:130], v126 offset0:69 offset1:70
	ds_read2_b64 v[131:134], v126 offset0:71 offset1:72
	v_cmp_lt_u32_e32 vcc, 5, v0
	s_waitcnt vmcnt(20) lgkmcnt(1)
	v_fma_f64 v[127:128], v[135:136], v[127:128], 0
	s_waitcnt vmcnt(18)
	v_fma_f64 v[127:128], v[137:138], v[129:130], v[127:128]
	buffer_load_dword v136, off, s[0:3], 0 offset:148
	buffer_load_dword v137, off, s[0:3], 0 offset:168
	;; [unrolled: 1-line block ×7, first 2 shown]
	s_waitcnt vmcnt(23) lgkmcnt(0)
	v_fma_f64 v[127:128], v[139:140], v[131:132], v[127:128]
	s_waitcnt vmcnt(21)
	v_fma_f64 v[138:139], v[141:142], v[133:134], v[127:128]
	ds_read2_b64 v[127:130], v126 offset0:73 offset1:74
	ds_read2_b64 v[131:134], v126 offset0:75 offset1:76
	s_waitcnt vmcnt(19) lgkmcnt(1)
	v_fma_f64 v[127:128], v[143:144], v[127:128], v[138:139]
	buffer_load_dword v138, off, s[0:3], 0 offset:172
	s_waitcnt vmcnt(18)
	v_fma_f64 v[127:128], v[145:146], v[129:130], v[127:128]
	buffer_load_dword v140, off, s[0:3], 0 offset:180
	buffer_load_dword v141, off, s[0:3], 0 offset:200
	;; [unrolled: 1-line block ×7, first 2 shown]
	s_waitcnt vmcnt(23) lgkmcnt(0)
	v_fma_f64 v[127:128], v[147:148], v[131:132], v[127:128]
	s_waitcnt vmcnt(18)
	v_fma_f64 v[147:148], v[149:150], v[133:134], v[127:128]
	ds_read2_b64 v[127:130], v126 offset0:77 offset1:78
	ds_read2_b64 v[131:134], v126 offset0:79 offset1:80
	buffer_load_dword v142, off, s[0:3], 0 offset:204
	s_waitcnt vmcnt(18) lgkmcnt(1)
	v_fma_f64 v[127:128], v[155:156], v[127:128], v[147:148]
	s_waitcnt vmcnt(17)
	v_fma_f64 v[127:128], v[153:154], v[129:130], v[127:128]
	buffer_load_dword v148, off, s[0:3], 0 offset:212
	buffer_load_dword v149, off, s[0:3], 0 offset:232
	;; [unrolled: 1-line block ×8, first 2 shown]
	s_waitcnt vmcnt(24) lgkmcnt(0)
	v_fma_f64 v[127:128], v[151:152], v[131:132], v[127:128]
	s_waitcnt vmcnt(19)
	v_fma_f64 v[135:136], v[135:136], v[133:134], v[127:128]
	ds_read2_b64 v[127:130], v126 offset0:81 offset1:82
	ds_read2_b64 v[131:134], v126 offset0:83 offset1:84
	s_waitcnt vmcnt(18) lgkmcnt(1)
	v_fma_f64 v[127:128], v[159:160], v[127:128], v[135:136]
	s_waitcnt vmcnt(17)
	v_fma_f64 v[127:128], v[157:158], v[129:130], v[127:128]
	buffer_load_dword v136, off, s[0:3], 0 offset:244
	buffer_load_dword v151, off, s[0:3], 0 offset:264
	buffer_load_dword v157, off, s[0:3], 0 offset:256
	buffer_load_dword v159, off, s[0:3], 0 offset:248
	buffer_load_dword v135, off, s[0:3], 0 offset:240
	buffer_load_dword v160, off, s[0:3], 0 offset:252
	buffer_load_dword v158, off, s[0:3], 0 offset:260
	buffer_load_dword v152, off, s[0:3], 0 offset:268
	s_waitcnt vmcnt(24) lgkmcnt(0)
	v_fma_f64 v[127:128], v[137:138], v[131:132], v[127:128]
	s_waitcnt vmcnt(19)
	v_fma_f64 v[137:138], v[139:140], v[133:134], v[127:128]
	ds_read2_b64 v[127:130], v126 offset0:85 offset1:86
	ds_read2_b64 v[131:134], v126 offset0:87 offset1:88
	s_waitcnt vmcnt(18) lgkmcnt(1)
	v_fma_f64 v[127:128], v[145:146], v[127:128], v[137:138]
	s_waitcnt vmcnt(17)
	v_fma_f64 v[127:128], v[143:144], v[129:130], v[127:128]
	buffer_load_dword v138, off, s[0:3], 0 offset:276
	buffer_load_dword v139, off, s[0:3], 0 offset:296
	;; [unrolled: 1-line block ×7, first 2 shown]
	s_waitcnt vmcnt(23) lgkmcnt(0)
	v_fma_f64 v[127:128], v[141:142], v[131:132], v[127:128]
	s_waitcnt vmcnt(18)
	v_fma_f64 v[140:141], v[147:148], v[133:134], v[127:128]
	ds_read2_b64 v[127:130], v126 offset0:89 offset1:90
	ds_read2_b64 v[131:134], v126 offset0:91 offset1:92
	s_waitcnt vmcnt(17) lgkmcnt(1)
	v_fma_f64 v[127:128], v[155:156], v[127:128], v[140:141]
	buffer_load_dword v140, off, s[0:3], 0 offset:300
	s_waitcnt vmcnt(17)
	v_fma_f64 v[127:128], v[153:154], v[129:130], v[127:128]
	buffer_load_dword v142, off, s[0:3], 0 offset:308
	buffer_load_dword v147, off, s[0:3], 0 offset:328
	;; [unrolled: 1-line block ×8, first 2 shown]
	s_waitcnt vmcnt(24) lgkmcnt(0)
	v_fma_f64 v[127:128], v[149:150], v[131:132], v[127:128]
	s_waitcnt vmcnt(19)
	v_fma_f64 v[135:136], v[135:136], v[133:134], v[127:128]
	ds_read2_b64 v[127:130], v126 offset0:93 offset1:94
	ds_read2_b64 v[131:134], v126 offset0:95 offset1:96
	s_waitcnt vmcnt(18) lgkmcnt(1)
	v_fma_f64 v[127:128], v[159:160], v[127:128], v[135:136]
	s_waitcnt vmcnt(17)
	v_fma_f64 v[127:128], v[157:158], v[129:130], v[127:128]
	buffer_load_dword v136, off, s[0:3], 0 offset:340
	buffer_load_dword v149, off, s[0:3], 0 offset:360
	;; [unrolled: 1-line block ×8, first 2 shown]
	s_waitcnt vmcnt(24) lgkmcnt(0)
	v_fma_f64 v[127:128], v[151:152], v[131:132], v[127:128]
	s_waitcnt vmcnt(19)
	v_fma_f64 v[137:138], v[137:138], v[133:134], v[127:128]
	ds_read2_b64 v[127:130], v126 offset0:97 offset1:98
	ds_read2_b64 v[131:134], v126 offset0:99 offset1:100
	s_waitcnt vmcnt(18) lgkmcnt(1)
	v_fma_f64 v[127:128], v[145:146], v[127:128], v[137:138]
	s_waitcnt vmcnt(17)
	v_fma_f64 v[127:128], v[143:144], v[129:130], v[127:128]
	buffer_load_dword v138, off, s[0:3], 0 offset:372
	buffer_load_dword v143, off, s[0:3], 0 offset:392
	;; [unrolled: 1-line block ×7, first 2 shown]
	s_waitcnt vmcnt(23) lgkmcnt(0)
	v_fma_f64 v[127:128], v[139:140], v[131:132], v[127:128]
	s_waitcnt vmcnt(18)
	v_fma_f64 v[139:140], v[141:142], v[133:134], v[127:128]
	ds_read2_b64 v[127:130], v126 offset0:101 offset1:102
	ds_read2_b64 v[131:134], v126 offset0:103 offset1:104
	buffer_load_dword v144, off, s[0:3], 0 offset:396
	s_waitcnt vmcnt(18) lgkmcnt(1)
	v_fma_f64 v[127:128], v[155:156], v[127:128], v[139:140]
	s_waitcnt vmcnt(17)
	v_fma_f64 v[127:128], v[153:154], v[129:130], v[127:128]
	buffer_load_dword v140, off, s[0:3], 0 offset:404
	buffer_load_dword v141, off, s[0:3], 0 offset:424
	buffer_load_dword v153, off, s[0:3], 0 offset:416
	buffer_load_dword v155, off, s[0:3], 0 offset:408
	buffer_load_dword v139, off, s[0:3], 0 offset:400
	buffer_load_dword v156, off, s[0:3], 0 offset:412
	buffer_load_dword v154, off, s[0:3], 0 offset:420
	buffer_load_dword v142, off, s[0:3], 0 offset:428
	s_waitcnt vmcnt(24) lgkmcnt(0)
	v_fma_f64 v[127:128], v[147:148], v[131:132], v[127:128]
	s_waitcnt vmcnt(19)
	v_fma_f64 v[135:136], v[135:136], v[133:134], v[127:128]
	ds_read2_b64 v[127:130], v126 offset0:105 offset1:106
	ds_read2_b64 v[131:134], v126 offset0:107 offset1:108
	s_waitcnt vmcnt(18) lgkmcnt(1)
	v_fma_f64 v[127:128], v[159:160], v[127:128], v[135:136]
	s_waitcnt vmcnt(17)
	v_fma_f64 v[127:128], v[157:158], v[129:130], v[127:128]
	buffer_load_dword v136, off, s[0:3], 0 offset:436
	buffer_load_dword v147, off, s[0:3], 0 offset:456
	buffer_load_dword v157, off, s[0:3], 0 offset:448
	buffer_load_dword v159, off, s[0:3], 0 offset:440
	buffer_load_dword v135, off, s[0:3], 0 offset:432
	buffer_load_dword v160, off, s[0:3], 0 offset:444
	buffer_load_dword v158, off, s[0:3], 0 offset:452
	buffer_load_dword v148, off, s[0:3], 0 offset:460
	s_waitcnt vmcnt(24) lgkmcnt(0)
	v_fma_f64 v[127:128], v[149:150], v[131:132], v[127:128]
	s_waitcnt vmcnt(19)
	v_fma_f64 v[137:138], v[137:138], v[133:134], v[127:128]
	ds_read2_b64 v[127:130], v126 offset0:109 offset1:110
	ds_read2_b64 v[131:134], v126 offset0:111 offset1:112
	s_waitcnt vmcnt(18) lgkmcnt(1)
	v_fma_f64 v[127:128], v[151:152], v[127:128], v[137:138]
	s_waitcnt vmcnt(17)
	v_fma_f64 v[127:128], v[145:146], v[129:130], v[127:128]
	buffer_load_dword v138, off, s[0:3], 0 offset:468
	buffer_load_dword v145, off, s[0:3], 0 offset:488
	buffer_load_dword v149, off, s[0:3], 0 offset:480
	buffer_load_dword v151, off, s[0:3], 0 offset:472
	buffer_load_dword v137, off, s[0:3], 0 offset:464
	buffer_load_dword v152, off, s[0:3], 0 offset:476
	buffer_load_dword v150, off, s[0:3], 0 offset:484
	buffer_load_dword v146, off, s[0:3], 0 offset:492
	s_waitcnt vmcnt(24) lgkmcnt(0)
	v_fma_f64 v[127:128], v[143:144], v[131:132], v[127:128]
	s_waitcnt vmcnt(19)
	v_fma_f64 v[139:140], v[139:140], v[133:134], v[127:128]
	ds_read2_b64 v[127:130], v126 offset0:113 offset1:114
	ds_read2_b64 v[131:134], v126 offset0:115 offset1:116
	s_waitcnt vmcnt(18) lgkmcnt(1)
	v_fma_f64 v[127:128], v[155:156], v[127:128], v[139:140]
	buffer_load_dword v139, off, s[0:3], 0 offset:48
	buffer_load_dword v140, off, s[0:3], 0 offset:52
	s_waitcnt vmcnt(19)
	v_fma_f64 v[127:128], v[153:154], v[129:130], v[127:128]
	s_waitcnt vmcnt(18) lgkmcnt(0)
	v_fma_f64 v[127:128], v[141:142], v[131:132], v[127:128]
	s_waitcnt vmcnt(13)
	v_fma_f64 v[135:136], v[135:136], v[133:134], v[127:128]
	ds_read2_b64 v[127:130], v126 offset0:117 offset1:118
	ds_read2_b64 v[131:134], v126 offset0:119 offset1:120
	s_waitcnt vmcnt(12) lgkmcnt(1)
	v_fma_f64 v[127:128], v[159:160], v[127:128], v[135:136]
	s_waitcnt vmcnt(11)
	v_fma_f64 v[127:128], v[157:158], v[129:130], v[127:128]
	s_waitcnt vmcnt(10) lgkmcnt(0)
	v_fma_f64 v[127:128], v[147:148], v[131:132], v[127:128]
	s_waitcnt vmcnt(5)
	v_fma_f64 v[131:132], v[137:138], v[133:134], v[127:128]
	ds_read2_b64 v[127:130], v126 offset0:121 offset1:122
	ds_read_b64 v[133:134], v126 offset:984
	s_waitcnt vmcnt(4) lgkmcnt(1)
	v_fma_f64 v[127:128], v[151:152], v[127:128], v[131:132]
	s_waitcnt vmcnt(3)
	v_fma_f64 v[127:128], v[149:150], v[129:130], v[127:128]
	s_waitcnt vmcnt(2) lgkmcnt(0)
	v_fma_f64 v[127:128], v[145:146], v[133:134], v[127:128]
	s_waitcnt vmcnt(0)
	v_add_f64 v[127:128], v[139:140], -v[127:128]
	buffer_store_dword v128, off, s[0:3], 0 offset:52
	buffer_store_dword v127, off, s[0:3], 0 offset:48
	s_and_saveexec_b64 s[4:5], vcc
	s_cbranch_execz .LBB61_369
; %bb.368:
	buffer_load_dword v127, off, s[0:3], 0 offset:40
	buffer_load_dword v128, off, s[0:3], 0 offset:44
	s_waitcnt vmcnt(0)
	ds_write_b64 v125, v[127:128]
	buffer_store_dword v126, off, s[0:3], 0 offset:40
	buffer_store_dword v126, off, s[0:3], 0 offset:44
.LBB61_369:
	s_or_b64 exec, exec, s[4:5]
	s_waitcnt lgkmcnt(0)
	; wave barrier
	buffer_load_dword v135, off, s[0:3], 0 offset:48
	buffer_load_dword v136, off, s[0:3], 0 offset:52
	;; [unrolled: 1-line block ×22, first 2 shown]
	ds_read_b128 v[127:130], v126 offset:544
	ds_read_b128 v[131:134], v126 offset:560
	v_cmp_lt_u32_e32 vcc, 4, v0
	s_waitcnt vmcnt(20) lgkmcnt(1)
	v_fma_f64 v[127:128], v[135:136], v[127:128], 0
	s_waitcnt vmcnt(18)
	v_fma_f64 v[127:128], v[137:138], v[129:130], v[127:128]
	buffer_load_dword v136, off, s[0:3], 0 offset:140
	buffer_load_dword v137, off, s[0:3], 0 offset:160
	buffer_load_dword v157, off, s[0:3], 0 offset:152
	buffer_load_dword v159, off, s[0:3], 0 offset:144
	buffer_load_dword v135, off, s[0:3], 0 offset:136
	buffer_load_dword v160, off, s[0:3], 0 offset:148
	buffer_load_dword v158, off, s[0:3], 0 offset:156
	s_waitcnt vmcnt(23) lgkmcnt(0)
	v_fma_f64 v[127:128], v[139:140], v[131:132], v[127:128]
	s_waitcnt vmcnt(21)
	v_fma_f64 v[138:139], v[141:142], v[133:134], v[127:128]
	ds_read_b128 v[127:130], v126 offset:576
	ds_read_b128 v[131:134], v126 offset:592
	s_waitcnt vmcnt(19) lgkmcnt(1)
	v_fma_f64 v[127:128], v[143:144], v[127:128], v[138:139]
	buffer_load_dword v138, off, s[0:3], 0 offset:164
	s_waitcnt vmcnt(18)
	v_fma_f64 v[127:128], v[145:146], v[129:130], v[127:128]
	buffer_load_dword v140, off, s[0:3], 0 offset:172
	buffer_load_dword v141, off, s[0:3], 0 offset:192
	;; [unrolled: 1-line block ×7, first 2 shown]
	s_waitcnt vmcnt(23) lgkmcnt(0)
	v_fma_f64 v[127:128], v[147:148], v[131:132], v[127:128]
	s_waitcnt vmcnt(18)
	v_fma_f64 v[147:148], v[149:150], v[133:134], v[127:128]
	ds_read_b128 v[127:130], v126 offset:608
	ds_read_b128 v[131:134], v126 offset:624
	buffer_load_dword v142, off, s[0:3], 0 offset:196
	s_waitcnt vmcnt(18) lgkmcnt(1)
	v_fma_f64 v[127:128], v[155:156], v[127:128], v[147:148]
	s_waitcnt vmcnt(17)
	v_fma_f64 v[127:128], v[153:154], v[129:130], v[127:128]
	buffer_load_dword v148, off, s[0:3], 0 offset:204
	buffer_load_dword v149, off, s[0:3], 0 offset:224
	;; [unrolled: 1-line block ×8, first 2 shown]
	s_waitcnt vmcnt(24) lgkmcnt(0)
	v_fma_f64 v[127:128], v[151:152], v[131:132], v[127:128]
	s_waitcnt vmcnt(19)
	v_fma_f64 v[135:136], v[135:136], v[133:134], v[127:128]
	ds_read_b128 v[127:130], v126 offset:640
	ds_read_b128 v[131:134], v126 offset:656
	s_waitcnt vmcnt(18) lgkmcnt(1)
	v_fma_f64 v[127:128], v[159:160], v[127:128], v[135:136]
	s_waitcnt vmcnt(17)
	v_fma_f64 v[127:128], v[157:158], v[129:130], v[127:128]
	buffer_load_dword v136, off, s[0:3], 0 offset:236
	buffer_load_dword v151, off, s[0:3], 0 offset:256
	;; [unrolled: 1-line block ×8, first 2 shown]
	s_waitcnt vmcnt(24) lgkmcnt(0)
	v_fma_f64 v[127:128], v[137:138], v[131:132], v[127:128]
	s_waitcnt vmcnt(19)
	v_fma_f64 v[137:138], v[139:140], v[133:134], v[127:128]
	ds_read_b128 v[127:130], v126 offset:672
	ds_read_b128 v[131:134], v126 offset:688
	s_waitcnt vmcnt(18) lgkmcnt(1)
	v_fma_f64 v[127:128], v[145:146], v[127:128], v[137:138]
	s_waitcnt vmcnt(17)
	v_fma_f64 v[127:128], v[143:144], v[129:130], v[127:128]
	buffer_load_dword v138, off, s[0:3], 0 offset:268
	buffer_load_dword v139, off, s[0:3], 0 offset:288
	;; [unrolled: 1-line block ×7, first 2 shown]
	s_waitcnt vmcnt(23) lgkmcnt(0)
	v_fma_f64 v[127:128], v[141:142], v[131:132], v[127:128]
	s_waitcnt vmcnt(18)
	v_fma_f64 v[140:141], v[147:148], v[133:134], v[127:128]
	ds_read_b128 v[127:130], v126 offset:704
	ds_read_b128 v[131:134], v126 offset:720
	s_waitcnt vmcnt(17) lgkmcnt(1)
	v_fma_f64 v[127:128], v[155:156], v[127:128], v[140:141]
	buffer_load_dword v140, off, s[0:3], 0 offset:292
	s_waitcnt vmcnt(17)
	v_fma_f64 v[127:128], v[153:154], v[129:130], v[127:128]
	buffer_load_dword v142, off, s[0:3], 0 offset:300
	buffer_load_dword v147, off, s[0:3], 0 offset:320
	;; [unrolled: 1-line block ×8, first 2 shown]
	s_waitcnt vmcnt(24) lgkmcnt(0)
	v_fma_f64 v[127:128], v[149:150], v[131:132], v[127:128]
	s_waitcnt vmcnt(19)
	v_fma_f64 v[135:136], v[135:136], v[133:134], v[127:128]
	ds_read_b128 v[127:130], v126 offset:736
	ds_read_b128 v[131:134], v126 offset:752
	s_waitcnt vmcnt(18) lgkmcnt(1)
	v_fma_f64 v[127:128], v[159:160], v[127:128], v[135:136]
	s_waitcnt vmcnt(17)
	v_fma_f64 v[127:128], v[157:158], v[129:130], v[127:128]
	buffer_load_dword v136, off, s[0:3], 0 offset:332
	buffer_load_dword v149, off, s[0:3], 0 offset:352
	;; [unrolled: 1-line block ×8, first 2 shown]
	s_waitcnt vmcnt(24) lgkmcnt(0)
	v_fma_f64 v[127:128], v[151:152], v[131:132], v[127:128]
	s_waitcnt vmcnt(19)
	v_fma_f64 v[137:138], v[137:138], v[133:134], v[127:128]
	ds_read_b128 v[127:130], v126 offset:768
	ds_read_b128 v[131:134], v126 offset:784
	s_waitcnt vmcnt(18) lgkmcnt(1)
	v_fma_f64 v[127:128], v[145:146], v[127:128], v[137:138]
	s_waitcnt vmcnt(17)
	v_fma_f64 v[127:128], v[143:144], v[129:130], v[127:128]
	buffer_load_dword v138, off, s[0:3], 0 offset:364
	buffer_load_dword v143, off, s[0:3], 0 offset:384
	;; [unrolled: 1-line block ×7, first 2 shown]
	s_waitcnt vmcnt(23) lgkmcnt(0)
	v_fma_f64 v[127:128], v[139:140], v[131:132], v[127:128]
	s_waitcnt vmcnt(18)
	v_fma_f64 v[139:140], v[141:142], v[133:134], v[127:128]
	ds_read_b128 v[127:130], v126 offset:800
	ds_read_b128 v[131:134], v126 offset:816
	buffer_load_dword v144, off, s[0:3], 0 offset:388
	s_waitcnt vmcnt(18) lgkmcnt(1)
	v_fma_f64 v[127:128], v[155:156], v[127:128], v[139:140]
	s_waitcnt vmcnt(17)
	v_fma_f64 v[127:128], v[153:154], v[129:130], v[127:128]
	buffer_load_dword v140, off, s[0:3], 0 offset:396
	buffer_load_dword v141, off, s[0:3], 0 offset:416
	buffer_load_dword v153, off, s[0:3], 0 offset:408
	buffer_load_dword v155, off, s[0:3], 0 offset:400
	buffer_load_dword v139, off, s[0:3], 0 offset:392
	buffer_load_dword v156, off, s[0:3], 0 offset:404
	buffer_load_dword v154, off, s[0:3], 0 offset:412
	buffer_load_dword v142, off, s[0:3], 0 offset:420
	s_waitcnt vmcnt(24) lgkmcnt(0)
	v_fma_f64 v[127:128], v[147:148], v[131:132], v[127:128]
	s_waitcnt vmcnt(19)
	v_fma_f64 v[135:136], v[135:136], v[133:134], v[127:128]
	ds_read_b128 v[127:130], v126 offset:832
	ds_read_b128 v[131:134], v126 offset:848
	s_waitcnt vmcnt(18) lgkmcnt(1)
	v_fma_f64 v[127:128], v[159:160], v[127:128], v[135:136]
	s_waitcnt vmcnt(17)
	v_fma_f64 v[127:128], v[157:158], v[129:130], v[127:128]
	buffer_load_dword v136, off, s[0:3], 0 offset:428
	buffer_load_dword v147, off, s[0:3], 0 offset:448
	buffer_load_dword v157, off, s[0:3], 0 offset:440
	buffer_load_dword v159, off, s[0:3], 0 offset:432
	buffer_load_dword v135, off, s[0:3], 0 offset:424
	buffer_load_dword v160, off, s[0:3], 0 offset:436
	buffer_load_dword v158, off, s[0:3], 0 offset:444
	buffer_load_dword v148, off, s[0:3], 0 offset:452
	s_waitcnt vmcnt(24) lgkmcnt(0)
	v_fma_f64 v[127:128], v[149:150], v[131:132], v[127:128]
	s_waitcnt vmcnt(19)
	v_fma_f64 v[137:138], v[137:138], v[133:134], v[127:128]
	ds_read_b128 v[127:130], v126 offset:864
	ds_read_b128 v[131:134], v126 offset:880
	;; [unrolled: 18-line block ×3, first 2 shown]
	s_waitcnt vmcnt(18) lgkmcnt(1)
	v_fma_f64 v[127:128], v[155:156], v[127:128], v[139:140]
	buffer_load_dword v140, off, s[0:3], 0 offset:492
	buffer_load_dword v139, off, s[0:3], 0 offset:488
	;; [unrolled: 1-line block ×4, first 2 shown]
	s_waitcnt vmcnt(21)
	v_fma_f64 v[127:128], v[153:154], v[129:130], v[127:128]
	s_waitcnt vmcnt(20) lgkmcnt(0)
	v_fma_f64 v[127:128], v[141:142], v[131:132], v[127:128]
	s_waitcnt vmcnt(15)
	v_fma_f64 v[135:136], v[135:136], v[133:134], v[127:128]
	ds_read_b128 v[127:130], v126 offset:928
	ds_read_b128 v[131:134], v126 offset:944
	s_waitcnt vmcnt(14) lgkmcnt(1)
	v_fma_f64 v[127:128], v[159:160], v[127:128], v[135:136]
	s_waitcnt vmcnt(13)
	v_fma_f64 v[127:128], v[157:158], v[129:130], v[127:128]
	s_waitcnt vmcnt(12) lgkmcnt(0)
	v_fma_f64 v[127:128], v[147:148], v[131:132], v[127:128]
	s_waitcnt vmcnt(7)
	v_fma_f64 v[135:136], v[137:138], v[133:134], v[127:128]
	ds_read_b128 v[127:130], v126 offset:960
	ds_read_b128 v[131:134], v126 offset:976
	s_waitcnt vmcnt(6) lgkmcnt(1)
	v_fma_f64 v[126:127], v[151:152], v[127:128], v[135:136]
	s_waitcnt vmcnt(5)
	v_fma_f64 v[126:127], v[149:150], v[129:130], v[126:127]
	s_waitcnt vmcnt(4) lgkmcnt(0)
	v_fma_f64 v[126:127], v[145:146], v[131:132], v[126:127]
	s_waitcnt vmcnt(2)
	v_fma_f64 v[126:127], v[139:140], v[133:134], v[126:127]
	s_waitcnt vmcnt(0)
	v_add_f64 v[126:127], v[143:144], -v[126:127]
	buffer_store_dword v127, off, s[0:3], 0 offset:44
	buffer_store_dword v126, off, s[0:3], 0 offset:40
	s_and_saveexec_b64 s[4:5], vcc
	s_cbranch_execz .LBB61_371
; %bb.370:
	buffer_load_dword v126, off, s[0:3], 0 offset:32
	buffer_load_dword v127, off, s[0:3], 0 offset:36
	v_mov_b32_e32 v128, 0
	buffer_store_dword v128, off, s[0:3], 0 offset:32
	buffer_store_dword v128, off, s[0:3], 0 offset:36
	s_waitcnt vmcnt(2)
	ds_write_b64 v125, v[126:127]
.LBB61_371:
	s_or_b64 exec, exec, s[4:5]
	s_waitcnt lgkmcnt(0)
	; wave barrier
	buffer_load_dword v135, off, s[0:3], 0 offset:40
	buffer_load_dword v136, off, s[0:3], 0 offset:44
	;; [unrolled: 1-line block ×21, first 2 shown]
	v_mov_b32_e32 v126, 0
	ds_read2_b64 v[127:130], v126 offset0:67 offset1:68
	ds_read2_b64 v[131:134], v126 offset0:69 offset1:70
	buffer_load_dword v152, off, s[0:3], 0 offset:124
	v_cmp_lt_u32_e32 vcc, 3, v0
	s_waitcnt vmcnt(20) lgkmcnt(1)
	v_fma_f64 v[127:128], v[135:136], v[127:128], 0
	s_waitcnt vmcnt(18)
	v_fma_f64 v[127:128], v[137:138], v[129:130], v[127:128]
	buffer_load_dword v136, off, s[0:3], 0 offset:132
	buffer_load_dword v137, off, s[0:3], 0 offset:152
	;; [unrolled: 1-line block ×7, first 2 shown]
	s_waitcnt vmcnt(23) lgkmcnt(0)
	v_fma_f64 v[127:128], v[139:140], v[131:132], v[127:128]
	s_waitcnt vmcnt(21)
	v_fma_f64 v[138:139], v[141:142], v[133:134], v[127:128]
	ds_read2_b64 v[127:130], v126 offset0:71 offset1:72
	ds_read2_b64 v[131:134], v126 offset0:73 offset1:74
	s_waitcnt vmcnt(19) lgkmcnt(1)
	v_fma_f64 v[127:128], v[143:144], v[127:128], v[138:139]
	buffer_load_dword v138, off, s[0:3], 0 offset:156
	s_waitcnt vmcnt(18)
	v_fma_f64 v[127:128], v[145:146], v[129:130], v[127:128]
	buffer_load_dword v140, off, s[0:3], 0 offset:164
	buffer_load_dword v141, off, s[0:3], 0 offset:184
	;; [unrolled: 1-line block ×7, first 2 shown]
	s_waitcnt vmcnt(23) lgkmcnt(0)
	v_fma_f64 v[127:128], v[147:148], v[131:132], v[127:128]
	s_waitcnt vmcnt(18)
	v_fma_f64 v[147:148], v[149:150], v[133:134], v[127:128]
	ds_read2_b64 v[127:130], v126 offset0:75 offset1:76
	ds_read2_b64 v[131:134], v126 offset0:77 offset1:78
	buffer_load_dword v142, off, s[0:3], 0 offset:188
	s_waitcnt vmcnt(18) lgkmcnt(1)
	v_fma_f64 v[127:128], v[155:156], v[127:128], v[147:148]
	s_waitcnt vmcnt(17)
	v_fma_f64 v[127:128], v[153:154], v[129:130], v[127:128]
	buffer_load_dword v148, off, s[0:3], 0 offset:196
	buffer_load_dword v149, off, s[0:3], 0 offset:216
	;; [unrolled: 1-line block ×7, first 2 shown]
	s_waitcnt vmcnt(23) lgkmcnt(0)
	v_fma_f64 v[127:128], v[151:152], v[131:132], v[127:128]
	s_waitcnt vmcnt(18)
	v_fma_f64 v[135:136], v[135:136], v[133:134], v[127:128]
	ds_read2_b64 v[127:130], v126 offset0:79 offset1:80
	ds_read2_b64 v[131:134], v126 offset0:81 offset1:82
	buffer_load_dword v150, off, s[0:3], 0 offset:220
	s_waitcnt vmcnt(18) lgkmcnt(1)
	v_fma_f64 v[127:128], v[159:160], v[127:128], v[135:136]
	s_waitcnt vmcnt(17)
	v_fma_f64 v[127:128], v[157:158], v[129:130], v[127:128]
	buffer_load_dword v136, off, s[0:3], 0 offset:228
	buffer_load_dword v151, off, s[0:3], 0 offset:248
	;; [unrolled: 1-line block ×8, first 2 shown]
	s_waitcnt vmcnt(24) lgkmcnt(0)
	v_fma_f64 v[127:128], v[137:138], v[131:132], v[127:128]
	s_waitcnt vmcnt(19)
	v_fma_f64 v[137:138], v[139:140], v[133:134], v[127:128]
	ds_read2_b64 v[127:130], v126 offset0:83 offset1:84
	ds_read2_b64 v[131:134], v126 offset0:85 offset1:86
	s_waitcnt vmcnt(18) lgkmcnt(1)
	v_fma_f64 v[127:128], v[145:146], v[127:128], v[137:138]
	s_waitcnt vmcnt(17)
	v_fma_f64 v[127:128], v[143:144], v[129:130], v[127:128]
	buffer_load_dword v138, off, s[0:3], 0 offset:260
	buffer_load_dword v139, off, s[0:3], 0 offset:280
	;; [unrolled: 1-line block ×7, first 2 shown]
	s_waitcnt vmcnt(23) lgkmcnt(0)
	v_fma_f64 v[127:128], v[141:142], v[131:132], v[127:128]
	s_waitcnt vmcnt(18)
	v_fma_f64 v[140:141], v[147:148], v[133:134], v[127:128]
	ds_read2_b64 v[127:130], v126 offset0:87 offset1:88
	ds_read2_b64 v[131:134], v126 offset0:89 offset1:90
	s_waitcnt vmcnt(17) lgkmcnt(1)
	v_fma_f64 v[127:128], v[155:156], v[127:128], v[140:141]
	buffer_load_dword v140, off, s[0:3], 0 offset:284
	s_waitcnt vmcnt(17)
	v_fma_f64 v[127:128], v[153:154], v[129:130], v[127:128]
	buffer_load_dword v142, off, s[0:3], 0 offset:292
	buffer_load_dword v147, off, s[0:3], 0 offset:312
	;; [unrolled: 1-line block ×7, first 2 shown]
	s_waitcnt vmcnt(23) lgkmcnt(0)
	v_fma_f64 v[127:128], v[149:150], v[131:132], v[127:128]
	s_waitcnt vmcnt(18)
	v_fma_f64 v[135:136], v[135:136], v[133:134], v[127:128]
	ds_read2_b64 v[127:130], v126 offset0:91 offset1:92
	ds_read2_b64 v[131:134], v126 offset0:93 offset1:94
	buffer_load_dword v148, off, s[0:3], 0 offset:316
	s_waitcnt vmcnt(18) lgkmcnt(1)
	v_fma_f64 v[127:128], v[159:160], v[127:128], v[135:136]
	s_waitcnt vmcnt(17)
	v_fma_f64 v[127:128], v[157:158], v[129:130], v[127:128]
	buffer_load_dword v136, off, s[0:3], 0 offset:324
	buffer_load_dword v149, off, s[0:3], 0 offset:344
	;; [unrolled: 1-line block ×8, first 2 shown]
	s_waitcnt vmcnt(24) lgkmcnt(0)
	v_fma_f64 v[127:128], v[151:152], v[131:132], v[127:128]
	s_waitcnt vmcnt(19)
	v_fma_f64 v[137:138], v[137:138], v[133:134], v[127:128]
	ds_read2_b64 v[127:130], v126 offset0:95 offset1:96
	ds_read2_b64 v[131:134], v126 offset0:97 offset1:98
	s_waitcnt vmcnt(18) lgkmcnt(1)
	v_fma_f64 v[127:128], v[145:146], v[127:128], v[137:138]
	s_waitcnt vmcnt(17)
	v_fma_f64 v[127:128], v[143:144], v[129:130], v[127:128]
	buffer_load_dword v138, off, s[0:3], 0 offset:356
	buffer_load_dword v143, off, s[0:3], 0 offset:376
	;; [unrolled: 1-line block ×7, first 2 shown]
	s_waitcnt vmcnt(23) lgkmcnt(0)
	v_fma_f64 v[127:128], v[139:140], v[131:132], v[127:128]
	s_waitcnt vmcnt(18)
	v_fma_f64 v[139:140], v[141:142], v[133:134], v[127:128]
	ds_read2_b64 v[127:130], v126 offset0:99 offset1:100
	ds_read2_b64 v[131:134], v126 offset0:101 offset1:102
	buffer_load_dword v144, off, s[0:3], 0 offset:380
	s_waitcnt vmcnt(18) lgkmcnt(1)
	v_fma_f64 v[127:128], v[155:156], v[127:128], v[139:140]
	s_waitcnt vmcnt(17)
	v_fma_f64 v[127:128], v[153:154], v[129:130], v[127:128]
	buffer_load_dword v140, off, s[0:3], 0 offset:388
	buffer_load_dword v141, off, s[0:3], 0 offset:408
	;; [unrolled: 1-line block ×7, first 2 shown]
	s_waitcnt vmcnt(23) lgkmcnt(0)
	v_fma_f64 v[127:128], v[147:148], v[131:132], v[127:128]
	s_waitcnt vmcnt(18)
	v_fma_f64 v[135:136], v[135:136], v[133:134], v[127:128]
	ds_read2_b64 v[127:130], v126 offset0:103 offset1:104
	ds_read2_b64 v[131:134], v126 offset0:105 offset1:106
	buffer_load_dword v142, off, s[0:3], 0 offset:412
	s_waitcnt vmcnt(18) lgkmcnt(1)
	v_fma_f64 v[127:128], v[159:160], v[127:128], v[135:136]
	s_waitcnt vmcnt(17)
	v_fma_f64 v[127:128], v[157:158], v[129:130], v[127:128]
	buffer_load_dword v136, off, s[0:3], 0 offset:420
	buffer_load_dword v147, off, s[0:3], 0 offset:440
	;; [unrolled: 1-line block ×8, first 2 shown]
	s_waitcnt vmcnt(24) lgkmcnt(0)
	v_fma_f64 v[127:128], v[149:150], v[131:132], v[127:128]
	s_waitcnt vmcnt(19)
	v_fma_f64 v[137:138], v[137:138], v[133:134], v[127:128]
	ds_read2_b64 v[127:130], v126 offset0:107 offset1:108
	ds_read2_b64 v[131:134], v126 offset0:109 offset1:110
	s_waitcnt vmcnt(18) lgkmcnt(1)
	v_fma_f64 v[127:128], v[151:152], v[127:128], v[137:138]
	s_waitcnt vmcnt(17)
	v_fma_f64 v[127:128], v[145:146], v[129:130], v[127:128]
	buffer_load_dword v138, off, s[0:3], 0 offset:452
	buffer_load_dword v145, off, s[0:3], 0 offset:472
	;; [unrolled: 1-line block ×7, first 2 shown]
	s_waitcnt vmcnt(23) lgkmcnt(0)
	v_fma_f64 v[127:128], v[143:144], v[131:132], v[127:128]
	s_waitcnt vmcnt(18)
	v_fma_f64 v[139:140], v[139:140], v[133:134], v[127:128]
	ds_read2_b64 v[127:130], v126 offset0:111 offset1:112
	ds_read2_b64 v[131:134], v126 offset0:113 offset1:114
	buffer_load_dword v146, off, s[0:3], 0 offset:476
	s_waitcnt vmcnt(18) lgkmcnt(1)
	v_fma_f64 v[127:128], v[155:156], v[127:128], v[139:140]
	buffer_load_dword v140, off, s[0:3], 0 offset:484
	buffer_load_dword v143, off, s[0:3], 0 offset:488
	buffer_load_dword v139, off, s[0:3], 0 offset:480
	buffer_load_dword v144, off, s[0:3], 0 offset:492
	s_waitcnt vmcnt(21)
	v_fma_f64 v[127:128], v[153:154], v[129:130], v[127:128]
	s_waitcnt vmcnt(20) lgkmcnt(0)
	v_fma_f64 v[127:128], v[141:142], v[131:132], v[127:128]
	buffer_load_dword v141, off, s[0:3], 0 offset:32
	buffer_load_dword v142, off, s[0:3], 0 offset:36
	s_waitcnt vmcnt(17)
	v_fma_f64 v[135:136], v[135:136], v[133:134], v[127:128]
	ds_read2_b64 v[127:130], v126 offset0:115 offset1:116
	ds_read2_b64 v[131:134], v126 offset0:117 offset1:118
	s_waitcnt vmcnt(16) lgkmcnt(1)
	v_fma_f64 v[127:128], v[159:160], v[127:128], v[135:136]
	s_waitcnt vmcnt(15)
	v_fma_f64 v[127:128], v[157:158], v[129:130], v[127:128]
	s_waitcnt vmcnt(14) lgkmcnt(0)
	v_fma_f64 v[127:128], v[147:148], v[131:132], v[127:128]
	s_waitcnt vmcnt(9)
	v_fma_f64 v[135:136], v[137:138], v[133:134], v[127:128]
	ds_read2_b64 v[127:130], v126 offset0:119 offset1:120
	ds_read2_b64 v[131:134], v126 offset0:121 offset1:122
	s_waitcnt vmcnt(8) lgkmcnt(1)
	v_fma_f64 v[127:128], v[151:152], v[127:128], v[135:136]
	s_waitcnt vmcnt(7)
	v_fma_f64 v[127:128], v[149:150], v[129:130], v[127:128]
	ds_read_b64 v[129:130], v126 offset:984
	s_waitcnt vmcnt(6) lgkmcnt(1)
	v_fma_f64 v[127:128], v[145:146], v[131:132], v[127:128]
	s_waitcnt vmcnt(3)
	v_fma_f64 v[127:128], v[139:140], v[133:134], v[127:128]
	s_waitcnt vmcnt(2) lgkmcnt(0)
	v_fma_f64 v[127:128], v[143:144], v[129:130], v[127:128]
	s_waitcnt vmcnt(0)
	v_add_f64 v[127:128], v[141:142], -v[127:128]
	buffer_store_dword v128, off, s[0:3], 0 offset:36
	buffer_store_dword v127, off, s[0:3], 0 offset:32
	s_and_saveexec_b64 s[4:5], vcc
	s_cbranch_execz .LBB61_373
; %bb.372:
	buffer_load_dword v127, off, s[0:3], 0 offset:24
	buffer_load_dword v128, off, s[0:3], 0 offset:28
	s_waitcnt vmcnt(0)
	ds_write_b64 v125, v[127:128]
	buffer_store_dword v126, off, s[0:3], 0 offset:24
	buffer_store_dword v126, off, s[0:3], 0 offset:28
.LBB61_373:
	s_or_b64 exec, exec, s[4:5]
	s_waitcnt lgkmcnt(0)
	; wave barrier
	buffer_load_dword v135, off, s[0:3], 0 offset:32
	buffer_load_dword v136, off, s[0:3], 0 offset:36
	;; [unrolled: 1-line block ×21, first 2 shown]
	ds_read_b128 v[127:130], v126 offset:528
	ds_read_b128 v[131:134], v126 offset:544
	buffer_load_dword v152, off, s[0:3], 0 offset:116
	v_cmp_lt_u32_e32 vcc, 2, v0
	s_waitcnt vmcnt(20) lgkmcnt(1)
	v_fma_f64 v[127:128], v[135:136], v[127:128], 0
	s_waitcnt vmcnt(18)
	v_fma_f64 v[127:128], v[137:138], v[129:130], v[127:128]
	buffer_load_dword v136, off, s[0:3], 0 offset:124
	buffer_load_dword v137, off, s[0:3], 0 offset:144
	;; [unrolled: 1-line block ×7, first 2 shown]
	s_waitcnt vmcnt(23) lgkmcnt(0)
	v_fma_f64 v[127:128], v[139:140], v[131:132], v[127:128]
	s_waitcnt vmcnt(21)
	v_fma_f64 v[138:139], v[141:142], v[133:134], v[127:128]
	ds_read_b128 v[127:130], v126 offset:560
	ds_read_b128 v[131:134], v126 offset:576
	s_waitcnt vmcnt(19) lgkmcnt(1)
	v_fma_f64 v[127:128], v[143:144], v[127:128], v[138:139]
	buffer_load_dword v138, off, s[0:3], 0 offset:148
	s_waitcnt vmcnt(18)
	v_fma_f64 v[127:128], v[145:146], v[129:130], v[127:128]
	buffer_load_dword v140, off, s[0:3], 0 offset:156
	buffer_load_dword v141, off, s[0:3], 0 offset:176
	;; [unrolled: 1-line block ×8, first 2 shown]
	s_waitcnt vmcnt(24) lgkmcnt(0)
	v_fma_f64 v[127:128], v[147:148], v[131:132], v[127:128]
	s_waitcnt vmcnt(19)
	v_fma_f64 v[147:148], v[149:150], v[133:134], v[127:128]
	ds_read_b128 v[127:130], v126 offset:592
	ds_read_b128 v[131:134], v126 offset:608
	s_waitcnt vmcnt(18) lgkmcnt(1)
	v_fma_f64 v[127:128], v[155:156], v[127:128], v[147:148]
	s_waitcnt vmcnt(17)
	v_fma_f64 v[127:128], v[153:154], v[129:130], v[127:128]
	buffer_load_dword v148, off, s[0:3], 0 offset:188
	buffer_load_dword v149, off, s[0:3], 0 offset:208
	;; [unrolled: 1-line block ×7, first 2 shown]
	s_waitcnt vmcnt(23) lgkmcnt(0)
	v_fma_f64 v[127:128], v[151:152], v[131:132], v[127:128]
	s_waitcnt vmcnt(18)
	v_fma_f64 v[135:136], v[135:136], v[133:134], v[127:128]
	ds_read_b128 v[127:130], v126 offset:624
	ds_read_b128 v[131:134], v126 offset:640
	buffer_load_dword v150, off, s[0:3], 0 offset:212
	s_waitcnt vmcnt(18) lgkmcnt(1)
	v_fma_f64 v[127:128], v[159:160], v[127:128], v[135:136]
	s_waitcnt vmcnt(17)
	v_fma_f64 v[127:128], v[157:158], v[129:130], v[127:128]
	buffer_load_dword v136, off, s[0:3], 0 offset:220
	buffer_load_dword v151, off, s[0:3], 0 offset:240
	;; [unrolled: 1-line block ×8, first 2 shown]
	s_waitcnt vmcnt(24) lgkmcnt(0)
	v_fma_f64 v[127:128], v[137:138], v[131:132], v[127:128]
	s_waitcnt vmcnt(19)
	v_fma_f64 v[137:138], v[139:140], v[133:134], v[127:128]
	ds_read_b128 v[127:130], v126 offset:656
	ds_read_b128 v[131:134], v126 offset:672
	s_waitcnt vmcnt(18) lgkmcnt(1)
	v_fma_f64 v[127:128], v[145:146], v[127:128], v[137:138]
	s_waitcnt vmcnt(17)
	v_fma_f64 v[127:128], v[143:144], v[129:130], v[127:128]
	buffer_load_dword v138, off, s[0:3], 0 offset:252
	buffer_load_dword v139, off, s[0:3], 0 offset:272
	;; [unrolled: 1-line block ×7, first 2 shown]
	s_waitcnt vmcnt(23) lgkmcnt(0)
	v_fma_f64 v[127:128], v[141:142], v[131:132], v[127:128]
	s_waitcnt vmcnt(18)
	v_fma_f64 v[140:141], v[147:148], v[133:134], v[127:128]
	ds_read_b128 v[127:130], v126 offset:688
	ds_read_b128 v[131:134], v126 offset:704
	s_waitcnt vmcnt(17) lgkmcnt(1)
	v_fma_f64 v[127:128], v[155:156], v[127:128], v[140:141]
	buffer_load_dword v140, off, s[0:3], 0 offset:276
	s_waitcnt vmcnt(17)
	v_fma_f64 v[127:128], v[153:154], v[129:130], v[127:128]
	buffer_load_dword v142, off, s[0:3], 0 offset:284
	buffer_load_dword v147, off, s[0:3], 0 offset:304
	;; [unrolled: 1-line block ×7, first 2 shown]
	s_waitcnt vmcnt(23) lgkmcnt(0)
	v_fma_f64 v[127:128], v[149:150], v[131:132], v[127:128]
	s_waitcnt vmcnt(18)
	v_fma_f64 v[135:136], v[135:136], v[133:134], v[127:128]
	ds_read_b128 v[127:130], v126 offset:720
	ds_read_b128 v[131:134], v126 offset:736
	buffer_load_dword v148, off, s[0:3], 0 offset:308
	s_waitcnt vmcnt(18) lgkmcnt(1)
	v_fma_f64 v[127:128], v[159:160], v[127:128], v[135:136]
	s_waitcnt vmcnt(17)
	v_fma_f64 v[127:128], v[157:158], v[129:130], v[127:128]
	buffer_load_dword v136, off, s[0:3], 0 offset:316
	buffer_load_dword v149, off, s[0:3], 0 offset:336
	;; [unrolled: 1-line block ×8, first 2 shown]
	s_waitcnt vmcnt(24) lgkmcnt(0)
	v_fma_f64 v[127:128], v[151:152], v[131:132], v[127:128]
	s_waitcnt vmcnt(19)
	v_fma_f64 v[137:138], v[137:138], v[133:134], v[127:128]
	ds_read_b128 v[127:130], v126 offset:752
	ds_read_b128 v[131:134], v126 offset:768
	s_waitcnt vmcnt(18) lgkmcnt(1)
	v_fma_f64 v[127:128], v[145:146], v[127:128], v[137:138]
	s_waitcnt vmcnt(17)
	v_fma_f64 v[127:128], v[143:144], v[129:130], v[127:128]
	buffer_load_dword v138, off, s[0:3], 0 offset:348
	buffer_load_dword v143, off, s[0:3], 0 offset:368
	;; [unrolled: 1-line block ×8, first 2 shown]
	s_waitcnt vmcnt(24) lgkmcnt(0)
	v_fma_f64 v[127:128], v[139:140], v[131:132], v[127:128]
	s_waitcnt vmcnt(19)
	v_fma_f64 v[139:140], v[141:142], v[133:134], v[127:128]
	ds_read_b128 v[127:130], v126 offset:784
	ds_read_b128 v[131:134], v126 offset:800
	s_waitcnt vmcnt(18) lgkmcnt(1)
	v_fma_f64 v[127:128], v[155:156], v[127:128], v[139:140]
	s_waitcnt vmcnt(17)
	v_fma_f64 v[127:128], v[153:154], v[129:130], v[127:128]
	buffer_load_dword v140, off, s[0:3], 0 offset:380
	buffer_load_dword v141, off, s[0:3], 0 offset:400
	;; [unrolled: 1-line block ×7, first 2 shown]
	s_waitcnt vmcnt(23) lgkmcnt(0)
	v_fma_f64 v[127:128], v[147:148], v[131:132], v[127:128]
	s_waitcnt vmcnt(18)
	v_fma_f64 v[135:136], v[135:136], v[133:134], v[127:128]
	ds_read_b128 v[127:130], v126 offset:816
	ds_read_b128 v[131:134], v126 offset:832
	buffer_load_dword v142, off, s[0:3], 0 offset:404
	s_waitcnt vmcnt(18) lgkmcnt(1)
	v_fma_f64 v[127:128], v[159:160], v[127:128], v[135:136]
	s_waitcnt vmcnt(17)
	v_fma_f64 v[127:128], v[157:158], v[129:130], v[127:128]
	buffer_load_dword v136, off, s[0:3], 0 offset:412
	buffer_load_dword v147, off, s[0:3], 0 offset:432
	;; [unrolled: 1-line block ×8, first 2 shown]
	s_waitcnt vmcnt(24) lgkmcnt(0)
	v_fma_f64 v[127:128], v[149:150], v[131:132], v[127:128]
	s_waitcnt vmcnt(19)
	v_fma_f64 v[137:138], v[137:138], v[133:134], v[127:128]
	ds_read_b128 v[127:130], v126 offset:848
	ds_read_b128 v[131:134], v126 offset:864
	s_waitcnt vmcnt(18) lgkmcnt(1)
	v_fma_f64 v[127:128], v[151:152], v[127:128], v[137:138]
	s_waitcnt vmcnt(17)
	v_fma_f64 v[127:128], v[145:146], v[129:130], v[127:128]
	buffer_load_dword v138, off, s[0:3], 0 offset:444
	buffer_load_dword v145, off, s[0:3], 0 offset:464
	;; [unrolled: 1-line block ×8, first 2 shown]
	s_waitcnt vmcnt(24) lgkmcnt(0)
	v_fma_f64 v[127:128], v[143:144], v[131:132], v[127:128]
	s_waitcnt vmcnt(19)
	v_fma_f64 v[139:140], v[139:140], v[133:134], v[127:128]
	ds_read_b128 v[127:130], v126 offset:880
	ds_read_b128 v[131:134], v126 offset:896
	s_waitcnt vmcnt(18) lgkmcnt(1)
	v_fma_f64 v[127:128], v[155:156], v[127:128], v[139:140]
	s_waitcnt vmcnt(17)
	v_fma_f64 v[127:128], v[153:154], v[129:130], v[127:128]
	buffer_load_dword v140, off, s[0:3], 0 offset:476
	buffer_load_dword v143, off, s[0:3], 0 offset:488
	;; [unrolled: 1-line block ×6, first 2 shown]
	s_waitcnt vmcnt(22) lgkmcnt(0)
	v_fma_f64 v[127:128], v[141:142], v[131:132], v[127:128]
	s_waitcnt vmcnt(17)
	v_fma_f64 v[135:136], v[135:136], v[133:134], v[127:128]
	ds_read_b128 v[127:130], v126 offset:912
	buffer_load_dword v141, off, s[0:3], 0 offset:24
	buffer_load_dword v142, off, s[0:3], 0 offset:28
	ds_read_b128 v[131:134], v126 offset:928
	s_waitcnt vmcnt(18) lgkmcnt(1)
	v_fma_f64 v[127:128], v[159:160], v[127:128], v[135:136]
	s_waitcnt vmcnt(17)
	v_fma_f64 v[127:128], v[157:158], v[129:130], v[127:128]
	s_waitcnt vmcnt(16) lgkmcnt(0)
	v_fma_f64 v[127:128], v[147:148], v[131:132], v[127:128]
	s_waitcnt vmcnt(11)
	v_fma_f64 v[135:136], v[137:138], v[133:134], v[127:128]
	ds_read_b128 v[127:130], v126 offset:944
	ds_read_b128 v[131:134], v126 offset:960
	s_waitcnt vmcnt(10) lgkmcnt(1)
	v_fma_f64 v[127:128], v[151:152], v[127:128], v[135:136]
	s_waitcnt vmcnt(9)
	v_fma_f64 v[127:128], v[149:150], v[129:130], v[127:128]
	s_waitcnt vmcnt(8) lgkmcnt(0)
	v_fma_f64 v[127:128], v[145:146], v[131:132], v[127:128]
	s_waitcnt vmcnt(4)
	v_fma_f64 v[130:131], v[139:140], v[133:134], v[127:128]
	ds_read_b128 v[126:129], v126 offset:976
	s_waitcnt vmcnt(3) lgkmcnt(0)
	v_fma_f64 v[126:127], v[153:154], v[126:127], v[130:131]
	s_waitcnt vmcnt(2)
	v_fma_f64 v[126:127], v[143:144], v[128:129], v[126:127]
	s_waitcnt vmcnt(0)
	v_add_f64 v[126:127], v[141:142], -v[126:127]
	buffer_store_dword v127, off, s[0:3], 0 offset:28
	buffer_store_dword v126, off, s[0:3], 0 offset:24
	s_and_saveexec_b64 s[4:5], vcc
	s_cbranch_execz .LBB61_375
; %bb.374:
	buffer_load_dword v126, off, s[0:3], 0 offset:16
	buffer_load_dword v127, off, s[0:3], 0 offset:20
	v_mov_b32_e32 v128, 0
	buffer_store_dword v128, off, s[0:3], 0 offset:16
	buffer_store_dword v128, off, s[0:3], 0 offset:20
	s_waitcnt vmcnt(2)
	ds_write_b64 v125, v[126:127]
.LBB61_375:
	s_or_b64 exec, exec, s[4:5]
	s_waitcnt lgkmcnt(0)
	; wave barrier
	buffer_load_dword v135, off, s[0:3], 0 offset:24
	buffer_load_dword v136, off, s[0:3], 0 offset:28
	;; [unrolled: 1-line block ×21, first 2 shown]
	v_mov_b32_e32 v126, 0
	ds_read2_b64 v[127:130], v126 offset0:65 offset1:66
	ds_read2_b64 v[131:134], v126 offset0:67 offset1:68
	buffer_load_dword v152, off, s[0:3], 0 offset:108
	v_cmp_lt_u32_e32 vcc, 1, v0
	s_waitcnt vmcnt(20) lgkmcnt(1)
	v_fma_f64 v[127:128], v[135:136], v[127:128], 0
	s_waitcnt vmcnt(18)
	v_fma_f64 v[127:128], v[137:138], v[129:130], v[127:128]
	buffer_load_dword v136, off, s[0:3], 0 offset:116
	buffer_load_dword v137, off, s[0:3], 0 offset:136
	;; [unrolled: 1-line block ×7, first 2 shown]
	s_waitcnt vmcnt(23) lgkmcnt(0)
	v_fma_f64 v[127:128], v[139:140], v[131:132], v[127:128]
	s_waitcnt vmcnt(21)
	v_fma_f64 v[138:139], v[141:142], v[133:134], v[127:128]
	ds_read2_b64 v[127:130], v126 offset0:69 offset1:70
	ds_read2_b64 v[131:134], v126 offset0:71 offset1:72
	s_waitcnt vmcnt(19) lgkmcnt(1)
	v_fma_f64 v[127:128], v[143:144], v[127:128], v[138:139]
	buffer_load_dword v138, off, s[0:3], 0 offset:140
	s_waitcnt vmcnt(18)
	v_fma_f64 v[127:128], v[145:146], v[129:130], v[127:128]
	buffer_load_dword v140, off, s[0:3], 0 offset:148
	buffer_load_dword v141, off, s[0:3], 0 offset:168
	buffer_load_dword v143, off, s[0:3], 0 offset:160
	buffer_load_dword v145, off, s[0:3], 0 offset:152
	buffer_load_dword v139, off, s[0:3], 0 offset:144
	buffer_load_dword v146, off, s[0:3], 0 offset:156
	buffer_load_dword v144, off, s[0:3], 0 offset:164
	buffer_load_dword v142, off, s[0:3], 0 offset:172
	s_waitcnt vmcnt(24) lgkmcnt(0)
	v_fma_f64 v[127:128], v[147:148], v[131:132], v[127:128]
	s_waitcnt vmcnt(19)
	v_fma_f64 v[147:148], v[149:150], v[133:134], v[127:128]
	ds_read2_b64 v[127:130], v126 offset0:73 offset1:74
	ds_read2_b64 v[131:134], v126 offset0:75 offset1:76
	s_waitcnt vmcnt(18) lgkmcnt(1)
	v_fma_f64 v[127:128], v[155:156], v[127:128], v[147:148]
	s_waitcnt vmcnt(17)
	v_fma_f64 v[127:128], v[153:154], v[129:130], v[127:128]
	buffer_load_dword v148, off, s[0:3], 0 offset:180
	buffer_load_dword v149, off, s[0:3], 0 offset:200
	;; [unrolled: 1-line block ×7, first 2 shown]
	s_waitcnt vmcnt(23) lgkmcnt(0)
	v_fma_f64 v[127:128], v[151:152], v[131:132], v[127:128]
	s_waitcnt vmcnt(18)
	v_fma_f64 v[135:136], v[135:136], v[133:134], v[127:128]
	ds_read2_b64 v[127:130], v126 offset0:77 offset1:78
	ds_read2_b64 v[131:134], v126 offset0:79 offset1:80
	buffer_load_dword v150, off, s[0:3], 0 offset:204
	s_waitcnt vmcnt(18) lgkmcnt(1)
	v_fma_f64 v[127:128], v[159:160], v[127:128], v[135:136]
	s_waitcnt vmcnt(17)
	v_fma_f64 v[127:128], v[157:158], v[129:130], v[127:128]
	buffer_load_dword v136, off, s[0:3], 0 offset:212
	buffer_load_dword v151, off, s[0:3], 0 offset:232
	;; [unrolled: 1-line block ×8, first 2 shown]
	s_waitcnt vmcnt(24) lgkmcnt(0)
	v_fma_f64 v[127:128], v[137:138], v[131:132], v[127:128]
	s_waitcnt vmcnt(19)
	v_fma_f64 v[137:138], v[139:140], v[133:134], v[127:128]
	ds_read2_b64 v[127:130], v126 offset0:81 offset1:82
	ds_read2_b64 v[131:134], v126 offset0:83 offset1:84
	s_waitcnt vmcnt(18) lgkmcnt(1)
	v_fma_f64 v[127:128], v[145:146], v[127:128], v[137:138]
	s_waitcnt vmcnt(17)
	v_fma_f64 v[127:128], v[143:144], v[129:130], v[127:128]
	buffer_load_dword v138, off, s[0:3], 0 offset:244
	buffer_load_dword v139, off, s[0:3], 0 offset:264
	;; [unrolled: 1-line block ×7, first 2 shown]
	s_waitcnt vmcnt(23) lgkmcnt(0)
	v_fma_f64 v[127:128], v[141:142], v[131:132], v[127:128]
	s_waitcnt vmcnt(18)
	v_fma_f64 v[140:141], v[147:148], v[133:134], v[127:128]
	ds_read2_b64 v[127:130], v126 offset0:85 offset1:86
	ds_read2_b64 v[131:134], v126 offset0:87 offset1:88
	s_waitcnt vmcnt(17) lgkmcnt(1)
	v_fma_f64 v[127:128], v[155:156], v[127:128], v[140:141]
	buffer_load_dword v140, off, s[0:3], 0 offset:268
	s_waitcnt vmcnt(17)
	v_fma_f64 v[127:128], v[153:154], v[129:130], v[127:128]
	buffer_load_dword v142, off, s[0:3], 0 offset:276
	buffer_load_dword v147, off, s[0:3], 0 offset:296
	;; [unrolled: 1-line block ×7, first 2 shown]
	s_waitcnt vmcnt(23) lgkmcnt(0)
	v_fma_f64 v[127:128], v[149:150], v[131:132], v[127:128]
	s_waitcnt vmcnt(18)
	v_fma_f64 v[135:136], v[135:136], v[133:134], v[127:128]
	ds_read2_b64 v[127:130], v126 offset0:89 offset1:90
	ds_read2_b64 v[131:134], v126 offset0:91 offset1:92
	buffer_load_dword v148, off, s[0:3], 0 offset:300
	s_waitcnt vmcnt(18) lgkmcnt(1)
	v_fma_f64 v[127:128], v[159:160], v[127:128], v[135:136]
	s_waitcnt vmcnt(17)
	v_fma_f64 v[127:128], v[157:158], v[129:130], v[127:128]
	buffer_load_dword v136, off, s[0:3], 0 offset:308
	buffer_load_dword v149, off, s[0:3], 0 offset:328
	;; [unrolled: 1-line block ×8, first 2 shown]
	s_waitcnt vmcnt(24) lgkmcnt(0)
	v_fma_f64 v[127:128], v[151:152], v[131:132], v[127:128]
	s_waitcnt vmcnt(19)
	v_fma_f64 v[137:138], v[137:138], v[133:134], v[127:128]
	ds_read2_b64 v[127:130], v126 offset0:93 offset1:94
	ds_read2_b64 v[131:134], v126 offset0:95 offset1:96
	s_waitcnt vmcnt(18) lgkmcnt(1)
	v_fma_f64 v[127:128], v[145:146], v[127:128], v[137:138]
	s_waitcnt vmcnt(17)
	v_fma_f64 v[127:128], v[143:144], v[129:130], v[127:128]
	buffer_load_dword v138, off, s[0:3], 0 offset:340
	buffer_load_dword v143, off, s[0:3], 0 offset:360
	;; [unrolled: 1-line block ×8, first 2 shown]
	s_waitcnt vmcnt(24) lgkmcnt(0)
	v_fma_f64 v[127:128], v[139:140], v[131:132], v[127:128]
	s_waitcnt vmcnt(19)
	v_fma_f64 v[139:140], v[141:142], v[133:134], v[127:128]
	ds_read2_b64 v[127:130], v126 offset0:97 offset1:98
	ds_read2_b64 v[131:134], v126 offset0:99 offset1:100
	s_waitcnt vmcnt(18) lgkmcnt(1)
	v_fma_f64 v[127:128], v[155:156], v[127:128], v[139:140]
	s_waitcnt vmcnt(17)
	v_fma_f64 v[127:128], v[153:154], v[129:130], v[127:128]
	buffer_load_dword v140, off, s[0:3], 0 offset:372
	buffer_load_dword v141, off, s[0:3], 0 offset:392
	buffer_load_dword v153, off, s[0:3], 0 offset:384
	buffer_load_dword v155, off, s[0:3], 0 offset:376
	buffer_load_dword v139, off, s[0:3], 0 offset:368
	buffer_load_dword v156, off, s[0:3], 0 offset:380
	buffer_load_dword v154, off, s[0:3], 0 offset:388
	s_waitcnt vmcnt(23) lgkmcnt(0)
	v_fma_f64 v[127:128], v[147:148], v[131:132], v[127:128]
	s_waitcnt vmcnt(18)
	v_fma_f64 v[135:136], v[135:136], v[133:134], v[127:128]
	ds_read2_b64 v[127:130], v126 offset0:101 offset1:102
	ds_read2_b64 v[131:134], v126 offset0:103 offset1:104
	buffer_load_dword v142, off, s[0:3], 0 offset:396
	s_waitcnt vmcnt(18) lgkmcnt(1)
	v_fma_f64 v[127:128], v[159:160], v[127:128], v[135:136]
	s_waitcnt vmcnt(17)
	v_fma_f64 v[127:128], v[157:158], v[129:130], v[127:128]
	buffer_load_dword v136, off, s[0:3], 0 offset:404
	buffer_load_dword v147, off, s[0:3], 0 offset:424
	buffer_load_dword v157, off, s[0:3], 0 offset:416
	buffer_load_dword v159, off, s[0:3], 0 offset:408
	buffer_load_dword v135, off, s[0:3], 0 offset:400
	buffer_load_dword v160, off, s[0:3], 0 offset:412
	buffer_load_dword v158, off, s[0:3], 0 offset:420
	buffer_load_dword v148, off, s[0:3], 0 offset:428
	s_waitcnt vmcnt(24) lgkmcnt(0)
	v_fma_f64 v[127:128], v[149:150], v[131:132], v[127:128]
	s_waitcnt vmcnt(19)
	v_fma_f64 v[137:138], v[137:138], v[133:134], v[127:128]
	ds_read2_b64 v[127:130], v126 offset0:105 offset1:106
	ds_read2_b64 v[131:134], v126 offset0:107 offset1:108
	s_waitcnt vmcnt(18) lgkmcnt(1)
	v_fma_f64 v[127:128], v[151:152], v[127:128], v[137:138]
	s_waitcnt vmcnt(17)
	v_fma_f64 v[127:128], v[145:146], v[129:130], v[127:128]
	buffer_load_dword v138, off, s[0:3], 0 offset:436
	buffer_load_dword v145, off, s[0:3], 0 offset:456
	buffer_load_dword v149, off, s[0:3], 0 offset:448
	buffer_load_dword v151, off, s[0:3], 0 offset:440
	buffer_load_dword v137, off, s[0:3], 0 offset:432
	buffer_load_dword v152, off, s[0:3], 0 offset:444
	buffer_load_dword v150, off, s[0:3], 0 offset:452
	buffer_load_dword v146, off, s[0:3], 0 offset:460
	s_waitcnt vmcnt(24) lgkmcnt(0)
	v_fma_f64 v[127:128], v[143:144], v[131:132], v[127:128]
	s_waitcnt vmcnt(19)
	v_fma_f64 v[139:140], v[139:140], v[133:134], v[127:128]
	ds_read2_b64 v[127:130], v126 offset0:109 offset1:110
	ds_read2_b64 v[131:134], v126 offset0:111 offset1:112
	;; [unrolled: 18-line block ×3, first 2 shown]
	s_waitcnt vmcnt(18) lgkmcnt(1)
	v_fma_f64 v[127:128], v[159:160], v[127:128], v[135:136]
	buffer_load_dword v135, off, s[0:3], 0 offset:16
	buffer_load_dword v136, off, s[0:3], 0 offset:20
	s_waitcnt vmcnt(19)
	v_fma_f64 v[127:128], v[157:158], v[129:130], v[127:128]
	s_waitcnt vmcnt(18) lgkmcnt(0)
	v_fma_f64 v[127:128], v[147:148], v[131:132], v[127:128]
	s_waitcnt vmcnt(13)
	v_fma_f64 v[137:138], v[137:138], v[133:134], v[127:128]
	ds_read2_b64 v[127:130], v126 offset0:117 offset1:118
	ds_read2_b64 v[131:134], v126 offset0:119 offset1:120
	s_waitcnt vmcnt(12) lgkmcnt(1)
	v_fma_f64 v[127:128], v[151:152], v[127:128], v[137:138]
	s_waitcnt vmcnt(11)
	v_fma_f64 v[127:128], v[149:150], v[129:130], v[127:128]
	s_waitcnt vmcnt(10) lgkmcnt(0)
	v_fma_f64 v[127:128], v[145:146], v[131:132], v[127:128]
	s_waitcnt vmcnt(5)
	v_fma_f64 v[131:132], v[139:140], v[133:134], v[127:128]
	ds_read2_b64 v[127:130], v126 offset0:121 offset1:122
	ds_read_b64 v[133:134], v126 offset:984
	s_waitcnt vmcnt(4) lgkmcnt(1)
	v_fma_f64 v[127:128], v[155:156], v[127:128], v[131:132]
	s_waitcnt vmcnt(3)
	v_fma_f64 v[127:128], v[153:154], v[129:130], v[127:128]
	s_waitcnt vmcnt(2) lgkmcnt(0)
	v_fma_f64 v[127:128], v[143:144], v[133:134], v[127:128]
	s_waitcnt vmcnt(0)
	v_add_f64 v[127:128], v[135:136], -v[127:128]
	buffer_store_dword v128, off, s[0:3], 0 offset:20
	buffer_store_dword v127, off, s[0:3], 0 offset:16
	s_and_saveexec_b64 s[4:5], vcc
	s_cbranch_execz .LBB61_377
; %bb.376:
	buffer_load_dword v127, off, s[0:3], 0 offset:8
	buffer_load_dword v128, off, s[0:3], 0 offset:12
	s_waitcnt vmcnt(0)
	ds_write_b64 v125, v[127:128]
	buffer_store_dword v126, off, s[0:3], 0 offset:8
	buffer_store_dword v126, off, s[0:3], 0 offset:12
.LBB61_377:
	s_or_b64 exec, exec, s[4:5]
	s_waitcnt lgkmcnt(0)
	; wave barrier
	buffer_load_dword v135, off, s[0:3], 0 offset:16
	buffer_load_dword v136, off, s[0:3], 0 offset:20
	;; [unrolled: 1-line block ×21, first 2 shown]
	ds_read_b128 v[127:130], v126 offset:512
	ds_read_b128 v[131:134], v126 offset:528
	buffer_load_dword v152, off, s[0:3], 0 offset:100
	v_cmp_ne_u32_e32 vcc, 0, v0
	s_waitcnt vmcnt(20) lgkmcnt(1)
	v_fma_f64 v[127:128], v[135:136], v[127:128], 0
	s_waitcnt vmcnt(18)
	v_fma_f64 v[127:128], v[137:138], v[129:130], v[127:128]
	buffer_load_dword v136, off, s[0:3], 0 offset:108
	buffer_load_dword v137, off, s[0:3], 0 offset:128
	;; [unrolled: 1-line block ×7, first 2 shown]
	s_waitcnt vmcnt(23) lgkmcnt(0)
	v_fma_f64 v[127:128], v[139:140], v[131:132], v[127:128]
	s_waitcnt vmcnt(21)
	v_fma_f64 v[138:139], v[141:142], v[133:134], v[127:128]
	ds_read_b128 v[127:130], v126 offset:544
	ds_read_b128 v[131:134], v126 offset:560
	s_waitcnt vmcnt(19) lgkmcnt(1)
	v_fma_f64 v[127:128], v[143:144], v[127:128], v[138:139]
	buffer_load_dword v138, off, s[0:3], 0 offset:132
	s_waitcnt vmcnt(18)
	v_fma_f64 v[127:128], v[145:146], v[129:130], v[127:128]
	buffer_load_dword v140, off, s[0:3], 0 offset:140
	buffer_load_dword v141, off, s[0:3], 0 offset:160
	;; [unrolled: 1-line block ×8, first 2 shown]
	s_waitcnt vmcnt(24) lgkmcnt(0)
	v_fma_f64 v[127:128], v[147:148], v[131:132], v[127:128]
	s_waitcnt vmcnt(19)
	v_fma_f64 v[147:148], v[149:150], v[133:134], v[127:128]
	ds_read_b128 v[127:130], v126 offset:576
	ds_read_b128 v[131:134], v126 offset:592
	s_waitcnt vmcnt(18) lgkmcnt(1)
	v_fma_f64 v[127:128], v[155:156], v[127:128], v[147:148]
	s_waitcnt vmcnt(17)
	v_fma_f64 v[127:128], v[153:154], v[129:130], v[127:128]
	buffer_load_dword v148, off, s[0:3], 0 offset:172
	buffer_load_dword v149, off, s[0:3], 0 offset:192
	;; [unrolled: 1-line block ×7, first 2 shown]
	s_waitcnt vmcnt(23) lgkmcnt(0)
	v_fma_f64 v[127:128], v[151:152], v[131:132], v[127:128]
	s_waitcnt vmcnt(18)
	v_fma_f64 v[135:136], v[135:136], v[133:134], v[127:128]
	ds_read_b128 v[127:130], v126 offset:608
	ds_read_b128 v[131:134], v126 offset:624
	buffer_load_dword v150, off, s[0:3], 0 offset:196
	s_waitcnt vmcnt(18) lgkmcnt(1)
	v_fma_f64 v[127:128], v[159:160], v[127:128], v[135:136]
	s_waitcnt vmcnt(17)
	v_fma_f64 v[127:128], v[157:158], v[129:130], v[127:128]
	buffer_load_dword v136, off, s[0:3], 0 offset:204
	buffer_load_dword v151, off, s[0:3], 0 offset:224
	;; [unrolled: 1-line block ×8, first 2 shown]
	s_waitcnt vmcnt(24) lgkmcnt(0)
	v_fma_f64 v[127:128], v[137:138], v[131:132], v[127:128]
	s_waitcnt vmcnt(19)
	v_fma_f64 v[137:138], v[139:140], v[133:134], v[127:128]
	ds_read_b128 v[127:130], v126 offset:640
	ds_read_b128 v[131:134], v126 offset:656
	s_waitcnt vmcnt(18) lgkmcnt(1)
	v_fma_f64 v[127:128], v[145:146], v[127:128], v[137:138]
	s_waitcnt vmcnt(17)
	v_fma_f64 v[127:128], v[143:144], v[129:130], v[127:128]
	buffer_load_dword v138, off, s[0:3], 0 offset:236
	buffer_load_dword v139, off, s[0:3], 0 offset:256
	;; [unrolled: 1-line block ×7, first 2 shown]
	s_waitcnt vmcnt(23) lgkmcnt(0)
	v_fma_f64 v[127:128], v[141:142], v[131:132], v[127:128]
	s_waitcnt vmcnt(18)
	v_fma_f64 v[140:141], v[147:148], v[133:134], v[127:128]
	ds_read_b128 v[127:130], v126 offset:672
	ds_read_b128 v[131:134], v126 offset:688
	s_waitcnt vmcnt(17) lgkmcnt(1)
	v_fma_f64 v[127:128], v[155:156], v[127:128], v[140:141]
	buffer_load_dword v140, off, s[0:3], 0 offset:260
	s_waitcnt vmcnt(17)
	v_fma_f64 v[127:128], v[153:154], v[129:130], v[127:128]
	buffer_load_dword v142, off, s[0:3], 0 offset:268
	buffer_load_dword v147, off, s[0:3], 0 offset:288
	;; [unrolled: 1-line block ×7, first 2 shown]
	s_waitcnt vmcnt(23) lgkmcnt(0)
	v_fma_f64 v[127:128], v[149:150], v[131:132], v[127:128]
	s_waitcnt vmcnt(18)
	v_fma_f64 v[135:136], v[135:136], v[133:134], v[127:128]
	ds_read_b128 v[127:130], v126 offset:704
	ds_read_b128 v[131:134], v126 offset:720
	buffer_load_dword v148, off, s[0:3], 0 offset:292
	s_waitcnt vmcnt(18) lgkmcnt(1)
	v_fma_f64 v[127:128], v[159:160], v[127:128], v[135:136]
	s_waitcnt vmcnt(17)
	v_fma_f64 v[127:128], v[157:158], v[129:130], v[127:128]
	buffer_load_dword v136, off, s[0:3], 0 offset:300
	buffer_load_dword v149, off, s[0:3], 0 offset:320
	;; [unrolled: 1-line block ×8, first 2 shown]
	s_waitcnt vmcnt(24) lgkmcnt(0)
	v_fma_f64 v[127:128], v[151:152], v[131:132], v[127:128]
	s_waitcnt vmcnt(19)
	v_fma_f64 v[137:138], v[137:138], v[133:134], v[127:128]
	ds_read_b128 v[127:130], v126 offset:736
	ds_read_b128 v[131:134], v126 offset:752
	s_waitcnt vmcnt(18) lgkmcnt(1)
	v_fma_f64 v[127:128], v[145:146], v[127:128], v[137:138]
	s_waitcnt vmcnt(17)
	v_fma_f64 v[127:128], v[143:144], v[129:130], v[127:128]
	buffer_load_dword v138, off, s[0:3], 0 offset:332
	buffer_load_dword v143, off, s[0:3], 0 offset:352
	buffer_load_dword v145, off, s[0:3], 0 offset:344
	buffer_load_dword v151, off, s[0:3], 0 offset:336
	buffer_load_dword v137, off, s[0:3], 0 offset:328
	buffer_load_dword v152, off, s[0:3], 0 offset:340
	buffer_load_dword v146, off, s[0:3], 0 offset:348
	buffer_load_dword v144, off, s[0:3], 0 offset:356
	s_waitcnt vmcnt(24) lgkmcnt(0)
	v_fma_f64 v[127:128], v[139:140], v[131:132], v[127:128]
	s_waitcnt vmcnt(19)
	v_fma_f64 v[139:140], v[141:142], v[133:134], v[127:128]
	ds_read_b128 v[127:130], v126 offset:768
	ds_read_b128 v[131:134], v126 offset:784
	s_waitcnt vmcnt(18) lgkmcnt(1)
	v_fma_f64 v[127:128], v[155:156], v[127:128], v[139:140]
	s_waitcnt vmcnt(17)
	v_fma_f64 v[127:128], v[153:154], v[129:130], v[127:128]
	buffer_load_dword v140, off, s[0:3], 0 offset:364
	buffer_load_dword v141, off, s[0:3], 0 offset:384
	;; [unrolled: 1-line block ×7, first 2 shown]
	s_waitcnt vmcnt(23) lgkmcnt(0)
	v_fma_f64 v[127:128], v[147:148], v[131:132], v[127:128]
	s_waitcnt vmcnt(18)
	v_fma_f64 v[135:136], v[135:136], v[133:134], v[127:128]
	ds_read_b128 v[127:130], v126 offset:800
	ds_read_b128 v[131:134], v126 offset:816
	buffer_load_dword v142, off, s[0:3], 0 offset:388
	s_waitcnt vmcnt(18) lgkmcnt(1)
	v_fma_f64 v[127:128], v[159:160], v[127:128], v[135:136]
	s_waitcnt vmcnt(17)
	v_fma_f64 v[127:128], v[157:158], v[129:130], v[127:128]
	buffer_load_dword v136, off, s[0:3], 0 offset:396
	buffer_load_dword v147, off, s[0:3], 0 offset:416
	buffer_load_dword v157, off, s[0:3], 0 offset:408
	buffer_load_dword v159, off, s[0:3], 0 offset:400
	buffer_load_dword v135, off, s[0:3], 0 offset:392
	buffer_load_dword v160, off, s[0:3], 0 offset:404
	buffer_load_dword v158, off, s[0:3], 0 offset:412
	buffer_load_dword v148, off, s[0:3], 0 offset:420
	s_waitcnt vmcnt(24) lgkmcnt(0)
	v_fma_f64 v[127:128], v[149:150], v[131:132], v[127:128]
	s_waitcnt vmcnt(19)
	v_fma_f64 v[137:138], v[137:138], v[133:134], v[127:128]
	ds_read_b128 v[127:130], v126 offset:832
	ds_read_b128 v[131:134], v126 offset:848
	s_waitcnt vmcnt(18) lgkmcnt(1)
	v_fma_f64 v[127:128], v[151:152], v[127:128], v[137:138]
	s_waitcnt vmcnt(17)
	v_fma_f64 v[127:128], v[145:146], v[129:130], v[127:128]
	buffer_load_dword v138, off, s[0:3], 0 offset:428
	buffer_load_dword v145, off, s[0:3], 0 offset:448
	buffer_load_dword v149, off, s[0:3], 0 offset:440
	buffer_load_dword v151, off, s[0:3], 0 offset:432
	buffer_load_dword v137, off, s[0:3], 0 offset:424
	buffer_load_dword v152, off, s[0:3], 0 offset:436
	buffer_load_dword v150, off, s[0:3], 0 offset:444
	buffer_load_dword v146, off, s[0:3], 0 offset:452
	s_waitcnt vmcnt(24) lgkmcnt(0)
	v_fma_f64 v[127:128], v[143:144], v[131:132], v[127:128]
	s_waitcnt vmcnt(19)
	v_fma_f64 v[139:140], v[139:140], v[133:134], v[127:128]
	ds_read_b128 v[127:130], v126 offset:864
	ds_read_b128 v[131:134], v126 offset:880
	;; [unrolled: 18-line block ×3, first 2 shown]
	s_waitcnt vmcnt(18) lgkmcnt(1)
	v_fma_f64 v[127:128], v[159:160], v[127:128], v[135:136]
	buffer_load_dword v136, off, s[0:3], 0 offset:492
	buffer_load_dword v135, off, s[0:3], 0 offset:488
	;; [unrolled: 1-line block ×4, first 2 shown]
	s_waitcnt vmcnt(21)
	v_fma_f64 v[127:128], v[157:158], v[129:130], v[127:128]
	s_waitcnt vmcnt(20) lgkmcnt(0)
	v_fma_f64 v[127:128], v[147:148], v[131:132], v[127:128]
	s_waitcnt vmcnt(15)
	v_fma_f64 v[137:138], v[137:138], v[133:134], v[127:128]
	ds_read_b128 v[127:130], v126 offset:928
	ds_read_b128 v[131:134], v126 offset:944
	s_waitcnt vmcnt(14) lgkmcnt(1)
	v_fma_f64 v[127:128], v[151:152], v[127:128], v[137:138]
	s_waitcnt vmcnt(13)
	v_fma_f64 v[127:128], v[149:150], v[129:130], v[127:128]
	s_waitcnt vmcnt(12) lgkmcnt(0)
	v_fma_f64 v[127:128], v[145:146], v[131:132], v[127:128]
	s_waitcnt vmcnt(7)
	v_fma_f64 v[137:138], v[139:140], v[133:134], v[127:128]
	ds_read_b128 v[127:130], v126 offset:960
	ds_read_b128 v[131:134], v126 offset:976
	s_waitcnt vmcnt(6) lgkmcnt(1)
	v_fma_f64 v[126:127], v[155:156], v[127:128], v[137:138]
	s_waitcnt vmcnt(5)
	v_fma_f64 v[126:127], v[153:154], v[129:130], v[126:127]
	s_waitcnt vmcnt(4) lgkmcnt(0)
	v_fma_f64 v[126:127], v[143:144], v[131:132], v[126:127]
	s_waitcnt vmcnt(2)
	v_fma_f64 v[126:127], v[135:136], v[133:134], v[126:127]
	s_waitcnt vmcnt(0)
	v_add_f64 v[126:127], v[141:142], -v[126:127]
	buffer_store_dword v127, off, s[0:3], 0 offset:12
	buffer_store_dword v126, off, s[0:3], 0 offset:8
	s_and_saveexec_b64 s[4:5], vcc
	s_cbranch_execz .LBB61_379
; %bb.378:
	buffer_load_dword v126, off, s[0:3], 0
	buffer_load_dword v127, off, s[0:3], 0 offset:4
	v_mov_b32_e32 v0, 0
	buffer_store_dword v0, off, s[0:3], 0
	buffer_store_dword v0, off, s[0:3], 0 offset:4
	s_waitcnt vmcnt(2)
	ds_write_b64 v125, v[126:127]
.LBB61_379:
	s_or_b64 exec, exec, s[4:5]
	s_waitcnt lgkmcnt(0)
	; wave barrier
	buffer_load_dword v133, off, s[0:3], 0 offset:8
	buffer_load_dword v134, off, s[0:3], 0 offset:12
	;; [unrolled: 1-line block ×21, first 2 shown]
	v_mov_b32_e32 v0, 0
	ds_read2_b64 v[125:128], v0 offset0:63 offset1:64
	ds_read2_b64 v[129:132], v0 offset0:65 offset1:66
	buffer_load_dword v150, off, s[0:3], 0 offset:92
	s_and_b64 vcc, exec, s[22:23]
	s_waitcnt vmcnt(20) lgkmcnt(1)
	v_fma_f64 v[125:126], v[133:134], v[125:126], 0
	s_waitcnt vmcnt(18)
	v_fma_f64 v[125:126], v[135:136], v[127:128], v[125:126]
	buffer_load_dword v134, off, s[0:3], 0 offset:100
	buffer_load_dword v135, off, s[0:3], 0 offset:120
	;; [unrolled: 1-line block ×7, first 2 shown]
	s_waitcnt vmcnt(23) lgkmcnt(0)
	v_fma_f64 v[125:126], v[137:138], v[129:130], v[125:126]
	s_waitcnt vmcnt(21)
	v_fma_f64 v[136:137], v[139:140], v[131:132], v[125:126]
	ds_read2_b64 v[125:128], v0 offset0:67 offset1:68
	ds_read2_b64 v[129:132], v0 offset0:69 offset1:70
	s_waitcnt vmcnt(19) lgkmcnt(1)
	v_fma_f64 v[125:126], v[141:142], v[125:126], v[136:137]
	buffer_load_dword v136, off, s[0:3], 0 offset:124
	s_waitcnt vmcnt(18)
	v_fma_f64 v[125:126], v[143:144], v[127:128], v[125:126]
	buffer_load_dword v138, off, s[0:3], 0 offset:132
	buffer_load_dword v139, off, s[0:3], 0 offset:152
	buffer_load_dword v141, off, s[0:3], 0 offset:144
	buffer_load_dword v143, off, s[0:3], 0 offset:136
	buffer_load_dword v137, off, s[0:3], 0 offset:128
	buffer_load_dword v144, off, s[0:3], 0 offset:140
	buffer_load_dword v142, off, s[0:3], 0 offset:148
	buffer_load_dword v140, off, s[0:3], 0 offset:156
	s_waitcnt vmcnt(24) lgkmcnt(0)
	v_fma_f64 v[125:126], v[145:146], v[129:130], v[125:126]
	s_waitcnt vmcnt(19)
	v_fma_f64 v[145:146], v[147:148], v[131:132], v[125:126]
	ds_read2_b64 v[125:128], v0 offset0:71 offset1:72
	ds_read2_b64 v[129:132], v0 offset0:73 offset1:74
	s_waitcnt vmcnt(18) lgkmcnt(1)
	v_fma_f64 v[125:126], v[153:154], v[125:126], v[145:146]
	s_waitcnt vmcnt(17)
	v_fma_f64 v[125:126], v[151:152], v[127:128], v[125:126]
	buffer_load_dword v146, off, s[0:3], 0 offset:164
	buffer_load_dword v147, off, s[0:3], 0 offset:184
	;; [unrolled: 1-line block ×7, first 2 shown]
	s_waitcnt vmcnt(23) lgkmcnt(0)
	v_fma_f64 v[125:126], v[149:150], v[129:130], v[125:126]
	s_waitcnt vmcnt(18)
	v_fma_f64 v[133:134], v[133:134], v[131:132], v[125:126]
	ds_read2_b64 v[125:128], v0 offset0:75 offset1:76
	ds_read2_b64 v[129:132], v0 offset0:77 offset1:78
	buffer_load_dword v148, off, s[0:3], 0 offset:188
	s_waitcnt vmcnt(18) lgkmcnt(1)
	v_fma_f64 v[125:126], v[157:158], v[125:126], v[133:134]
	s_waitcnt vmcnt(17)
	v_fma_f64 v[125:126], v[155:156], v[127:128], v[125:126]
	buffer_load_dword v134, off, s[0:3], 0 offset:196
	buffer_load_dword v149, off, s[0:3], 0 offset:216
	buffer_load_dword v155, off, s[0:3], 0 offset:208
	buffer_load_dword v157, off, s[0:3], 0 offset:200
	buffer_load_dword v133, off, s[0:3], 0 offset:192
	buffer_load_dword v158, off, s[0:3], 0 offset:204
	buffer_load_dword v156, off, s[0:3], 0 offset:212
	s_waitcnt vmcnt(23) lgkmcnt(0)
	v_fma_f64 v[125:126], v[135:136], v[129:130], v[125:126]
	s_waitcnt vmcnt(18)
	v_fma_f64 v[135:136], v[137:138], v[131:132], v[125:126]
	ds_read2_b64 v[125:128], v0 offset0:79 offset1:80
	ds_read2_b64 v[129:132], v0 offset0:81 offset1:82
	buffer_load_dword v150, off, s[0:3], 0 offset:220
	s_waitcnt vmcnt(18) lgkmcnt(1)
	v_fma_f64 v[125:126], v[143:144], v[125:126], v[135:136]
	s_waitcnt vmcnt(17)
	v_fma_f64 v[125:126], v[141:142], v[127:128], v[125:126]
	buffer_load_dword v136, off, s[0:3], 0 offset:228
	buffer_load_dword v137, off, s[0:3], 0 offset:248
	;; [unrolled: 1-line block ×7, first 2 shown]
	s_waitcnt vmcnt(23) lgkmcnt(0)
	v_fma_f64 v[125:126], v[139:140], v[129:130], v[125:126]
	s_waitcnt vmcnt(18)
	v_fma_f64 v[138:139], v[145:146], v[131:132], v[125:126]
	ds_read2_b64 v[125:128], v0 offset0:83 offset1:84
	ds_read2_b64 v[129:132], v0 offset0:85 offset1:86
	s_waitcnt vmcnt(17) lgkmcnt(1)
	v_fma_f64 v[125:126], v[153:154], v[125:126], v[138:139]
	buffer_load_dword v138, off, s[0:3], 0 offset:252
	s_waitcnt vmcnt(17)
	v_fma_f64 v[125:126], v[151:152], v[127:128], v[125:126]
	buffer_load_dword v140, off, s[0:3], 0 offset:260
	buffer_load_dword v145, off, s[0:3], 0 offset:280
	;; [unrolled: 1-line block ×7, first 2 shown]
	s_waitcnt vmcnt(23) lgkmcnt(0)
	v_fma_f64 v[125:126], v[147:148], v[129:130], v[125:126]
	s_waitcnt vmcnt(18)
	v_fma_f64 v[133:134], v[133:134], v[131:132], v[125:126]
	ds_read2_b64 v[125:128], v0 offset0:87 offset1:88
	ds_read2_b64 v[129:132], v0 offset0:89 offset1:90
	buffer_load_dword v146, off, s[0:3], 0 offset:284
	s_waitcnt vmcnt(18) lgkmcnt(1)
	v_fma_f64 v[125:126], v[157:158], v[125:126], v[133:134]
	s_waitcnt vmcnt(17)
	v_fma_f64 v[125:126], v[155:156], v[127:128], v[125:126]
	buffer_load_dword v134, off, s[0:3], 0 offset:292
	buffer_load_dword v147, off, s[0:3], 0 offset:312
	;; [unrolled: 1-line block ×7, first 2 shown]
	s_waitcnt vmcnt(23) lgkmcnt(0)
	v_fma_f64 v[125:126], v[149:150], v[129:130], v[125:126]
	s_waitcnt vmcnt(18)
	v_fma_f64 v[135:136], v[135:136], v[131:132], v[125:126]
	ds_read2_b64 v[125:128], v0 offset0:91 offset1:92
	ds_read2_b64 v[129:132], v0 offset0:93 offset1:94
	buffer_load_dword v148, off, s[0:3], 0 offset:316
	s_waitcnt vmcnt(18) lgkmcnt(1)
	v_fma_f64 v[125:126], v[143:144], v[125:126], v[135:136]
	s_waitcnt vmcnt(17)
	v_fma_f64 v[125:126], v[141:142], v[127:128], v[125:126]
	buffer_load_dword v136, off, s[0:3], 0 offset:324
	buffer_load_dword v141, off, s[0:3], 0 offset:344
	;; [unrolled: 1-line block ×8, first 2 shown]
	s_waitcnt vmcnt(24) lgkmcnt(0)
	v_fma_f64 v[125:126], v[137:138], v[129:130], v[125:126]
	s_waitcnt vmcnt(19)
	v_fma_f64 v[137:138], v[139:140], v[131:132], v[125:126]
	ds_read2_b64 v[125:128], v0 offset0:95 offset1:96
	ds_read2_b64 v[129:132], v0 offset0:97 offset1:98
	s_waitcnt vmcnt(18) lgkmcnt(1)
	v_fma_f64 v[125:126], v[153:154], v[125:126], v[137:138]
	s_waitcnt vmcnt(17)
	v_fma_f64 v[125:126], v[151:152], v[127:128], v[125:126]
	buffer_load_dword v138, off, s[0:3], 0 offset:356
	buffer_load_dword v139, off, s[0:3], 0 offset:376
	;; [unrolled: 1-line block ×7, first 2 shown]
	s_waitcnt vmcnt(23) lgkmcnt(0)
	v_fma_f64 v[125:126], v[145:146], v[129:130], v[125:126]
	s_waitcnt vmcnt(18)
	v_fma_f64 v[133:134], v[133:134], v[131:132], v[125:126]
	ds_read2_b64 v[125:128], v0 offset0:99 offset1:100
	ds_read2_b64 v[129:132], v0 offset0:101 offset1:102
	buffer_load_dword v140, off, s[0:3], 0 offset:380
	s_waitcnt vmcnt(18) lgkmcnt(1)
	v_fma_f64 v[125:126], v[157:158], v[125:126], v[133:134]
	s_waitcnt vmcnt(17)
	v_fma_f64 v[125:126], v[155:156], v[127:128], v[125:126]
	buffer_load_dword v134, off, s[0:3], 0 offset:388
	buffer_load_dword v145, off, s[0:3], 0 offset:408
	;; [unrolled: 1-line block ×7, first 2 shown]
	s_waitcnt vmcnt(23) lgkmcnt(0)
	v_fma_f64 v[125:126], v[147:148], v[129:130], v[125:126]
	s_waitcnt vmcnt(18)
	v_fma_f64 v[135:136], v[135:136], v[131:132], v[125:126]
	ds_read2_b64 v[125:128], v0 offset0:103 offset1:104
	ds_read2_b64 v[129:132], v0 offset0:105 offset1:106
	buffer_load_dword v146, off, s[0:3], 0 offset:412
	s_waitcnt vmcnt(18) lgkmcnt(1)
	v_fma_f64 v[125:126], v[149:150], v[125:126], v[135:136]
	s_waitcnt vmcnt(17)
	v_fma_f64 v[125:126], v[143:144], v[127:128], v[125:126]
	buffer_load_dword v136, off, s[0:3], 0 offset:420
	buffer_load_dword v143, off, s[0:3], 0 offset:440
	;; [unrolled: 1-line block ×8, first 2 shown]
	s_waitcnt vmcnt(24) lgkmcnt(0)
	v_fma_f64 v[125:126], v[141:142], v[129:130], v[125:126]
	s_waitcnt vmcnt(19)
	v_fma_f64 v[137:138], v[137:138], v[131:132], v[125:126]
	ds_read2_b64 v[125:128], v0 offset0:107 offset1:108
	ds_read2_b64 v[129:132], v0 offset0:109 offset1:110
	s_waitcnt vmcnt(18) lgkmcnt(1)
	v_fma_f64 v[125:126], v[153:154], v[125:126], v[137:138]
	s_waitcnt vmcnt(17)
	v_fma_f64 v[125:126], v[151:152], v[127:128], v[125:126]
	buffer_load_dword v138, off, s[0:3], 0 offset:452
	buffer_load_dword v141, off, s[0:3], 0 offset:472
	;; [unrolled: 1-line block ×7, first 2 shown]
	s_waitcnt vmcnt(23) lgkmcnt(0)
	v_fma_f64 v[125:126], v[139:140], v[129:130], v[125:126]
	s_waitcnt vmcnt(18)
	v_fma_f64 v[133:134], v[133:134], v[131:132], v[125:126]
	ds_read2_b64 v[125:128], v0 offset0:111 offset1:112
	ds_read2_b64 v[129:132], v0 offset0:113 offset1:114
	buffer_load_dword v142, off, s[0:3], 0 offset:476
	s_waitcnt vmcnt(18) lgkmcnt(1)
	v_fma_f64 v[125:126], v[157:158], v[125:126], v[133:134]
	s_waitcnt vmcnt(17)
	v_fma_f64 v[125:126], v[155:156], v[127:128], v[125:126]
	buffer_load_dword v128, off, s[0:3], 0 offset:484
	buffer_load_dword v139, off, s[0:3], 0 offset:488
	;; [unrolled: 1-line block ×4, first 2 shown]
	s_waitcnt vmcnt(20) lgkmcnt(0)
	v_fma_f64 v[125:126], v[145:146], v[129:130], v[125:126]
	buffer_load_dword v145, off, s[0:3], 0
	buffer_load_dword v146, off, s[0:3], 0 offset:4
	s_waitcnt vmcnt(17)
	v_fma_f64 v[125:126], v[135:136], v[131:132], v[125:126]
	ds_read2_b64 v[129:132], v0 offset0:115 offset1:116
	ds_read2_b64 v[133:136], v0 offset0:117 offset1:118
	s_waitcnt vmcnt(16) lgkmcnt(1)
	v_fma_f64 v[125:126], v[149:150], v[129:130], v[125:126]
	s_waitcnt vmcnt(15)
	v_fma_f64 v[125:126], v[147:148], v[131:132], v[125:126]
	s_waitcnt vmcnt(14) lgkmcnt(0)
	v_fma_f64 v[125:126], v[143:144], v[133:134], v[125:126]
	s_waitcnt vmcnt(9)
	v_fma_f64 v[125:126], v[137:138], v[135:136], v[125:126]
	ds_read2_b64 v[129:132], v0 offset0:119 offset1:120
	ds_read2_b64 v[133:136], v0 offset0:121 offset1:122
	s_waitcnt vmcnt(8) lgkmcnt(1)
	v_fma_f64 v[125:126], v[153:154], v[129:130], v[125:126]
	ds_read_b64 v[129:130], v0 offset:984
	s_waitcnt vmcnt(7)
	v_fma_f64 v[125:126], v[151:152], v[131:132], v[125:126]
	s_waitcnt vmcnt(6) lgkmcnt(1)
	v_fma_f64 v[125:126], v[141:142], v[133:134], v[125:126]
	s_waitcnt vmcnt(3)
	v_fma_f64 v[125:126], v[127:128], v[135:136], v[125:126]
	s_waitcnt vmcnt(2) lgkmcnt(0)
	v_fma_f64 v[125:126], v[139:140], v[129:130], v[125:126]
	s_waitcnt vmcnt(0)
	v_add_f64 v[125:126], v[145:146], -v[125:126]
	buffer_store_dword v126, off, s[0:3], 0 offset:4
	buffer_store_dword v125, off, s[0:3], 0
	s_cbranch_vccz .LBB61_502
; %bb.380:
	global_load_dword v0, v0, s[20:21] offset:240
	s_waitcnt vmcnt(0)
	v_add_u32_e32 v0, -1, v0
	v_cmp_ne_u32_e32 vcc, 60, v0
	s_cbranch_vccz .LBB61_382
; %bb.381:
	v_lshlrev_b32_e32 v0, 3, v0
	buffer_load_dword v125, v0, s[0:3], 0 offen offset:4
	buffer_load_dword v126, v0, s[0:3], 0 offen
	s_waitcnt vmcnt(1)
	buffer_store_dword v125, off, s[0:3], 0 offset:484
	s_waitcnt vmcnt(1)
	buffer_store_dword v126, off, s[0:3], 0 offset:480
	buffer_store_dword v128, v0, s[0:3], 0 offen offset:4
	buffer_store_dword v127, v0, s[0:3], 0 offen
.LBB61_382:
	v_mov_b32_e32 v0, 0
	global_load_dword v125, v0, s[20:21] offset:236
	s_waitcnt vmcnt(0)
	v_add_u32_e32 v125, -1, v125
	v_cmp_eq_u32_e32 vcc, 59, v125
	s_cbranch_vccnz .LBB61_384
; %bb.383:
	v_lshlrev_b32_e32 v125, 3, v125
	buffer_load_dword v126, v125, s[0:3], 0 offen
	buffer_load_dword v127, v125, s[0:3], 0 offen offset:4
	buffer_load_dword v128, off, s[0:3], 0 offset:472
	buffer_load_dword v129, off, s[0:3], 0 offset:476
	s_waitcnt vmcnt(3)
	buffer_store_dword v126, off, s[0:3], 0 offset:472
	s_waitcnt vmcnt(3)
	buffer_store_dword v127, off, s[0:3], 0 offset:476
	s_waitcnt vmcnt(3)
	buffer_store_dword v128, v125, s[0:3], 0 offen
	s_waitcnt vmcnt(3)
	buffer_store_dword v129, v125, s[0:3], 0 offen offset:4
.LBB61_384:
	global_load_dword v0, v0, s[20:21] offset:232
	s_waitcnt vmcnt(0)
	v_add_u32_e32 v0, -1, v0
	v_cmp_eq_u32_e32 vcc, 58, v0
	s_cbranch_vccnz .LBB61_386
; %bb.385:
	v_lshlrev_b32_e32 v0, 3, v0
	buffer_load_dword v125, v0, s[0:3], 0 offen
	buffer_load_dword v126, v0, s[0:3], 0 offen offset:4
	buffer_load_dword v127, off, s[0:3], 0 offset:468
	buffer_load_dword v128, off, s[0:3], 0 offset:464
	s_waitcnt vmcnt(3)
	buffer_store_dword v125, off, s[0:3], 0 offset:464
	s_waitcnt vmcnt(3)
	buffer_store_dword v126, off, s[0:3], 0 offset:468
	s_waitcnt vmcnt(3)
	buffer_store_dword v127, v0, s[0:3], 0 offen offset:4
	s_waitcnt vmcnt(3)
	buffer_store_dword v128, v0, s[0:3], 0 offen
.LBB61_386:
	v_mov_b32_e32 v0, 0
	global_load_dword v125, v0, s[20:21] offset:228
	s_waitcnt vmcnt(0)
	v_add_u32_e32 v125, -1, v125
	v_cmp_eq_u32_e32 vcc, 57, v125
	s_cbranch_vccnz .LBB61_388
; %bb.387:
	v_lshlrev_b32_e32 v125, 3, v125
	buffer_load_dword v126, v125, s[0:3], 0 offen
	buffer_load_dword v127, v125, s[0:3], 0 offen offset:4
	buffer_load_dword v128, off, s[0:3], 0 offset:456
	buffer_load_dword v129, off, s[0:3], 0 offset:460
	s_waitcnt vmcnt(3)
	buffer_store_dword v126, off, s[0:3], 0 offset:456
	s_waitcnt vmcnt(3)
	buffer_store_dword v127, off, s[0:3], 0 offset:460
	s_waitcnt vmcnt(3)
	buffer_store_dword v128, v125, s[0:3], 0 offen
	s_waitcnt vmcnt(3)
	buffer_store_dword v129, v125, s[0:3], 0 offen offset:4
.LBB61_388:
	global_load_dword v0, v0, s[20:21] offset:224
	s_waitcnt vmcnt(0)
	v_add_u32_e32 v0, -1, v0
	v_cmp_eq_u32_e32 vcc, 56, v0
	s_cbranch_vccnz .LBB61_390
; %bb.389:
	v_lshlrev_b32_e32 v0, 3, v0
	buffer_load_dword v125, v0, s[0:3], 0 offen
	buffer_load_dword v126, v0, s[0:3], 0 offen offset:4
	buffer_load_dword v127, off, s[0:3], 0 offset:452
	buffer_load_dword v128, off, s[0:3], 0 offset:448
	s_waitcnt vmcnt(3)
	buffer_store_dword v125, off, s[0:3], 0 offset:448
	s_waitcnt vmcnt(3)
	buffer_store_dword v126, off, s[0:3], 0 offset:452
	s_waitcnt vmcnt(3)
	buffer_store_dword v127, v0, s[0:3], 0 offen offset:4
	s_waitcnt vmcnt(3)
	buffer_store_dword v128, v0, s[0:3], 0 offen
.LBB61_390:
	v_mov_b32_e32 v0, 0
	global_load_dword v125, v0, s[20:21] offset:220
	s_waitcnt vmcnt(0)
	v_add_u32_e32 v125, -1, v125
	v_cmp_eq_u32_e32 vcc, 55, v125
	s_cbranch_vccnz .LBB61_392
; %bb.391:
	v_lshlrev_b32_e32 v125, 3, v125
	buffer_load_dword v126, v125, s[0:3], 0 offen
	buffer_load_dword v127, v125, s[0:3], 0 offen offset:4
	buffer_load_dword v128, off, s[0:3], 0 offset:440
	buffer_load_dword v129, off, s[0:3], 0 offset:444
	s_waitcnt vmcnt(3)
	buffer_store_dword v126, off, s[0:3], 0 offset:440
	s_waitcnt vmcnt(3)
	buffer_store_dword v127, off, s[0:3], 0 offset:444
	s_waitcnt vmcnt(3)
	buffer_store_dword v128, v125, s[0:3], 0 offen
	s_waitcnt vmcnt(3)
	buffer_store_dword v129, v125, s[0:3], 0 offen offset:4
.LBB61_392:
	global_load_dword v0, v0, s[20:21] offset:216
	s_waitcnt vmcnt(0)
	v_add_u32_e32 v0, -1, v0
	v_cmp_eq_u32_e32 vcc, 54, v0
	s_cbranch_vccnz .LBB61_394
; %bb.393:
	v_lshlrev_b32_e32 v0, 3, v0
	buffer_load_dword v125, v0, s[0:3], 0 offen
	buffer_load_dword v126, v0, s[0:3], 0 offen offset:4
	buffer_load_dword v127, off, s[0:3], 0 offset:436
	buffer_load_dword v128, off, s[0:3], 0 offset:432
	s_waitcnt vmcnt(3)
	buffer_store_dword v125, off, s[0:3], 0 offset:432
	s_waitcnt vmcnt(3)
	buffer_store_dword v126, off, s[0:3], 0 offset:436
	s_waitcnt vmcnt(3)
	buffer_store_dword v127, v0, s[0:3], 0 offen offset:4
	s_waitcnt vmcnt(3)
	buffer_store_dword v128, v0, s[0:3], 0 offen
.LBB61_394:
	v_mov_b32_e32 v0, 0
	global_load_dword v125, v0, s[20:21] offset:212
	s_waitcnt vmcnt(0)
	v_add_u32_e32 v125, -1, v125
	v_cmp_eq_u32_e32 vcc, 53, v125
	s_cbranch_vccnz .LBB61_396
; %bb.395:
	v_lshlrev_b32_e32 v125, 3, v125
	buffer_load_dword v126, v125, s[0:3], 0 offen
	buffer_load_dword v127, v125, s[0:3], 0 offen offset:4
	buffer_load_dword v128, off, s[0:3], 0 offset:424
	buffer_load_dword v129, off, s[0:3], 0 offset:428
	s_waitcnt vmcnt(3)
	buffer_store_dword v126, off, s[0:3], 0 offset:424
	s_waitcnt vmcnt(3)
	buffer_store_dword v127, off, s[0:3], 0 offset:428
	s_waitcnt vmcnt(3)
	buffer_store_dword v128, v125, s[0:3], 0 offen
	s_waitcnt vmcnt(3)
	buffer_store_dword v129, v125, s[0:3], 0 offen offset:4
.LBB61_396:
	global_load_dword v0, v0, s[20:21] offset:208
	s_waitcnt vmcnt(0)
	v_add_u32_e32 v0, -1, v0
	v_cmp_eq_u32_e32 vcc, 52, v0
	s_cbranch_vccnz .LBB61_398
; %bb.397:
	v_lshlrev_b32_e32 v0, 3, v0
	buffer_load_dword v125, v0, s[0:3], 0 offen
	buffer_load_dword v126, v0, s[0:3], 0 offen offset:4
	buffer_load_dword v127, off, s[0:3], 0 offset:420
	buffer_load_dword v128, off, s[0:3], 0 offset:416
	s_waitcnt vmcnt(3)
	buffer_store_dword v125, off, s[0:3], 0 offset:416
	s_waitcnt vmcnt(3)
	buffer_store_dword v126, off, s[0:3], 0 offset:420
	s_waitcnt vmcnt(3)
	buffer_store_dword v127, v0, s[0:3], 0 offen offset:4
	s_waitcnt vmcnt(3)
	buffer_store_dword v128, v0, s[0:3], 0 offen
.LBB61_398:
	v_mov_b32_e32 v0, 0
	global_load_dword v125, v0, s[20:21] offset:204
	s_waitcnt vmcnt(0)
	v_add_u32_e32 v125, -1, v125
	v_cmp_eq_u32_e32 vcc, 51, v125
	s_cbranch_vccnz .LBB61_400
; %bb.399:
	v_lshlrev_b32_e32 v125, 3, v125
	buffer_load_dword v126, v125, s[0:3], 0 offen
	buffer_load_dword v127, v125, s[0:3], 0 offen offset:4
	buffer_load_dword v128, off, s[0:3], 0 offset:408
	buffer_load_dword v129, off, s[0:3], 0 offset:412
	s_waitcnt vmcnt(3)
	buffer_store_dword v126, off, s[0:3], 0 offset:408
	s_waitcnt vmcnt(3)
	buffer_store_dword v127, off, s[0:3], 0 offset:412
	s_waitcnt vmcnt(3)
	buffer_store_dword v128, v125, s[0:3], 0 offen
	s_waitcnt vmcnt(3)
	buffer_store_dword v129, v125, s[0:3], 0 offen offset:4
.LBB61_400:
	global_load_dword v0, v0, s[20:21] offset:200
	s_waitcnt vmcnt(0)
	v_add_u32_e32 v0, -1, v0
	v_cmp_eq_u32_e32 vcc, 50, v0
	s_cbranch_vccnz .LBB61_402
; %bb.401:
	v_lshlrev_b32_e32 v0, 3, v0
	buffer_load_dword v125, v0, s[0:3], 0 offen
	buffer_load_dword v126, v0, s[0:3], 0 offen offset:4
	buffer_load_dword v127, off, s[0:3], 0 offset:404
	buffer_load_dword v128, off, s[0:3], 0 offset:400
	s_waitcnt vmcnt(3)
	buffer_store_dword v125, off, s[0:3], 0 offset:400
	s_waitcnt vmcnt(3)
	buffer_store_dword v126, off, s[0:3], 0 offset:404
	s_waitcnt vmcnt(3)
	buffer_store_dword v127, v0, s[0:3], 0 offen offset:4
	s_waitcnt vmcnt(3)
	buffer_store_dword v128, v0, s[0:3], 0 offen
.LBB61_402:
	v_mov_b32_e32 v0, 0
	global_load_dword v125, v0, s[20:21] offset:196
	s_waitcnt vmcnt(0)
	v_add_u32_e32 v125, -1, v125
	v_cmp_eq_u32_e32 vcc, 49, v125
	s_cbranch_vccnz .LBB61_404
; %bb.403:
	v_lshlrev_b32_e32 v125, 3, v125
	buffer_load_dword v126, v125, s[0:3], 0 offen
	buffer_load_dword v127, v125, s[0:3], 0 offen offset:4
	buffer_load_dword v128, off, s[0:3], 0 offset:392
	buffer_load_dword v129, off, s[0:3], 0 offset:396
	s_waitcnt vmcnt(3)
	buffer_store_dword v126, off, s[0:3], 0 offset:392
	s_waitcnt vmcnt(3)
	buffer_store_dword v127, off, s[0:3], 0 offset:396
	s_waitcnt vmcnt(3)
	buffer_store_dword v128, v125, s[0:3], 0 offen
	s_waitcnt vmcnt(3)
	buffer_store_dword v129, v125, s[0:3], 0 offen offset:4
.LBB61_404:
	global_load_dword v0, v0, s[20:21] offset:192
	s_waitcnt vmcnt(0)
	v_add_u32_e32 v0, -1, v0
	v_cmp_eq_u32_e32 vcc, 48, v0
	s_cbranch_vccnz .LBB61_406
; %bb.405:
	v_lshlrev_b32_e32 v0, 3, v0
	buffer_load_dword v125, v0, s[0:3], 0 offen
	buffer_load_dword v126, v0, s[0:3], 0 offen offset:4
	buffer_load_dword v127, off, s[0:3], 0 offset:388
	buffer_load_dword v128, off, s[0:3], 0 offset:384
	s_waitcnt vmcnt(3)
	buffer_store_dword v125, off, s[0:3], 0 offset:384
	s_waitcnt vmcnt(3)
	buffer_store_dword v126, off, s[0:3], 0 offset:388
	s_waitcnt vmcnt(3)
	buffer_store_dword v127, v0, s[0:3], 0 offen offset:4
	s_waitcnt vmcnt(3)
	buffer_store_dword v128, v0, s[0:3], 0 offen
.LBB61_406:
	v_mov_b32_e32 v0, 0
	global_load_dword v125, v0, s[20:21] offset:188
	s_waitcnt vmcnt(0)
	v_add_u32_e32 v125, -1, v125
	v_cmp_eq_u32_e32 vcc, 47, v125
	s_cbranch_vccnz .LBB61_408
; %bb.407:
	v_lshlrev_b32_e32 v125, 3, v125
	buffer_load_dword v126, v125, s[0:3], 0 offen
	buffer_load_dword v127, v125, s[0:3], 0 offen offset:4
	buffer_load_dword v128, off, s[0:3], 0 offset:376
	buffer_load_dword v129, off, s[0:3], 0 offset:380
	s_waitcnt vmcnt(3)
	buffer_store_dword v126, off, s[0:3], 0 offset:376
	s_waitcnt vmcnt(3)
	buffer_store_dword v127, off, s[0:3], 0 offset:380
	s_waitcnt vmcnt(3)
	buffer_store_dword v128, v125, s[0:3], 0 offen
	s_waitcnt vmcnt(3)
	buffer_store_dword v129, v125, s[0:3], 0 offen offset:4
.LBB61_408:
	global_load_dword v0, v0, s[20:21] offset:184
	s_waitcnt vmcnt(0)
	v_add_u32_e32 v0, -1, v0
	v_cmp_eq_u32_e32 vcc, 46, v0
	s_cbranch_vccnz .LBB61_410
; %bb.409:
	v_lshlrev_b32_e32 v0, 3, v0
	buffer_load_dword v125, v0, s[0:3], 0 offen
	buffer_load_dword v126, v0, s[0:3], 0 offen offset:4
	buffer_load_dword v127, off, s[0:3], 0 offset:372
	buffer_load_dword v128, off, s[0:3], 0 offset:368
	s_waitcnt vmcnt(3)
	buffer_store_dword v125, off, s[0:3], 0 offset:368
	s_waitcnt vmcnt(3)
	buffer_store_dword v126, off, s[0:3], 0 offset:372
	s_waitcnt vmcnt(3)
	buffer_store_dword v127, v0, s[0:3], 0 offen offset:4
	s_waitcnt vmcnt(3)
	buffer_store_dword v128, v0, s[0:3], 0 offen
.LBB61_410:
	v_mov_b32_e32 v0, 0
	global_load_dword v125, v0, s[20:21] offset:180
	s_waitcnt vmcnt(0)
	v_add_u32_e32 v125, -1, v125
	v_cmp_eq_u32_e32 vcc, 45, v125
	s_cbranch_vccnz .LBB61_412
; %bb.411:
	v_lshlrev_b32_e32 v125, 3, v125
	buffer_load_dword v126, v125, s[0:3], 0 offen
	buffer_load_dword v127, v125, s[0:3], 0 offen offset:4
	buffer_load_dword v128, off, s[0:3], 0 offset:360
	buffer_load_dword v129, off, s[0:3], 0 offset:364
	s_waitcnt vmcnt(3)
	buffer_store_dword v126, off, s[0:3], 0 offset:360
	s_waitcnt vmcnt(3)
	buffer_store_dword v127, off, s[0:3], 0 offset:364
	s_waitcnt vmcnt(3)
	buffer_store_dword v128, v125, s[0:3], 0 offen
	s_waitcnt vmcnt(3)
	buffer_store_dword v129, v125, s[0:3], 0 offen offset:4
.LBB61_412:
	global_load_dword v0, v0, s[20:21] offset:176
	s_waitcnt vmcnt(0)
	v_add_u32_e32 v0, -1, v0
	v_cmp_eq_u32_e32 vcc, 44, v0
	s_cbranch_vccnz .LBB61_414
; %bb.413:
	v_lshlrev_b32_e32 v0, 3, v0
	buffer_load_dword v125, v0, s[0:3], 0 offen
	buffer_load_dword v126, v0, s[0:3], 0 offen offset:4
	buffer_load_dword v127, off, s[0:3], 0 offset:356
	buffer_load_dword v128, off, s[0:3], 0 offset:352
	s_waitcnt vmcnt(3)
	buffer_store_dword v125, off, s[0:3], 0 offset:352
	s_waitcnt vmcnt(3)
	buffer_store_dword v126, off, s[0:3], 0 offset:356
	s_waitcnt vmcnt(3)
	buffer_store_dword v127, v0, s[0:3], 0 offen offset:4
	s_waitcnt vmcnt(3)
	buffer_store_dword v128, v0, s[0:3], 0 offen
.LBB61_414:
	v_mov_b32_e32 v0, 0
	global_load_dword v125, v0, s[20:21] offset:172
	s_waitcnt vmcnt(0)
	v_add_u32_e32 v125, -1, v125
	v_cmp_eq_u32_e32 vcc, 43, v125
	s_cbranch_vccnz .LBB61_416
; %bb.415:
	v_lshlrev_b32_e32 v125, 3, v125
	buffer_load_dword v126, v125, s[0:3], 0 offen
	buffer_load_dword v127, v125, s[0:3], 0 offen offset:4
	buffer_load_dword v128, off, s[0:3], 0 offset:344
	buffer_load_dword v129, off, s[0:3], 0 offset:348
	s_waitcnt vmcnt(3)
	buffer_store_dword v126, off, s[0:3], 0 offset:344
	s_waitcnt vmcnt(3)
	buffer_store_dword v127, off, s[0:3], 0 offset:348
	s_waitcnt vmcnt(3)
	buffer_store_dword v128, v125, s[0:3], 0 offen
	s_waitcnt vmcnt(3)
	buffer_store_dword v129, v125, s[0:3], 0 offen offset:4
.LBB61_416:
	global_load_dword v0, v0, s[20:21] offset:168
	s_waitcnt vmcnt(0)
	v_add_u32_e32 v0, -1, v0
	v_cmp_eq_u32_e32 vcc, 42, v0
	s_cbranch_vccnz .LBB61_418
; %bb.417:
	v_lshlrev_b32_e32 v0, 3, v0
	buffer_load_dword v125, v0, s[0:3], 0 offen
	buffer_load_dword v126, v0, s[0:3], 0 offen offset:4
	buffer_load_dword v127, off, s[0:3], 0 offset:340
	buffer_load_dword v128, off, s[0:3], 0 offset:336
	s_waitcnt vmcnt(3)
	buffer_store_dword v125, off, s[0:3], 0 offset:336
	s_waitcnt vmcnt(3)
	buffer_store_dword v126, off, s[0:3], 0 offset:340
	s_waitcnt vmcnt(3)
	buffer_store_dword v127, v0, s[0:3], 0 offen offset:4
	s_waitcnt vmcnt(3)
	buffer_store_dword v128, v0, s[0:3], 0 offen
.LBB61_418:
	v_mov_b32_e32 v0, 0
	global_load_dword v125, v0, s[20:21] offset:164
	s_waitcnt vmcnt(0)
	v_add_u32_e32 v125, -1, v125
	v_cmp_eq_u32_e32 vcc, 41, v125
	s_cbranch_vccnz .LBB61_420
; %bb.419:
	v_lshlrev_b32_e32 v125, 3, v125
	buffer_load_dword v126, v125, s[0:3], 0 offen
	buffer_load_dword v127, v125, s[0:3], 0 offen offset:4
	buffer_load_dword v128, off, s[0:3], 0 offset:328
	buffer_load_dword v129, off, s[0:3], 0 offset:332
	s_waitcnt vmcnt(3)
	buffer_store_dword v126, off, s[0:3], 0 offset:328
	s_waitcnt vmcnt(3)
	buffer_store_dword v127, off, s[0:3], 0 offset:332
	s_waitcnt vmcnt(3)
	buffer_store_dword v128, v125, s[0:3], 0 offen
	s_waitcnt vmcnt(3)
	buffer_store_dword v129, v125, s[0:3], 0 offen offset:4
.LBB61_420:
	global_load_dword v0, v0, s[20:21] offset:160
	s_waitcnt vmcnt(0)
	v_add_u32_e32 v0, -1, v0
	v_cmp_eq_u32_e32 vcc, 40, v0
	s_cbranch_vccnz .LBB61_422
; %bb.421:
	v_lshlrev_b32_e32 v0, 3, v0
	buffer_load_dword v125, v0, s[0:3], 0 offen
	buffer_load_dword v126, v0, s[0:3], 0 offen offset:4
	buffer_load_dword v127, off, s[0:3], 0 offset:324
	buffer_load_dword v128, off, s[0:3], 0 offset:320
	s_waitcnt vmcnt(3)
	buffer_store_dword v125, off, s[0:3], 0 offset:320
	s_waitcnt vmcnt(3)
	buffer_store_dword v126, off, s[0:3], 0 offset:324
	s_waitcnt vmcnt(3)
	buffer_store_dword v127, v0, s[0:3], 0 offen offset:4
	s_waitcnt vmcnt(3)
	buffer_store_dword v128, v0, s[0:3], 0 offen
.LBB61_422:
	v_mov_b32_e32 v0, 0
	global_load_dword v125, v0, s[20:21] offset:156
	s_waitcnt vmcnt(0)
	v_add_u32_e32 v125, -1, v125
	v_cmp_eq_u32_e32 vcc, 39, v125
	s_cbranch_vccnz .LBB61_424
; %bb.423:
	v_lshlrev_b32_e32 v125, 3, v125
	buffer_load_dword v126, v125, s[0:3], 0 offen
	buffer_load_dword v127, v125, s[0:3], 0 offen offset:4
	buffer_load_dword v128, off, s[0:3], 0 offset:312
	buffer_load_dword v129, off, s[0:3], 0 offset:316
	s_waitcnt vmcnt(3)
	buffer_store_dword v126, off, s[0:3], 0 offset:312
	s_waitcnt vmcnt(3)
	buffer_store_dword v127, off, s[0:3], 0 offset:316
	s_waitcnt vmcnt(3)
	buffer_store_dword v128, v125, s[0:3], 0 offen
	s_waitcnt vmcnt(3)
	buffer_store_dword v129, v125, s[0:3], 0 offen offset:4
.LBB61_424:
	global_load_dword v0, v0, s[20:21] offset:152
	s_waitcnt vmcnt(0)
	v_add_u32_e32 v0, -1, v0
	v_cmp_eq_u32_e32 vcc, 38, v0
	s_cbranch_vccnz .LBB61_426
; %bb.425:
	v_lshlrev_b32_e32 v0, 3, v0
	buffer_load_dword v125, v0, s[0:3], 0 offen
	buffer_load_dword v126, v0, s[0:3], 0 offen offset:4
	buffer_load_dword v127, off, s[0:3], 0 offset:308
	buffer_load_dword v128, off, s[0:3], 0 offset:304
	s_waitcnt vmcnt(3)
	buffer_store_dword v125, off, s[0:3], 0 offset:304
	s_waitcnt vmcnt(3)
	buffer_store_dword v126, off, s[0:3], 0 offset:308
	s_waitcnt vmcnt(3)
	buffer_store_dword v127, v0, s[0:3], 0 offen offset:4
	s_waitcnt vmcnt(3)
	buffer_store_dword v128, v0, s[0:3], 0 offen
.LBB61_426:
	v_mov_b32_e32 v0, 0
	global_load_dword v125, v0, s[20:21] offset:148
	s_waitcnt vmcnt(0)
	v_add_u32_e32 v125, -1, v125
	v_cmp_eq_u32_e32 vcc, 37, v125
	s_cbranch_vccnz .LBB61_428
; %bb.427:
	v_lshlrev_b32_e32 v125, 3, v125
	buffer_load_dword v126, v125, s[0:3], 0 offen
	buffer_load_dword v127, v125, s[0:3], 0 offen offset:4
	buffer_load_dword v128, off, s[0:3], 0 offset:296
	buffer_load_dword v129, off, s[0:3], 0 offset:300
	s_waitcnt vmcnt(3)
	buffer_store_dword v126, off, s[0:3], 0 offset:296
	s_waitcnt vmcnt(3)
	buffer_store_dword v127, off, s[0:3], 0 offset:300
	s_waitcnt vmcnt(3)
	buffer_store_dword v128, v125, s[0:3], 0 offen
	s_waitcnt vmcnt(3)
	buffer_store_dword v129, v125, s[0:3], 0 offen offset:4
.LBB61_428:
	global_load_dword v0, v0, s[20:21] offset:144
	s_waitcnt vmcnt(0)
	v_add_u32_e32 v0, -1, v0
	v_cmp_eq_u32_e32 vcc, 36, v0
	s_cbranch_vccnz .LBB61_430
; %bb.429:
	v_lshlrev_b32_e32 v0, 3, v0
	buffer_load_dword v125, v0, s[0:3], 0 offen
	buffer_load_dword v126, v0, s[0:3], 0 offen offset:4
	buffer_load_dword v127, off, s[0:3], 0 offset:292
	buffer_load_dword v128, off, s[0:3], 0 offset:288
	s_waitcnt vmcnt(3)
	buffer_store_dword v125, off, s[0:3], 0 offset:288
	s_waitcnt vmcnt(3)
	buffer_store_dword v126, off, s[0:3], 0 offset:292
	s_waitcnt vmcnt(3)
	buffer_store_dword v127, v0, s[0:3], 0 offen offset:4
	s_waitcnt vmcnt(3)
	buffer_store_dword v128, v0, s[0:3], 0 offen
.LBB61_430:
	v_mov_b32_e32 v0, 0
	global_load_dword v125, v0, s[20:21] offset:140
	s_waitcnt vmcnt(0)
	v_add_u32_e32 v125, -1, v125
	v_cmp_eq_u32_e32 vcc, 35, v125
	s_cbranch_vccnz .LBB61_432
; %bb.431:
	v_lshlrev_b32_e32 v125, 3, v125
	buffer_load_dword v126, v125, s[0:3], 0 offen
	buffer_load_dword v127, v125, s[0:3], 0 offen offset:4
	buffer_load_dword v128, off, s[0:3], 0 offset:280
	buffer_load_dword v129, off, s[0:3], 0 offset:284
	s_waitcnt vmcnt(3)
	buffer_store_dword v126, off, s[0:3], 0 offset:280
	s_waitcnt vmcnt(3)
	buffer_store_dword v127, off, s[0:3], 0 offset:284
	s_waitcnt vmcnt(3)
	buffer_store_dword v128, v125, s[0:3], 0 offen
	s_waitcnt vmcnt(3)
	buffer_store_dword v129, v125, s[0:3], 0 offen offset:4
.LBB61_432:
	global_load_dword v0, v0, s[20:21] offset:136
	s_waitcnt vmcnt(0)
	v_add_u32_e32 v0, -1, v0
	v_cmp_eq_u32_e32 vcc, 34, v0
	s_cbranch_vccnz .LBB61_434
; %bb.433:
	v_lshlrev_b32_e32 v0, 3, v0
	buffer_load_dword v125, v0, s[0:3], 0 offen
	buffer_load_dword v126, v0, s[0:3], 0 offen offset:4
	buffer_load_dword v127, off, s[0:3], 0 offset:276
	buffer_load_dword v128, off, s[0:3], 0 offset:272
	s_waitcnt vmcnt(3)
	buffer_store_dword v125, off, s[0:3], 0 offset:272
	s_waitcnt vmcnt(3)
	buffer_store_dword v126, off, s[0:3], 0 offset:276
	s_waitcnt vmcnt(3)
	buffer_store_dword v127, v0, s[0:3], 0 offen offset:4
	s_waitcnt vmcnt(3)
	buffer_store_dword v128, v0, s[0:3], 0 offen
.LBB61_434:
	v_mov_b32_e32 v0, 0
	global_load_dword v125, v0, s[20:21] offset:132
	s_waitcnt vmcnt(0)
	v_add_u32_e32 v125, -1, v125
	v_cmp_eq_u32_e32 vcc, 33, v125
	s_cbranch_vccnz .LBB61_436
; %bb.435:
	v_lshlrev_b32_e32 v125, 3, v125
	buffer_load_dword v126, v125, s[0:3], 0 offen
	buffer_load_dword v127, v125, s[0:3], 0 offen offset:4
	buffer_load_dword v128, off, s[0:3], 0 offset:264
	buffer_load_dword v129, off, s[0:3], 0 offset:268
	s_waitcnt vmcnt(3)
	buffer_store_dword v126, off, s[0:3], 0 offset:264
	s_waitcnt vmcnt(3)
	buffer_store_dword v127, off, s[0:3], 0 offset:268
	s_waitcnt vmcnt(3)
	buffer_store_dword v128, v125, s[0:3], 0 offen
	s_waitcnt vmcnt(3)
	buffer_store_dword v129, v125, s[0:3], 0 offen offset:4
.LBB61_436:
	global_load_dword v0, v0, s[20:21] offset:128
	s_waitcnt vmcnt(0)
	v_add_u32_e32 v0, -1, v0
	v_cmp_eq_u32_e32 vcc, 32, v0
	s_cbranch_vccnz .LBB61_438
; %bb.437:
	v_lshlrev_b32_e32 v0, 3, v0
	buffer_load_dword v125, v0, s[0:3], 0 offen
	buffer_load_dword v126, v0, s[0:3], 0 offen offset:4
	buffer_load_dword v127, off, s[0:3], 0 offset:260
	buffer_load_dword v128, off, s[0:3], 0 offset:256
	s_waitcnt vmcnt(3)
	buffer_store_dword v125, off, s[0:3], 0 offset:256
	s_waitcnt vmcnt(3)
	buffer_store_dword v126, off, s[0:3], 0 offset:260
	s_waitcnt vmcnt(3)
	buffer_store_dword v127, v0, s[0:3], 0 offen offset:4
	s_waitcnt vmcnt(3)
	buffer_store_dword v128, v0, s[0:3], 0 offen
.LBB61_438:
	v_mov_b32_e32 v0, 0
	global_load_dword v125, v0, s[20:21] offset:124
	s_waitcnt vmcnt(0)
	v_add_u32_e32 v125, -1, v125
	v_cmp_eq_u32_e32 vcc, 31, v125
	s_cbranch_vccnz .LBB61_440
; %bb.439:
	v_lshlrev_b32_e32 v125, 3, v125
	buffer_load_dword v126, v125, s[0:3], 0 offen
	buffer_load_dword v127, v125, s[0:3], 0 offen offset:4
	buffer_load_dword v128, off, s[0:3], 0 offset:248
	buffer_load_dword v129, off, s[0:3], 0 offset:252
	s_waitcnt vmcnt(3)
	buffer_store_dword v126, off, s[0:3], 0 offset:248
	s_waitcnt vmcnt(3)
	buffer_store_dword v127, off, s[0:3], 0 offset:252
	s_waitcnt vmcnt(3)
	buffer_store_dword v128, v125, s[0:3], 0 offen
	s_waitcnt vmcnt(3)
	buffer_store_dword v129, v125, s[0:3], 0 offen offset:4
.LBB61_440:
	global_load_dword v0, v0, s[20:21] offset:120
	s_waitcnt vmcnt(0)
	v_add_u32_e32 v0, -1, v0
	v_cmp_eq_u32_e32 vcc, 30, v0
	s_cbranch_vccnz .LBB61_442
; %bb.441:
	v_lshlrev_b32_e32 v0, 3, v0
	buffer_load_dword v125, v0, s[0:3], 0 offen
	buffer_load_dword v126, v0, s[0:3], 0 offen offset:4
	buffer_load_dword v127, off, s[0:3], 0 offset:244
	buffer_load_dword v128, off, s[0:3], 0 offset:240
	s_waitcnt vmcnt(3)
	buffer_store_dword v125, off, s[0:3], 0 offset:240
	s_waitcnt vmcnt(3)
	buffer_store_dword v126, off, s[0:3], 0 offset:244
	s_waitcnt vmcnt(3)
	buffer_store_dword v127, v0, s[0:3], 0 offen offset:4
	s_waitcnt vmcnt(3)
	buffer_store_dword v128, v0, s[0:3], 0 offen
.LBB61_442:
	v_mov_b32_e32 v0, 0
	global_load_dword v125, v0, s[20:21] offset:116
	s_waitcnt vmcnt(0)
	v_add_u32_e32 v125, -1, v125
	v_cmp_eq_u32_e32 vcc, 29, v125
	s_cbranch_vccnz .LBB61_444
; %bb.443:
	v_lshlrev_b32_e32 v125, 3, v125
	buffer_load_dword v126, v125, s[0:3], 0 offen
	buffer_load_dword v127, v125, s[0:3], 0 offen offset:4
	buffer_load_dword v128, off, s[0:3], 0 offset:232
	buffer_load_dword v129, off, s[0:3], 0 offset:236
	s_waitcnt vmcnt(3)
	buffer_store_dword v126, off, s[0:3], 0 offset:232
	s_waitcnt vmcnt(3)
	buffer_store_dword v127, off, s[0:3], 0 offset:236
	s_waitcnt vmcnt(3)
	buffer_store_dword v128, v125, s[0:3], 0 offen
	s_waitcnt vmcnt(3)
	buffer_store_dword v129, v125, s[0:3], 0 offen offset:4
.LBB61_444:
	global_load_dword v0, v0, s[20:21] offset:112
	s_waitcnt vmcnt(0)
	v_add_u32_e32 v0, -1, v0
	v_cmp_eq_u32_e32 vcc, 28, v0
	s_cbranch_vccnz .LBB61_446
; %bb.445:
	v_lshlrev_b32_e32 v0, 3, v0
	buffer_load_dword v125, v0, s[0:3], 0 offen
	buffer_load_dword v126, v0, s[0:3], 0 offen offset:4
	buffer_load_dword v127, off, s[0:3], 0 offset:228
	buffer_load_dword v128, off, s[0:3], 0 offset:224
	s_waitcnt vmcnt(3)
	buffer_store_dword v125, off, s[0:3], 0 offset:224
	s_waitcnt vmcnt(3)
	buffer_store_dword v126, off, s[0:3], 0 offset:228
	s_waitcnt vmcnt(3)
	buffer_store_dword v127, v0, s[0:3], 0 offen offset:4
	s_waitcnt vmcnt(3)
	buffer_store_dword v128, v0, s[0:3], 0 offen
.LBB61_446:
	v_mov_b32_e32 v0, 0
	global_load_dword v125, v0, s[20:21] offset:108
	s_waitcnt vmcnt(0)
	v_add_u32_e32 v125, -1, v125
	v_cmp_eq_u32_e32 vcc, 27, v125
	s_cbranch_vccnz .LBB61_448
; %bb.447:
	v_lshlrev_b32_e32 v125, 3, v125
	buffer_load_dword v126, v125, s[0:3], 0 offen
	buffer_load_dword v127, v125, s[0:3], 0 offen offset:4
	buffer_load_dword v128, off, s[0:3], 0 offset:216
	buffer_load_dword v129, off, s[0:3], 0 offset:220
	s_waitcnt vmcnt(3)
	buffer_store_dword v126, off, s[0:3], 0 offset:216
	s_waitcnt vmcnt(3)
	buffer_store_dword v127, off, s[0:3], 0 offset:220
	s_waitcnt vmcnt(3)
	buffer_store_dword v128, v125, s[0:3], 0 offen
	s_waitcnt vmcnt(3)
	buffer_store_dword v129, v125, s[0:3], 0 offen offset:4
.LBB61_448:
	global_load_dword v0, v0, s[20:21] offset:104
	s_waitcnt vmcnt(0)
	v_add_u32_e32 v0, -1, v0
	v_cmp_eq_u32_e32 vcc, 26, v0
	s_cbranch_vccnz .LBB61_450
; %bb.449:
	v_lshlrev_b32_e32 v0, 3, v0
	buffer_load_dword v125, v0, s[0:3], 0 offen
	buffer_load_dword v126, v0, s[0:3], 0 offen offset:4
	buffer_load_dword v127, off, s[0:3], 0 offset:212
	buffer_load_dword v128, off, s[0:3], 0 offset:208
	s_waitcnt vmcnt(3)
	buffer_store_dword v125, off, s[0:3], 0 offset:208
	s_waitcnt vmcnt(3)
	buffer_store_dword v126, off, s[0:3], 0 offset:212
	s_waitcnt vmcnt(3)
	buffer_store_dword v127, v0, s[0:3], 0 offen offset:4
	s_waitcnt vmcnt(3)
	buffer_store_dword v128, v0, s[0:3], 0 offen
.LBB61_450:
	v_mov_b32_e32 v0, 0
	global_load_dword v125, v0, s[20:21] offset:100
	s_waitcnt vmcnt(0)
	v_add_u32_e32 v125, -1, v125
	v_cmp_eq_u32_e32 vcc, 25, v125
	s_cbranch_vccnz .LBB61_452
; %bb.451:
	v_lshlrev_b32_e32 v125, 3, v125
	buffer_load_dword v126, v125, s[0:3], 0 offen
	buffer_load_dword v127, v125, s[0:3], 0 offen offset:4
	buffer_load_dword v128, off, s[0:3], 0 offset:200
	buffer_load_dword v129, off, s[0:3], 0 offset:204
	s_waitcnt vmcnt(3)
	buffer_store_dword v126, off, s[0:3], 0 offset:200
	s_waitcnt vmcnt(3)
	buffer_store_dword v127, off, s[0:3], 0 offset:204
	s_waitcnt vmcnt(3)
	buffer_store_dword v128, v125, s[0:3], 0 offen
	s_waitcnt vmcnt(3)
	buffer_store_dword v129, v125, s[0:3], 0 offen offset:4
.LBB61_452:
	global_load_dword v0, v0, s[20:21] offset:96
	s_waitcnt vmcnt(0)
	v_add_u32_e32 v0, -1, v0
	v_cmp_eq_u32_e32 vcc, 24, v0
	s_cbranch_vccnz .LBB61_454
; %bb.453:
	v_lshlrev_b32_e32 v0, 3, v0
	buffer_load_dword v125, v0, s[0:3], 0 offen
	buffer_load_dword v126, v0, s[0:3], 0 offen offset:4
	buffer_load_dword v127, off, s[0:3], 0 offset:196
	buffer_load_dword v128, off, s[0:3], 0 offset:192
	s_waitcnt vmcnt(3)
	buffer_store_dword v125, off, s[0:3], 0 offset:192
	s_waitcnt vmcnt(3)
	buffer_store_dword v126, off, s[0:3], 0 offset:196
	s_waitcnt vmcnt(3)
	buffer_store_dword v127, v0, s[0:3], 0 offen offset:4
	s_waitcnt vmcnt(3)
	buffer_store_dword v128, v0, s[0:3], 0 offen
.LBB61_454:
	v_mov_b32_e32 v0, 0
	global_load_dword v125, v0, s[20:21] offset:92
	s_waitcnt vmcnt(0)
	v_add_u32_e32 v125, -1, v125
	v_cmp_eq_u32_e32 vcc, 23, v125
	s_cbranch_vccnz .LBB61_456
; %bb.455:
	v_lshlrev_b32_e32 v125, 3, v125
	buffer_load_dword v126, v125, s[0:3], 0 offen
	buffer_load_dword v127, v125, s[0:3], 0 offen offset:4
	buffer_load_dword v128, off, s[0:3], 0 offset:184
	buffer_load_dword v129, off, s[0:3], 0 offset:188
	s_waitcnt vmcnt(3)
	buffer_store_dword v126, off, s[0:3], 0 offset:184
	s_waitcnt vmcnt(3)
	buffer_store_dword v127, off, s[0:3], 0 offset:188
	s_waitcnt vmcnt(3)
	buffer_store_dword v128, v125, s[0:3], 0 offen
	s_waitcnt vmcnt(3)
	buffer_store_dword v129, v125, s[0:3], 0 offen offset:4
.LBB61_456:
	global_load_dword v0, v0, s[20:21] offset:88
	s_waitcnt vmcnt(0)
	v_add_u32_e32 v0, -1, v0
	v_cmp_eq_u32_e32 vcc, 22, v0
	s_cbranch_vccnz .LBB61_458
; %bb.457:
	v_lshlrev_b32_e32 v0, 3, v0
	buffer_load_dword v125, v0, s[0:3], 0 offen
	buffer_load_dword v126, v0, s[0:3], 0 offen offset:4
	buffer_load_dword v127, off, s[0:3], 0 offset:180
	buffer_load_dword v128, off, s[0:3], 0 offset:176
	s_waitcnt vmcnt(3)
	buffer_store_dword v125, off, s[0:3], 0 offset:176
	s_waitcnt vmcnt(3)
	buffer_store_dword v126, off, s[0:3], 0 offset:180
	s_waitcnt vmcnt(3)
	buffer_store_dword v127, v0, s[0:3], 0 offen offset:4
	s_waitcnt vmcnt(3)
	buffer_store_dword v128, v0, s[0:3], 0 offen
.LBB61_458:
	v_mov_b32_e32 v0, 0
	global_load_dword v125, v0, s[20:21] offset:84
	s_waitcnt vmcnt(0)
	v_add_u32_e32 v125, -1, v125
	v_cmp_eq_u32_e32 vcc, 21, v125
	s_cbranch_vccnz .LBB61_460
; %bb.459:
	v_lshlrev_b32_e32 v125, 3, v125
	buffer_load_dword v126, v125, s[0:3], 0 offen
	buffer_load_dword v127, v125, s[0:3], 0 offen offset:4
	buffer_load_dword v128, off, s[0:3], 0 offset:168
	buffer_load_dword v129, off, s[0:3], 0 offset:172
	s_waitcnt vmcnt(3)
	buffer_store_dword v126, off, s[0:3], 0 offset:168
	s_waitcnt vmcnt(3)
	buffer_store_dword v127, off, s[0:3], 0 offset:172
	s_waitcnt vmcnt(3)
	buffer_store_dword v128, v125, s[0:3], 0 offen
	s_waitcnt vmcnt(3)
	buffer_store_dword v129, v125, s[0:3], 0 offen offset:4
.LBB61_460:
	global_load_dword v0, v0, s[20:21] offset:80
	s_waitcnt vmcnt(0)
	v_add_u32_e32 v0, -1, v0
	v_cmp_eq_u32_e32 vcc, 20, v0
	s_cbranch_vccnz .LBB61_462
; %bb.461:
	v_lshlrev_b32_e32 v0, 3, v0
	buffer_load_dword v125, v0, s[0:3], 0 offen
	buffer_load_dword v126, v0, s[0:3], 0 offen offset:4
	buffer_load_dword v127, off, s[0:3], 0 offset:164
	buffer_load_dword v128, off, s[0:3], 0 offset:160
	s_waitcnt vmcnt(3)
	buffer_store_dword v125, off, s[0:3], 0 offset:160
	s_waitcnt vmcnt(3)
	buffer_store_dword v126, off, s[0:3], 0 offset:164
	s_waitcnt vmcnt(3)
	buffer_store_dword v127, v0, s[0:3], 0 offen offset:4
	s_waitcnt vmcnt(3)
	buffer_store_dword v128, v0, s[0:3], 0 offen
.LBB61_462:
	v_mov_b32_e32 v0, 0
	global_load_dword v125, v0, s[20:21] offset:76
	s_waitcnt vmcnt(0)
	v_add_u32_e32 v125, -1, v125
	v_cmp_eq_u32_e32 vcc, 19, v125
	s_cbranch_vccnz .LBB61_464
; %bb.463:
	v_lshlrev_b32_e32 v125, 3, v125
	buffer_load_dword v126, v125, s[0:3], 0 offen
	buffer_load_dword v127, v125, s[0:3], 0 offen offset:4
	buffer_load_dword v128, off, s[0:3], 0 offset:152
	buffer_load_dword v129, off, s[0:3], 0 offset:156
	s_waitcnt vmcnt(3)
	buffer_store_dword v126, off, s[0:3], 0 offset:152
	s_waitcnt vmcnt(3)
	buffer_store_dword v127, off, s[0:3], 0 offset:156
	s_waitcnt vmcnt(3)
	buffer_store_dword v128, v125, s[0:3], 0 offen
	s_waitcnt vmcnt(3)
	buffer_store_dword v129, v125, s[0:3], 0 offen offset:4
.LBB61_464:
	global_load_dword v0, v0, s[20:21] offset:72
	s_waitcnt vmcnt(0)
	v_add_u32_e32 v0, -1, v0
	v_cmp_eq_u32_e32 vcc, 18, v0
	s_cbranch_vccnz .LBB61_466
; %bb.465:
	v_lshlrev_b32_e32 v0, 3, v0
	buffer_load_dword v125, v0, s[0:3], 0 offen
	buffer_load_dword v126, v0, s[0:3], 0 offen offset:4
	buffer_load_dword v127, off, s[0:3], 0 offset:148
	buffer_load_dword v128, off, s[0:3], 0 offset:144
	s_waitcnt vmcnt(3)
	buffer_store_dword v125, off, s[0:3], 0 offset:144
	s_waitcnt vmcnt(3)
	buffer_store_dword v126, off, s[0:3], 0 offset:148
	s_waitcnt vmcnt(3)
	buffer_store_dword v127, v0, s[0:3], 0 offen offset:4
	s_waitcnt vmcnt(3)
	buffer_store_dword v128, v0, s[0:3], 0 offen
.LBB61_466:
	v_mov_b32_e32 v0, 0
	global_load_dword v125, v0, s[20:21] offset:68
	s_waitcnt vmcnt(0)
	v_add_u32_e32 v125, -1, v125
	v_cmp_eq_u32_e32 vcc, 17, v125
	s_cbranch_vccnz .LBB61_468
; %bb.467:
	v_lshlrev_b32_e32 v125, 3, v125
	buffer_load_dword v126, v125, s[0:3], 0 offen
	buffer_load_dword v127, v125, s[0:3], 0 offen offset:4
	buffer_load_dword v128, off, s[0:3], 0 offset:136
	buffer_load_dword v129, off, s[0:3], 0 offset:140
	s_waitcnt vmcnt(3)
	buffer_store_dword v126, off, s[0:3], 0 offset:136
	s_waitcnt vmcnt(3)
	buffer_store_dword v127, off, s[0:3], 0 offset:140
	s_waitcnt vmcnt(3)
	buffer_store_dword v128, v125, s[0:3], 0 offen
	s_waitcnt vmcnt(3)
	buffer_store_dword v129, v125, s[0:3], 0 offen offset:4
.LBB61_468:
	global_load_dword v0, v0, s[20:21] offset:64
	s_waitcnt vmcnt(0)
	v_add_u32_e32 v0, -1, v0
	v_cmp_eq_u32_e32 vcc, 16, v0
	s_cbranch_vccnz .LBB61_470
; %bb.469:
	v_lshlrev_b32_e32 v0, 3, v0
	buffer_load_dword v125, v0, s[0:3], 0 offen
	buffer_load_dword v126, v0, s[0:3], 0 offen offset:4
	buffer_load_dword v127, off, s[0:3], 0 offset:132
	buffer_load_dword v128, off, s[0:3], 0 offset:128
	s_waitcnt vmcnt(3)
	buffer_store_dword v125, off, s[0:3], 0 offset:128
	s_waitcnt vmcnt(3)
	buffer_store_dword v126, off, s[0:3], 0 offset:132
	s_waitcnt vmcnt(3)
	buffer_store_dword v127, v0, s[0:3], 0 offen offset:4
	s_waitcnt vmcnt(3)
	buffer_store_dword v128, v0, s[0:3], 0 offen
.LBB61_470:
	v_mov_b32_e32 v0, 0
	global_load_dword v125, v0, s[20:21] offset:60
	s_waitcnt vmcnt(0)
	v_add_u32_e32 v125, -1, v125
	v_cmp_eq_u32_e32 vcc, 15, v125
	s_cbranch_vccnz .LBB61_472
; %bb.471:
	v_lshlrev_b32_e32 v125, 3, v125
	buffer_load_dword v126, v125, s[0:3], 0 offen
	buffer_load_dword v127, v125, s[0:3], 0 offen offset:4
	buffer_load_dword v128, off, s[0:3], 0 offset:120
	buffer_load_dword v129, off, s[0:3], 0 offset:124
	s_waitcnt vmcnt(3)
	buffer_store_dword v126, off, s[0:3], 0 offset:120
	s_waitcnt vmcnt(3)
	buffer_store_dword v127, off, s[0:3], 0 offset:124
	s_waitcnt vmcnt(3)
	buffer_store_dword v128, v125, s[0:3], 0 offen
	s_waitcnt vmcnt(3)
	buffer_store_dword v129, v125, s[0:3], 0 offen offset:4
.LBB61_472:
	global_load_dword v0, v0, s[20:21] offset:56
	s_waitcnt vmcnt(0)
	v_add_u32_e32 v0, -1, v0
	v_cmp_eq_u32_e32 vcc, 14, v0
	s_cbranch_vccnz .LBB61_474
; %bb.473:
	v_lshlrev_b32_e32 v0, 3, v0
	buffer_load_dword v125, v0, s[0:3], 0 offen
	buffer_load_dword v126, v0, s[0:3], 0 offen offset:4
	buffer_load_dword v127, off, s[0:3], 0 offset:116
	buffer_load_dword v128, off, s[0:3], 0 offset:112
	s_waitcnt vmcnt(3)
	buffer_store_dword v125, off, s[0:3], 0 offset:112
	s_waitcnt vmcnt(3)
	buffer_store_dword v126, off, s[0:3], 0 offset:116
	s_waitcnt vmcnt(3)
	buffer_store_dword v127, v0, s[0:3], 0 offen offset:4
	s_waitcnt vmcnt(3)
	buffer_store_dword v128, v0, s[0:3], 0 offen
.LBB61_474:
	v_mov_b32_e32 v0, 0
	global_load_dword v125, v0, s[20:21] offset:52
	s_waitcnt vmcnt(0)
	v_add_u32_e32 v125, -1, v125
	v_cmp_eq_u32_e32 vcc, 13, v125
	s_cbranch_vccnz .LBB61_476
; %bb.475:
	v_lshlrev_b32_e32 v125, 3, v125
	buffer_load_dword v126, v125, s[0:3], 0 offen
	buffer_load_dword v127, v125, s[0:3], 0 offen offset:4
	buffer_load_dword v128, off, s[0:3], 0 offset:104
	buffer_load_dword v129, off, s[0:3], 0 offset:108
	s_waitcnt vmcnt(3)
	buffer_store_dword v126, off, s[0:3], 0 offset:104
	s_waitcnt vmcnt(3)
	buffer_store_dword v127, off, s[0:3], 0 offset:108
	s_waitcnt vmcnt(3)
	buffer_store_dword v128, v125, s[0:3], 0 offen
	s_waitcnt vmcnt(3)
	buffer_store_dword v129, v125, s[0:3], 0 offen offset:4
.LBB61_476:
	global_load_dword v0, v0, s[20:21] offset:48
	s_waitcnt vmcnt(0)
	v_add_u32_e32 v0, -1, v0
	v_cmp_eq_u32_e32 vcc, 12, v0
	s_cbranch_vccnz .LBB61_478
; %bb.477:
	v_lshlrev_b32_e32 v0, 3, v0
	buffer_load_dword v125, v0, s[0:3], 0 offen
	buffer_load_dword v126, v0, s[0:3], 0 offen offset:4
	buffer_load_dword v127, off, s[0:3], 0 offset:100
	buffer_load_dword v128, off, s[0:3], 0 offset:96
	s_waitcnt vmcnt(3)
	buffer_store_dword v125, off, s[0:3], 0 offset:96
	s_waitcnt vmcnt(3)
	buffer_store_dword v126, off, s[0:3], 0 offset:100
	s_waitcnt vmcnt(3)
	buffer_store_dword v127, v0, s[0:3], 0 offen offset:4
	s_waitcnt vmcnt(3)
	buffer_store_dword v128, v0, s[0:3], 0 offen
.LBB61_478:
	v_mov_b32_e32 v0, 0
	global_load_dword v125, v0, s[20:21] offset:44
	s_waitcnt vmcnt(0)
	v_add_u32_e32 v125, -1, v125
	v_cmp_eq_u32_e32 vcc, 11, v125
	s_cbranch_vccnz .LBB61_480
; %bb.479:
	v_lshlrev_b32_e32 v125, 3, v125
	buffer_load_dword v126, v125, s[0:3], 0 offen
	buffer_load_dword v127, v125, s[0:3], 0 offen offset:4
	buffer_load_dword v128, off, s[0:3], 0 offset:88
	buffer_load_dword v129, off, s[0:3], 0 offset:92
	s_waitcnt vmcnt(3)
	buffer_store_dword v126, off, s[0:3], 0 offset:88
	s_waitcnt vmcnt(3)
	buffer_store_dword v127, off, s[0:3], 0 offset:92
	s_waitcnt vmcnt(3)
	buffer_store_dword v128, v125, s[0:3], 0 offen
	s_waitcnt vmcnt(3)
	buffer_store_dword v129, v125, s[0:3], 0 offen offset:4
.LBB61_480:
	global_load_dword v0, v0, s[20:21] offset:40
	s_waitcnt vmcnt(0)
	v_add_u32_e32 v0, -1, v0
	v_cmp_eq_u32_e32 vcc, 10, v0
	s_cbranch_vccnz .LBB61_482
; %bb.481:
	v_lshlrev_b32_e32 v0, 3, v0
	buffer_load_dword v125, v0, s[0:3], 0 offen
	buffer_load_dword v126, v0, s[0:3], 0 offen offset:4
	buffer_load_dword v127, off, s[0:3], 0 offset:84
	buffer_load_dword v128, off, s[0:3], 0 offset:80
	s_waitcnt vmcnt(3)
	buffer_store_dword v125, off, s[0:3], 0 offset:80
	s_waitcnt vmcnt(3)
	buffer_store_dword v126, off, s[0:3], 0 offset:84
	s_waitcnt vmcnt(3)
	buffer_store_dword v127, v0, s[0:3], 0 offen offset:4
	s_waitcnt vmcnt(3)
	buffer_store_dword v128, v0, s[0:3], 0 offen
.LBB61_482:
	v_mov_b32_e32 v0, 0
	global_load_dword v125, v0, s[20:21] offset:36
	s_waitcnt vmcnt(0)
	v_add_u32_e32 v125, -1, v125
	v_cmp_eq_u32_e32 vcc, 9, v125
	s_cbranch_vccnz .LBB61_484
; %bb.483:
	v_lshlrev_b32_e32 v125, 3, v125
	buffer_load_dword v126, v125, s[0:3], 0 offen
	buffer_load_dword v127, v125, s[0:3], 0 offen offset:4
	buffer_load_dword v128, off, s[0:3], 0 offset:72
	buffer_load_dword v129, off, s[0:3], 0 offset:76
	s_waitcnt vmcnt(3)
	buffer_store_dword v126, off, s[0:3], 0 offset:72
	s_waitcnt vmcnt(3)
	buffer_store_dword v127, off, s[0:3], 0 offset:76
	s_waitcnt vmcnt(3)
	buffer_store_dword v128, v125, s[0:3], 0 offen
	s_waitcnt vmcnt(3)
	buffer_store_dword v129, v125, s[0:3], 0 offen offset:4
.LBB61_484:
	global_load_dword v0, v0, s[20:21] offset:32
	s_waitcnt vmcnt(0)
	v_add_u32_e32 v0, -1, v0
	v_cmp_eq_u32_e32 vcc, 8, v0
	s_cbranch_vccnz .LBB61_486
; %bb.485:
	v_lshlrev_b32_e32 v0, 3, v0
	buffer_load_dword v125, v0, s[0:3], 0 offen
	buffer_load_dword v126, v0, s[0:3], 0 offen offset:4
	buffer_load_dword v127, off, s[0:3], 0 offset:68
	buffer_load_dword v128, off, s[0:3], 0 offset:64
	s_waitcnt vmcnt(3)
	buffer_store_dword v125, off, s[0:3], 0 offset:64
	s_waitcnt vmcnt(3)
	buffer_store_dword v126, off, s[0:3], 0 offset:68
	s_waitcnt vmcnt(3)
	buffer_store_dword v127, v0, s[0:3], 0 offen offset:4
	s_waitcnt vmcnt(3)
	buffer_store_dword v128, v0, s[0:3], 0 offen
.LBB61_486:
	v_mov_b32_e32 v0, 0
	global_load_dword v125, v0, s[20:21] offset:28
	s_waitcnt vmcnt(0)
	v_add_u32_e32 v125, -1, v125
	v_cmp_eq_u32_e32 vcc, 7, v125
	s_cbranch_vccnz .LBB61_488
; %bb.487:
	v_lshlrev_b32_e32 v125, 3, v125
	buffer_load_dword v126, v125, s[0:3], 0 offen
	buffer_load_dword v127, v125, s[0:3], 0 offen offset:4
	buffer_load_dword v128, off, s[0:3], 0 offset:56
	buffer_load_dword v129, off, s[0:3], 0 offset:60
	s_waitcnt vmcnt(3)
	buffer_store_dword v126, off, s[0:3], 0 offset:56
	s_waitcnt vmcnt(3)
	buffer_store_dword v127, off, s[0:3], 0 offset:60
	s_waitcnt vmcnt(3)
	buffer_store_dword v128, v125, s[0:3], 0 offen
	s_waitcnt vmcnt(3)
	buffer_store_dword v129, v125, s[0:3], 0 offen offset:4
.LBB61_488:
	global_load_dword v0, v0, s[20:21] offset:24
	s_waitcnt vmcnt(0)
	v_add_u32_e32 v0, -1, v0
	v_cmp_eq_u32_e32 vcc, 6, v0
	s_cbranch_vccnz .LBB61_490
; %bb.489:
	v_lshlrev_b32_e32 v0, 3, v0
	buffer_load_dword v125, v0, s[0:3], 0 offen
	buffer_load_dword v126, v0, s[0:3], 0 offen offset:4
	buffer_load_dword v127, off, s[0:3], 0 offset:52
	buffer_load_dword v128, off, s[0:3], 0 offset:48
	s_waitcnt vmcnt(3)
	buffer_store_dword v125, off, s[0:3], 0 offset:48
	s_waitcnt vmcnt(3)
	buffer_store_dword v126, off, s[0:3], 0 offset:52
	s_waitcnt vmcnt(3)
	buffer_store_dword v127, v0, s[0:3], 0 offen offset:4
	s_waitcnt vmcnt(3)
	buffer_store_dword v128, v0, s[0:3], 0 offen
.LBB61_490:
	v_mov_b32_e32 v0, 0
	global_load_dword v125, v0, s[20:21] offset:20
	s_waitcnt vmcnt(0)
	v_add_u32_e32 v125, -1, v125
	v_cmp_eq_u32_e32 vcc, 5, v125
	s_cbranch_vccnz .LBB61_492
; %bb.491:
	v_lshlrev_b32_e32 v125, 3, v125
	buffer_load_dword v126, v125, s[0:3], 0 offen
	buffer_load_dword v127, v125, s[0:3], 0 offen offset:4
	buffer_load_dword v128, off, s[0:3], 0 offset:40
	buffer_load_dword v129, off, s[0:3], 0 offset:44
	s_waitcnt vmcnt(3)
	buffer_store_dword v126, off, s[0:3], 0 offset:40
	s_waitcnt vmcnt(3)
	buffer_store_dword v127, off, s[0:3], 0 offset:44
	s_waitcnt vmcnt(3)
	buffer_store_dword v128, v125, s[0:3], 0 offen
	s_waitcnt vmcnt(3)
	buffer_store_dword v129, v125, s[0:3], 0 offen offset:4
.LBB61_492:
	global_load_dword v0, v0, s[20:21] offset:16
	s_waitcnt vmcnt(0)
	v_add_u32_e32 v0, -1, v0
	v_cmp_eq_u32_e32 vcc, 4, v0
	s_cbranch_vccnz .LBB61_494
; %bb.493:
	v_lshlrev_b32_e32 v0, 3, v0
	buffer_load_dword v125, v0, s[0:3], 0 offen
	buffer_load_dword v126, v0, s[0:3], 0 offen offset:4
	buffer_load_dword v127, off, s[0:3], 0 offset:36
	buffer_load_dword v128, off, s[0:3], 0 offset:32
	s_waitcnt vmcnt(3)
	buffer_store_dword v125, off, s[0:3], 0 offset:32
	s_waitcnt vmcnt(3)
	buffer_store_dword v126, off, s[0:3], 0 offset:36
	s_waitcnt vmcnt(3)
	buffer_store_dword v127, v0, s[0:3], 0 offen offset:4
	s_waitcnt vmcnt(3)
	buffer_store_dword v128, v0, s[0:3], 0 offen
.LBB61_494:
	v_mov_b32_e32 v0, 0
	global_load_dword v125, v0, s[20:21] offset:12
	s_waitcnt vmcnt(0)
	v_add_u32_e32 v125, -1, v125
	v_cmp_eq_u32_e32 vcc, 3, v125
	s_cbranch_vccnz .LBB61_496
; %bb.495:
	v_lshlrev_b32_e32 v125, 3, v125
	buffer_load_dword v126, v125, s[0:3], 0 offen
	buffer_load_dword v127, v125, s[0:3], 0 offen offset:4
	buffer_load_dword v128, off, s[0:3], 0 offset:24
	buffer_load_dword v129, off, s[0:3], 0 offset:28
	s_waitcnt vmcnt(3)
	buffer_store_dword v126, off, s[0:3], 0 offset:24
	s_waitcnt vmcnt(3)
	buffer_store_dword v127, off, s[0:3], 0 offset:28
	s_waitcnt vmcnt(3)
	buffer_store_dword v128, v125, s[0:3], 0 offen
	s_waitcnt vmcnt(3)
	buffer_store_dword v129, v125, s[0:3], 0 offen offset:4
.LBB61_496:
	global_load_dword v0, v0, s[20:21] offset:8
	s_waitcnt vmcnt(0)
	v_add_u32_e32 v0, -1, v0
	v_cmp_eq_u32_e32 vcc, 2, v0
	s_cbranch_vccnz .LBB61_498
; %bb.497:
	v_lshlrev_b32_e32 v0, 3, v0
	buffer_load_dword v125, v0, s[0:3], 0 offen
	buffer_load_dword v126, v0, s[0:3], 0 offen offset:4
	buffer_load_dword v127, off, s[0:3], 0 offset:20
	buffer_load_dword v128, off, s[0:3], 0 offset:16
	s_waitcnt vmcnt(3)
	buffer_store_dword v125, off, s[0:3], 0 offset:16
	s_waitcnt vmcnt(3)
	buffer_store_dword v126, off, s[0:3], 0 offset:20
	s_waitcnt vmcnt(3)
	buffer_store_dword v127, v0, s[0:3], 0 offen offset:4
	s_waitcnt vmcnt(3)
	buffer_store_dword v128, v0, s[0:3], 0 offen
.LBB61_498:
	v_mov_b32_e32 v0, 0
	global_load_dword v125, v0, s[20:21] offset:4
	s_waitcnt vmcnt(0)
	v_add_u32_e32 v125, -1, v125
	v_cmp_eq_u32_e32 vcc, 1, v125
	s_cbranch_vccnz .LBB61_500
; %bb.499:
	v_lshlrev_b32_e32 v125, 3, v125
	buffer_load_dword v126, v125, s[0:3], 0 offen
	buffer_load_dword v127, v125, s[0:3], 0 offen offset:4
	buffer_load_dword v128, off, s[0:3], 0 offset:8
	buffer_load_dword v129, off, s[0:3], 0 offset:12
	s_waitcnt vmcnt(3)
	buffer_store_dword v126, off, s[0:3], 0 offset:8
	s_waitcnt vmcnt(3)
	buffer_store_dword v127, off, s[0:3], 0 offset:12
	s_waitcnt vmcnt(3)
	buffer_store_dword v128, v125, s[0:3], 0 offen
	s_waitcnt vmcnt(3)
	buffer_store_dword v129, v125, s[0:3], 0 offen offset:4
.LBB61_500:
	global_load_dword v0, v0, s[20:21]
	s_nop 0
	buffer_load_dword v125, off, s[0:3], 0
	buffer_load_dword v126, off, s[0:3], 0 offset:4
	s_waitcnt vmcnt(2)
	v_add_u32_e32 v0, -1, v0
	v_cmp_eq_u32_e32 vcc, 0, v0
	s_cbranch_vccnz .LBB61_502
; %bb.501:
	v_lshlrev_b32_e32 v0, 3, v0
	buffer_load_dword v127, v0, s[0:3], 0 offen offset:4
	buffer_load_dword v128, v0, s[0:3], 0 offen
	s_waitcnt vmcnt(1)
	buffer_store_dword v127, off, s[0:3], 0 offset:4
	s_waitcnt vmcnt(1)
	buffer_store_dword v128, off, s[0:3], 0
	buffer_store_dword v126, v0, s[0:3], 0 offen offset:4
	buffer_store_dword v125, v0, s[0:3], 0 offen
	buffer_load_dword v125, off, s[0:3], 0
	s_nop 0
	buffer_load_dword v126, off, s[0:3], 0 offset:4
.LBB61_502:
	buffer_load_dword v127, off, s[0:3], 0 offset:8
	buffer_load_dword v128, off, s[0:3], 0 offset:12
	;; [unrolled: 1-line block ×122, first 2 shown]
	s_waitcnt vmcnt(62)
	global_store_dwordx2 v[1:2], v[125:126], off
	global_store_dwordx2 v[3:4], v[127:128], off
	;; [unrolled: 1-line block ×31, first 2 shown]
	s_waitcnt vmcnt(62)
	global_store_dwordx2 v[63:64], v[187:188], off
	global_store_dwordx2 v[65:66], v[189:190], off
	;; [unrolled: 1-line block ×15, first 2 shown]
	s_waitcnt vmcnt(62)
	global_store_dwordx2 v[93:94], v[217:218], off
	global_store_dwordx2 v[95:96], v[219:220], off
	global_store_dwordx2 v[97:98], v[221:222], off
	global_store_dwordx2 v[99:100], v[223:224], off
	global_store_dwordx2 v[101:102], v[225:226], off
	global_store_dwordx2 v[103:104], v[227:228], off
	global_store_dwordx2 v[105:106], v[229:230], off
	global_store_dwordx2 v[107:108], v[231:232], off
	s_waitcnt vmcnt(62)
	global_store_dwordx2 v[109:110], v[233:234], off
	global_store_dwordx2 v[111:112], v[235:236], off
	;; [unrolled: 1-line block ×4, first 2 shown]
	s_waitcnt vmcnt(62)
	global_store_dwordx2 v[117:118], v[241:242], off
	global_store_dwordx2 v[119:120], v[243:244], off
	s_waitcnt vmcnt(62)
	global_store_dwordx2 v[121:122], v[245:246], off
	s_waitcnt vmcnt(61)
	global_store_dwordx2 v[123:124], v[247:248], off
	s_endpgm
	.section	.rodata,"a",@progbits
	.p2align	6, 0x0
	.amdhsa_kernel _ZN9rocsolver6v33100L18getri_kernel_smallILi62EdPdEEvT1_iilPiilS4_bb
		.amdhsa_group_segment_fixed_size 1000
		.amdhsa_private_segment_fixed_size 512
		.amdhsa_kernarg_size 60
		.amdhsa_user_sgpr_count 6
		.amdhsa_user_sgpr_private_segment_buffer 1
		.amdhsa_user_sgpr_dispatch_ptr 0
		.amdhsa_user_sgpr_queue_ptr 0
		.amdhsa_user_sgpr_kernarg_segment_ptr 1
		.amdhsa_user_sgpr_dispatch_id 0
		.amdhsa_user_sgpr_flat_scratch_init 0
		.amdhsa_user_sgpr_private_segment_size 0
		.amdhsa_uses_dynamic_stack 0
		.amdhsa_system_sgpr_private_segment_wavefront_offset 1
		.amdhsa_system_sgpr_workgroup_id_x 1
		.amdhsa_system_sgpr_workgroup_id_y 0
		.amdhsa_system_sgpr_workgroup_id_z 0
		.amdhsa_system_sgpr_workgroup_info 0
		.amdhsa_system_vgpr_workitem_id 0
		.amdhsa_next_free_vgpr 249
		.amdhsa_next_free_sgpr 24
		.amdhsa_reserve_vcc 1
		.amdhsa_reserve_flat_scratch 0
		.amdhsa_float_round_mode_32 0
		.amdhsa_float_round_mode_16_64 0
		.amdhsa_float_denorm_mode_32 3
		.amdhsa_float_denorm_mode_16_64 3
		.amdhsa_dx10_clamp 1
		.amdhsa_ieee_mode 1
		.amdhsa_fp16_overflow 0
		.amdhsa_exception_fp_ieee_invalid_op 0
		.amdhsa_exception_fp_denorm_src 0
		.amdhsa_exception_fp_ieee_div_zero 0
		.amdhsa_exception_fp_ieee_overflow 0
		.amdhsa_exception_fp_ieee_underflow 0
		.amdhsa_exception_fp_ieee_inexact 0
		.amdhsa_exception_int_div_zero 0
	.end_amdhsa_kernel
	.section	.text._ZN9rocsolver6v33100L18getri_kernel_smallILi62EdPdEEvT1_iilPiilS4_bb,"axG",@progbits,_ZN9rocsolver6v33100L18getri_kernel_smallILi62EdPdEEvT1_iilPiilS4_bb,comdat
.Lfunc_end61:
	.size	_ZN9rocsolver6v33100L18getri_kernel_smallILi62EdPdEEvT1_iilPiilS4_bb, .Lfunc_end61-_ZN9rocsolver6v33100L18getri_kernel_smallILi62EdPdEEvT1_iilPiilS4_bb
                                        ; -- End function
	.set _ZN9rocsolver6v33100L18getri_kernel_smallILi62EdPdEEvT1_iilPiilS4_bb.num_vgpr, 249
	.set _ZN9rocsolver6v33100L18getri_kernel_smallILi62EdPdEEvT1_iilPiilS4_bb.num_agpr, 0
	.set _ZN9rocsolver6v33100L18getri_kernel_smallILi62EdPdEEvT1_iilPiilS4_bb.numbered_sgpr, 24
	.set _ZN9rocsolver6v33100L18getri_kernel_smallILi62EdPdEEvT1_iilPiilS4_bb.num_named_barrier, 0
	.set _ZN9rocsolver6v33100L18getri_kernel_smallILi62EdPdEEvT1_iilPiilS4_bb.private_seg_size, 512
	.set _ZN9rocsolver6v33100L18getri_kernel_smallILi62EdPdEEvT1_iilPiilS4_bb.uses_vcc, 1
	.set _ZN9rocsolver6v33100L18getri_kernel_smallILi62EdPdEEvT1_iilPiilS4_bb.uses_flat_scratch, 0
	.set _ZN9rocsolver6v33100L18getri_kernel_smallILi62EdPdEEvT1_iilPiilS4_bb.has_dyn_sized_stack, 0
	.set _ZN9rocsolver6v33100L18getri_kernel_smallILi62EdPdEEvT1_iilPiilS4_bb.has_recursion, 0
	.set _ZN9rocsolver6v33100L18getri_kernel_smallILi62EdPdEEvT1_iilPiilS4_bb.has_indirect_call, 0
	.section	.AMDGPU.csdata,"",@progbits
; Kernel info:
; codeLenInByte = 90912
; TotalNumSgprs: 28
; NumVgprs: 249
; ScratchSize: 512
; MemoryBound: 1
; FloatMode: 240
; IeeeMode: 1
; LDSByteSize: 1000 bytes/workgroup (compile time only)
; SGPRBlocks: 3
; VGPRBlocks: 62
; NumSGPRsForWavesPerEU: 28
; NumVGPRsForWavesPerEU: 249
; Occupancy: 1
; WaveLimiterHint : 1
; COMPUTE_PGM_RSRC2:SCRATCH_EN: 1
; COMPUTE_PGM_RSRC2:USER_SGPR: 6
; COMPUTE_PGM_RSRC2:TRAP_HANDLER: 0
; COMPUTE_PGM_RSRC2:TGID_X_EN: 1
; COMPUTE_PGM_RSRC2:TGID_Y_EN: 0
; COMPUTE_PGM_RSRC2:TGID_Z_EN: 0
; COMPUTE_PGM_RSRC2:TIDIG_COMP_CNT: 0
	.section	.text._ZN9rocsolver6v33100L18getri_kernel_smallILi63EdPdEEvT1_iilPiilS4_bb,"axG",@progbits,_ZN9rocsolver6v33100L18getri_kernel_smallILi63EdPdEEvT1_iilPiilS4_bb,comdat
	.globl	_ZN9rocsolver6v33100L18getri_kernel_smallILi63EdPdEEvT1_iilPiilS4_bb ; -- Begin function _ZN9rocsolver6v33100L18getri_kernel_smallILi63EdPdEEvT1_iilPiilS4_bb
	.p2align	8
	.type	_ZN9rocsolver6v33100L18getri_kernel_smallILi63EdPdEEvT1_iilPiilS4_bb,@function
_ZN9rocsolver6v33100L18getri_kernel_smallILi63EdPdEEvT1_iilPiilS4_bb: ; @_ZN9rocsolver6v33100L18getri_kernel_smallILi63EdPdEEvT1_iilPiilS4_bb
; %bb.0:
	s_add_u32 s0, s0, s7
	s_addc_u32 s1, s1, 0
	v_cmp_gt_u32_e32 vcc, 63, v0
	s_and_saveexec_b64 s[8:9], vcc
	s_cbranch_execz .LBB62_260
; %bb.1:
	s_load_dword s12, s[4:5], 0x38
	s_load_dwordx4 s[16:19], s[4:5], 0x10
	s_load_dwordx4 s[8:11], s[4:5], 0x28
                                        ; implicit-def: $sgpr20_sgpr21
	s_waitcnt lgkmcnt(0)
	s_bitcmp1_b32 s12, 8
	s_cselect_b64 s[22:23], -1, 0
	s_ashr_i32 s7, s6, 31
	s_bfe_u32 s12, s12, 0x10008
	s_cmp_eq_u32 s12, 0
	s_cbranch_scc1 .LBB62_3
; %bb.2:
	s_load_dword s12, s[4:5], 0x20
	s_mul_i32 s13, s8, s7
	s_mul_hi_u32 s14, s8, s6
	s_mul_i32 s9, s9, s6
	s_add_i32 s14, s14, s13
	s_add_i32 s9, s14, s9
	s_mul_i32 s8, s8, s6
	s_waitcnt lgkmcnt(0)
	s_ashr_i32 s13, s12, 31
	s_lshl_b64 s[8:9], s[8:9], 2
	s_add_u32 s14, s18, s8
	s_addc_u32 s15, s19, s9
	s_lshl_b64 s[8:9], s[12:13], 2
	s_add_u32 s20, s14, s8
	s_addc_u32 s21, s15, s9
.LBB62_3:
	s_load_dwordx4 s[12:15], s[4:5], 0x0
	s_load_dword s8, s[4:5], 0x38
	s_mul_i32 s9, s16, s7
	s_mul_hi_u32 s18, s16, s6
	s_add_i32 s9, s18, s9
	s_waitcnt lgkmcnt(0)
	s_ashr_i32 s5, s14, 31
	s_mov_b32 s4, s14
	s_mul_i32 s14, s17, s6
	s_add_i32 s17, s9, s14
	s_mul_i32 s16, s16, s6
	s_lshl_b64 s[16:17], s[16:17], 3
	s_add_u32 s9, s12, s16
	s_addc_u32 s12, s13, s17
	s_lshl_b64 s[4:5], s[4:5], 3
	s_add_u32 s4, s9, s4
	s_addc_u32 s5, s12, s5
	s_add_i32 s9, s15, s15
	v_add_u32_e32 v3, s9, v0
	v_ashrrev_i32_e32 v4, 31, v3
	v_lshlrev_b64 v[1:2], 3, v[3:4]
	v_add_u32_e32 v5, s15, v3
	v_mov_b32_e32 v4, s5
	v_add_co_u32_e32 v1, vcc, s4, v1
	v_ashrrev_i32_e32 v6, 31, v5
	v_addc_co_u32_e32 v2, vcc, v4, v2, vcc
	v_lshlrev_b64 v[3:4], 3, v[5:6]
	v_add_u32_e32 v7, s15, v5
	v_mov_b32_e32 v6, s5
	v_add_co_u32_e32 v3, vcc, s4, v3
	v_ashrrev_i32_e32 v8, 31, v7
	v_addc_co_u32_e32 v4, vcc, v6, v4, vcc
	v_lshlrev_b64 v[5:6], 3, v[7:8]
	v_add_u32_e32 v9, s15, v7
	v_mov_b32_e32 v8, s5
	v_add_co_u32_e32 v5, vcc, s4, v5
	v_ashrrev_i32_e32 v10, 31, v9
	v_addc_co_u32_e32 v6, vcc, v8, v6, vcc
	v_lshlrev_b64 v[7:8], 3, v[9:10]
	v_add_u32_e32 v11, s15, v9
	v_mov_b32_e32 v10, s5
	v_add_co_u32_e32 v7, vcc, s4, v7
	v_ashrrev_i32_e32 v12, 31, v11
	v_addc_co_u32_e32 v8, vcc, v10, v8, vcc
	v_lshlrev_b64 v[9:10], 3, v[11:12]
	v_add_u32_e32 v13, s15, v11
	v_mov_b32_e32 v12, s5
	v_add_co_u32_e32 v9, vcc, s4, v9
	v_ashrrev_i32_e32 v14, 31, v13
	v_addc_co_u32_e32 v10, vcc, v12, v10, vcc
	v_lshlrev_b64 v[11:12], 3, v[13:14]
	v_add_u32_e32 v15, s15, v13
	v_mov_b32_e32 v14, s5
	v_add_co_u32_e32 v11, vcc, s4, v11
	v_ashrrev_i32_e32 v16, 31, v15
	v_addc_co_u32_e32 v12, vcc, v14, v12, vcc
	v_lshlrev_b64 v[13:14], 3, v[15:16]
	v_add_u32_e32 v17, s15, v15
	v_mov_b32_e32 v16, s5
	v_add_co_u32_e32 v13, vcc, s4, v13
	v_ashrrev_i32_e32 v18, 31, v17
	v_addc_co_u32_e32 v14, vcc, v16, v14, vcc
	v_lshlrev_b64 v[15:16], 3, v[17:18]
	v_add_u32_e32 v19, s15, v17
	v_mov_b32_e32 v18, s5
	v_add_co_u32_e32 v15, vcc, s4, v15
	v_ashrrev_i32_e32 v20, 31, v19
	v_addc_co_u32_e32 v16, vcc, v18, v16, vcc
	v_lshlrev_b64 v[17:18], 3, v[19:20]
	v_mov_b32_e32 v21, s5
	v_add_co_u32_e32 v17, vcc, s4, v17
	v_addc_co_u32_e32 v18, vcc, v21, v18, vcc
	v_add_u32_e32 v21, s15, v19
	v_ashrrev_i32_e32 v22, 31, v21
	v_lshlrev_b64 v[19:20], 3, v[21:22]
	v_mov_b32_e32 v23, s5
	v_add_co_u32_e32 v19, vcc, s4, v19
	v_addc_co_u32_e32 v20, vcc, v23, v20, vcc
	v_add_u32_e32 v23, s15, v21
	v_ashrrev_i32_e32 v24, 31, v23
	;; [unrolled: 6-line block ×45, first 2 shown]
	v_lshlrev_b32_e32 v129, 3, v0
	v_lshlrev_b64 v[107:108], 3, v[109:110]
	v_mov_b32_e32 v110, s5
	v_add_co_u32_e32 v113, vcc, s4, v129
	s_ashr_i32 s13, s15, 31
	s_mov_b32 s12, s15
	v_addc_co_u32_e32 v114, vcc, 0, v110, vcc
	s_lshl_b64 s[12:13], s[12:13], 3
	v_mov_b32_e32 v110, s13
	v_add_co_u32_e32 v115, vcc, s12, v113
	global_load_dwordx2 v[127:128], v129, s[4:5]
	global_load_dwordx2 v[132:133], v[1:2], off
	global_load_dwordx2 v[134:135], v[3:4], off
	;; [unrolled: 1-line block ×3, first 2 shown]
	v_addc_co_u32_e32 v116, vcc, v114, v110, vcc
	global_load_dwordx2 v[130:131], v[115:116], off
	global_load_dwordx2 v[138:139], v[7:8], off
	;; [unrolled: 1-line block ×8, first 2 shown]
	v_mov_b32_e32 v111, s5
	v_add_co_u32_e32 v107, vcc, s4, v107
	v_addc_co_u32_e32 v108, vcc, v111, v108, vcc
	v_add_u32_e32 v111, s15, v109
	v_ashrrev_i32_e32 v112, 31, v111
	v_lshlrev_b64 v[109:110], 3, v[111:112]
	v_mov_b32_e32 v117, s5
	v_add_co_u32_e32 v109, vcc, s4, v109
	v_addc_co_u32_e32 v110, vcc, v117, v110, vcc
	v_add_u32_e32 v117, s15, v111
	v_ashrrev_i32_e32 v118, 31, v117
	global_load_dwordx2 v[152:153], v[21:22], off
	global_load_dwordx2 v[154:155], v[23:24], off
	v_lshlrev_b64 v[111:112], 3, v[117:118]
	v_mov_b32_e32 v119, s5
	v_add_co_u32_e32 v111, vcc, s4, v111
	v_addc_co_u32_e32 v112, vcc, v119, v112, vcc
	v_add_u32_e32 v119, s15, v117
	v_ashrrev_i32_e32 v120, 31, v119
	v_lshlrev_b64 v[117:118], 3, v[119:120]
	v_mov_b32_e32 v121, s5
	v_add_co_u32_e32 v117, vcc, s4, v117
	v_addc_co_u32_e32 v118, vcc, v121, v118, vcc
	v_add_u32_e32 v121, s15, v119
	global_load_dwordx2 v[156:157], v[25:26], off
	global_load_dwordx2 v[158:159], v[27:28], off
	v_ashrrev_i32_e32 v122, 31, v121
	v_lshlrev_b64 v[119:120], 3, v[121:122]
	v_mov_b32_e32 v123, s5
	v_add_co_u32_e32 v119, vcc, s4, v119
	v_addc_co_u32_e32 v120, vcc, v123, v120, vcc
	v_add_u32_e32 v123, s15, v121
	v_ashrrev_i32_e32 v124, 31, v123
	v_lshlrev_b64 v[121:122], 3, v[123:124]
	global_load_dwordx2 v[160:161], v[29:30], off
	global_load_dwordx2 v[162:163], v[31:32], off
	;; [unrolled: 1-line block ×3, first 2 shown]
	v_mov_b32_e32 v125, s5
	v_add_co_u32_e32 v121, vcc, s4, v121
	v_addc_co_u32_e32 v122, vcc, v125, v122, vcc
	v_add_u32_e32 v125, s15, v123
	v_ashrrev_i32_e32 v126, 31, v125
	v_lshlrev_b64 v[123:124], 3, v[125:126]
	v_mov_b32_e32 v164, s5
	v_add_co_u32_e32 v123, vcc, s4, v123
	v_addc_co_u32_e32 v124, vcc, v164, v124, vcc
	global_load_dwordx2 v[164:165], v[33:34], off
	v_add_u32_e32 v125, s15, v125
	v_ashrrev_i32_e32 v126, 31, v125
	global_load_dwordx2 v[168:169], v[37:38], off
	v_lshlrev_b64 v[125:126], 3, v[125:126]
	v_mov_b32_e32 v170, s5
	v_add_co_u32_e32 v125, vcc, s4, v125
	v_addc_co_u32_e32 v126, vcc, v170, v126, vcc
	global_load_dwordx2 v[170:171], v[39:40], off
	s_bitcmp0_b32 s8, 0
	s_waitcnt vmcnt(21)
	buffer_store_dword v128, off, s[0:3], 0 offset:4
	buffer_store_dword v127, off, s[0:3], 0
	s_waitcnt vmcnt(19)
	buffer_store_dword v131, off, s[0:3], 0 offset:12
	buffer_store_dword v130, off, s[0:3], 0 offset:8
	global_load_dwordx2 v[127:128], v[41:42], off
	s_nop 0
	buffer_store_dword v133, off, s[0:3], 0 offset:20
	buffer_store_dword v132, off, s[0:3], 0 offset:16
	global_load_dwordx2 v[130:131], v[43:44], off
	global_load_dwordx2 v[172:173], v[49:50], off
	;; [unrolled: 1-line block ×21, first 2 shown]
	s_mov_b64 s[8:9], -1
	buffer_store_dword v135, off, s[0:3], 0 offset:28
	buffer_store_dword v134, off, s[0:3], 0 offset:24
	global_load_dwordx2 v[134:135], v[47:48], off
	s_nop 0
	buffer_store_dword v137, off, s[0:3], 0 offset:36
	buffer_store_dword v136, off, s[0:3], 0 offset:32
	global_load_dwordx2 v[136:137], v[51:52], off
	s_waitcnt vmcnt(50)
	buffer_store_dword v139, off, s[0:3], 0 offset:44
	buffer_store_dword v138, off, s[0:3], 0 offset:40
	global_load_dwordx2 v[138:139], v[55:56], off
	s_waitcnt vmcnt(52)
	;; [unrolled: 4-line block ×8, first 2 shown]
	buffer_store_dword v152, off, s[0:3], 0 offset:96
	buffer_store_dword v153, off, s[0:3], 0 offset:100
	global_load_dwordx2 v[152:153], v[83:84], off
	s_nop 0
	buffer_store_dword v154, off, s[0:3], 0 offset:104
	buffer_store_dword v155, off, s[0:3], 0 offset:108
	global_load_dwordx2 v[154:155], v[87:88], off
	s_nop 0
	buffer_store_dword v157, off, s[0:3], 0 offset:116
	buffer_store_dword v156, off, s[0:3], 0 offset:112
	global_load_dwordx2 v[156:157], v[91:92], off
	s_waitcnt vmcnt(62)
	buffer_store_dword v158, off, s[0:3], 0 offset:120
	buffer_store_dword v159, off, s[0:3], 0 offset:124
	global_load_dwordx2 v[158:159], v[95:96], off
	s_nop 0
	buffer_store_dword v160, off, s[0:3], 0 offset:128
	buffer_store_dword v161, off, s[0:3], 0 offset:132
	global_load_dwordx2 v[160:161], v[99:100], off
	s_nop 0
	;; [unrolled: 4-line block ×6, first 2 shown]
	buffer_store_dword v170, off, s[0:3], 0 offset:168
	buffer_store_dword v171, off, s[0:3], 0 offset:172
	global_load_dwordx2 v[170:171], v[123:124], off
	s_waitcnt vmcnt(62)
	buffer_store_dword v127, off, s[0:3], 0 offset:176
	buffer_store_dword v128, off, s[0:3], 0 offset:180
	buffer_store_dword v130, off, s[0:3], 0 offset:184
	buffer_store_dword v131, off, s[0:3], 0 offset:188
	buffer_store_dword v132, off, s[0:3], 0 offset:192
	buffer_store_dword v133, off, s[0:3], 0 offset:196
	s_waitcnt vmcnt(60)
	buffer_store_dword v135, off, s[0:3], 0 offset:204
	buffer_store_dword v134, off, s[0:3], 0 offset:200
	buffer_store_dword v173, off, s[0:3], 0 offset:212
	buffer_store_dword v172, off, s[0:3], 0 offset:208
	s_waitcnt vmcnt(61)
	buffer_store_dword v136, off, s[0:3], 0 offset:216
	buffer_store_dword v137, off, s[0:3], 0 offset:220
	buffer_store_dword v174, off, s[0:3], 0 offset:224
	buffer_store_dword v175, off, s[0:3], 0 offset:228
	;; [unrolled: 5-line block ×6, first 2 shown]
	buffer_store_dword v147, off, s[0:3], 0 offset:300
	buffer_store_dword v146, off, s[0:3], 0 offset:296
	;; [unrolled: 1-line block ×4, first 2 shown]
	s_waitcnt vmcnt(62)
	buffer_store_dword v148, off, s[0:3], 0 offset:312
	buffer_store_dword v149, off, s[0:3], 0 offset:316
	;; [unrolled: 1-line block ×8, first 2 shown]
	s_waitcnt vmcnt(62)
	buffer_store_dword v153, off, s[0:3], 0 offset:348
	buffer_store_dword v152, off, s[0:3], 0 offset:344
	;; [unrolled: 1-line block ×12, first 2 shown]
	s_waitcnt vmcnt(62)
	buffer_store_dword v159, off, s[0:3], 0 offset:396
	buffer_store_dword v158, off, s[0:3], 0 offset:392
	;; [unrolled: 1-line block ×16, first 2 shown]
	s_waitcnt vmcnt(62)
	buffer_store_dword v166, off, s[0:3], 0 offset:456
	buffer_store_dword v167, off, s[0:3], 0 offset:460
	;; [unrolled: 1-line block ×12, first 2 shown]
	s_cbranch_scc1 .LBB62_258
; %bb.4:
	v_cmp_eq_u32_e64 s[4:5], 0, v0
	s_and_saveexec_b64 s[8:9], s[4:5]
; %bb.5:
	v_mov_b32_e32 v127, 0
	ds_write_b32 v127, v127 offset:504
; %bb.6:
	s_or_b64 exec, exec, s[8:9]
	v_mov_b32_e32 v127, 0
	v_lshl_add_u32 v127, v0, 3, v127
	s_waitcnt lgkmcnt(0)
	; wave barrier
	buffer_load_dword v130, v127, s[0:3], 0 offen
	buffer_load_dword v131, v127, s[0:3], 0 offen offset:4
	s_waitcnt vmcnt(0)
	v_cmp_eq_f64_e32 vcc, 0, v[130:131]
	s_and_saveexec_b64 s[12:13], vcc
	s_cbranch_execz .LBB62_10
; %bb.7:
	v_mov_b32_e32 v128, 0
	ds_read_b32 v131, v128 offset:504
	v_add_u32_e32 v130, 1, v0
	s_waitcnt lgkmcnt(0)
	v_readfirstlane_b32 s8, v131
	s_cmp_eq_u32 s8, 0
	s_cselect_b64 s[14:15], -1, 0
	v_cmp_gt_i32_e32 vcc, s8, v130
	s_or_b64 s[14:15], s[14:15], vcc
	s_and_b64 exec, exec, s[14:15]
	s_cbranch_execz .LBB62_10
; %bb.8:
	s_mov_b64 s[14:15], 0
	v_mov_b32_e32 v131, s8
.LBB62_9:                               ; =>This Inner Loop Header: Depth=1
	ds_cmpst_rtn_b32 v131, v128, v131, v130 offset:504
	s_waitcnt lgkmcnt(0)
	v_cmp_ne_u32_e32 vcc, 0, v131
	v_cmp_le_i32_e64 s[8:9], v131, v130
	s_and_b64 s[8:9], vcc, s[8:9]
	s_and_b64 s[8:9], exec, s[8:9]
	s_or_b64 s[14:15], s[8:9], s[14:15]
	s_andn2_b64 exec, exec, s[14:15]
	s_cbranch_execnz .LBB62_9
.LBB62_10:
	s_or_b64 exec, exec, s[12:13]
	v_mov_b32_e32 v130, 0
	; wave barrier
	ds_read_b32 v128, v130 offset:504
	s_and_saveexec_b64 s[8:9], s[4:5]
	s_cbranch_execz .LBB62_12
; %bb.11:
	s_lshl_b64 s[12:13], s[6:7], 2
	s_add_u32 s12, s10, s12
	s_addc_u32 s13, s11, s13
	s_waitcnt lgkmcnt(0)
	global_store_dword v130, v128, s[12:13]
.LBB62_12:
	s_or_b64 exec, exec, s[8:9]
	s_waitcnt lgkmcnt(0)
	v_cmp_ne_u32_e32 vcc, 0, v128
	s_mov_b64 s[8:9], 0
	s_cbranch_vccnz .LBB62_258
; %bb.13:
	buffer_load_dword v130, v127, s[0:3], 0 offen
	buffer_load_dword v131, v127, s[0:3], 0 offen offset:4
	s_waitcnt vmcnt(0)
	v_div_scale_f64 v[132:133], s[8:9], v[130:131], v[130:131], 1.0
	v_rcp_f64_e32 v[134:135], v[132:133]
	v_fma_f64 v[136:137], -v[132:133], v[134:135], 1.0
	v_fma_f64 v[134:135], v[134:135], v[136:137], v[134:135]
	v_div_scale_f64 v[136:137], vcc, 1.0, v[130:131], 1.0
	v_fma_f64 v[138:139], -v[132:133], v[134:135], 1.0
	v_fma_f64 v[134:135], v[134:135], v[138:139], v[134:135]
	v_mul_f64 v[138:139], v[136:137], v[134:135]
	v_fma_f64 v[132:133], -v[132:133], v[138:139], v[136:137]
	v_div_fmas_f64 v[132:133], v[132:133], v[134:135], v[138:139]
	v_div_fixup_f64 v[131:132], v[132:133], v[130:131], 1.0
	v_or_b32_e32 v130, 0x200, v129
	buffer_store_dword v132, v127, s[0:3], 0 offen offset:4
	buffer_store_dword v131, v127, s[0:3], 0 offen
	buffer_load_dword v134, off, s[0:3], 0 offset:12
	buffer_load_dword v133, off, s[0:3], 0 offset:8
	v_xor_b32_e32 v132, 0x80000000, v132
	s_waitcnt vmcnt(0)
	ds_write2st64_b64 v129, v[131:132], v[133:134] offset1:1
	s_waitcnt lgkmcnt(0)
	; wave barrier
	s_and_saveexec_b64 s[8:9], s[4:5]
	s_cbranch_execz .LBB62_15
; %bb.14:
	buffer_load_dword v131, v127, s[0:3], 0 offen
	buffer_load_dword v132, v127, s[0:3], 0 offen offset:4
	ds_read_b64 v[133:134], v130
	v_mov_b32_e32 v128, 0
	ds_read_b64 v[135:136], v128 offset:8
	s_waitcnt vmcnt(0) lgkmcnt(1)
	v_fma_f64 v[131:132], v[131:132], v[133:134], 0
	s_waitcnt lgkmcnt(0)
	v_mul_f64 v[131:132], v[131:132], v[135:136]
	buffer_store_dword v131, off, s[0:3], 0 offset:8
	buffer_store_dword v132, off, s[0:3], 0 offset:12
.LBB62_15:
	s_or_b64 exec, exec, s[8:9]
	; wave barrier
	buffer_load_dword v131, off, s[0:3], 0 offset:16
	buffer_load_dword v132, off, s[0:3], 0 offset:20
	v_cmp_gt_u32_e32 vcc, 2, v0
	s_waitcnt vmcnt(0)
	ds_write_b64 v130, v[131:132]
	s_waitcnt lgkmcnt(0)
	; wave barrier
	s_and_saveexec_b64 s[8:9], vcc
	s_cbranch_execz .LBB62_17
; %bb.16:
	buffer_load_dword v131, v127, s[0:3], 0 offen
	buffer_load_dword v132, v127, s[0:3], 0 offen offset:4
	s_nop 0
	buffer_load_dword v127, off, s[0:3], 0 offset:8
	buffer_load_dword v128, off, s[0:3], 0 offset:12
	ds_read_b64 v[133:134], v130
	s_waitcnt vmcnt(2) lgkmcnt(0)
	v_fma_f64 v[135:136], v[131:132], v[133:134], 0
	v_mov_b32_e32 v131, 0
	ds_read2_b64 v[131:134], v131 offset0:2 offset1:65
	s_waitcnt vmcnt(0) lgkmcnt(0)
	v_fma_f64 v[127:128], v[127:128], v[133:134], v[135:136]
	v_cndmask_b32_e64 v128, v136, v128, s[4:5]
	v_cndmask_b32_e64 v127, v135, v127, s[4:5]
	v_mul_f64 v[127:128], v[127:128], v[131:132]
	buffer_store_dword v128, off, s[0:3], 0 offset:20
	buffer_store_dword v127, off, s[0:3], 0 offset:16
.LBB62_17:
	s_or_b64 exec, exec, s[8:9]
	; wave barrier
	buffer_load_dword v127, off, s[0:3], 0 offset:24
	buffer_load_dword v128, off, s[0:3], 0 offset:28
	v_cmp_gt_u32_e32 vcc, 3, v0
	v_add_u32_e32 v131, -1, v0
	s_waitcnt vmcnt(0)
	ds_write_b64 v130, v[127:128]
	s_waitcnt lgkmcnt(0)
	; wave barrier
	s_and_saveexec_b64 s[4:5], vcc
	s_cbranch_execz .LBB62_21
; %bb.18:
	v_mov_b32_e32 v127, 0
	v_add_u32_e32 v132, -1, v0
	v_or_b32_e32 v133, 0x200, v129
	v_mov_b32_e32 v134, v129
	v_mov_b32_e32 v128, 0
	s_mov_b64 s[8:9], 0
.LBB62_19:                              ; =>This Inner Loop Header: Depth=1
	buffer_load_dword v135, v134, s[0:3], 0 offen
	buffer_load_dword v136, v134, s[0:3], 0 offen offset:4
	ds_read_b64 v[137:138], v133
	v_add_u32_e32 v132, 1, v132
	v_cmp_lt_u32_e32 vcc, 1, v132
	v_add_u32_e32 v133, 8, v133
	s_or_b64 s[8:9], vcc, s[8:9]
	v_add_u32_e32 v134, 8, v134
	s_waitcnt vmcnt(0) lgkmcnt(0)
	v_fma_f64 v[127:128], v[135:136], v[137:138], v[127:128]
	s_andn2_b64 exec, exec, s[8:9]
	s_cbranch_execnz .LBB62_19
; %bb.20:
	s_or_b64 exec, exec, s[8:9]
	v_mov_b32_e32 v132, 0
	ds_read_b64 v[132:133], v132 offset:24
	s_waitcnt lgkmcnt(0)
	v_mul_f64 v[127:128], v[127:128], v[132:133]
	buffer_store_dword v128, off, s[0:3], 0 offset:28
	buffer_store_dword v127, off, s[0:3], 0 offset:24
.LBB62_21:
	s_or_b64 exec, exec, s[4:5]
	; wave barrier
	buffer_load_dword v127, off, s[0:3], 0 offset:32
	buffer_load_dword v128, off, s[0:3], 0 offset:36
	v_cmp_gt_u32_e32 vcc, 4, v0
	s_waitcnt vmcnt(0)
	ds_write_b64 v130, v[127:128]
	s_waitcnt lgkmcnt(0)
	; wave barrier
	s_and_saveexec_b64 s[4:5], vcc
	s_cbranch_execz .LBB62_25
; %bb.22:
	v_mov_b32_e32 v127, 0
	v_add_u32_e32 v132, -1, v0
	v_or_b32_e32 v133, 0x200, v129
	v_mov_b32_e32 v134, v129
	v_mov_b32_e32 v128, 0
	s_mov_b64 s[8:9], 0
.LBB62_23:                              ; =>This Inner Loop Header: Depth=1
	buffer_load_dword v135, v134, s[0:3], 0 offen
	buffer_load_dword v136, v134, s[0:3], 0 offen offset:4
	ds_read_b64 v[137:138], v133
	v_add_u32_e32 v132, 1, v132
	v_cmp_lt_u32_e32 vcc, 2, v132
	v_add_u32_e32 v133, 8, v133
	s_or_b64 s[8:9], vcc, s[8:9]
	v_add_u32_e32 v134, 8, v134
	s_waitcnt vmcnt(0) lgkmcnt(0)
	v_fma_f64 v[127:128], v[135:136], v[137:138], v[127:128]
	s_andn2_b64 exec, exec, s[8:9]
	s_cbranch_execnz .LBB62_23
; %bb.24:
	s_or_b64 exec, exec, s[8:9]
	v_mov_b32_e32 v132, 0
	ds_read_b64 v[132:133], v132 offset:32
	s_waitcnt lgkmcnt(0)
	v_mul_f64 v[127:128], v[127:128], v[132:133]
	buffer_store_dword v128, off, s[0:3], 0 offset:36
	buffer_store_dword v127, off, s[0:3], 0 offset:32
.LBB62_25:
	s_or_b64 exec, exec, s[4:5]
	; wave barrier
	buffer_load_dword v127, off, s[0:3], 0 offset:40
	buffer_load_dword v128, off, s[0:3], 0 offset:44
	v_cmp_gt_u32_e32 vcc, 5, v0
	;; [unrolled: 40-line block ×21, first 2 shown]
	s_waitcnt vmcnt(0)
	ds_write_b64 v130, v[127:128]
	s_waitcnt lgkmcnt(0)
	; wave barrier
	s_and_saveexec_b64 s[4:5], vcc
	s_cbranch_execz .LBB62_105
; %bb.102:
	v_mov_b32_e32 v127, 0
	v_add_u32_e32 v132, -1, v0
	v_or_b32_e32 v133, 0x200, v129
	v_mov_b32_e32 v134, v129
	v_mov_b32_e32 v128, 0
	s_mov_b64 s[8:9], 0
.LBB62_103:                             ; =>This Inner Loop Header: Depth=1
	buffer_load_dword v135, v134, s[0:3], 0 offen
	buffer_load_dword v136, v134, s[0:3], 0 offen offset:4
	ds_read_b64 v[137:138], v133
	v_add_u32_e32 v132, 1, v132
	v_cmp_lt_u32_e32 vcc, 22, v132
	v_add_u32_e32 v133, 8, v133
	s_or_b64 s[8:9], vcc, s[8:9]
	v_add_u32_e32 v134, 8, v134
	s_waitcnt vmcnt(0) lgkmcnt(0)
	v_fma_f64 v[127:128], v[135:136], v[137:138], v[127:128]
	s_andn2_b64 exec, exec, s[8:9]
	s_cbranch_execnz .LBB62_103
; %bb.104:
	s_or_b64 exec, exec, s[8:9]
	v_mov_b32_e32 v132, 0
	ds_read_b64 v[132:133], v132 offset:192
	s_waitcnt lgkmcnt(0)
	v_mul_f64 v[127:128], v[127:128], v[132:133]
	buffer_store_dword v128, off, s[0:3], 0 offset:196
	buffer_store_dword v127, off, s[0:3], 0 offset:192
.LBB62_105:
	s_or_b64 exec, exec, s[4:5]
	; wave barrier
	buffer_load_dword v127, off, s[0:3], 0 offset:200
	buffer_load_dword v128, off, s[0:3], 0 offset:204
	v_cmp_gt_u32_e32 vcc, 25, v0
	s_waitcnt vmcnt(0)
	ds_write_b64 v130, v[127:128]
	s_waitcnt lgkmcnt(0)
	; wave barrier
	s_and_saveexec_b64 s[4:5], vcc
	s_cbranch_execz .LBB62_109
; %bb.106:
	v_mov_b32_e32 v127, 0
	v_add_u32_e32 v132, -1, v0
	v_or_b32_e32 v133, 0x200, v129
	v_mov_b32_e32 v134, v129
	v_mov_b32_e32 v128, 0
	s_mov_b64 s[8:9], 0
.LBB62_107:                             ; =>This Inner Loop Header: Depth=1
	buffer_load_dword v135, v134, s[0:3], 0 offen
	buffer_load_dword v136, v134, s[0:3], 0 offen offset:4
	ds_read_b64 v[137:138], v133
	v_add_u32_e32 v132, 1, v132
	v_cmp_lt_u32_e32 vcc, 23, v132
	v_add_u32_e32 v133, 8, v133
	s_or_b64 s[8:9], vcc, s[8:9]
	v_add_u32_e32 v134, 8, v134
	s_waitcnt vmcnt(0) lgkmcnt(0)
	v_fma_f64 v[127:128], v[135:136], v[137:138], v[127:128]
	s_andn2_b64 exec, exec, s[8:9]
	s_cbranch_execnz .LBB62_107
; %bb.108:
	s_or_b64 exec, exec, s[8:9]
	v_mov_b32_e32 v132, 0
	ds_read_b64 v[132:133], v132 offset:200
	s_waitcnt lgkmcnt(0)
	v_mul_f64 v[127:128], v[127:128], v[132:133]
	buffer_store_dword v128, off, s[0:3], 0 offset:204
	buffer_store_dword v127, off, s[0:3], 0 offset:200
.LBB62_109:
	s_or_b64 exec, exec, s[4:5]
	; wave barrier
	buffer_load_dword v127, off, s[0:3], 0 offset:208
	buffer_load_dword v128, off, s[0:3], 0 offset:212
	v_cmp_gt_u32_e32 vcc, 26, v0
	;; [unrolled: 40-line block ×37, first 2 shown]
	s_waitcnt vmcnt(0)
	ds_write_b64 v130, v[127:128]
	s_waitcnt lgkmcnt(0)
	; wave barrier
	s_and_saveexec_b64 s[4:5], vcc
	s_cbranch_execz .LBB62_253
; %bb.250:
	v_mov_b32_e32 v127, 0
	v_add_u32_e32 v132, -1, v0
	v_or_b32_e32 v133, 0x200, v129
	v_mov_b32_e32 v134, v129
	v_mov_b32_e32 v128, 0
	s_mov_b64 s[8:9], 0
.LBB62_251:                             ; =>This Inner Loop Header: Depth=1
	buffer_load_dword v135, v134, s[0:3], 0 offen
	buffer_load_dword v136, v134, s[0:3], 0 offen offset:4
	ds_read_b64 v[137:138], v133
	v_add_u32_e32 v132, 1, v132
	v_cmp_lt_u32_e32 vcc, 59, v132
	v_add_u32_e32 v133, 8, v133
	s_or_b64 s[8:9], vcc, s[8:9]
	v_add_u32_e32 v134, 8, v134
	s_waitcnt vmcnt(0) lgkmcnt(0)
	v_fma_f64 v[127:128], v[135:136], v[137:138], v[127:128]
	s_andn2_b64 exec, exec, s[8:9]
	s_cbranch_execnz .LBB62_251
; %bb.252:
	s_or_b64 exec, exec, s[8:9]
	v_mov_b32_e32 v132, 0
	ds_read_b64 v[132:133], v132 offset:488
	s_waitcnt lgkmcnt(0)
	v_mul_f64 v[127:128], v[127:128], v[132:133]
	buffer_store_dword v128, off, s[0:3], 0 offset:492
	buffer_store_dword v127, off, s[0:3], 0 offset:488
.LBB62_253:
	s_or_b64 exec, exec, s[4:5]
	; wave barrier
	buffer_load_dword v127, off, s[0:3], 0 offset:496
	buffer_load_dword v128, off, s[0:3], 0 offset:500
	v_cmp_ne_u32_e32 vcc, 62, v0
	s_waitcnt vmcnt(0)
	ds_write_b64 v130, v[127:128]
	s_waitcnt lgkmcnt(0)
	; wave barrier
	s_and_saveexec_b64 s[4:5], vcc
	s_cbranch_execz .LBB62_257
; %bb.254:
	v_mov_b32_e32 v127, 0
	v_or_b32_e32 v130, 0x200, v129
	v_mov_b32_e32 v128, 0
	s_mov_b64 s[8:9], 0
.LBB62_255:                             ; =>This Inner Loop Header: Depth=1
	buffer_load_dword v132, v129, s[0:3], 0 offen
	buffer_load_dword v133, v129, s[0:3], 0 offen offset:4
	ds_read_b64 v[134:135], v130
	v_add_u32_e32 v131, 1, v131
	v_cmp_lt_u32_e32 vcc, 60, v131
	v_add_u32_e32 v130, 8, v130
	s_or_b64 s[8:9], vcc, s[8:9]
	v_add_u32_e32 v129, 8, v129
	s_waitcnt vmcnt(0) lgkmcnt(0)
	v_fma_f64 v[127:128], v[132:133], v[134:135], v[127:128]
	s_andn2_b64 exec, exec, s[8:9]
	s_cbranch_execnz .LBB62_255
; %bb.256:
	s_or_b64 exec, exec, s[8:9]
	v_mov_b32_e32 v129, 0
	ds_read_b64 v[129:130], v129 offset:496
	s_waitcnt lgkmcnt(0)
	v_mul_f64 v[127:128], v[127:128], v[129:130]
	buffer_store_dword v128, off, s[0:3], 0 offset:500
	buffer_store_dword v127, off, s[0:3], 0 offset:496
.LBB62_257:
	s_or_b64 exec, exec, s[4:5]
	s_mov_b64 s[8:9], -1
	; wave barrier
.LBB62_258:
	s_and_b64 vcc, exec, s[8:9]
	s_cbranch_vccz .LBB62_260
; %bb.259:
	s_lshl_b64 s[4:5], s[6:7], 2
	s_add_u32 s4, s10, s4
	s_addc_u32 s5, s11, s5
	v_mov_b32_e32 v127, 0
	global_load_dword v127, v127, s[4:5]
	s_waitcnt vmcnt(0)
	v_cmp_ne_u32_e32 vcc, 0, v127
	s_cbranch_vccz .LBB62_261
.LBB62_260:
	s_endpgm
.LBB62_261:
	v_mov_b32_e32 v127, 0x200
	v_lshl_or_b32 v127, v0, 3, v127
	v_cmp_eq_u32_e32 vcc, 62, v0
	s_and_saveexec_b64 s[4:5], vcc
	s_cbranch_execz .LBB62_263
; %bb.262:
	buffer_load_dword v128, off, s[0:3], 0 offset:488
	buffer_load_dword v129, off, s[0:3], 0 offset:492
	v_mov_b32_e32 v130, 0
	buffer_store_dword v130, off, s[0:3], 0 offset:488
	buffer_store_dword v130, off, s[0:3], 0 offset:492
	s_waitcnt vmcnt(2)
	ds_write_b64 v127, v[128:129]
.LBB62_263:
	s_or_b64 exec, exec, s[4:5]
	s_waitcnt lgkmcnt(0)
	; wave barrier
	buffer_load_dword v129, off, s[0:3], 0 offset:496
	buffer_load_dword v130, off, s[0:3], 0 offset:500
	;; [unrolled: 1-line block ×4, first 2 shown]
	v_mov_b32_e32 v128, 0
	ds_read_b64 v[133:134], v128 offset:1008
	v_cmp_lt_u32_e32 vcc, 60, v0
	s_waitcnt vmcnt(2) lgkmcnt(0)
	v_fma_f64 v[129:130], v[129:130], v[133:134], 0
	s_waitcnt vmcnt(0)
	v_add_f64 v[129:130], v[131:132], -v[129:130]
	buffer_store_dword v129, off, s[0:3], 0 offset:488
	buffer_store_dword v130, off, s[0:3], 0 offset:492
	s_and_saveexec_b64 s[4:5], vcc
	s_cbranch_execz .LBB62_265
; %bb.264:
	buffer_load_dword v129, off, s[0:3], 0 offset:480
	buffer_load_dword v130, off, s[0:3], 0 offset:484
	s_waitcnt vmcnt(0)
	ds_write_b64 v127, v[129:130]
	buffer_store_dword v128, off, s[0:3], 0 offset:480
	buffer_store_dword v128, off, s[0:3], 0 offset:484
.LBB62_265:
	s_or_b64 exec, exec, s[4:5]
	s_waitcnt lgkmcnt(0)
	; wave barrier
	buffer_load_dword v132, off, s[0:3], 0 offset:488
	buffer_load_dword v133, off, s[0:3], 0 offset:492
	;; [unrolled: 1-line block ×6, first 2 shown]
	ds_read2_b64 v[128:131], v128 offset0:125 offset1:126
	v_cmp_lt_u32_e32 vcc, 59, v0
	s_waitcnt vmcnt(4) lgkmcnt(0)
	v_fma_f64 v[128:129], v[132:133], v[128:129], 0
	s_waitcnt vmcnt(2)
	v_fma_f64 v[128:129], v[134:135], v[130:131], v[128:129]
	s_waitcnt vmcnt(0)
	v_add_f64 v[128:129], v[136:137], -v[128:129]
	buffer_store_dword v128, off, s[0:3], 0 offset:480
	buffer_store_dword v129, off, s[0:3], 0 offset:484
	s_and_saveexec_b64 s[4:5], vcc
	s_cbranch_execz .LBB62_267
; %bb.266:
	buffer_load_dword v128, off, s[0:3], 0 offset:472
	buffer_load_dword v129, off, s[0:3], 0 offset:476
	v_mov_b32_e32 v130, 0
	buffer_store_dword v130, off, s[0:3], 0 offset:472
	buffer_store_dword v130, off, s[0:3], 0 offset:476
	s_waitcnt vmcnt(2)
	ds_write_b64 v127, v[128:129]
.LBB62_267:
	s_or_b64 exec, exec, s[4:5]
	s_waitcnt lgkmcnt(0)
	; wave barrier
	buffer_load_dword v133, off, s[0:3], 0 offset:480
	buffer_load_dword v134, off, s[0:3], 0 offset:484
	;; [unrolled: 1-line block ×8, first 2 shown]
	v_mov_b32_e32 v128, 0
	ds_read_b128 v[129:132], v128 offset:992
	ds_read_b64 v[141:142], v128 offset:1008
	v_cmp_lt_u32_e32 vcc, 58, v0
	s_waitcnt vmcnt(6) lgkmcnt(1)
	v_fma_f64 v[129:130], v[133:134], v[129:130], 0
	s_waitcnt vmcnt(4)
	v_fma_f64 v[129:130], v[135:136], v[131:132], v[129:130]
	s_waitcnt vmcnt(2) lgkmcnt(0)
	v_fma_f64 v[129:130], v[137:138], v[141:142], v[129:130]
	s_waitcnt vmcnt(0)
	v_add_f64 v[129:130], v[139:140], -v[129:130]
	buffer_store_dword v129, off, s[0:3], 0 offset:472
	buffer_store_dword v130, off, s[0:3], 0 offset:476
	s_and_saveexec_b64 s[4:5], vcc
	s_cbranch_execz .LBB62_269
; %bb.268:
	buffer_load_dword v129, off, s[0:3], 0 offset:464
	buffer_load_dword v130, off, s[0:3], 0 offset:468
	s_waitcnt vmcnt(0)
	ds_write_b64 v127, v[129:130]
	buffer_store_dword v128, off, s[0:3], 0 offset:464
	buffer_store_dword v128, off, s[0:3], 0 offset:468
.LBB62_269:
	s_or_b64 exec, exec, s[4:5]
	s_waitcnt lgkmcnt(0)
	; wave barrier
	buffer_load_dword v137, off, s[0:3], 0 offset:472
	buffer_load_dword v138, off, s[0:3], 0 offset:476
	;; [unrolled: 1-line block ×10, first 2 shown]
	ds_read2_b64 v[129:132], v128 offset0:123 offset1:124
	ds_read2_b64 v[133:136], v128 offset0:125 offset1:126
	v_cmp_lt_u32_e32 vcc, 57, v0
	s_waitcnt vmcnt(8) lgkmcnt(1)
	v_fma_f64 v[128:129], v[137:138], v[129:130], 0
	s_waitcnt vmcnt(6)
	v_fma_f64 v[128:129], v[139:140], v[131:132], v[128:129]
	s_waitcnt vmcnt(4) lgkmcnt(0)
	v_fma_f64 v[128:129], v[141:142], v[133:134], v[128:129]
	s_waitcnt vmcnt(2)
	v_fma_f64 v[128:129], v[143:144], v[135:136], v[128:129]
	s_waitcnt vmcnt(0)
	v_add_f64 v[128:129], v[145:146], -v[128:129]
	buffer_store_dword v128, off, s[0:3], 0 offset:464
	buffer_store_dword v129, off, s[0:3], 0 offset:468
	s_and_saveexec_b64 s[4:5], vcc
	s_cbranch_execz .LBB62_271
; %bb.270:
	buffer_load_dword v128, off, s[0:3], 0 offset:456
	buffer_load_dword v129, off, s[0:3], 0 offset:460
	v_mov_b32_e32 v130, 0
	buffer_store_dword v130, off, s[0:3], 0 offset:456
	buffer_store_dword v130, off, s[0:3], 0 offset:460
	s_waitcnt vmcnt(2)
	ds_write_b64 v127, v[128:129]
.LBB62_271:
	s_or_b64 exec, exec, s[4:5]
	s_waitcnt lgkmcnt(0)
	; wave barrier
	buffer_load_dword v137, off, s[0:3], 0 offset:464
	buffer_load_dword v138, off, s[0:3], 0 offset:468
	;; [unrolled: 1-line block ×12, first 2 shown]
	v_mov_b32_e32 v128, 0
	ds_read_b128 v[129:132], v128 offset:976
	ds_read_b128 v[133:136], v128 offset:992
	v_cmp_lt_u32_e32 vcc, 56, v0
	s_waitcnt vmcnt(10) lgkmcnt(1)
	v_fma_f64 v[129:130], v[137:138], v[129:130], 0
	s_waitcnt vmcnt(8)
	v_fma_f64 v[129:130], v[139:140], v[131:132], v[129:130]
	ds_read_b64 v[131:132], v128 offset:1008
	s_waitcnt vmcnt(6) lgkmcnt(1)
	v_fma_f64 v[129:130], v[141:142], v[133:134], v[129:130]
	s_waitcnt vmcnt(4)
	v_fma_f64 v[129:130], v[143:144], v[135:136], v[129:130]
	s_waitcnt vmcnt(2) lgkmcnt(0)
	v_fma_f64 v[129:130], v[145:146], v[131:132], v[129:130]
	s_waitcnt vmcnt(0)
	v_add_f64 v[129:130], v[147:148], -v[129:130]
	buffer_store_dword v129, off, s[0:3], 0 offset:456
	buffer_store_dword v130, off, s[0:3], 0 offset:460
	s_and_saveexec_b64 s[4:5], vcc
	s_cbranch_execz .LBB62_273
; %bb.272:
	buffer_load_dword v129, off, s[0:3], 0 offset:448
	buffer_load_dword v130, off, s[0:3], 0 offset:452
	s_waitcnt vmcnt(0)
	ds_write_b64 v127, v[129:130]
	buffer_store_dword v128, off, s[0:3], 0 offset:448
	buffer_store_dword v128, off, s[0:3], 0 offset:452
.LBB62_273:
	s_or_b64 exec, exec, s[4:5]
	s_waitcnt lgkmcnt(0)
	; wave barrier
	buffer_load_dword v137, off, s[0:3], 0 offset:456
	buffer_load_dword v138, off, s[0:3], 0 offset:460
	;; [unrolled: 1-line block ×14, first 2 shown]
	ds_read2_b64 v[129:132], v128 offset0:121 offset1:122
	ds_read2_b64 v[133:136], v128 offset0:123 offset1:124
	v_cmp_lt_u32_e32 vcc, 55, v0
	s_waitcnt vmcnt(12) lgkmcnt(1)
	v_fma_f64 v[129:130], v[137:138], v[129:130], 0
	s_waitcnt vmcnt(10)
	v_fma_f64 v[129:130], v[139:140], v[131:132], v[129:130]
	s_waitcnt vmcnt(8) lgkmcnt(0)
	v_fma_f64 v[129:130], v[141:142], v[133:134], v[129:130]
	s_waitcnt vmcnt(6)
	v_fma_f64 v[132:133], v[143:144], v[135:136], v[129:130]
	ds_read2_b64 v[128:131], v128 offset0:125 offset1:126
	s_waitcnt vmcnt(4) lgkmcnt(0)
	v_fma_f64 v[128:129], v[145:146], v[128:129], v[132:133]
	s_waitcnt vmcnt(2)
	v_fma_f64 v[128:129], v[147:148], v[130:131], v[128:129]
	s_waitcnt vmcnt(0)
	v_add_f64 v[128:129], v[149:150], -v[128:129]
	buffer_store_dword v128, off, s[0:3], 0 offset:448
	buffer_store_dword v129, off, s[0:3], 0 offset:452
	s_and_saveexec_b64 s[4:5], vcc
	s_cbranch_execz .LBB62_275
; %bb.274:
	buffer_load_dword v128, off, s[0:3], 0 offset:440
	buffer_load_dword v129, off, s[0:3], 0 offset:444
	v_mov_b32_e32 v130, 0
	buffer_store_dword v130, off, s[0:3], 0 offset:440
	buffer_store_dword v130, off, s[0:3], 0 offset:444
	s_waitcnt vmcnt(2)
	ds_write_b64 v127, v[128:129]
.LBB62_275:
	s_or_b64 exec, exec, s[4:5]
	s_waitcnt lgkmcnt(0)
	; wave barrier
	buffer_load_dword v137, off, s[0:3], 0 offset:448
	buffer_load_dword v138, off, s[0:3], 0 offset:452
	buffer_load_dword v139, off, s[0:3], 0 offset:456
	buffer_load_dword v140, off, s[0:3], 0 offset:460
	buffer_load_dword v141, off, s[0:3], 0 offset:464
	buffer_load_dword v142, off, s[0:3], 0 offset:468
	buffer_load_dword v143, off, s[0:3], 0 offset:472
	buffer_load_dword v144, off, s[0:3], 0 offset:476
	buffer_load_dword v145, off, s[0:3], 0 offset:480
	buffer_load_dword v146, off, s[0:3], 0 offset:484
	buffer_load_dword v147, off, s[0:3], 0 offset:488
	buffer_load_dword v148, off, s[0:3], 0 offset:492
	buffer_load_dword v149, off, s[0:3], 0 offset:496
	buffer_load_dword v150, off, s[0:3], 0 offset:500
	buffer_load_dword v151, off, s[0:3], 0 offset:440
	buffer_load_dword v152, off, s[0:3], 0 offset:444
	v_mov_b32_e32 v128, 0
	ds_read_b128 v[129:132], v128 offset:960
	ds_read_b128 v[133:136], v128 offset:976
	v_cmp_lt_u32_e32 vcc, 54, v0
	s_waitcnt vmcnt(14) lgkmcnt(1)
	v_fma_f64 v[129:130], v[137:138], v[129:130], 0
	s_waitcnt vmcnt(12)
	v_fma_f64 v[129:130], v[139:140], v[131:132], v[129:130]
	s_waitcnt vmcnt(10) lgkmcnt(0)
	v_fma_f64 v[129:130], v[141:142], v[133:134], v[129:130]
	s_waitcnt vmcnt(8)
	v_fma_f64 v[133:134], v[143:144], v[135:136], v[129:130]
	ds_read_b128 v[129:132], v128 offset:992
	ds_read_b64 v[135:136], v128 offset:1008
	s_waitcnt vmcnt(6) lgkmcnt(1)
	v_fma_f64 v[129:130], v[145:146], v[129:130], v[133:134]
	s_waitcnt vmcnt(4)
	v_fma_f64 v[129:130], v[147:148], v[131:132], v[129:130]
	s_waitcnt vmcnt(2) lgkmcnt(0)
	v_fma_f64 v[129:130], v[149:150], v[135:136], v[129:130]
	s_waitcnt vmcnt(0)
	v_add_f64 v[129:130], v[151:152], -v[129:130]
	buffer_store_dword v129, off, s[0:3], 0 offset:440
	buffer_store_dword v130, off, s[0:3], 0 offset:444
	s_and_saveexec_b64 s[4:5], vcc
	s_cbranch_execz .LBB62_277
; %bb.276:
	buffer_load_dword v129, off, s[0:3], 0 offset:432
	buffer_load_dword v130, off, s[0:3], 0 offset:436
	s_waitcnt vmcnt(0)
	ds_write_b64 v127, v[129:130]
	buffer_store_dword v128, off, s[0:3], 0 offset:432
	buffer_store_dword v128, off, s[0:3], 0 offset:436
.LBB62_277:
	s_or_b64 exec, exec, s[4:5]
	s_waitcnt lgkmcnt(0)
	; wave barrier
	buffer_load_dword v137, off, s[0:3], 0 offset:440
	buffer_load_dword v138, off, s[0:3], 0 offset:444
	buffer_load_dword v139, off, s[0:3], 0 offset:448
	buffer_load_dword v140, off, s[0:3], 0 offset:452
	buffer_load_dword v141, off, s[0:3], 0 offset:456
	buffer_load_dword v142, off, s[0:3], 0 offset:460
	buffer_load_dword v143, off, s[0:3], 0 offset:464
	buffer_load_dword v144, off, s[0:3], 0 offset:468
	buffer_load_dword v145, off, s[0:3], 0 offset:472
	buffer_load_dword v146, off, s[0:3], 0 offset:476
	buffer_load_dword v147, off, s[0:3], 0 offset:480
	buffer_load_dword v148, off, s[0:3], 0 offset:484
	buffer_load_dword v149, off, s[0:3], 0 offset:488
	buffer_load_dword v150, off, s[0:3], 0 offset:492
	buffer_load_dword v152, off, s[0:3], 0 offset:500
	buffer_load_dword v151, off, s[0:3], 0 offset:496
	buffer_load_dword v153, off, s[0:3], 0 offset:432
	buffer_load_dword v154, off, s[0:3], 0 offset:436
	ds_read2_b64 v[129:132], v128 offset0:119 offset1:120
	ds_read2_b64 v[133:136], v128 offset0:121 offset1:122
	v_cmp_lt_u32_e32 vcc, 53, v0
	s_waitcnt vmcnt(16) lgkmcnt(1)
	v_fma_f64 v[129:130], v[137:138], v[129:130], 0
	s_waitcnt vmcnt(14)
	v_fma_f64 v[129:130], v[139:140], v[131:132], v[129:130]
	s_waitcnt vmcnt(12) lgkmcnt(0)
	v_fma_f64 v[129:130], v[141:142], v[133:134], v[129:130]
	s_waitcnt vmcnt(10)
	v_fma_f64 v[137:138], v[143:144], v[135:136], v[129:130]
	ds_read2_b64 v[129:132], v128 offset0:123 offset1:124
	ds_read2_b64 v[133:136], v128 offset0:125 offset1:126
	s_waitcnt vmcnt(8) lgkmcnt(1)
	v_fma_f64 v[128:129], v[145:146], v[129:130], v[137:138]
	s_waitcnt vmcnt(6)
	v_fma_f64 v[128:129], v[147:148], v[131:132], v[128:129]
	s_waitcnt vmcnt(4) lgkmcnt(0)
	v_fma_f64 v[128:129], v[149:150], v[133:134], v[128:129]
	s_waitcnt vmcnt(2)
	v_fma_f64 v[128:129], v[151:152], v[135:136], v[128:129]
	s_waitcnt vmcnt(0)
	v_add_f64 v[128:129], v[153:154], -v[128:129]
	buffer_store_dword v128, off, s[0:3], 0 offset:432
	buffer_store_dword v129, off, s[0:3], 0 offset:436
	s_and_saveexec_b64 s[4:5], vcc
	s_cbranch_execz .LBB62_279
; %bb.278:
	buffer_load_dword v128, off, s[0:3], 0 offset:424
	buffer_load_dword v129, off, s[0:3], 0 offset:428
	v_mov_b32_e32 v130, 0
	buffer_store_dword v130, off, s[0:3], 0 offset:424
	buffer_store_dword v130, off, s[0:3], 0 offset:428
	s_waitcnt vmcnt(2)
	ds_write_b64 v127, v[128:129]
.LBB62_279:
	s_or_b64 exec, exec, s[4:5]
	s_waitcnt lgkmcnt(0)
	; wave barrier
	buffer_load_dword v137, off, s[0:3], 0 offset:432
	buffer_load_dword v138, off, s[0:3], 0 offset:436
	;; [unrolled: 1-line block ×20, first 2 shown]
	v_mov_b32_e32 v128, 0
	ds_read_b128 v[129:132], v128 offset:944
	ds_read_b128 v[133:136], v128 offset:960
	v_cmp_lt_u32_e32 vcc, 52, v0
	s_waitcnt vmcnt(18) lgkmcnt(1)
	v_fma_f64 v[129:130], v[137:138], v[129:130], 0
	s_waitcnt vmcnt(16)
	v_fma_f64 v[129:130], v[139:140], v[131:132], v[129:130]
	s_waitcnt vmcnt(14) lgkmcnt(0)
	v_fma_f64 v[129:130], v[141:142], v[133:134], v[129:130]
	s_waitcnt vmcnt(12)
	v_fma_f64 v[137:138], v[143:144], v[135:136], v[129:130]
	ds_read_b128 v[129:132], v128 offset:976
	ds_read_b128 v[133:136], v128 offset:992
	s_waitcnt vmcnt(10) lgkmcnt(1)
	v_fma_f64 v[129:130], v[145:146], v[129:130], v[137:138]
	s_waitcnt vmcnt(8)
	v_fma_f64 v[129:130], v[147:148], v[131:132], v[129:130]
	ds_read_b64 v[131:132], v128 offset:1008
	s_waitcnt vmcnt(6) lgkmcnt(1)
	v_fma_f64 v[129:130], v[149:150], v[133:134], v[129:130]
	s_waitcnt vmcnt(3)
	v_fma_f64 v[129:130], v[151:152], v[135:136], v[129:130]
	s_waitcnt vmcnt(2) lgkmcnt(0)
	v_fma_f64 v[129:130], v[153:154], v[131:132], v[129:130]
	s_waitcnt vmcnt(0)
	v_add_f64 v[129:130], v[155:156], -v[129:130]
	buffer_store_dword v129, off, s[0:3], 0 offset:424
	buffer_store_dword v130, off, s[0:3], 0 offset:428
	s_and_saveexec_b64 s[4:5], vcc
	s_cbranch_execz .LBB62_281
; %bb.280:
	buffer_load_dword v129, off, s[0:3], 0 offset:416
	buffer_load_dword v130, off, s[0:3], 0 offset:420
	s_waitcnt vmcnt(0)
	ds_write_b64 v127, v[129:130]
	buffer_store_dword v128, off, s[0:3], 0 offset:416
	buffer_store_dword v128, off, s[0:3], 0 offset:420
.LBB62_281:
	s_or_b64 exec, exec, s[4:5]
	s_waitcnt lgkmcnt(0)
	; wave barrier
	buffer_load_dword v137, off, s[0:3], 0 offset:424
	buffer_load_dword v138, off, s[0:3], 0 offset:428
	;; [unrolled: 1-line block ×20, first 2 shown]
	ds_read2_b64 v[129:132], v128 offset0:117 offset1:118
	buffer_load_dword v157, off, s[0:3], 0 offset:416
	buffer_load_dword v158, off, s[0:3], 0 offset:420
	ds_read2_b64 v[133:136], v128 offset0:119 offset1:120
	v_cmp_lt_u32_e32 vcc, 51, v0
	s_waitcnt vmcnt(20) lgkmcnt(1)
	v_fma_f64 v[129:130], v[137:138], v[129:130], 0
	s_waitcnt vmcnt(18)
	v_fma_f64 v[129:130], v[139:140], v[131:132], v[129:130]
	s_waitcnt vmcnt(16) lgkmcnt(0)
	v_fma_f64 v[129:130], v[141:142], v[133:134], v[129:130]
	s_waitcnt vmcnt(14)
	v_fma_f64 v[137:138], v[143:144], v[135:136], v[129:130]
	ds_read2_b64 v[129:132], v128 offset0:121 offset1:122
	ds_read2_b64 v[133:136], v128 offset0:123 offset1:124
	s_waitcnt vmcnt(12) lgkmcnt(1)
	v_fma_f64 v[129:130], v[145:146], v[129:130], v[137:138]
	s_waitcnt vmcnt(10)
	v_fma_f64 v[129:130], v[147:148], v[131:132], v[129:130]
	s_waitcnt vmcnt(8) lgkmcnt(0)
	v_fma_f64 v[129:130], v[149:150], v[133:134], v[129:130]
	s_waitcnt vmcnt(4)
	v_fma_f64 v[132:133], v[151:152], v[135:136], v[129:130]
	ds_read2_b64 v[128:131], v128 offset0:125 offset1:126
	s_waitcnt vmcnt(3) lgkmcnt(0)
	v_fma_f64 v[128:129], v[155:156], v[128:129], v[132:133]
	s_waitcnt vmcnt(2)
	v_fma_f64 v[128:129], v[153:154], v[130:131], v[128:129]
	s_waitcnt vmcnt(0)
	v_add_f64 v[128:129], v[157:158], -v[128:129]
	buffer_store_dword v128, off, s[0:3], 0 offset:416
	buffer_store_dword v129, off, s[0:3], 0 offset:420
	s_and_saveexec_b64 s[4:5], vcc
	s_cbranch_execz .LBB62_283
; %bb.282:
	buffer_load_dword v128, off, s[0:3], 0 offset:408
	buffer_load_dword v129, off, s[0:3], 0 offset:412
	v_mov_b32_e32 v130, 0
	buffer_store_dword v130, off, s[0:3], 0 offset:408
	buffer_store_dword v130, off, s[0:3], 0 offset:412
	s_waitcnt vmcnt(2)
	ds_write_b64 v127, v[128:129]
.LBB62_283:
	s_or_b64 exec, exec, s[4:5]
	s_waitcnt lgkmcnt(0)
	; wave barrier
	buffer_load_dword v137, off, s[0:3], 0 offset:416
	buffer_load_dword v138, off, s[0:3], 0 offset:420
	;; [unrolled: 1-line block ×21, first 2 shown]
	v_mov_b32_e32 v128, 0
	ds_read_b128 v[129:132], v128 offset:928
	ds_read_b128 v[133:136], v128 offset:944
	buffer_load_dword v154, off, s[0:3], 0 offset:500
	v_cmp_lt_u32_e32 vcc, 50, v0
	s_waitcnt vmcnt(20) lgkmcnt(1)
	v_fma_f64 v[129:130], v[137:138], v[129:130], 0
	buffer_load_dword v137, off, s[0:3], 0 offset:408
	buffer_load_dword v138, off, s[0:3], 0 offset:412
	s_waitcnt vmcnt(20)
	v_fma_f64 v[129:130], v[139:140], v[131:132], v[129:130]
	s_waitcnt vmcnt(18) lgkmcnt(0)
	v_fma_f64 v[129:130], v[141:142], v[133:134], v[129:130]
	s_waitcnt vmcnt(16)
	v_fma_f64 v[139:140], v[143:144], v[135:136], v[129:130]
	ds_read_b128 v[129:132], v128 offset:960
	ds_read_b128 v[133:136], v128 offset:976
	s_waitcnt vmcnt(14) lgkmcnt(1)
	v_fma_f64 v[129:130], v[145:146], v[129:130], v[139:140]
	s_waitcnt vmcnt(12)
	v_fma_f64 v[129:130], v[147:148], v[131:132], v[129:130]
	s_waitcnt vmcnt(10) lgkmcnt(0)
	v_fma_f64 v[129:130], v[149:150], v[133:134], v[129:130]
	s_waitcnt vmcnt(5)
	v_fma_f64 v[133:134], v[151:152], v[135:136], v[129:130]
	ds_read_b128 v[129:132], v128 offset:992
	ds_read_b64 v[135:136], v128 offset:1008
	s_waitcnt vmcnt(4) lgkmcnt(1)
	v_fma_f64 v[129:130], v[157:158], v[129:130], v[133:134]
	s_waitcnt vmcnt(3)
	v_fma_f64 v[129:130], v[155:156], v[131:132], v[129:130]
	s_waitcnt vmcnt(2) lgkmcnt(0)
	v_fma_f64 v[129:130], v[153:154], v[135:136], v[129:130]
	s_waitcnt vmcnt(0)
	v_add_f64 v[129:130], v[137:138], -v[129:130]
	buffer_store_dword v130, off, s[0:3], 0 offset:412
	buffer_store_dword v129, off, s[0:3], 0 offset:408
	s_and_saveexec_b64 s[4:5], vcc
	s_cbranch_execz .LBB62_285
; %bb.284:
	buffer_load_dword v129, off, s[0:3], 0 offset:400
	buffer_load_dword v130, off, s[0:3], 0 offset:404
	s_waitcnt vmcnt(0)
	ds_write_b64 v127, v[129:130]
	buffer_store_dword v128, off, s[0:3], 0 offset:400
	buffer_store_dword v128, off, s[0:3], 0 offset:404
.LBB62_285:
	s_or_b64 exec, exec, s[4:5]
	s_waitcnt lgkmcnt(0)
	; wave barrier
	buffer_load_dword v137, off, s[0:3], 0 offset:408
	buffer_load_dword v138, off, s[0:3], 0 offset:412
	;; [unrolled: 1-line block ×21, first 2 shown]
	ds_read2_b64 v[129:132], v128 offset0:115 offset1:116
	ds_read2_b64 v[133:136], v128 offset0:117 offset1:118
	buffer_load_dword v154, off, s[0:3], 0 offset:492
	v_cmp_lt_u32_e32 vcc, 49, v0
	s_waitcnt vmcnt(20) lgkmcnt(1)
	v_fma_f64 v[129:130], v[137:138], v[129:130], 0
	buffer_load_dword v138, off, s[0:3], 0 offset:500
	buffer_load_dword v137, off, s[0:3], 0 offset:496
	s_waitcnt vmcnt(20)
	v_fma_f64 v[129:130], v[139:140], v[131:132], v[129:130]
	buffer_load_dword v139, off, s[0:3], 0 offset:400
	buffer_load_dword v140, off, s[0:3], 0 offset:404
	s_waitcnt vmcnt(20) lgkmcnt(0)
	v_fma_f64 v[129:130], v[141:142], v[133:134], v[129:130]
	s_waitcnt vmcnt(18)
	v_fma_f64 v[141:142], v[143:144], v[135:136], v[129:130]
	ds_read2_b64 v[129:132], v128 offset0:119 offset1:120
	ds_read2_b64 v[133:136], v128 offset0:121 offset1:122
	s_waitcnt vmcnt(16) lgkmcnt(1)
	v_fma_f64 v[129:130], v[145:146], v[129:130], v[141:142]
	s_waitcnt vmcnt(14)
	v_fma_f64 v[129:130], v[147:148], v[131:132], v[129:130]
	s_waitcnt vmcnt(12) lgkmcnt(0)
	v_fma_f64 v[129:130], v[149:150], v[133:134], v[129:130]
	s_waitcnt vmcnt(7)
	v_fma_f64 v[141:142], v[151:152], v[135:136], v[129:130]
	ds_read2_b64 v[129:132], v128 offset0:123 offset1:124
	ds_read2_b64 v[133:136], v128 offset0:125 offset1:126
	s_waitcnt vmcnt(6) lgkmcnt(1)
	v_fma_f64 v[128:129], v[157:158], v[129:130], v[141:142]
	s_waitcnt vmcnt(5)
	v_fma_f64 v[128:129], v[155:156], v[131:132], v[128:129]
	s_waitcnt vmcnt(4) lgkmcnt(0)
	v_fma_f64 v[128:129], v[153:154], v[133:134], v[128:129]
	s_waitcnt vmcnt(2)
	v_fma_f64 v[128:129], v[137:138], v[135:136], v[128:129]
	s_waitcnt vmcnt(0)
	v_add_f64 v[128:129], v[139:140], -v[128:129]
	buffer_store_dword v129, off, s[0:3], 0 offset:404
	buffer_store_dword v128, off, s[0:3], 0 offset:400
	s_and_saveexec_b64 s[4:5], vcc
	s_cbranch_execz .LBB62_287
; %bb.286:
	buffer_load_dword v128, off, s[0:3], 0 offset:392
	buffer_load_dword v129, off, s[0:3], 0 offset:396
	v_mov_b32_e32 v130, 0
	buffer_store_dword v130, off, s[0:3], 0 offset:392
	buffer_store_dword v130, off, s[0:3], 0 offset:396
	s_waitcnt vmcnt(2)
	ds_write_b64 v127, v[128:129]
.LBB62_287:
	s_or_b64 exec, exec, s[4:5]
	s_waitcnt lgkmcnt(0)
	; wave barrier
	buffer_load_dword v137, off, s[0:3], 0 offset:400
	buffer_load_dword v138, off, s[0:3], 0 offset:404
	;; [unrolled: 1-line block ×21, first 2 shown]
	v_mov_b32_e32 v128, 0
	ds_read_b128 v[129:132], v128 offset:912
	ds_read_b128 v[133:136], v128 offset:928
	buffer_load_dword v154, off, s[0:3], 0 offset:484
	v_cmp_lt_u32_e32 vcc, 48, v0
	s_waitcnt vmcnt(20) lgkmcnt(1)
	v_fma_f64 v[129:130], v[137:138], v[129:130], 0
	s_waitcnt vmcnt(18)
	v_fma_f64 v[129:130], v[139:140], v[131:132], v[129:130]
	buffer_load_dword v138, off, s[0:3], 0 offset:492
	buffer_load_dword v139, off, s[0:3], 0 offset:496
	;; [unrolled: 1-line block ×4, first 2 shown]
	s_waitcnt vmcnt(20) lgkmcnt(0)
	v_fma_f64 v[129:130], v[141:142], v[133:134], v[129:130]
	buffer_load_dword v141, off, s[0:3], 0 offset:392
	buffer_load_dword v142, off, s[0:3], 0 offset:396
	s_waitcnt vmcnt(20)
	v_fma_f64 v[143:144], v[143:144], v[135:136], v[129:130]
	ds_read_b128 v[129:132], v128 offset:944
	ds_read_b128 v[133:136], v128 offset:960
	s_waitcnt vmcnt(18) lgkmcnt(1)
	v_fma_f64 v[129:130], v[145:146], v[129:130], v[143:144]
	s_waitcnt vmcnt(16)
	v_fma_f64 v[129:130], v[147:148], v[131:132], v[129:130]
	s_waitcnt vmcnt(14) lgkmcnt(0)
	v_fma_f64 v[129:130], v[149:150], v[133:134], v[129:130]
	s_waitcnt vmcnt(9)
	v_fma_f64 v[143:144], v[151:152], v[135:136], v[129:130]
	ds_read_b128 v[129:132], v128 offset:976
	ds_read_b128 v[133:136], v128 offset:992
	s_waitcnt vmcnt(8) lgkmcnt(1)
	v_fma_f64 v[129:130], v[157:158], v[129:130], v[143:144]
	s_waitcnt vmcnt(7)
	v_fma_f64 v[129:130], v[155:156], v[131:132], v[129:130]
	ds_read_b64 v[131:132], v128 offset:1008
	s_waitcnt vmcnt(6) lgkmcnt(1)
	v_fma_f64 v[129:130], v[153:154], v[133:134], v[129:130]
	s_waitcnt vmcnt(3)
	v_fma_f64 v[129:130], v[137:138], v[135:136], v[129:130]
	s_waitcnt vmcnt(2) lgkmcnt(0)
	v_fma_f64 v[129:130], v[139:140], v[131:132], v[129:130]
	s_waitcnt vmcnt(0)
	v_add_f64 v[129:130], v[141:142], -v[129:130]
	buffer_store_dword v130, off, s[0:3], 0 offset:396
	buffer_store_dword v129, off, s[0:3], 0 offset:392
	s_and_saveexec_b64 s[4:5], vcc
	s_cbranch_execz .LBB62_289
; %bb.288:
	buffer_load_dword v129, off, s[0:3], 0 offset:384
	buffer_load_dword v130, off, s[0:3], 0 offset:388
	s_waitcnt vmcnt(0)
	ds_write_b64 v127, v[129:130]
	buffer_store_dword v128, off, s[0:3], 0 offset:384
	buffer_store_dword v128, off, s[0:3], 0 offset:388
.LBB62_289:
	s_or_b64 exec, exec, s[4:5]
	s_waitcnt lgkmcnt(0)
	; wave barrier
	buffer_load_dword v137, off, s[0:3], 0 offset:392
	buffer_load_dword v138, off, s[0:3], 0 offset:396
	;; [unrolled: 1-line block ×22, first 2 shown]
	ds_read2_b64 v[129:132], v128 offset0:113 offset1:114
	ds_read2_b64 v[133:136], v128 offset0:115 offset1:116
	v_cmp_lt_u32_e32 vcc, 47, v0
	s_waitcnt vmcnt(20) lgkmcnt(1)
	v_fma_f64 v[129:130], v[137:138], v[129:130], 0
	s_waitcnt vmcnt(18)
	v_fma_f64 v[129:130], v[139:140], v[131:132], v[129:130]
	buffer_load_dword v138, off, s[0:3], 0 offset:484
	buffer_load_dword v139, off, s[0:3], 0 offset:496
	;; [unrolled: 1-line block ×6, first 2 shown]
	s_waitcnt vmcnt(22) lgkmcnt(0)
	v_fma_f64 v[129:130], v[141:142], v[133:134], v[129:130]
	s_waitcnt vmcnt(20)
	v_fma_f64 v[141:142], v[143:144], v[135:136], v[129:130]
	ds_read2_b64 v[129:132], v128 offset0:117 offset1:118
	buffer_load_dword v143, off, s[0:3], 0 offset:384
	buffer_load_dword v144, off, s[0:3], 0 offset:388
	ds_read2_b64 v[133:136], v128 offset0:119 offset1:120
	s_waitcnt vmcnt(20) lgkmcnt(1)
	v_fma_f64 v[129:130], v[145:146], v[129:130], v[141:142]
	s_waitcnt vmcnt(18)
	v_fma_f64 v[129:130], v[147:148], v[131:132], v[129:130]
	s_waitcnt vmcnt(16) lgkmcnt(0)
	v_fma_f64 v[129:130], v[149:150], v[133:134], v[129:130]
	s_waitcnt vmcnt(11)
	v_fma_f64 v[141:142], v[151:152], v[135:136], v[129:130]
	ds_read2_b64 v[129:132], v128 offset0:121 offset1:122
	ds_read2_b64 v[133:136], v128 offset0:123 offset1:124
	s_waitcnt vmcnt(10) lgkmcnt(1)
	v_fma_f64 v[129:130], v[157:158], v[129:130], v[141:142]
	s_waitcnt vmcnt(9)
	v_fma_f64 v[129:130], v[155:156], v[131:132], v[129:130]
	s_waitcnt vmcnt(8) lgkmcnt(0)
	v_fma_f64 v[129:130], v[153:154], v[133:134], v[129:130]
	s_waitcnt vmcnt(4)
	v_fma_f64 v[132:133], v[137:138], v[135:136], v[129:130]
	ds_read2_b64 v[128:131], v128 offset0:125 offset1:126
	s_waitcnt vmcnt(3) lgkmcnt(0)
	v_fma_f64 v[128:129], v[159:160], v[128:129], v[132:133]
	s_waitcnt vmcnt(2)
	v_fma_f64 v[128:129], v[139:140], v[130:131], v[128:129]
	s_waitcnt vmcnt(0)
	v_add_f64 v[128:129], v[143:144], -v[128:129]
	buffer_store_dword v129, off, s[0:3], 0 offset:388
	buffer_store_dword v128, off, s[0:3], 0 offset:384
	s_and_saveexec_b64 s[4:5], vcc
	s_cbranch_execz .LBB62_291
; %bb.290:
	buffer_load_dword v128, off, s[0:3], 0 offset:376
	buffer_load_dword v129, off, s[0:3], 0 offset:380
	v_mov_b32_e32 v130, 0
	buffer_store_dword v130, off, s[0:3], 0 offset:376
	buffer_store_dword v130, off, s[0:3], 0 offset:380
	s_waitcnt vmcnt(2)
	ds_write_b64 v127, v[128:129]
.LBB62_291:
	s_or_b64 exec, exec, s[4:5]
	s_waitcnt lgkmcnt(0)
	; wave barrier
	buffer_load_dword v137, off, s[0:3], 0 offset:384
	buffer_load_dword v138, off, s[0:3], 0 offset:388
	;; [unrolled: 1-line block ×22, first 2 shown]
	v_mov_b32_e32 v128, 0
	ds_read_b128 v[129:132], v128 offset:896
	ds_read_b128 v[133:136], v128 offset:912
	v_cmp_lt_u32_e32 vcc, 46, v0
	s_waitcnt vmcnt(20) lgkmcnt(1)
	v_fma_f64 v[129:130], v[137:138], v[129:130], 0
	s_waitcnt vmcnt(18)
	v_fma_f64 v[129:130], v[139:140], v[131:132], v[129:130]
	buffer_load_dword v138, off, s[0:3], 0 offset:476
	buffer_load_dword v139, off, s[0:3], 0 offset:496
	;; [unrolled: 1-line block ×8, first 2 shown]
	s_waitcnt vmcnt(24) lgkmcnt(0)
	v_fma_f64 v[129:130], v[141:142], v[133:134], v[129:130]
	s_waitcnt vmcnt(22)
	v_fma_f64 v[141:142], v[143:144], v[135:136], v[129:130]
	ds_read_b128 v[129:132], v128 offset:928
	ds_read_b128 v[133:136], v128 offset:944
	s_waitcnt vmcnt(20) lgkmcnt(1)
	v_fma_f64 v[129:130], v[145:146], v[129:130], v[141:142]
	buffer_load_dword v141, off, s[0:3], 0 offset:376
	buffer_load_dword v142, off, s[0:3], 0 offset:380
	s_waitcnt vmcnt(20)
	v_fma_f64 v[129:130], v[147:148], v[131:132], v[129:130]
	s_waitcnt vmcnt(18) lgkmcnt(0)
	v_fma_f64 v[129:130], v[149:150], v[133:134], v[129:130]
	s_waitcnt vmcnt(13)
	v_fma_f64 v[143:144], v[151:152], v[135:136], v[129:130]
	ds_read_b128 v[129:132], v128 offset:960
	ds_read_b128 v[133:136], v128 offset:976
	s_waitcnt vmcnt(12) lgkmcnt(1)
	v_fma_f64 v[129:130], v[157:158], v[129:130], v[143:144]
	s_waitcnt vmcnt(11)
	v_fma_f64 v[129:130], v[155:156], v[131:132], v[129:130]
	s_waitcnt vmcnt(10) lgkmcnt(0)
	v_fma_f64 v[129:130], v[153:154], v[133:134], v[129:130]
	s_waitcnt vmcnt(5)
	v_fma_f64 v[133:134], v[137:138], v[135:136], v[129:130]
	ds_read_b128 v[129:132], v128 offset:992
	ds_read_b64 v[135:136], v128 offset:1008
	s_waitcnt vmcnt(4) lgkmcnt(1)
	v_fma_f64 v[129:130], v[161:162], v[129:130], v[133:134]
	s_waitcnt vmcnt(3)
	v_fma_f64 v[129:130], v[159:160], v[131:132], v[129:130]
	s_waitcnt vmcnt(2) lgkmcnt(0)
	v_fma_f64 v[129:130], v[139:140], v[135:136], v[129:130]
	s_waitcnt vmcnt(0)
	v_add_f64 v[129:130], v[141:142], -v[129:130]
	buffer_store_dword v130, off, s[0:3], 0 offset:380
	buffer_store_dword v129, off, s[0:3], 0 offset:376
	s_and_saveexec_b64 s[4:5], vcc
	s_cbranch_execz .LBB62_293
; %bb.292:
	buffer_load_dword v129, off, s[0:3], 0 offset:368
	buffer_load_dword v130, off, s[0:3], 0 offset:372
	s_waitcnt vmcnt(0)
	ds_write_b64 v127, v[129:130]
	buffer_store_dword v128, off, s[0:3], 0 offset:368
	buffer_store_dword v128, off, s[0:3], 0 offset:372
.LBB62_293:
	s_or_b64 exec, exec, s[4:5]
	s_waitcnt lgkmcnt(0)
	; wave barrier
	buffer_load_dword v137, off, s[0:3], 0 offset:376
	buffer_load_dword v138, off, s[0:3], 0 offset:380
	buffer_load_dword v139, off, s[0:3], 0 offset:384
	buffer_load_dword v140, off, s[0:3], 0 offset:388
	buffer_load_dword v141, off, s[0:3], 0 offset:392
	buffer_load_dword v142, off, s[0:3], 0 offset:396
	buffer_load_dword v143, off, s[0:3], 0 offset:400
	buffer_load_dword v144, off, s[0:3], 0 offset:404
	buffer_load_dword v145, off, s[0:3], 0 offset:408
	buffer_load_dword v146, off, s[0:3], 0 offset:412
	buffer_load_dword v147, off, s[0:3], 0 offset:416
	buffer_load_dword v148, off, s[0:3], 0 offset:420
	buffer_load_dword v149, off, s[0:3], 0 offset:424
	buffer_load_dword v150, off, s[0:3], 0 offset:428
	buffer_load_dword v152, off, s[0:3], 0 offset:436
	buffer_load_dword v153, off, s[0:3], 0 offset:456
	buffer_load_dword v155, off, s[0:3], 0 offset:448
	buffer_load_dword v157, off, s[0:3], 0 offset:440
	buffer_load_dword v151, off, s[0:3], 0 offset:432
	buffer_load_dword v158, off, s[0:3], 0 offset:444
	buffer_load_dword v156, off, s[0:3], 0 offset:452
	buffer_load_dword v154, off, s[0:3], 0 offset:460
	ds_read2_b64 v[129:132], v128 offset0:111 offset1:112
	ds_read2_b64 v[133:136], v128 offset0:113 offset1:114
	v_cmp_lt_u32_e32 vcc, 45, v0
	s_waitcnt vmcnt(20) lgkmcnt(1)
	v_fma_f64 v[129:130], v[137:138], v[129:130], 0
	s_waitcnt vmcnt(18)
	v_fma_f64 v[129:130], v[139:140], v[131:132], v[129:130]
	buffer_load_dword v138, off, s[0:3], 0 offset:468
	buffer_load_dword v139, off, s[0:3], 0 offset:488
	;; [unrolled: 1-line block ×8, first 2 shown]
	s_waitcnt vmcnt(24) lgkmcnt(0)
	v_fma_f64 v[129:130], v[141:142], v[133:134], v[129:130]
	s_waitcnt vmcnt(22)
	v_fma_f64 v[141:142], v[143:144], v[135:136], v[129:130]
	ds_read2_b64 v[129:132], v128 offset0:115 offset1:116
	ds_read2_b64 v[133:136], v128 offset0:117 offset1:118
	s_waitcnt vmcnt(20) lgkmcnt(1)
	v_fma_f64 v[129:130], v[145:146], v[129:130], v[141:142]
	buffer_load_dword v142, off, s[0:3], 0 offset:500
	buffer_load_dword v141, off, s[0:3], 0 offset:496
	buffer_load_dword v143, off, s[0:3], 0 offset:368
	buffer_load_dword v144, off, s[0:3], 0 offset:372
	s_waitcnt vmcnt(22)
	v_fma_f64 v[129:130], v[147:148], v[131:132], v[129:130]
	s_waitcnt vmcnt(20) lgkmcnt(0)
	v_fma_f64 v[129:130], v[149:150], v[133:134], v[129:130]
	s_waitcnt vmcnt(15)
	v_fma_f64 v[145:146], v[151:152], v[135:136], v[129:130]
	ds_read2_b64 v[129:132], v128 offset0:119 offset1:120
	ds_read2_b64 v[133:136], v128 offset0:121 offset1:122
	s_waitcnt vmcnt(14) lgkmcnt(1)
	v_fma_f64 v[129:130], v[157:158], v[129:130], v[145:146]
	s_waitcnt vmcnt(13)
	v_fma_f64 v[129:130], v[155:156], v[131:132], v[129:130]
	s_waitcnt vmcnt(12) lgkmcnt(0)
	v_fma_f64 v[129:130], v[153:154], v[133:134], v[129:130]
	s_waitcnt vmcnt(7)
	v_fma_f64 v[137:138], v[137:138], v[135:136], v[129:130]
	ds_read2_b64 v[129:132], v128 offset0:123 offset1:124
	ds_read2_b64 v[133:136], v128 offset0:125 offset1:126
	s_waitcnt vmcnt(6) lgkmcnt(1)
	v_fma_f64 v[128:129], v[161:162], v[129:130], v[137:138]
	s_waitcnt vmcnt(5)
	v_fma_f64 v[128:129], v[159:160], v[131:132], v[128:129]
	s_waitcnt vmcnt(4) lgkmcnt(0)
	v_fma_f64 v[128:129], v[139:140], v[133:134], v[128:129]
	s_waitcnt vmcnt(2)
	v_fma_f64 v[128:129], v[141:142], v[135:136], v[128:129]
	s_waitcnt vmcnt(0)
	v_add_f64 v[128:129], v[143:144], -v[128:129]
	buffer_store_dword v129, off, s[0:3], 0 offset:372
	buffer_store_dword v128, off, s[0:3], 0 offset:368
	s_and_saveexec_b64 s[4:5], vcc
	s_cbranch_execz .LBB62_295
; %bb.294:
	buffer_load_dword v128, off, s[0:3], 0 offset:360
	buffer_load_dword v129, off, s[0:3], 0 offset:364
	v_mov_b32_e32 v130, 0
	buffer_store_dword v130, off, s[0:3], 0 offset:360
	buffer_store_dword v130, off, s[0:3], 0 offset:364
	s_waitcnt vmcnt(2)
	ds_write_b64 v127, v[128:129]
.LBB62_295:
	s_or_b64 exec, exec, s[4:5]
	s_waitcnt lgkmcnt(0)
	; wave barrier
	buffer_load_dword v137, off, s[0:3], 0 offset:368
	buffer_load_dword v138, off, s[0:3], 0 offset:372
	buffer_load_dword v139, off, s[0:3], 0 offset:376
	buffer_load_dword v140, off, s[0:3], 0 offset:380
	buffer_load_dword v141, off, s[0:3], 0 offset:384
	buffer_load_dword v142, off, s[0:3], 0 offset:388
	buffer_load_dword v143, off, s[0:3], 0 offset:392
	buffer_load_dword v144, off, s[0:3], 0 offset:396
	buffer_load_dword v145, off, s[0:3], 0 offset:400
	buffer_load_dword v146, off, s[0:3], 0 offset:404
	buffer_load_dword v147, off, s[0:3], 0 offset:408
	buffer_load_dword v148, off, s[0:3], 0 offset:412
	buffer_load_dword v149, off, s[0:3], 0 offset:416
	buffer_load_dword v150, off, s[0:3], 0 offset:420
	buffer_load_dword v152, off, s[0:3], 0 offset:428
	buffer_load_dword v153, off, s[0:3], 0 offset:448
	buffer_load_dword v155, off, s[0:3], 0 offset:440
	buffer_load_dword v157, off, s[0:3], 0 offset:432
	buffer_load_dword v151, off, s[0:3], 0 offset:424
	buffer_load_dword v158, off, s[0:3], 0 offset:436
	buffer_load_dword v156, off, s[0:3], 0 offset:444
	buffer_load_dword v154, off, s[0:3], 0 offset:452
	v_mov_b32_e32 v128, 0
	ds_read_b128 v[129:132], v128 offset:880
	ds_read_b128 v[133:136], v128 offset:896
	v_cmp_lt_u32_e32 vcc, 44, v0
	s_waitcnt vmcnt(20) lgkmcnt(1)
	v_fma_f64 v[129:130], v[137:138], v[129:130], 0
	s_waitcnt vmcnt(18)
	v_fma_f64 v[129:130], v[139:140], v[131:132], v[129:130]
	buffer_load_dword v138, off, s[0:3], 0 offset:460
	buffer_load_dword v139, off, s[0:3], 0 offset:480
	;; [unrolled: 1-line block ×7, first 2 shown]
	s_waitcnt vmcnt(23) lgkmcnt(0)
	v_fma_f64 v[129:130], v[141:142], v[133:134], v[129:130]
	s_waitcnt vmcnt(21)
	v_fma_f64 v[140:141], v[143:144], v[135:136], v[129:130]
	ds_read_b128 v[129:132], v128 offset:912
	ds_read_b128 v[133:136], v128 offset:928
	s_waitcnt vmcnt(19) lgkmcnt(1)
	v_fma_f64 v[129:130], v[145:146], v[129:130], v[140:141]
	buffer_load_dword v140, off, s[0:3], 0 offset:484
	buffer_load_dword v142, off, s[0:3], 0 offset:492
	;; [unrolled: 1-line block ×7, first 2 shown]
	s_waitcnt vmcnt(24)
	v_fma_f64 v[129:130], v[147:148], v[131:132], v[129:130]
	s_waitcnt vmcnt(22) lgkmcnt(0)
	v_fma_f64 v[129:130], v[149:150], v[133:134], v[129:130]
	s_waitcnt vmcnt(17)
	v_fma_f64 v[147:148], v[151:152], v[135:136], v[129:130]
	ds_read_b128 v[129:132], v128 offset:944
	ds_read_b128 v[133:136], v128 offset:960
	s_waitcnt vmcnt(16) lgkmcnt(1)
	v_fma_f64 v[129:130], v[157:158], v[129:130], v[147:148]
	s_waitcnt vmcnt(15)
	v_fma_f64 v[129:130], v[155:156], v[131:132], v[129:130]
	s_waitcnt vmcnt(14) lgkmcnt(0)
	v_fma_f64 v[129:130], v[153:154], v[133:134], v[129:130]
	s_waitcnt vmcnt(9)
	v_fma_f64 v[137:138], v[137:138], v[135:136], v[129:130]
	ds_read_b128 v[129:132], v128 offset:976
	ds_read_b128 v[133:136], v128 offset:992
	s_waitcnt vmcnt(8) lgkmcnt(1)
	v_fma_f64 v[129:130], v[161:162], v[129:130], v[137:138]
	s_waitcnt vmcnt(7)
	v_fma_f64 v[129:130], v[159:160], v[131:132], v[129:130]
	ds_read_b64 v[131:132], v128 offset:1008
	s_waitcnt vmcnt(6) lgkmcnt(1)
	v_fma_f64 v[129:130], v[139:140], v[133:134], v[129:130]
	s_waitcnt vmcnt(3)
	v_fma_f64 v[129:130], v[141:142], v[135:136], v[129:130]
	s_waitcnt vmcnt(2) lgkmcnt(0)
	v_fma_f64 v[129:130], v[143:144], v[131:132], v[129:130]
	s_waitcnt vmcnt(0)
	v_add_f64 v[129:130], v[145:146], -v[129:130]
	buffer_store_dword v130, off, s[0:3], 0 offset:364
	buffer_store_dword v129, off, s[0:3], 0 offset:360
	s_and_saveexec_b64 s[4:5], vcc
	s_cbranch_execz .LBB62_297
; %bb.296:
	buffer_load_dword v129, off, s[0:3], 0 offset:352
	buffer_load_dword v130, off, s[0:3], 0 offset:356
	s_waitcnt vmcnt(0)
	ds_write_b64 v127, v[129:130]
	buffer_store_dword v128, off, s[0:3], 0 offset:352
	buffer_store_dword v128, off, s[0:3], 0 offset:356
.LBB62_297:
	s_or_b64 exec, exec, s[4:5]
	s_waitcnt lgkmcnt(0)
	; wave barrier
	buffer_load_dword v137, off, s[0:3], 0 offset:360
	buffer_load_dword v138, off, s[0:3], 0 offset:364
	;; [unrolled: 1-line block ×22, first 2 shown]
	ds_read2_b64 v[129:132], v128 offset0:109 offset1:110
	ds_read2_b64 v[133:136], v128 offset0:111 offset1:112
	v_cmp_lt_u32_e32 vcc, 43, v0
	s_waitcnt vmcnt(20) lgkmcnt(1)
	v_fma_f64 v[129:130], v[137:138], v[129:130], 0
	s_waitcnt vmcnt(18)
	v_fma_f64 v[129:130], v[139:140], v[131:132], v[129:130]
	buffer_load_dword v138, off, s[0:3], 0 offset:452
	buffer_load_dword v139, off, s[0:3], 0 offset:472
	;; [unrolled: 1-line block ×7, first 2 shown]
	s_waitcnt vmcnt(23) lgkmcnt(0)
	v_fma_f64 v[129:130], v[141:142], v[133:134], v[129:130]
	s_waitcnt vmcnt(21)
	v_fma_f64 v[140:141], v[143:144], v[135:136], v[129:130]
	ds_read2_b64 v[129:132], v128 offset0:113 offset1:114
	ds_read2_b64 v[133:136], v128 offset0:115 offset1:116
	s_waitcnt vmcnt(19) lgkmcnt(1)
	v_fma_f64 v[129:130], v[145:146], v[129:130], v[140:141]
	buffer_load_dword v140, off, s[0:3], 0 offset:476
	buffer_load_dword v142, off, s[0:3], 0 offset:484
	;; [unrolled: 1-line block ×7, first 2 shown]
	s_waitcnt vmcnt(24)
	v_fma_f64 v[129:130], v[147:148], v[131:132], v[129:130]
	s_waitcnt vmcnt(22) lgkmcnt(0)
	v_fma_f64 v[129:130], v[149:150], v[133:134], v[129:130]
	s_waitcnt vmcnt(17)
	v_fma_f64 v[147:148], v[151:152], v[135:136], v[129:130]
	ds_read2_b64 v[129:132], v128 offset0:117 offset1:118
	buffer_load_dword v149, off, s[0:3], 0 offset:352
	buffer_load_dword v150, off, s[0:3], 0 offset:356
	ds_read2_b64 v[133:136], v128 offset0:119 offset1:120
	s_waitcnt vmcnt(18) lgkmcnt(1)
	v_fma_f64 v[129:130], v[157:158], v[129:130], v[147:148]
	s_waitcnt vmcnt(17)
	v_fma_f64 v[129:130], v[155:156], v[131:132], v[129:130]
	s_waitcnt vmcnt(16) lgkmcnt(0)
	v_fma_f64 v[129:130], v[153:154], v[133:134], v[129:130]
	s_waitcnt vmcnt(11)
	v_fma_f64 v[137:138], v[137:138], v[135:136], v[129:130]
	ds_read2_b64 v[129:132], v128 offset0:121 offset1:122
	ds_read2_b64 v[133:136], v128 offset0:123 offset1:124
	s_waitcnt vmcnt(10) lgkmcnt(1)
	v_fma_f64 v[129:130], v[161:162], v[129:130], v[137:138]
	s_waitcnt vmcnt(9)
	v_fma_f64 v[129:130], v[159:160], v[131:132], v[129:130]
	s_waitcnt vmcnt(8) lgkmcnt(0)
	v_fma_f64 v[129:130], v[139:140], v[133:134], v[129:130]
	s_waitcnt vmcnt(4)
	v_fma_f64 v[132:133], v[141:142], v[135:136], v[129:130]
	ds_read2_b64 v[128:131], v128 offset0:125 offset1:126
	s_waitcnt vmcnt(3) lgkmcnt(0)
	v_fma_f64 v[128:129], v[145:146], v[128:129], v[132:133]
	s_waitcnt vmcnt(2)
	v_fma_f64 v[128:129], v[143:144], v[130:131], v[128:129]
	s_waitcnt vmcnt(0)
	v_add_f64 v[128:129], v[149:150], -v[128:129]
	buffer_store_dword v129, off, s[0:3], 0 offset:356
	buffer_store_dword v128, off, s[0:3], 0 offset:352
	s_and_saveexec_b64 s[4:5], vcc
	s_cbranch_execz .LBB62_299
; %bb.298:
	buffer_load_dword v128, off, s[0:3], 0 offset:344
	buffer_load_dword v129, off, s[0:3], 0 offset:348
	v_mov_b32_e32 v130, 0
	buffer_store_dword v130, off, s[0:3], 0 offset:344
	buffer_store_dword v130, off, s[0:3], 0 offset:348
	s_waitcnt vmcnt(2)
	ds_write_b64 v127, v[128:129]
.LBB62_299:
	s_or_b64 exec, exec, s[4:5]
	s_waitcnt lgkmcnt(0)
	; wave barrier
	buffer_load_dword v137, off, s[0:3], 0 offset:352
	buffer_load_dword v138, off, s[0:3], 0 offset:356
	;; [unrolled: 1-line block ×22, first 2 shown]
	v_mov_b32_e32 v128, 0
	ds_read_b128 v[129:132], v128 offset:864
	ds_read_b128 v[133:136], v128 offset:880
	v_cmp_lt_u32_e32 vcc, 42, v0
	s_waitcnt vmcnt(20) lgkmcnt(1)
	v_fma_f64 v[129:130], v[137:138], v[129:130], 0
	s_waitcnt vmcnt(18)
	v_fma_f64 v[129:130], v[139:140], v[131:132], v[129:130]
	buffer_load_dword v138, off, s[0:3], 0 offset:444
	buffer_load_dword v139, off, s[0:3], 0 offset:464
	;; [unrolled: 1-line block ×7, first 2 shown]
	s_waitcnt vmcnt(23) lgkmcnt(0)
	v_fma_f64 v[129:130], v[141:142], v[133:134], v[129:130]
	s_waitcnt vmcnt(21)
	v_fma_f64 v[140:141], v[143:144], v[135:136], v[129:130]
	ds_read_b128 v[129:132], v128 offset:896
	ds_read_b128 v[133:136], v128 offset:912
	s_waitcnt vmcnt(19) lgkmcnt(1)
	v_fma_f64 v[129:130], v[145:146], v[129:130], v[140:141]
	buffer_load_dword v140, off, s[0:3], 0 offset:468
	s_waitcnt vmcnt(18)
	v_fma_f64 v[129:130], v[147:148], v[131:132], v[129:130]
	buffer_load_dword v142, off, s[0:3], 0 offset:476
	buffer_load_dword v143, off, s[0:3], 0 offset:496
	;; [unrolled: 1-line block ×8, first 2 shown]
	s_waitcnt vmcnt(24) lgkmcnt(0)
	v_fma_f64 v[129:130], v[149:150], v[133:134], v[129:130]
	s_waitcnt vmcnt(19)
	v_fma_f64 v[149:150], v[151:152], v[135:136], v[129:130]
	ds_read_b128 v[129:132], v128 offset:928
	ds_read_b128 v[133:136], v128 offset:944
	s_waitcnt vmcnt(18) lgkmcnt(1)
	v_fma_f64 v[129:130], v[157:158], v[129:130], v[149:150]
	buffer_load_dword v149, off, s[0:3], 0 offset:344
	buffer_load_dword v150, off, s[0:3], 0 offset:348
	s_waitcnt vmcnt(19)
	v_fma_f64 v[129:130], v[155:156], v[131:132], v[129:130]
	s_waitcnt vmcnt(18) lgkmcnt(0)
	v_fma_f64 v[129:130], v[153:154], v[133:134], v[129:130]
	s_waitcnt vmcnt(13)
	v_fma_f64 v[137:138], v[137:138], v[135:136], v[129:130]
	ds_read_b128 v[129:132], v128 offset:960
	ds_read_b128 v[133:136], v128 offset:976
	s_waitcnt vmcnt(12) lgkmcnt(1)
	v_fma_f64 v[129:130], v[161:162], v[129:130], v[137:138]
	s_waitcnt vmcnt(11)
	v_fma_f64 v[129:130], v[159:160], v[131:132], v[129:130]
	s_waitcnt vmcnt(10) lgkmcnt(0)
	v_fma_f64 v[129:130], v[139:140], v[133:134], v[129:130]
	s_waitcnt vmcnt(5)
	v_fma_f64 v[133:134], v[141:142], v[135:136], v[129:130]
	ds_read_b128 v[129:132], v128 offset:992
	ds_read_b64 v[135:136], v128 offset:1008
	s_waitcnt vmcnt(4) lgkmcnt(1)
	v_fma_f64 v[129:130], v[147:148], v[129:130], v[133:134]
	s_waitcnt vmcnt(3)
	v_fma_f64 v[129:130], v[145:146], v[131:132], v[129:130]
	s_waitcnt vmcnt(2) lgkmcnt(0)
	v_fma_f64 v[129:130], v[143:144], v[135:136], v[129:130]
	s_waitcnt vmcnt(0)
	v_add_f64 v[129:130], v[149:150], -v[129:130]
	buffer_store_dword v130, off, s[0:3], 0 offset:348
	buffer_store_dword v129, off, s[0:3], 0 offset:344
	s_and_saveexec_b64 s[4:5], vcc
	s_cbranch_execz .LBB62_301
; %bb.300:
	buffer_load_dword v129, off, s[0:3], 0 offset:336
	buffer_load_dword v130, off, s[0:3], 0 offset:340
	s_waitcnt vmcnt(0)
	ds_write_b64 v127, v[129:130]
	buffer_store_dword v128, off, s[0:3], 0 offset:336
	buffer_store_dword v128, off, s[0:3], 0 offset:340
.LBB62_301:
	s_or_b64 exec, exec, s[4:5]
	s_waitcnt lgkmcnt(0)
	; wave barrier
	buffer_load_dword v137, off, s[0:3], 0 offset:344
	buffer_load_dword v138, off, s[0:3], 0 offset:348
	;; [unrolled: 1-line block ×22, first 2 shown]
	ds_read2_b64 v[129:132], v128 offset0:107 offset1:108
	ds_read2_b64 v[133:136], v128 offset0:109 offset1:110
	v_cmp_lt_u32_e32 vcc, 41, v0
	s_waitcnt vmcnt(20) lgkmcnt(1)
	v_fma_f64 v[129:130], v[137:138], v[129:130], 0
	s_waitcnt vmcnt(18)
	v_fma_f64 v[129:130], v[139:140], v[131:132], v[129:130]
	buffer_load_dword v138, off, s[0:3], 0 offset:436
	buffer_load_dword v139, off, s[0:3], 0 offset:456
	;; [unrolled: 1-line block ×7, first 2 shown]
	s_waitcnt vmcnt(23) lgkmcnt(0)
	v_fma_f64 v[129:130], v[141:142], v[133:134], v[129:130]
	s_waitcnt vmcnt(21)
	v_fma_f64 v[140:141], v[143:144], v[135:136], v[129:130]
	ds_read2_b64 v[129:132], v128 offset0:111 offset1:112
	ds_read2_b64 v[133:136], v128 offset0:113 offset1:114
	s_waitcnt vmcnt(19) lgkmcnt(1)
	v_fma_f64 v[129:130], v[145:146], v[129:130], v[140:141]
	buffer_load_dword v140, off, s[0:3], 0 offset:460
	s_waitcnt vmcnt(18)
	v_fma_f64 v[129:130], v[147:148], v[131:132], v[129:130]
	buffer_load_dword v142, off, s[0:3], 0 offset:468
	buffer_load_dword v143, off, s[0:3], 0 offset:488
	;; [unrolled: 1-line block ×8, first 2 shown]
	s_waitcnt vmcnt(24) lgkmcnt(0)
	v_fma_f64 v[129:130], v[149:150], v[133:134], v[129:130]
	s_waitcnt vmcnt(19)
	v_fma_f64 v[149:150], v[151:152], v[135:136], v[129:130]
	ds_read2_b64 v[129:132], v128 offset0:115 offset1:116
	ds_read2_b64 v[133:136], v128 offset0:117 offset1:118
	s_waitcnt vmcnt(18) lgkmcnt(1)
	v_fma_f64 v[129:130], v[157:158], v[129:130], v[149:150]
	buffer_load_dword v150, off, s[0:3], 0 offset:500
	buffer_load_dword v149, off, s[0:3], 0 offset:496
	;; [unrolled: 1-line block ×4, first 2 shown]
	s_waitcnt vmcnt(21)
	v_fma_f64 v[129:130], v[155:156], v[131:132], v[129:130]
	s_waitcnt vmcnt(20) lgkmcnt(0)
	v_fma_f64 v[129:130], v[153:154], v[133:134], v[129:130]
	s_waitcnt vmcnt(15)
	v_fma_f64 v[137:138], v[137:138], v[135:136], v[129:130]
	ds_read2_b64 v[129:132], v128 offset0:119 offset1:120
	ds_read2_b64 v[133:136], v128 offset0:121 offset1:122
	s_waitcnt vmcnt(14) lgkmcnt(1)
	v_fma_f64 v[129:130], v[161:162], v[129:130], v[137:138]
	s_waitcnt vmcnt(13)
	v_fma_f64 v[129:130], v[159:160], v[131:132], v[129:130]
	s_waitcnt vmcnt(12) lgkmcnt(0)
	v_fma_f64 v[129:130], v[139:140], v[133:134], v[129:130]
	s_waitcnt vmcnt(7)
	v_fma_f64 v[137:138], v[141:142], v[135:136], v[129:130]
	ds_read2_b64 v[129:132], v128 offset0:123 offset1:124
	ds_read2_b64 v[133:136], v128 offset0:125 offset1:126
	s_waitcnt vmcnt(6) lgkmcnt(1)
	v_fma_f64 v[128:129], v[147:148], v[129:130], v[137:138]
	s_waitcnt vmcnt(5)
	v_fma_f64 v[128:129], v[145:146], v[131:132], v[128:129]
	s_waitcnt vmcnt(4) lgkmcnt(0)
	v_fma_f64 v[128:129], v[143:144], v[133:134], v[128:129]
	s_waitcnt vmcnt(2)
	v_fma_f64 v[128:129], v[149:150], v[135:136], v[128:129]
	s_waitcnt vmcnt(0)
	v_add_f64 v[128:129], v[151:152], -v[128:129]
	buffer_store_dword v129, off, s[0:3], 0 offset:340
	buffer_store_dword v128, off, s[0:3], 0 offset:336
	s_and_saveexec_b64 s[4:5], vcc
	s_cbranch_execz .LBB62_303
; %bb.302:
	buffer_load_dword v128, off, s[0:3], 0 offset:328
	buffer_load_dword v129, off, s[0:3], 0 offset:332
	v_mov_b32_e32 v130, 0
	buffer_store_dword v130, off, s[0:3], 0 offset:328
	buffer_store_dword v130, off, s[0:3], 0 offset:332
	s_waitcnt vmcnt(2)
	ds_write_b64 v127, v[128:129]
.LBB62_303:
	s_or_b64 exec, exec, s[4:5]
	s_waitcnt lgkmcnt(0)
	; wave barrier
	buffer_load_dword v137, off, s[0:3], 0 offset:336
	buffer_load_dword v138, off, s[0:3], 0 offset:340
	;; [unrolled: 1-line block ×21, first 2 shown]
	v_mov_b32_e32 v128, 0
	ds_read_b128 v[129:132], v128 offset:848
	ds_read_b128 v[133:136], v128 offset:864
	buffer_load_dword v154, off, s[0:3], 0 offset:420
	v_cmp_lt_u32_e32 vcc, 40, v0
	s_waitcnt vmcnt(20) lgkmcnt(1)
	v_fma_f64 v[129:130], v[137:138], v[129:130], 0
	s_waitcnt vmcnt(18)
	v_fma_f64 v[129:130], v[139:140], v[131:132], v[129:130]
	buffer_load_dword v138, off, s[0:3], 0 offset:428
	buffer_load_dword v139, off, s[0:3], 0 offset:448
	;; [unrolled: 1-line block ×7, first 2 shown]
	s_waitcnt vmcnt(23) lgkmcnt(0)
	v_fma_f64 v[129:130], v[141:142], v[133:134], v[129:130]
	s_waitcnt vmcnt(21)
	v_fma_f64 v[140:141], v[143:144], v[135:136], v[129:130]
	ds_read_b128 v[129:132], v128 offset:880
	ds_read_b128 v[133:136], v128 offset:896
	s_waitcnt vmcnt(19) lgkmcnt(1)
	v_fma_f64 v[129:130], v[145:146], v[129:130], v[140:141]
	buffer_load_dword v140, off, s[0:3], 0 offset:452
	s_waitcnt vmcnt(18)
	v_fma_f64 v[129:130], v[147:148], v[131:132], v[129:130]
	buffer_load_dword v142, off, s[0:3], 0 offset:460
	buffer_load_dword v143, off, s[0:3], 0 offset:480
	;; [unrolled: 1-line block ×7, first 2 shown]
	s_waitcnt vmcnt(23) lgkmcnt(0)
	v_fma_f64 v[129:130], v[149:150], v[133:134], v[129:130]
	s_waitcnt vmcnt(18)
	v_fma_f64 v[149:150], v[151:152], v[135:136], v[129:130]
	ds_read_b128 v[129:132], v128 offset:912
	ds_read_b128 v[133:136], v128 offset:928
	buffer_load_dword v144, off, s[0:3], 0 offset:484
	s_waitcnt vmcnt(18) lgkmcnt(1)
	v_fma_f64 v[129:130], v[157:158], v[129:130], v[149:150]
	buffer_load_dword v150, off, s[0:3], 0 offset:492
	buffer_load_dword v151, off, s[0:3], 0 offset:496
	buffer_load_dword v149, off, s[0:3], 0 offset:488
	buffer_load_dword v152, off, s[0:3], 0 offset:500
	s_waitcnt vmcnt(21)
	v_fma_f64 v[129:130], v[155:156], v[131:132], v[129:130]
	s_waitcnt vmcnt(20) lgkmcnt(0)
	v_fma_f64 v[129:130], v[153:154], v[133:134], v[129:130]
	buffer_load_dword v153, off, s[0:3], 0 offset:328
	buffer_load_dword v154, off, s[0:3], 0 offset:332
	s_waitcnt vmcnt(17)
	v_fma_f64 v[137:138], v[137:138], v[135:136], v[129:130]
	ds_read_b128 v[129:132], v128 offset:944
	ds_read_b128 v[133:136], v128 offset:960
	s_waitcnt vmcnt(16) lgkmcnt(1)
	v_fma_f64 v[129:130], v[161:162], v[129:130], v[137:138]
	s_waitcnt vmcnt(15)
	v_fma_f64 v[129:130], v[159:160], v[131:132], v[129:130]
	s_waitcnt vmcnt(14) lgkmcnt(0)
	v_fma_f64 v[129:130], v[139:140], v[133:134], v[129:130]
	s_waitcnt vmcnt(9)
	v_fma_f64 v[137:138], v[141:142], v[135:136], v[129:130]
	ds_read_b128 v[129:132], v128 offset:976
	ds_read_b128 v[133:136], v128 offset:992
	s_waitcnt vmcnt(8) lgkmcnt(1)
	v_fma_f64 v[129:130], v[147:148], v[129:130], v[137:138]
	s_waitcnt vmcnt(7)
	v_fma_f64 v[129:130], v[145:146], v[131:132], v[129:130]
	ds_read_b64 v[131:132], v128 offset:1008
	s_waitcnt vmcnt(6) lgkmcnt(1)
	v_fma_f64 v[129:130], v[143:144], v[133:134], v[129:130]
	s_waitcnt vmcnt(3)
	v_fma_f64 v[129:130], v[149:150], v[135:136], v[129:130]
	s_waitcnt vmcnt(2) lgkmcnt(0)
	v_fma_f64 v[129:130], v[151:152], v[131:132], v[129:130]
	s_waitcnt vmcnt(0)
	v_add_f64 v[129:130], v[153:154], -v[129:130]
	buffer_store_dword v130, off, s[0:3], 0 offset:332
	buffer_store_dword v129, off, s[0:3], 0 offset:328
	s_and_saveexec_b64 s[4:5], vcc
	s_cbranch_execz .LBB62_305
; %bb.304:
	buffer_load_dword v129, off, s[0:3], 0 offset:320
	buffer_load_dword v130, off, s[0:3], 0 offset:324
	s_waitcnt vmcnt(0)
	ds_write_b64 v127, v[129:130]
	buffer_store_dword v128, off, s[0:3], 0 offset:320
	buffer_store_dword v128, off, s[0:3], 0 offset:324
.LBB62_305:
	s_or_b64 exec, exec, s[4:5]
	s_waitcnt lgkmcnt(0)
	; wave barrier
	buffer_load_dword v137, off, s[0:3], 0 offset:328
	buffer_load_dword v138, off, s[0:3], 0 offset:332
	buffer_load_dword v139, off, s[0:3], 0 offset:336
	buffer_load_dword v140, off, s[0:3], 0 offset:340
	buffer_load_dword v141, off, s[0:3], 0 offset:344
	buffer_load_dword v142, off, s[0:3], 0 offset:348
	buffer_load_dword v143, off, s[0:3], 0 offset:352
	buffer_load_dword v144, off, s[0:3], 0 offset:356
	buffer_load_dword v145, off, s[0:3], 0 offset:360
	buffer_load_dword v146, off, s[0:3], 0 offset:364
	buffer_load_dword v147, off, s[0:3], 0 offset:368
	buffer_load_dword v148, off, s[0:3], 0 offset:372
	buffer_load_dword v149, off, s[0:3], 0 offset:376
	buffer_load_dword v150, off, s[0:3], 0 offset:380
	buffer_load_dword v152, off, s[0:3], 0 offset:388
	buffer_load_dword v153, off, s[0:3], 0 offset:408
	buffer_load_dword v155, off, s[0:3], 0 offset:400
	buffer_load_dword v157, off, s[0:3], 0 offset:392
	buffer_load_dword v151, off, s[0:3], 0 offset:384
	buffer_load_dword v158, off, s[0:3], 0 offset:396
	buffer_load_dword v156, off, s[0:3], 0 offset:404
	ds_read2_b64 v[129:132], v128 offset0:105 offset1:106
	ds_read2_b64 v[133:136], v128 offset0:107 offset1:108
	buffer_load_dword v154, off, s[0:3], 0 offset:412
	v_cmp_lt_u32_e32 vcc, 39, v0
	s_waitcnt vmcnt(20) lgkmcnt(1)
	v_fma_f64 v[129:130], v[137:138], v[129:130], 0
	s_waitcnt vmcnt(18)
	v_fma_f64 v[129:130], v[139:140], v[131:132], v[129:130]
	buffer_load_dword v138, off, s[0:3], 0 offset:420
	buffer_load_dword v139, off, s[0:3], 0 offset:440
	;; [unrolled: 1-line block ×7, first 2 shown]
	s_waitcnt vmcnt(23) lgkmcnt(0)
	v_fma_f64 v[129:130], v[141:142], v[133:134], v[129:130]
	s_waitcnt vmcnt(21)
	v_fma_f64 v[140:141], v[143:144], v[135:136], v[129:130]
	ds_read2_b64 v[129:132], v128 offset0:109 offset1:110
	ds_read2_b64 v[133:136], v128 offset0:111 offset1:112
	s_waitcnt vmcnt(19) lgkmcnt(1)
	v_fma_f64 v[129:130], v[145:146], v[129:130], v[140:141]
	buffer_load_dword v140, off, s[0:3], 0 offset:444
	s_waitcnt vmcnt(18)
	v_fma_f64 v[129:130], v[147:148], v[131:132], v[129:130]
	buffer_load_dword v142, off, s[0:3], 0 offset:452
	buffer_load_dword v143, off, s[0:3], 0 offset:472
	;; [unrolled: 1-line block ×8, first 2 shown]
	s_waitcnt vmcnt(24) lgkmcnt(0)
	v_fma_f64 v[129:130], v[149:150], v[133:134], v[129:130]
	s_waitcnt vmcnt(19)
	v_fma_f64 v[149:150], v[151:152], v[135:136], v[129:130]
	ds_read2_b64 v[129:132], v128 offset0:113 offset1:114
	ds_read2_b64 v[133:136], v128 offset0:115 offset1:116
	s_waitcnt vmcnt(18) lgkmcnt(1)
	v_fma_f64 v[129:130], v[157:158], v[129:130], v[149:150]
	s_waitcnt vmcnt(17)
	v_fma_f64 v[129:130], v[155:156], v[131:132], v[129:130]
	buffer_load_dword v150, off, s[0:3], 0 offset:484
	buffer_load_dword v151, off, s[0:3], 0 offset:496
	;; [unrolled: 1-line block ×6, first 2 shown]
	s_waitcnt vmcnt(22) lgkmcnt(0)
	v_fma_f64 v[129:130], v[153:154], v[133:134], v[129:130]
	s_waitcnt vmcnt(17)
	v_fma_f64 v[137:138], v[137:138], v[135:136], v[129:130]
	ds_read2_b64 v[129:132], v128 offset0:117 offset1:118
	buffer_load_dword v153, off, s[0:3], 0 offset:320
	buffer_load_dword v154, off, s[0:3], 0 offset:324
	ds_read2_b64 v[133:136], v128 offset0:119 offset1:120
	s_waitcnt vmcnt(18) lgkmcnt(1)
	v_fma_f64 v[129:130], v[161:162], v[129:130], v[137:138]
	s_waitcnt vmcnt(17)
	v_fma_f64 v[129:130], v[159:160], v[131:132], v[129:130]
	s_waitcnt vmcnt(16) lgkmcnt(0)
	v_fma_f64 v[129:130], v[139:140], v[133:134], v[129:130]
	s_waitcnt vmcnt(11)
	v_fma_f64 v[137:138], v[141:142], v[135:136], v[129:130]
	ds_read2_b64 v[129:132], v128 offset0:121 offset1:122
	ds_read2_b64 v[133:136], v128 offset0:123 offset1:124
	s_waitcnt vmcnt(10) lgkmcnt(1)
	v_fma_f64 v[129:130], v[147:148], v[129:130], v[137:138]
	s_waitcnt vmcnt(9)
	v_fma_f64 v[129:130], v[145:146], v[131:132], v[129:130]
	s_waitcnt vmcnt(8) lgkmcnt(0)
	v_fma_f64 v[129:130], v[143:144], v[133:134], v[129:130]
	s_waitcnt vmcnt(4)
	v_fma_f64 v[132:133], v[149:150], v[135:136], v[129:130]
	ds_read2_b64 v[128:131], v128 offset0:125 offset1:126
	s_waitcnt vmcnt(3) lgkmcnt(0)
	v_fma_f64 v[128:129], v[155:156], v[128:129], v[132:133]
	s_waitcnt vmcnt(2)
	v_fma_f64 v[128:129], v[151:152], v[130:131], v[128:129]
	s_waitcnt vmcnt(0)
	v_add_f64 v[128:129], v[153:154], -v[128:129]
	buffer_store_dword v129, off, s[0:3], 0 offset:324
	buffer_store_dword v128, off, s[0:3], 0 offset:320
	s_and_saveexec_b64 s[4:5], vcc
	s_cbranch_execz .LBB62_307
; %bb.306:
	buffer_load_dword v128, off, s[0:3], 0 offset:312
	buffer_load_dword v129, off, s[0:3], 0 offset:316
	v_mov_b32_e32 v130, 0
	buffer_store_dword v130, off, s[0:3], 0 offset:312
	buffer_store_dword v130, off, s[0:3], 0 offset:316
	s_waitcnt vmcnt(2)
	ds_write_b64 v127, v[128:129]
.LBB62_307:
	s_or_b64 exec, exec, s[4:5]
	s_waitcnt lgkmcnt(0)
	; wave barrier
	buffer_load_dword v137, off, s[0:3], 0 offset:320
	buffer_load_dword v138, off, s[0:3], 0 offset:324
	;; [unrolled: 1-line block ×21, first 2 shown]
	v_mov_b32_e32 v128, 0
	ds_read_b128 v[129:132], v128 offset:832
	ds_read_b128 v[133:136], v128 offset:848
	buffer_load_dword v154, off, s[0:3], 0 offset:404
	v_cmp_lt_u32_e32 vcc, 38, v0
	s_waitcnt vmcnt(20) lgkmcnt(1)
	v_fma_f64 v[129:130], v[137:138], v[129:130], 0
	s_waitcnt vmcnt(18)
	v_fma_f64 v[129:130], v[139:140], v[131:132], v[129:130]
	buffer_load_dword v138, off, s[0:3], 0 offset:412
	buffer_load_dword v139, off, s[0:3], 0 offset:432
	;; [unrolled: 1-line block ×7, first 2 shown]
	s_waitcnt vmcnt(23) lgkmcnt(0)
	v_fma_f64 v[129:130], v[141:142], v[133:134], v[129:130]
	s_waitcnt vmcnt(21)
	v_fma_f64 v[140:141], v[143:144], v[135:136], v[129:130]
	ds_read_b128 v[129:132], v128 offset:864
	ds_read_b128 v[133:136], v128 offset:880
	s_waitcnt vmcnt(19) lgkmcnt(1)
	v_fma_f64 v[129:130], v[145:146], v[129:130], v[140:141]
	buffer_load_dword v140, off, s[0:3], 0 offset:436
	s_waitcnt vmcnt(18)
	v_fma_f64 v[129:130], v[147:148], v[131:132], v[129:130]
	buffer_load_dword v142, off, s[0:3], 0 offset:444
	buffer_load_dword v143, off, s[0:3], 0 offset:464
	;; [unrolled: 1-line block ×8, first 2 shown]
	s_waitcnt vmcnt(24) lgkmcnt(0)
	v_fma_f64 v[129:130], v[149:150], v[133:134], v[129:130]
	s_waitcnt vmcnt(19)
	v_fma_f64 v[149:150], v[151:152], v[135:136], v[129:130]
	ds_read_b128 v[129:132], v128 offset:896
	ds_read_b128 v[133:136], v128 offset:912
	s_waitcnt vmcnt(18) lgkmcnt(1)
	v_fma_f64 v[129:130], v[157:158], v[129:130], v[149:150]
	s_waitcnt vmcnt(17)
	v_fma_f64 v[129:130], v[155:156], v[131:132], v[129:130]
	buffer_load_dword v150, off, s[0:3], 0 offset:476
	buffer_load_dword v151, off, s[0:3], 0 offset:496
	;; [unrolled: 1-line block ×8, first 2 shown]
	s_waitcnt vmcnt(24) lgkmcnt(0)
	v_fma_f64 v[129:130], v[153:154], v[133:134], v[129:130]
	s_waitcnt vmcnt(19)
	v_fma_f64 v[137:138], v[137:138], v[135:136], v[129:130]
	ds_read_b128 v[129:132], v128 offset:928
	ds_read_b128 v[133:136], v128 offset:944
	s_waitcnt vmcnt(18) lgkmcnt(1)
	v_fma_f64 v[129:130], v[161:162], v[129:130], v[137:138]
	buffer_load_dword v137, off, s[0:3], 0 offset:312
	buffer_load_dword v138, off, s[0:3], 0 offset:316
	s_waitcnt vmcnt(19)
	v_fma_f64 v[129:130], v[159:160], v[131:132], v[129:130]
	s_waitcnt vmcnt(18) lgkmcnt(0)
	v_fma_f64 v[129:130], v[139:140], v[133:134], v[129:130]
	s_waitcnt vmcnt(13)
	v_fma_f64 v[139:140], v[141:142], v[135:136], v[129:130]
	ds_read_b128 v[129:132], v128 offset:960
	ds_read_b128 v[133:136], v128 offset:976
	s_waitcnt vmcnt(12) lgkmcnt(1)
	v_fma_f64 v[129:130], v[147:148], v[129:130], v[139:140]
	s_waitcnt vmcnt(11)
	v_fma_f64 v[129:130], v[145:146], v[131:132], v[129:130]
	s_waitcnt vmcnt(10) lgkmcnt(0)
	v_fma_f64 v[129:130], v[143:144], v[133:134], v[129:130]
	s_waitcnt vmcnt(5)
	v_fma_f64 v[133:134], v[149:150], v[135:136], v[129:130]
	ds_read_b128 v[129:132], v128 offset:992
	ds_read_b64 v[135:136], v128 offset:1008
	s_waitcnt vmcnt(4) lgkmcnt(1)
	v_fma_f64 v[129:130], v[157:158], v[129:130], v[133:134]
	s_waitcnt vmcnt(3)
	v_fma_f64 v[129:130], v[155:156], v[131:132], v[129:130]
	s_waitcnt vmcnt(2) lgkmcnt(0)
	v_fma_f64 v[129:130], v[151:152], v[135:136], v[129:130]
	s_waitcnt vmcnt(0)
	v_add_f64 v[129:130], v[137:138], -v[129:130]
	buffer_store_dword v130, off, s[0:3], 0 offset:316
	buffer_store_dword v129, off, s[0:3], 0 offset:312
	s_and_saveexec_b64 s[4:5], vcc
	s_cbranch_execz .LBB62_309
; %bb.308:
	buffer_load_dword v129, off, s[0:3], 0 offset:304
	buffer_load_dword v130, off, s[0:3], 0 offset:308
	s_waitcnt vmcnt(0)
	ds_write_b64 v127, v[129:130]
	buffer_store_dword v128, off, s[0:3], 0 offset:304
	buffer_store_dword v128, off, s[0:3], 0 offset:308
.LBB62_309:
	s_or_b64 exec, exec, s[4:5]
	s_waitcnt lgkmcnt(0)
	; wave barrier
	buffer_load_dword v137, off, s[0:3], 0 offset:312
	buffer_load_dword v138, off, s[0:3], 0 offset:316
	;; [unrolled: 1-line block ×21, first 2 shown]
	ds_read2_b64 v[129:132], v128 offset0:103 offset1:104
	ds_read2_b64 v[133:136], v128 offset0:105 offset1:106
	buffer_load_dword v154, off, s[0:3], 0 offset:396
	v_cmp_lt_u32_e32 vcc, 37, v0
	s_waitcnt vmcnt(20) lgkmcnt(1)
	v_fma_f64 v[129:130], v[137:138], v[129:130], 0
	s_waitcnt vmcnt(18)
	v_fma_f64 v[129:130], v[139:140], v[131:132], v[129:130]
	buffer_load_dword v138, off, s[0:3], 0 offset:404
	buffer_load_dword v139, off, s[0:3], 0 offset:424
	;; [unrolled: 1-line block ×7, first 2 shown]
	s_waitcnt vmcnt(23) lgkmcnt(0)
	v_fma_f64 v[129:130], v[141:142], v[133:134], v[129:130]
	s_waitcnt vmcnt(21)
	v_fma_f64 v[140:141], v[143:144], v[135:136], v[129:130]
	ds_read2_b64 v[129:132], v128 offset0:107 offset1:108
	ds_read2_b64 v[133:136], v128 offset0:109 offset1:110
	s_waitcnt vmcnt(19) lgkmcnt(1)
	v_fma_f64 v[129:130], v[145:146], v[129:130], v[140:141]
	buffer_load_dword v140, off, s[0:3], 0 offset:428
	s_waitcnt vmcnt(18)
	v_fma_f64 v[129:130], v[147:148], v[131:132], v[129:130]
	buffer_load_dword v142, off, s[0:3], 0 offset:436
	buffer_load_dword v143, off, s[0:3], 0 offset:456
	;; [unrolled: 1-line block ×8, first 2 shown]
	s_waitcnt vmcnt(24) lgkmcnt(0)
	v_fma_f64 v[129:130], v[149:150], v[133:134], v[129:130]
	s_waitcnt vmcnt(19)
	v_fma_f64 v[149:150], v[151:152], v[135:136], v[129:130]
	ds_read2_b64 v[129:132], v128 offset0:111 offset1:112
	ds_read2_b64 v[133:136], v128 offset0:113 offset1:114
	s_waitcnt vmcnt(18) lgkmcnt(1)
	v_fma_f64 v[129:130], v[157:158], v[129:130], v[149:150]
	s_waitcnt vmcnt(17)
	v_fma_f64 v[129:130], v[155:156], v[131:132], v[129:130]
	buffer_load_dword v150, off, s[0:3], 0 offset:468
	buffer_load_dword v151, off, s[0:3], 0 offset:488
	;; [unrolled: 1-line block ×8, first 2 shown]
	s_waitcnt vmcnt(24) lgkmcnt(0)
	v_fma_f64 v[129:130], v[153:154], v[133:134], v[129:130]
	s_waitcnt vmcnt(19)
	v_fma_f64 v[137:138], v[137:138], v[135:136], v[129:130]
	ds_read2_b64 v[129:132], v128 offset0:115 offset1:116
	ds_read2_b64 v[133:136], v128 offset0:117 offset1:118
	s_waitcnt vmcnt(18) lgkmcnt(1)
	v_fma_f64 v[129:130], v[161:162], v[129:130], v[137:138]
	buffer_load_dword v138, off, s[0:3], 0 offset:500
	buffer_load_dword v137, off, s[0:3], 0 offset:496
	;; [unrolled: 1-line block ×4, first 2 shown]
	s_waitcnt vmcnt(21)
	v_fma_f64 v[129:130], v[159:160], v[131:132], v[129:130]
	s_waitcnt vmcnt(20) lgkmcnt(0)
	v_fma_f64 v[129:130], v[139:140], v[133:134], v[129:130]
	s_waitcnt vmcnt(15)
	v_fma_f64 v[139:140], v[141:142], v[135:136], v[129:130]
	ds_read2_b64 v[129:132], v128 offset0:119 offset1:120
	ds_read2_b64 v[133:136], v128 offset0:121 offset1:122
	s_waitcnt vmcnt(14) lgkmcnt(1)
	v_fma_f64 v[129:130], v[147:148], v[129:130], v[139:140]
	s_waitcnt vmcnt(13)
	v_fma_f64 v[129:130], v[145:146], v[131:132], v[129:130]
	s_waitcnt vmcnt(12) lgkmcnt(0)
	v_fma_f64 v[129:130], v[143:144], v[133:134], v[129:130]
	s_waitcnt vmcnt(7)
	v_fma_f64 v[139:140], v[149:150], v[135:136], v[129:130]
	ds_read2_b64 v[129:132], v128 offset0:123 offset1:124
	ds_read2_b64 v[133:136], v128 offset0:125 offset1:126
	s_waitcnt vmcnt(6) lgkmcnt(1)
	v_fma_f64 v[128:129], v[157:158], v[129:130], v[139:140]
	s_waitcnt vmcnt(5)
	v_fma_f64 v[128:129], v[155:156], v[131:132], v[128:129]
	s_waitcnt vmcnt(4) lgkmcnt(0)
	v_fma_f64 v[128:129], v[151:152], v[133:134], v[128:129]
	s_waitcnt vmcnt(2)
	v_fma_f64 v[128:129], v[137:138], v[135:136], v[128:129]
	s_waitcnt vmcnt(0)
	v_add_f64 v[128:129], v[153:154], -v[128:129]
	buffer_store_dword v129, off, s[0:3], 0 offset:308
	buffer_store_dword v128, off, s[0:3], 0 offset:304
	s_and_saveexec_b64 s[4:5], vcc
	s_cbranch_execz .LBB62_311
; %bb.310:
	buffer_load_dword v128, off, s[0:3], 0 offset:296
	buffer_load_dword v129, off, s[0:3], 0 offset:300
	v_mov_b32_e32 v130, 0
	buffer_store_dword v130, off, s[0:3], 0 offset:296
	buffer_store_dword v130, off, s[0:3], 0 offset:300
	s_waitcnt vmcnt(2)
	ds_write_b64 v127, v[128:129]
.LBB62_311:
	s_or_b64 exec, exec, s[4:5]
	s_waitcnt lgkmcnt(0)
	; wave barrier
	buffer_load_dword v137, off, s[0:3], 0 offset:304
	buffer_load_dword v138, off, s[0:3], 0 offset:308
	;; [unrolled: 1-line block ×21, first 2 shown]
	v_mov_b32_e32 v128, 0
	ds_read_b128 v[129:132], v128 offset:816
	ds_read_b128 v[133:136], v128 offset:832
	buffer_load_dword v154, off, s[0:3], 0 offset:388
	v_cmp_lt_u32_e32 vcc, 36, v0
	s_waitcnt vmcnt(20) lgkmcnt(1)
	v_fma_f64 v[129:130], v[137:138], v[129:130], 0
	s_waitcnt vmcnt(18)
	v_fma_f64 v[129:130], v[139:140], v[131:132], v[129:130]
	buffer_load_dword v138, off, s[0:3], 0 offset:396
	buffer_load_dword v139, off, s[0:3], 0 offset:416
	;; [unrolled: 1-line block ×7, first 2 shown]
	s_waitcnt vmcnt(23) lgkmcnt(0)
	v_fma_f64 v[129:130], v[141:142], v[133:134], v[129:130]
	s_waitcnt vmcnt(21)
	v_fma_f64 v[140:141], v[143:144], v[135:136], v[129:130]
	ds_read_b128 v[129:132], v128 offset:848
	ds_read_b128 v[133:136], v128 offset:864
	s_waitcnt vmcnt(19) lgkmcnt(1)
	v_fma_f64 v[129:130], v[145:146], v[129:130], v[140:141]
	buffer_load_dword v140, off, s[0:3], 0 offset:420
	s_waitcnt vmcnt(18)
	v_fma_f64 v[129:130], v[147:148], v[131:132], v[129:130]
	buffer_load_dword v142, off, s[0:3], 0 offset:428
	buffer_load_dword v143, off, s[0:3], 0 offset:448
	;; [unrolled: 1-line block ×8, first 2 shown]
	s_waitcnt vmcnt(24) lgkmcnt(0)
	v_fma_f64 v[129:130], v[149:150], v[133:134], v[129:130]
	s_waitcnt vmcnt(19)
	v_fma_f64 v[149:150], v[151:152], v[135:136], v[129:130]
	ds_read_b128 v[129:132], v128 offset:880
	ds_read_b128 v[133:136], v128 offset:896
	s_waitcnt vmcnt(18) lgkmcnt(1)
	v_fma_f64 v[129:130], v[157:158], v[129:130], v[149:150]
	s_waitcnt vmcnt(17)
	v_fma_f64 v[129:130], v[155:156], v[131:132], v[129:130]
	buffer_load_dword v150, off, s[0:3], 0 offset:460
	buffer_load_dword v151, off, s[0:3], 0 offset:480
	;; [unrolled: 1-line block ×7, first 2 shown]
	s_waitcnt vmcnt(23) lgkmcnt(0)
	v_fma_f64 v[129:130], v[153:154], v[133:134], v[129:130]
	s_waitcnt vmcnt(18)
	v_fma_f64 v[137:138], v[137:138], v[135:136], v[129:130]
	ds_read_b128 v[129:132], v128 offset:912
	ds_read_b128 v[133:136], v128 offset:928
	buffer_load_dword v152, off, s[0:3], 0 offset:484
	s_waitcnt vmcnt(18) lgkmcnt(1)
	v_fma_f64 v[129:130], v[161:162], v[129:130], v[137:138]
	buffer_load_dword v138, off, s[0:3], 0 offset:492
	buffer_load_dword v153, off, s[0:3], 0 offset:496
	;; [unrolled: 1-line block ×4, first 2 shown]
	s_waitcnt vmcnt(21)
	v_fma_f64 v[129:130], v[159:160], v[131:132], v[129:130]
	s_waitcnt vmcnt(20) lgkmcnt(0)
	v_fma_f64 v[129:130], v[139:140], v[133:134], v[129:130]
	buffer_load_dword v139, off, s[0:3], 0 offset:296
	buffer_load_dword v140, off, s[0:3], 0 offset:300
	s_waitcnt vmcnt(17)
	v_fma_f64 v[141:142], v[141:142], v[135:136], v[129:130]
	ds_read_b128 v[129:132], v128 offset:944
	ds_read_b128 v[133:136], v128 offset:960
	s_waitcnt vmcnt(16) lgkmcnt(1)
	v_fma_f64 v[129:130], v[147:148], v[129:130], v[141:142]
	s_waitcnt vmcnt(15)
	v_fma_f64 v[129:130], v[145:146], v[131:132], v[129:130]
	s_waitcnt vmcnt(14) lgkmcnt(0)
	v_fma_f64 v[129:130], v[143:144], v[133:134], v[129:130]
	s_waitcnt vmcnt(9)
	v_fma_f64 v[141:142], v[149:150], v[135:136], v[129:130]
	ds_read_b128 v[129:132], v128 offset:976
	ds_read_b128 v[133:136], v128 offset:992
	s_waitcnt vmcnt(8) lgkmcnt(1)
	v_fma_f64 v[129:130], v[157:158], v[129:130], v[141:142]
	s_waitcnt vmcnt(7)
	v_fma_f64 v[129:130], v[155:156], v[131:132], v[129:130]
	ds_read_b64 v[131:132], v128 offset:1008
	s_waitcnt vmcnt(6) lgkmcnt(1)
	v_fma_f64 v[129:130], v[151:152], v[133:134], v[129:130]
	s_waitcnt vmcnt(3)
	v_fma_f64 v[129:130], v[137:138], v[135:136], v[129:130]
	s_waitcnt vmcnt(2) lgkmcnt(0)
	v_fma_f64 v[129:130], v[153:154], v[131:132], v[129:130]
	s_waitcnt vmcnt(0)
	v_add_f64 v[129:130], v[139:140], -v[129:130]
	buffer_store_dword v130, off, s[0:3], 0 offset:300
	buffer_store_dword v129, off, s[0:3], 0 offset:296
	s_and_saveexec_b64 s[4:5], vcc
	s_cbranch_execz .LBB62_313
; %bb.312:
	buffer_load_dword v129, off, s[0:3], 0 offset:288
	buffer_load_dword v130, off, s[0:3], 0 offset:292
	s_waitcnt vmcnt(0)
	ds_write_b64 v127, v[129:130]
	buffer_store_dword v128, off, s[0:3], 0 offset:288
	buffer_store_dword v128, off, s[0:3], 0 offset:292
.LBB62_313:
	s_or_b64 exec, exec, s[4:5]
	s_waitcnt lgkmcnt(0)
	; wave barrier
	buffer_load_dword v137, off, s[0:3], 0 offset:296
	buffer_load_dword v138, off, s[0:3], 0 offset:300
	;; [unrolled: 1-line block ×22, first 2 shown]
	ds_read2_b64 v[129:132], v128 offset0:101 offset1:102
	ds_read2_b64 v[133:136], v128 offset0:103 offset1:104
	v_cmp_lt_u32_e32 vcc, 35, v0
	s_waitcnt vmcnt(20) lgkmcnt(1)
	v_fma_f64 v[129:130], v[137:138], v[129:130], 0
	s_waitcnt vmcnt(18)
	v_fma_f64 v[129:130], v[139:140], v[131:132], v[129:130]
	buffer_load_dword v138, off, s[0:3], 0 offset:388
	buffer_load_dword v139, off, s[0:3], 0 offset:408
	;; [unrolled: 1-line block ×7, first 2 shown]
	s_waitcnt vmcnt(23) lgkmcnt(0)
	v_fma_f64 v[129:130], v[141:142], v[133:134], v[129:130]
	s_waitcnt vmcnt(21)
	v_fma_f64 v[140:141], v[143:144], v[135:136], v[129:130]
	ds_read2_b64 v[129:132], v128 offset0:105 offset1:106
	ds_read2_b64 v[133:136], v128 offset0:107 offset1:108
	s_waitcnt vmcnt(19) lgkmcnt(1)
	v_fma_f64 v[129:130], v[145:146], v[129:130], v[140:141]
	buffer_load_dword v140, off, s[0:3], 0 offset:412
	s_waitcnt vmcnt(18)
	v_fma_f64 v[129:130], v[147:148], v[131:132], v[129:130]
	buffer_load_dword v142, off, s[0:3], 0 offset:420
	buffer_load_dword v143, off, s[0:3], 0 offset:440
	;; [unrolled: 1-line block ×8, first 2 shown]
	s_waitcnt vmcnt(24) lgkmcnt(0)
	v_fma_f64 v[129:130], v[149:150], v[133:134], v[129:130]
	s_waitcnt vmcnt(19)
	v_fma_f64 v[149:150], v[151:152], v[135:136], v[129:130]
	ds_read2_b64 v[129:132], v128 offset0:109 offset1:110
	ds_read2_b64 v[133:136], v128 offset0:111 offset1:112
	s_waitcnt vmcnt(18) lgkmcnt(1)
	v_fma_f64 v[129:130], v[157:158], v[129:130], v[149:150]
	s_waitcnt vmcnt(17)
	v_fma_f64 v[129:130], v[155:156], v[131:132], v[129:130]
	buffer_load_dword v150, off, s[0:3], 0 offset:452
	buffer_load_dword v151, off, s[0:3], 0 offset:472
	;; [unrolled: 1-line block ×8, first 2 shown]
	s_waitcnt vmcnt(24) lgkmcnt(0)
	v_fma_f64 v[129:130], v[153:154], v[133:134], v[129:130]
	s_waitcnt vmcnt(19)
	v_fma_f64 v[137:138], v[137:138], v[135:136], v[129:130]
	ds_read2_b64 v[129:132], v128 offset0:113 offset1:114
	ds_read2_b64 v[133:136], v128 offset0:115 offset1:116
	s_waitcnt vmcnt(18) lgkmcnt(1)
	v_fma_f64 v[129:130], v[161:162], v[129:130], v[137:138]
	s_waitcnt vmcnt(17)
	v_fma_f64 v[129:130], v[159:160], v[131:132], v[129:130]
	buffer_load_dword v138, off, s[0:3], 0 offset:484
	buffer_load_dword v153, off, s[0:3], 0 offset:496
	;; [unrolled: 1-line block ×6, first 2 shown]
	s_waitcnt vmcnt(22) lgkmcnt(0)
	v_fma_f64 v[129:130], v[139:140], v[133:134], v[129:130]
	s_waitcnt vmcnt(17)
	v_fma_f64 v[139:140], v[141:142], v[135:136], v[129:130]
	ds_read2_b64 v[129:132], v128 offset0:117 offset1:118
	buffer_load_dword v141, off, s[0:3], 0 offset:288
	buffer_load_dword v142, off, s[0:3], 0 offset:292
	ds_read2_b64 v[133:136], v128 offset0:119 offset1:120
	s_waitcnt vmcnt(18) lgkmcnt(1)
	v_fma_f64 v[129:130], v[147:148], v[129:130], v[139:140]
	s_waitcnt vmcnt(17)
	v_fma_f64 v[129:130], v[145:146], v[131:132], v[129:130]
	s_waitcnt vmcnt(16) lgkmcnt(0)
	v_fma_f64 v[129:130], v[143:144], v[133:134], v[129:130]
	s_waitcnt vmcnt(11)
	v_fma_f64 v[139:140], v[149:150], v[135:136], v[129:130]
	ds_read2_b64 v[129:132], v128 offset0:121 offset1:122
	ds_read2_b64 v[133:136], v128 offset0:123 offset1:124
	s_waitcnt vmcnt(10) lgkmcnt(1)
	v_fma_f64 v[129:130], v[157:158], v[129:130], v[139:140]
	s_waitcnt vmcnt(9)
	v_fma_f64 v[129:130], v[155:156], v[131:132], v[129:130]
	s_waitcnt vmcnt(8) lgkmcnt(0)
	v_fma_f64 v[129:130], v[151:152], v[133:134], v[129:130]
	s_waitcnt vmcnt(4)
	v_fma_f64 v[132:133], v[137:138], v[135:136], v[129:130]
	ds_read2_b64 v[128:131], v128 offset0:125 offset1:126
	s_waitcnt vmcnt(3) lgkmcnt(0)
	v_fma_f64 v[128:129], v[159:160], v[128:129], v[132:133]
	s_waitcnt vmcnt(2)
	v_fma_f64 v[128:129], v[153:154], v[130:131], v[128:129]
	s_waitcnt vmcnt(0)
	v_add_f64 v[128:129], v[141:142], -v[128:129]
	buffer_store_dword v129, off, s[0:3], 0 offset:292
	buffer_store_dword v128, off, s[0:3], 0 offset:288
	s_and_saveexec_b64 s[4:5], vcc
	s_cbranch_execz .LBB62_315
; %bb.314:
	buffer_load_dword v128, off, s[0:3], 0 offset:280
	buffer_load_dword v129, off, s[0:3], 0 offset:284
	v_mov_b32_e32 v130, 0
	buffer_store_dword v130, off, s[0:3], 0 offset:280
	buffer_store_dword v130, off, s[0:3], 0 offset:284
	s_waitcnt vmcnt(2)
	ds_write_b64 v127, v[128:129]
.LBB62_315:
	s_or_b64 exec, exec, s[4:5]
	s_waitcnt lgkmcnt(0)
	; wave barrier
	buffer_load_dword v137, off, s[0:3], 0 offset:288
	buffer_load_dword v138, off, s[0:3], 0 offset:292
	;; [unrolled: 1-line block ×22, first 2 shown]
	v_mov_b32_e32 v128, 0
	ds_read_b128 v[129:132], v128 offset:800
	ds_read_b128 v[133:136], v128 offset:816
	v_cmp_lt_u32_e32 vcc, 34, v0
	s_waitcnt vmcnt(20) lgkmcnt(1)
	v_fma_f64 v[129:130], v[137:138], v[129:130], 0
	s_waitcnt vmcnt(18)
	v_fma_f64 v[129:130], v[139:140], v[131:132], v[129:130]
	buffer_load_dword v138, off, s[0:3], 0 offset:380
	buffer_load_dword v139, off, s[0:3], 0 offset:400
	;; [unrolled: 1-line block ×7, first 2 shown]
	s_waitcnt vmcnt(23) lgkmcnt(0)
	v_fma_f64 v[129:130], v[141:142], v[133:134], v[129:130]
	s_waitcnt vmcnt(21)
	v_fma_f64 v[140:141], v[143:144], v[135:136], v[129:130]
	ds_read_b128 v[129:132], v128 offset:832
	ds_read_b128 v[133:136], v128 offset:848
	s_waitcnt vmcnt(19) lgkmcnt(1)
	v_fma_f64 v[129:130], v[145:146], v[129:130], v[140:141]
	buffer_load_dword v140, off, s[0:3], 0 offset:404
	s_waitcnt vmcnt(18)
	v_fma_f64 v[129:130], v[147:148], v[131:132], v[129:130]
	buffer_load_dword v142, off, s[0:3], 0 offset:412
	buffer_load_dword v143, off, s[0:3], 0 offset:432
	buffer_load_dword v145, off, s[0:3], 0 offset:424
	buffer_load_dword v147, off, s[0:3], 0 offset:416
	buffer_load_dword v141, off, s[0:3], 0 offset:408
	buffer_load_dword v148, off, s[0:3], 0 offset:420
	buffer_load_dword v146, off, s[0:3], 0 offset:428
	buffer_load_dword v144, off, s[0:3], 0 offset:436
	s_waitcnt vmcnt(24) lgkmcnt(0)
	v_fma_f64 v[129:130], v[149:150], v[133:134], v[129:130]
	s_waitcnt vmcnt(19)
	v_fma_f64 v[149:150], v[151:152], v[135:136], v[129:130]
	ds_read_b128 v[129:132], v128 offset:864
	ds_read_b128 v[133:136], v128 offset:880
	s_waitcnt vmcnt(18) lgkmcnt(1)
	v_fma_f64 v[129:130], v[157:158], v[129:130], v[149:150]
	s_waitcnt vmcnt(17)
	v_fma_f64 v[129:130], v[155:156], v[131:132], v[129:130]
	buffer_load_dword v150, off, s[0:3], 0 offset:444
	buffer_load_dword v151, off, s[0:3], 0 offset:464
	buffer_load_dword v155, off, s[0:3], 0 offset:456
	buffer_load_dword v157, off, s[0:3], 0 offset:448
	buffer_load_dword v149, off, s[0:3], 0 offset:440
	buffer_load_dword v158, off, s[0:3], 0 offset:452
	buffer_load_dword v156, off, s[0:3], 0 offset:460
	buffer_load_dword v152, off, s[0:3], 0 offset:468
	s_waitcnt vmcnt(24) lgkmcnt(0)
	v_fma_f64 v[129:130], v[153:154], v[133:134], v[129:130]
	s_waitcnt vmcnt(19)
	v_fma_f64 v[137:138], v[137:138], v[135:136], v[129:130]
	ds_read_b128 v[129:132], v128 offset:896
	ds_read_b128 v[133:136], v128 offset:912
	s_waitcnt vmcnt(18) lgkmcnt(1)
	v_fma_f64 v[129:130], v[161:162], v[129:130], v[137:138]
	;; [unrolled: 18-line block ×3, first 2 shown]
	buffer_load_dword v139, off, s[0:3], 0 offset:280
	buffer_load_dword v140, off, s[0:3], 0 offset:284
	s_waitcnt vmcnt(19)
	v_fma_f64 v[129:130], v[145:146], v[131:132], v[129:130]
	s_waitcnt vmcnt(18) lgkmcnt(0)
	v_fma_f64 v[129:130], v[143:144], v[133:134], v[129:130]
	s_waitcnt vmcnt(13)
	v_fma_f64 v[141:142], v[149:150], v[135:136], v[129:130]
	ds_read_b128 v[129:132], v128 offset:960
	ds_read_b128 v[133:136], v128 offset:976
	s_waitcnt vmcnt(12) lgkmcnt(1)
	v_fma_f64 v[129:130], v[157:158], v[129:130], v[141:142]
	s_waitcnt vmcnt(11)
	v_fma_f64 v[129:130], v[155:156], v[131:132], v[129:130]
	s_waitcnt vmcnt(10) lgkmcnt(0)
	v_fma_f64 v[129:130], v[151:152], v[133:134], v[129:130]
	s_waitcnt vmcnt(5)
	v_fma_f64 v[133:134], v[137:138], v[135:136], v[129:130]
	ds_read_b128 v[129:132], v128 offset:992
	ds_read_b64 v[135:136], v128 offset:1008
	s_waitcnt vmcnt(4) lgkmcnt(1)
	v_fma_f64 v[129:130], v[161:162], v[129:130], v[133:134]
	s_waitcnt vmcnt(3)
	v_fma_f64 v[129:130], v[159:160], v[131:132], v[129:130]
	s_waitcnt vmcnt(2) lgkmcnt(0)
	v_fma_f64 v[129:130], v[153:154], v[135:136], v[129:130]
	s_waitcnt vmcnt(0)
	v_add_f64 v[129:130], v[139:140], -v[129:130]
	buffer_store_dword v130, off, s[0:3], 0 offset:284
	buffer_store_dword v129, off, s[0:3], 0 offset:280
	s_and_saveexec_b64 s[4:5], vcc
	s_cbranch_execz .LBB62_317
; %bb.316:
	buffer_load_dword v129, off, s[0:3], 0 offset:272
	buffer_load_dword v130, off, s[0:3], 0 offset:276
	s_waitcnt vmcnt(0)
	ds_write_b64 v127, v[129:130]
	buffer_store_dword v128, off, s[0:3], 0 offset:272
	buffer_store_dword v128, off, s[0:3], 0 offset:276
.LBB62_317:
	s_or_b64 exec, exec, s[4:5]
	s_waitcnt lgkmcnt(0)
	; wave barrier
	buffer_load_dword v137, off, s[0:3], 0 offset:280
	buffer_load_dword v138, off, s[0:3], 0 offset:284
	;; [unrolled: 1-line block ×22, first 2 shown]
	ds_read2_b64 v[129:132], v128 offset0:99 offset1:100
	ds_read2_b64 v[133:136], v128 offset0:101 offset1:102
	v_cmp_lt_u32_e32 vcc, 33, v0
	s_waitcnt vmcnt(20) lgkmcnt(1)
	v_fma_f64 v[129:130], v[137:138], v[129:130], 0
	s_waitcnt vmcnt(18)
	v_fma_f64 v[129:130], v[139:140], v[131:132], v[129:130]
	buffer_load_dword v138, off, s[0:3], 0 offset:372
	buffer_load_dword v139, off, s[0:3], 0 offset:392
	;; [unrolled: 1-line block ×7, first 2 shown]
	s_waitcnt vmcnt(23) lgkmcnt(0)
	v_fma_f64 v[129:130], v[141:142], v[133:134], v[129:130]
	s_waitcnt vmcnt(21)
	v_fma_f64 v[140:141], v[143:144], v[135:136], v[129:130]
	ds_read2_b64 v[129:132], v128 offset0:103 offset1:104
	ds_read2_b64 v[133:136], v128 offset0:105 offset1:106
	s_waitcnt vmcnt(19) lgkmcnt(1)
	v_fma_f64 v[129:130], v[145:146], v[129:130], v[140:141]
	buffer_load_dword v140, off, s[0:3], 0 offset:396
	s_waitcnt vmcnt(18)
	v_fma_f64 v[129:130], v[147:148], v[131:132], v[129:130]
	buffer_load_dword v142, off, s[0:3], 0 offset:404
	buffer_load_dword v143, off, s[0:3], 0 offset:424
	buffer_load_dword v145, off, s[0:3], 0 offset:416
	buffer_load_dword v147, off, s[0:3], 0 offset:408
	buffer_load_dword v141, off, s[0:3], 0 offset:400
	buffer_load_dword v148, off, s[0:3], 0 offset:412
	buffer_load_dword v146, off, s[0:3], 0 offset:420
	buffer_load_dword v144, off, s[0:3], 0 offset:428
	s_waitcnt vmcnt(24) lgkmcnt(0)
	v_fma_f64 v[129:130], v[149:150], v[133:134], v[129:130]
	s_waitcnt vmcnt(19)
	v_fma_f64 v[149:150], v[151:152], v[135:136], v[129:130]
	ds_read2_b64 v[129:132], v128 offset0:107 offset1:108
	ds_read2_b64 v[133:136], v128 offset0:109 offset1:110
	s_waitcnt vmcnt(18) lgkmcnt(1)
	v_fma_f64 v[129:130], v[157:158], v[129:130], v[149:150]
	s_waitcnt vmcnt(17)
	v_fma_f64 v[129:130], v[155:156], v[131:132], v[129:130]
	buffer_load_dword v150, off, s[0:3], 0 offset:436
	buffer_load_dword v151, off, s[0:3], 0 offset:456
	buffer_load_dword v155, off, s[0:3], 0 offset:448
	buffer_load_dword v157, off, s[0:3], 0 offset:440
	buffer_load_dword v149, off, s[0:3], 0 offset:432
	buffer_load_dword v158, off, s[0:3], 0 offset:444
	buffer_load_dword v156, off, s[0:3], 0 offset:452
	buffer_load_dword v152, off, s[0:3], 0 offset:460
	s_waitcnt vmcnt(24) lgkmcnt(0)
	v_fma_f64 v[129:130], v[153:154], v[133:134], v[129:130]
	s_waitcnt vmcnt(19)
	v_fma_f64 v[137:138], v[137:138], v[135:136], v[129:130]
	ds_read2_b64 v[129:132], v128 offset0:111 offset1:112
	ds_read2_b64 v[133:136], v128 offset0:113 offset1:114
	s_waitcnt vmcnt(18) lgkmcnt(1)
	v_fma_f64 v[129:130], v[161:162], v[129:130], v[137:138]
	;; [unrolled: 18-line block ×3, first 2 shown]
	buffer_load_dword v140, off, s[0:3], 0 offset:500
	buffer_load_dword v139, off, s[0:3], 0 offset:496
	;; [unrolled: 1-line block ×4, first 2 shown]
	s_waitcnt vmcnt(21)
	v_fma_f64 v[129:130], v[145:146], v[131:132], v[129:130]
	s_waitcnt vmcnt(20) lgkmcnt(0)
	v_fma_f64 v[129:130], v[143:144], v[133:134], v[129:130]
	s_waitcnt vmcnt(15)
	v_fma_f64 v[143:144], v[149:150], v[135:136], v[129:130]
	ds_read2_b64 v[129:132], v128 offset0:119 offset1:120
	ds_read2_b64 v[133:136], v128 offset0:121 offset1:122
	s_waitcnt vmcnt(14) lgkmcnt(1)
	v_fma_f64 v[129:130], v[157:158], v[129:130], v[143:144]
	s_waitcnt vmcnt(13)
	v_fma_f64 v[129:130], v[155:156], v[131:132], v[129:130]
	s_waitcnt vmcnt(12) lgkmcnt(0)
	v_fma_f64 v[129:130], v[151:152], v[133:134], v[129:130]
	s_waitcnt vmcnt(7)
	v_fma_f64 v[137:138], v[137:138], v[135:136], v[129:130]
	ds_read2_b64 v[129:132], v128 offset0:123 offset1:124
	ds_read2_b64 v[133:136], v128 offset0:125 offset1:126
	s_waitcnt vmcnt(6) lgkmcnt(1)
	v_fma_f64 v[128:129], v[161:162], v[129:130], v[137:138]
	s_waitcnt vmcnt(5)
	v_fma_f64 v[128:129], v[159:160], v[131:132], v[128:129]
	s_waitcnt vmcnt(4) lgkmcnt(0)
	v_fma_f64 v[128:129], v[153:154], v[133:134], v[128:129]
	s_waitcnt vmcnt(2)
	v_fma_f64 v[128:129], v[139:140], v[135:136], v[128:129]
	s_waitcnt vmcnt(0)
	v_add_f64 v[128:129], v[141:142], -v[128:129]
	buffer_store_dword v129, off, s[0:3], 0 offset:276
	buffer_store_dword v128, off, s[0:3], 0 offset:272
	s_and_saveexec_b64 s[4:5], vcc
	s_cbranch_execz .LBB62_319
; %bb.318:
	buffer_load_dword v128, off, s[0:3], 0 offset:264
	buffer_load_dword v129, off, s[0:3], 0 offset:268
	v_mov_b32_e32 v130, 0
	buffer_store_dword v130, off, s[0:3], 0 offset:264
	buffer_store_dword v130, off, s[0:3], 0 offset:268
	s_waitcnt vmcnt(2)
	ds_write_b64 v127, v[128:129]
.LBB62_319:
	s_or_b64 exec, exec, s[4:5]
	s_waitcnt lgkmcnt(0)
	; wave barrier
	buffer_load_dword v137, off, s[0:3], 0 offset:272
	buffer_load_dword v138, off, s[0:3], 0 offset:276
	;; [unrolled: 1-line block ×22, first 2 shown]
	v_mov_b32_e32 v128, 0
	ds_read_b128 v[129:132], v128 offset:784
	ds_read_b128 v[133:136], v128 offset:800
	v_cmp_lt_u32_e32 vcc, 32, v0
	s_waitcnt vmcnt(20) lgkmcnt(1)
	v_fma_f64 v[129:130], v[137:138], v[129:130], 0
	s_waitcnt vmcnt(18)
	v_fma_f64 v[129:130], v[139:140], v[131:132], v[129:130]
	buffer_load_dword v138, off, s[0:3], 0 offset:364
	buffer_load_dword v139, off, s[0:3], 0 offset:384
	;; [unrolled: 1-line block ×7, first 2 shown]
	s_waitcnt vmcnt(23) lgkmcnt(0)
	v_fma_f64 v[129:130], v[141:142], v[133:134], v[129:130]
	s_waitcnt vmcnt(21)
	v_fma_f64 v[140:141], v[143:144], v[135:136], v[129:130]
	ds_read_b128 v[129:132], v128 offset:816
	ds_read_b128 v[133:136], v128 offset:832
	s_waitcnt vmcnt(19) lgkmcnt(1)
	v_fma_f64 v[129:130], v[145:146], v[129:130], v[140:141]
	buffer_load_dword v140, off, s[0:3], 0 offset:388
	s_waitcnt vmcnt(18)
	v_fma_f64 v[129:130], v[147:148], v[131:132], v[129:130]
	buffer_load_dword v142, off, s[0:3], 0 offset:396
	buffer_load_dword v143, off, s[0:3], 0 offset:416
	;; [unrolled: 1-line block ×7, first 2 shown]
	s_waitcnt vmcnt(23) lgkmcnt(0)
	v_fma_f64 v[129:130], v[149:150], v[133:134], v[129:130]
	s_waitcnt vmcnt(18)
	v_fma_f64 v[149:150], v[151:152], v[135:136], v[129:130]
	ds_read_b128 v[129:132], v128 offset:848
	ds_read_b128 v[133:136], v128 offset:864
	buffer_load_dword v144, off, s[0:3], 0 offset:420
	s_waitcnt vmcnt(18) lgkmcnt(1)
	v_fma_f64 v[129:130], v[157:158], v[129:130], v[149:150]
	s_waitcnt vmcnt(17)
	v_fma_f64 v[129:130], v[155:156], v[131:132], v[129:130]
	buffer_load_dword v150, off, s[0:3], 0 offset:428
	buffer_load_dword v151, off, s[0:3], 0 offset:448
	;; [unrolled: 1-line block ×8, first 2 shown]
	s_waitcnt vmcnt(24) lgkmcnt(0)
	v_fma_f64 v[129:130], v[153:154], v[133:134], v[129:130]
	s_waitcnt vmcnt(19)
	v_fma_f64 v[137:138], v[137:138], v[135:136], v[129:130]
	ds_read_b128 v[129:132], v128 offset:880
	ds_read_b128 v[133:136], v128 offset:896
	s_waitcnt vmcnt(18) lgkmcnt(1)
	v_fma_f64 v[129:130], v[161:162], v[129:130], v[137:138]
	s_waitcnt vmcnt(17)
	v_fma_f64 v[129:130], v[159:160], v[131:132], v[129:130]
	buffer_load_dword v138, off, s[0:3], 0 offset:460
	buffer_load_dword v153, off, s[0:3], 0 offset:480
	;; [unrolled: 1-line block ×7, first 2 shown]
	s_waitcnt vmcnt(23) lgkmcnt(0)
	v_fma_f64 v[129:130], v[139:140], v[133:134], v[129:130]
	s_waitcnt vmcnt(18)
	v_fma_f64 v[139:140], v[141:142], v[135:136], v[129:130]
	ds_read_b128 v[129:132], v128 offset:912
	ds_read_b128 v[133:136], v128 offset:928
	buffer_load_dword v154, off, s[0:3], 0 offset:484
	s_waitcnt vmcnt(18) lgkmcnt(1)
	v_fma_f64 v[129:130], v[147:148], v[129:130], v[139:140]
	buffer_load_dword v140, off, s[0:3], 0 offset:492
	buffer_load_dword v141, off, s[0:3], 0 offset:496
	buffer_load_dword v139, off, s[0:3], 0 offset:488
	buffer_load_dword v142, off, s[0:3], 0 offset:500
	s_waitcnt vmcnt(21)
	v_fma_f64 v[129:130], v[145:146], v[131:132], v[129:130]
	s_waitcnt vmcnt(20) lgkmcnt(0)
	v_fma_f64 v[129:130], v[143:144], v[133:134], v[129:130]
	buffer_load_dword v143, off, s[0:3], 0 offset:264
	buffer_load_dword v144, off, s[0:3], 0 offset:268
	s_waitcnt vmcnt(17)
	v_fma_f64 v[145:146], v[149:150], v[135:136], v[129:130]
	ds_read_b128 v[129:132], v128 offset:944
	ds_read_b128 v[133:136], v128 offset:960
	s_waitcnt vmcnt(16) lgkmcnt(1)
	v_fma_f64 v[129:130], v[157:158], v[129:130], v[145:146]
	s_waitcnt vmcnt(15)
	v_fma_f64 v[129:130], v[155:156], v[131:132], v[129:130]
	s_waitcnt vmcnt(14) lgkmcnt(0)
	v_fma_f64 v[129:130], v[151:152], v[133:134], v[129:130]
	s_waitcnt vmcnt(9)
	v_fma_f64 v[137:138], v[137:138], v[135:136], v[129:130]
	ds_read_b128 v[129:132], v128 offset:976
	ds_read_b128 v[133:136], v128 offset:992
	s_waitcnt vmcnt(8) lgkmcnt(1)
	v_fma_f64 v[129:130], v[161:162], v[129:130], v[137:138]
	s_waitcnt vmcnt(7)
	v_fma_f64 v[129:130], v[159:160], v[131:132], v[129:130]
	ds_read_b64 v[131:132], v128 offset:1008
	s_waitcnt vmcnt(6) lgkmcnt(1)
	v_fma_f64 v[129:130], v[153:154], v[133:134], v[129:130]
	s_waitcnt vmcnt(3)
	v_fma_f64 v[129:130], v[139:140], v[135:136], v[129:130]
	s_waitcnt vmcnt(2) lgkmcnt(0)
	v_fma_f64 v[129:130], v[141:142], v[131:132], v[129:130]
	s_waitcnt vmcnt(0)
	v_add_f64 v[129:130], v[143:144], -v[129:130]
	buffer_store_dword v130, off, s[0:3], 0 offset:268
	buffer_store_dword v129, off, s[0:3], 0 offset:264
	s_and_saveexec_b64 s[4:5], vcc
	s_cbranch_execz .LBB62_321
; %bb.320:
	buffer_load_dword v129, off, s[0:3], 0 offset:256
	buffer_load_dword v130, off, s[0:3], 0 offset:260
	s_waitcnt vmcnt(0)
	ds_write_b64 v127, v[129:130]
	buffer_store_dword v128, off, s[0:3], 0 offset:256
	buffer_store_dword v128, off, s[0:3], 0 offset:260
.LBB62_321:
	s_or_b64 exec, exec, s[4:5]
	s_waitcnt lgkmcnt(0)
	; wave barrier
	buffer_load_dword v137, off, s[0:3], 0 offset:264
	buffer_load_dword v138, off, s[0:3], 0 offset:268
	;; [unrolled: 1-line block ×22, first 2 shown]
	ds_read2_b64 v[129:132], v128 offset0:97 offset1:98
	ds_read2_b64 v[133:136], v128 offset0:99 offset1:100
	v_cmp_lt_u32_e32 vcc, 31, v0
	s_waitcnt vmcnt(20) lgkmcnt(1)
	v_fma_f64 v[129:130], v[137:138], v[129:130], 0
	s_waitcnt vmcnt(18)
	v_fma_f64 v[129:130], v[139:140], v[131:132], v[129:130]
	buffer_load_dword v138, off, s[0:3], 0 offset:356
	buffer_load_dword v139, off, s[0:3], 0 offset:376
	;; [unrolled: 1-line block ×7, first 2 shown]
	s_waitcnt vmcnt(23) lgkmcnt(0)
	v_fma_f64 v[129:130], v[141:142], v[133:134], v[129:130]
	s_waitcnt vmcnt(21)
	v_fma_f64 v[140:141], v[143:144], v[135:136], v[129:130]
	ds_read2_b64 v[129:132], v128 offset0:101 offset1:102
	ds_read2_b64 v[133:136], v128 offset0:103 offset1:104
	s_waitcnt vmcnt(19) lgkmcnt(1)
	v_fma_f64 v[129:130], v[145:146], v[129:130], v[140:141]
	buffer_load_dword v140, off, s[0:3], 0 offset:380
	s_waitcnt vmcnt(18)
	v_fma_f64 v[129:130], v[147:148], v[131:132], v[129:130]
	buffer_load_dword v142, off, s[0:3], 0 offset:388
	buffer_load_dword v143, off, s[0:3], 0 offset:408
	;; [unrolled: 1-line block ×7, first 2 shown]
	s_waitcnt vmcnt(23) lgkmcnt(0)
	v_fma_f64 v[129:130], v[149:150], v[133:134], v[129:130]
	s_waitcnt vmcnt(18)
	v_fma_f64 v[149:150], v[151:152], v[135:136], v[129:130]
	ds_read2_b64 v[129:132], v128 offset0:105 offset1:106
	ds_read2_b64 v[133:136], v128 offset0:107 offset1:108
	buffer_load_dword v144, off, s[0:3], 0 offset:412
	s_waitcnt vmcnt(18) lgkmcnt(1)
	v_fma_f64 v[129:130], v[157:158], v[129:130], v[149:150]
	s_waitcnt vmcnt(17)
	v_fma_f64 v[129:130], v[155:156], v[131:132], v[129:130]
	buffer_load_dword v150, off, s[0:3], 0 offset:420
	buffer_load_dword v151, off, s[0:3], 0 offset:440
	;; [unrolled: 1-line block ×8, first 2 shown]
	s_waitcnt vmcnt(24) lgkmcnt(0)
	v_fma_f64 v[129:130], v[153:154], v[133:134], v[129:130]
	s_waitcnt vmcnt(19)
	v_fma_f64 v[137:138], v[137:138], v[135:136], v[129:130]
	ds_read2_b64 v[129:132], v128 offset0:109 offset1:110
	ds_read2_b64 v[133:136], v128 offset0:111 offset1:112
	s_waitcnt vmcnt(18) lgkmcnt(1)
	v_fma_f64 v[129:130], v[161:162], v[129:130], v[137:138]
	s_waitcnt vmcnt(17)
	v_fma_f64 v[129:130], v[159:160], v[131:132], v[129:130]
	buffer_load_dword v138, off, s[0:3], 0 offset:452
	buffer_load_dword v153, off, s[0:3], 0 offset:472
	;; [unrolled: 1-line block ×8, first 2 shown]
	s_waitcnt vmcnt(24) lgkmcnt(0)
	v_fma_f64 v[129:130], v[139:140], v[133:134], v[129:130]
	s_waitcnt vmcnt(19)
	v_fma_f64 v[139:140], v[141:142], v[135:136], v[129:130]
	ds_read2_b64 v[129:132], v128 offset0:113 offset1:114
	ds_read2_b64 v[133:136], v128 offset0:115 offset1:116
	s_waitcnt vmcnt(18) lgkmcnt(1)
	v_fma_f64 v[129:130], v[147:148], v[129:130], v[139:140]
	s_waitcnt vmcnt(17)
	v_fma_f64 v[129:130], v[145:146], v[131:132], v[129:130]
	buffer_load_dword v140, off, s[0:3], 0 offset:484
	buffer_load_dword v141, off, s[0:3], 0 offset:496
	;; [unrolled: 1-line block ×6, first 2 shown]
	s_waitcnt vmcnt(22) lgkmcnt(0)
	v_fma_f64 v[129:130], v[143:144], v[133:134], v[129:130]
	s_waitcnt vmcnt(17)
	v_fma_f64 v[143:144], v[149:150], v[135:136], v[129:130]
	ds_read2_b64 v[129:132], v128 offset0:117 offset1:118
	buffer_load_dword v147, off, s[0:3], 0 offset:256
	buffer_load_dword v148, off, s[0:3], 0 offset:260
	ds_read2_b64 v[133:136], v128 offset0:119 offset1:120
	s_waitcnt vmcnt(18) lgkmcnt(1)
	v_fma_f64 v[129:130], v[157:158], v[129:130], v[143:144]
	s_waitcnt vmcnt(17)
	v_fma_f64 v[129:130], v[155:156], v[131:132], v[129:130]
	s_waitcnt vmcnt(16) lgkmcnt(0)
	v_fma_f64 v[129:130], v[151:152], v[133:134], v[129:130]
	s_waitcnt vmcnt(11)
	v_fma_f64 v[137:138], v[137:138], v[135:136], v[129:130]
	ds_read2_b64 v[129:132], v128 offset0:121 offset1:122
	ds_read2_b64 v[133:136], v128 offset0:123 offset1:124
	s_waitcnt vmcnt(10) lgkmcnt(1)
	v_fma_f64 v[129:130], v[161:162], v[129:130], v[137:138]
	s_waitcnt vmcnt(9)
	v_fma_f64 v[129:130], v[159:160], v[131:132], v[129:130]
	s_waitcnt vmcnt(8) lgkmcnt(0)
	v_fma_f64 v[129:130], v[153:154], v[133:134], v[129:130]
	s_waitcnt vmcnt(4)
	v_fma_f64 v[132:133], v[139:140], v[135:136], v[129:130]
	ds_read2_b64 v[128:131], v128 offset0:125 offset1:126
	s_waitcnt vmcnt(3) lgkmcnt(0)
	v_fma_f64 v[128:129], v[145:146], v[128:129], v[132:133]
	s_waitcnt vmcnt(2)
	v_fma_f64 v[128:129], v[141:142], v[130:131], v[128:129]
	s_waitcnt vmcnt(0)
	v_add_f64 v[128:129], v[147:148], -v[128:129]
	buffer_store_dword v129, off, s[0:3], 0 offset:260
	buffer_store_dword v128, off, s[0:3], 0 offset:256
	s_and_saveexec_b64 s[4:5], vcc
	s_cbranch_execz .LBB62_323
; %bb.322:
	buffer_load_dword v128, off, s[0:3], 0 offset:248
	buffer_load_dword v129, off, s[0:3], 0 offset:252
	v_mov_b32_e32 v130, 0
	buffer_store_dword v130, off, s[0:3], 0 offset:248
	buffer_store_dword v130, off, s[0:3], 0 offset:252
	s_waitcnt vmcnt(2)
	ds_write_b64 v127, v[128:129]
.LBB62_323:
	s_or_b64 exec, exec, s[4:5]
	s_waitcnt lgkmcnt(0)
	; wave barrier
	buffer_load_dword v137, off, s[0:3], 0 offset:256
	buffer_load_dword v138, off, s[0:3], 0 offset:260
	;; [unrolled: 1-line block ×22, first 2 shown]
	v_mov_b32_e32 v128, 0
	ds_read_b128 v[129:132], v128 offset:768
	ds_read_b128 v[133:136], v128 offset:784
	v_cmp_lt_u32_e32 vcc, 30, v0
	s_waitcnt vmcnt(20) lgkmcnt(1)
	v_fma_f64 v[129:130], v[137:138], v[129:130], 0
	s_waitcnt vmcnt(18)
	v_fma_f64 v[129:130], v[139:140], v[131:132], v[129:130]
	buffer_load_dword v138, off, s[0:3], 0 offset:348
	buffer_load_dword v139, off, s[0:3], 0 offset:368
	;; [unrolled: 1-line block ×7, first 2 shown]
	s_waitcnt vmcnt(23) lgkmcnt(0)
	v_fma_f64 v[129:130], v[141:142], v[133:134], v[129:130]
	s_waitcnt vmcnt(21)
	v_fma_f64 v[140:141], v[143:144], v[135:136], v[129:130]
	ds_read_b128 v[129:132], v128 offset:800
	ds_read_b128 v[133:136], v128 offset:816
	s_waitcnt vmcnt(19) lgkmcnt(1)
	v_fma_f64 v[129:130], v[145:146], v[129:130], v[140:141]
	buffer_load_dword v140, off, s[0:3], 0 offset:372
	s_waitcnt vmcnt(18)
	v_fma_f64 v[129:130], v[147:148], v[131:132], v[129:130]
	buffer_load_dword v142, off, s[0:3], 0 offset:380
	buffer_load_dword v143, off, s[0:3], 0 offset:400
	;; [unrolled: 1-line block ×7, first 2 shown]
	s_waitcnt vmcnt(23) lgkmcnt(0)
	v_fma_f64 v[129:130], v[149:150], v[133:134], v[129:130]
	s_waitcnt vmcnt(18)
	v_fma_f64 v[149:150], v[151:152], v[135:136], v[129:130]
	ds_read_b128 v[129:132], v128 offset:832
	ds_read_b128 v[133:136], v128 offset:848
	buffer_load_dword v144, off, s[0:3], 0 offset:404
	s_waitcnt vmcnt(18) lgkmcnt(1)
	v_fma_f64 v[129:130], v[157:158], v[129:130], v[149:150]
	s_waitcnt vmcnt(17)
	v_fma_f64 v[129:130], v[155:156], v[131:132], v[129:130]
	buffer_load_dword v150, off, s[0:3], 0 offset:412
	buffer_load_dword v151, off, s[0:3], 0 offset:432
	buffer_load_dword v155, off, s[0:3], 0 offset:424
	buffer_load_dword v157, off, s[0:3], 0 offset:416
	buffer_load_dword v149, off, s[0:3], 0 offset:408
	buffer_load_dword v158, off, s[0:3], 0 offset:420
	buffer_load_dword v156, off, s[0:3], 0 offset:428
	buffer_load_dword v152, off, s[0:3], 0 offset:436
	s_waitcnt vmcnt(24) lgkmcnt(0)
	v_fma_f64 v[129:130], v[153:154], v[133:134], v[129:130]
	s_waitcnt vmcnt(19)
	v_fma_f64 v[137:138], v[137:138], v[135:136], v[129:130]
	ds_read_b128 v[129:132], v128 offset:864
	ds_read_b128 v[133:136], v128 offset:880
	s_waitcnt vmcnt(18) lgkmcnt(1)
	v_fma_f64 v[129:130], v[161:162], v[129:130], v[137:138]
	s_waitcnt vmcnt(17)
	v_fma_f64 v[129:130], v[159:160], v[131:132], v[129:130]
	buffer_load_dword v138, off, s[0:3], 0 offset:444
	buffer_load_dword v153, off, s[0:3], 0 offset:464
	buffer_load_dword v159, off, s[0:3], 0 offset:456
	buffer_load_dword v161, off, s[0:3], 0 offset:448
	buffer_load_dword v137, off, s[0:3], 0 offset:440
	buffer_load_dword v162, off, s[0:3], 0 offset:452
	buffer_load_dword v160, off, s[0:3], 0 offset:460
	buffer_load_dword v154, off, s[0:3], 0 offset:468
	s_waitcnt vmcnt(24) lgkmcnt(0)
	v_fma_f64 v[129:130], v[139:140], v[133:134], v[129:130]
	s_waitcnt vmcnt(19)
	v_fma_f64 v[139:140], v[141:142], v[135:136], v[129:130]
	ds_read_b128 v[129:132], v128 offset:896
	ds_read_b128 v[133:136], v128 offset:912
	s_waitcnt vmcnt(18) lgkmcnt(1)
	v_fma_f64 v[129:130], v[147:148], v[129:130], v[139:140]
	s_waitcnt vmcnt(17)
	v_fma_f64 v[129:130], v[145:146], v[131:132], v[129:130]
	buffer_load_dword v140, off, s[0:3], 0 offset:476
	buffer_load_dword v141, off, s[0:3], 0 offset:496
	buffer_load_dword v145, off, s[0:3], 0 offset:488
	buffer_load_dword v147, off, s[0:3], 0 offset:480
	buffer_load_dword v139, off, s[0:3], 0 offset:472
	buffer_load_dword v148, off, s[0:3], 0 offset:484
	buffer_load_dword v146, off, s[0:3], 0 offset:492
	buffer_load_dword v142, off, s[0:3], 0 offset:500
	s_waitcnt vmcnt(24) lgkmcnt(0)
	v_fma_f64 v[129:130], v[143:144], v[133:134], v[129:130]
	s_waitcnt vmcnt(19)
	v_fma_f64 v[143:144], v[149:150], v[135:136], v[129:130]
	ds_read_b128 v[129:132], v128 offset:928
	ds_read_b128 v[133:136], v128 offset:944
	s_waitcnt vmcnt(18) lgkmcnt(1)
	v_fma_f64 v[129:130], v[157:158], v[129:130], v[143:144]
	buffer_load_dword v143, off, s[0:3], 0 offset:248
	buffer_load_dword v144, off, s[0:3], 0 offset:252
	s_waitcnt vmcnt(19)
	v_fma_f64 v[129:130], v[155:156], v[131:132], v[129:130]
	s_waitcnt vmcnt(18) lgkmcnt(0)
	v_fma_f64 v[129:130], v[151:152], v[133:134], v[129:130]
	s_waitcnt vmcnt(13)
	v_fma_f64 v[137:138], v[137:138], v[135:136], v[129:130]
	ds_read_b128 v[129:132], v128 offset:960
	ds_read_b128 v[133:136], v128 offset:976
	s_waitcnt vmcnt(12) lgkmcnt(1)
	v_fma_f64 v[129:130], v[161:162], v[129:130], v[137:138]
	s_waitcnt vmcnt(11)
	v_fma_f64 v[129:130], v[159:160], v[131:132], v[129:130]
	s_waitcnt vmcnt(10) lgkmcnt(0)
	v_fma_f64 v[129:130], v[153:154], v[133:134], v[129:130]
	s_waitcnt vmcnt(5)
	v_fma_f64 v[133:134], v[139:140], v[135:136], v[129:130]
	ds_read_b128 v[129:132], v128 offset:992
	ds_read_b64 v[135:136], v128 offset:1008
	s_waitcnt vmcnt(4) lgkmcnt(1)
	v_fma_f64 v[129:130], v[147:148], v[129:130], v[133:134]
	s_waitcnt vmcnt(3)
	v_fma_f64 v[129:130], v[145:146], v[131:132], v[129:130]
	s_waitcnt vmcnt(2) lgkmcnt(0)
	v_fma_f64 v[129:130], v[141:142], v[135:136], v[129:130]
	s_waitcnt vmcnt(0)
	v_add_f64 v[129:130], v[143:144], -v[129:130]
	buffer_store_dword v130, off, s[0:3], 0 offset:252
	buffer_store_dword v129, off, s[0:3], 0 offset:248
	s_and_saveexec_b64 s[4:5], vcc
	s_cbranch_execz .LBB62_325
; %bb.324:
	buffer_load_dword v129, off, s[0:3], 0 offset:240
	buffer_load_dword v130, off, s[0:3], 0 offset:244
	s_waitcnt vmcnt(0)
	ds_write_b64 v127, v[129:130]
	buffer_store_dword v128, off, s[0:3], 0 offset:240
	buffer_store_dword v128, off, s[0:3], 0 offset:244
.LBB62_325:
	s_or_b64 exec, exec, s[4:5]
	s_waitcnt lgkmcnt(0)
	; wave barrier
	buffer_load_dword v137, off, s[0:3], 0 offset:248
	buffer_load_dword v138, off, s[0:3], 0 offset:252
	;; [unrolled: 1-line block ×22, first 2 shown]
	ds_read2_b64 v[129:132], v128 offset0:95 offset1:96
	ds_read2_b64 v[133:136], v128 offset0:97 offset1:98
	v_cmp_lt_u32_e32 vcc, 29, v0
	s_waitcnt vmcnt(20) lgkmcnt(1)
	v_fma_f64 v[129:130], v[137:138], v[129:130], 0
	s_waitcnt vmcnt(18)
	v_fma_f64 v[129:130], v[139:140], v[131:132], v[129:130]
	buffer_load_dword v138, off, s[0:3], 0 offset:340
	buffer_load_dword v139, off, s[0:3], 0 offset:360
	;; [unrolled: 1-line block ×7, first 2 shown]
	s_waitcnt vmcnt(23) lgkmcnt(0)
	v_fma_f64 v[129:130], v[141:142], v[133:134], v[129:130]
	s_waitcnt vmcnt(21)
	v_fma_f64 v[140:141], v[143:144], v[135:136], v[129:130]
	ds_read2_b64 v[129:132], v128 offset0:99 offset1:100
	ds_read2_b64 v[133:136], v128 offset0:101 offset1:102
	s_waitcnt vmcnt(19) lgkmcnt(1)
	v_fma_f64 v[129:130], v[145:146], v[129:130], v[140:141]
	buffer_load_dword v140, off, s[0:3], 0 offset:364
	s_waitcnt vmcnt(18)
	v_fma_f64 v[129:130], v[147:148], v[131:132], v[129:130]
	buffer_load_dword v142, off, s[0:3], 0 offset:372
	buffer_load_dword v143, off, s[0:3], 0 offset:392
	buffer_load_dword v145, off, s[0:3], 0 offset:384
	buffer_load_dword v147, off, s[0:3], 0 offset:376
	buffer_load_dword v141, off, s[0:3], 0 offset:368
	buffer_load_dword v148, off, s[0:3], 0 offset:380
	buffer_load_dword v146, off, s[0:3], 0 offset:388
	s_waitcnt vmcnt(23) lgkmcnt(0)
	v_fma_f64 v[129:130], v[149:150], v[133:134], v[129:130]
	s_waitcnt vmcnt(18)
	v_fma_f64 v[149:150], v[151:152], v[135:136], v[129:130]
	ds_read2_b64 v[129:132], v128 offset0:103 offset1:104
	ds_read2_b64 v[133:136], v128 offset0:105 offset1:106
	buffer_load_dword v144, off, s[0:3], 0 offset:396
	s_waitcnt vmcnt(18) lgkmcnt(1)
	v_fma_f64 v[129:130], v[157:158], v[129:130], v[149:150]
	s_waitcnt vmcnt(17)
	v_fma_f64 v[129:130], v[155:156], v[131:132], v[129:130]
	buffer_load_dword v150, off, s[0:3], 0 offset:404
	buffer_load_dword v151, off, s[0:3], 0 offset:424
	buffer_load_dword v155, off, s[0:3], 0 offset:416
	buffer_load_dword v157, off, s[0:3], 0 offset:408
	buffer_load_dword v149, off, s[0:3], 0 offset:400
	buffer_load_dword v158, off, s[0:3], 0 offset:412
	buffer_load_dword v156, off, s[0:3], 0 offset:420
	buffer_load_dword v152, off, s[0:3], 0 offset:428
	s_waitcnt vmcnt(24) lgkmcnt(0)
	v_fma_f64 v[129:130], v[153:154], v[133:134], v[129:130]
	s_waitcnt vmcnt(19)
	v_fma_f64 v[137:138], v[137:138], v[135:136], v[129:130]
	ds_read2_b64 v[129:132], v128 offset0:107 offset1:108
	ds_read2_b64 v[133:136], v128 offset0:109 offset1:110
	s_waitcnt vmcnt(18) lgkmcnt(1)
	v_fma_f64 v[129:130], v[161:162], v[129:130], v[137:138]
	s_waitcnt vmcnt(17)
	v_fma_f64 v[129:130], v[159:160], v[131:132], v[129:130]
	buffer_load_dword v138, off, s[0:3], 0 offset:436
	buffer_load_dword v153, off, s[0:3], 0 offset:456
	buffer_load_dword v159, off, s[0:3], 0 offset:448
	buffer_load_dword v161, off, s[0:3], 0 offset:440
	buffer_load_dword v137, off, s[0:3], 0 offset:432
	buffer_load_dword v162, off, s[0:3], 0 offset:444
	buffer_load_dword v160, off, s[0:3], 0 offset:452
	buffer_load_dword v154, off, s[0:3], 0 offset:460
	s_waitcnt vmcnt(24) lgkmcnt(0)
	v_fma_f64 v[129:130], v[139:140], v[133:134], v[129:130]
	s_waitcnt vmcnt(19)
	v_fma_f64 v[139:140], v[141:142], v[135:136], v[129:130]
	ds_read2_b64 v[129:132], v128 offset0:111 offset1:112
	ds_read2_b64 v[133:136], v128 offset0:113 offset1:114
	;; [unrolled: 18-line block ×3, first 2 shown]
	s_waitcnt vmcnt(18) lgkmcnt(1)
	v_fma_f64 v[129:130], v[157:158], v[129:130], v[143:144]
	buffer_load_dword v144, off, s[0:3], 0 offset:500
	buffer_load_dword v143, off, s[0:3], 0 offset:496
	;; [unrolled: 1-line block ×4, first 2 shown]
	s_waitcnt vmcnt(21)
	v_fma_f64 v[129:130], v[155:156], v[131:132], v[129:130]
	s_waitcnt vmcnt(20) lgkmcnt(0)
	v_fma_f64 v[129:130], v[151:152], v[133:134], v[129:130]
	s_waitcnt vmcnt(15)
	v_fma_f64 v[137:138], v[137:138], v[135:136], v[129:130]
	ds_read2_b64 v[129:132], v128 offset0:119 offset1:120
	ds_read2_b64 v[133:136], v128 offset0:121 offset1:122
	s_waitcnt vmcnt(14) lgkmcnt(1)
	v_fma_f64 v[129:130], v[161:162], v[129:130], v[137:138]
	s_waitcnt vmcnt(13)
	v_fma_f64 v[129:130], v[159:160], v[131:132], v[129:130]
	s_waitcnt vmcnt(12) lgkmcnt(0)
	v_fma_f64 v[129:130], v[153:154], v[133:134], v[129:130]
	s_waitcnt vmcnt(7)
	v_fma_f64 v[137:138], v[139:140], v[135:136], v[129:130]
	ds_read2_b64 v[129:132], v128 offset0:123 offset1:124
	ds_read2_b64 v[133:136], v128 offset0:125 offset1:126
	s_waitcnt vmcnt(6) lgkmcnt(1)
	v_fma_f64 v[128:129], v[147:148], v[129:130], v[137:138]
	s_waitcnt vmcnt(5)
	v_fma_f64 v[128:129], v[145:146], v[131:132], v[128:129]
	s_waitcnt vmcnt(4) lgkmcnt(0)
	v_fma_f64 v[128:129], v[141:142], v[133:134], v[128:129]
	s_waitcnt vmcnt(2)
	v_fma_f64 v[128:129], v[143:144], v[135:136], v[128:129]
	s_waitcnt vmcnt(0)
	v_add_f64 v[128:129], v[149:150], -v[128:129]
	buffer_store_dword v129, off, s[0:3], 0 offset:244
	buffer_store_dword v128, off, s[0:3], 0 offset:240
	s_and_saveexec_b64 s[4:5], vcc
	s_cbranch_execz .LBB62_327
; %bb.326:
	buffer_load_dword v128, off, s[0:3], 0 offset:232
	buffer_load_dword v129, off, s[0:3], 0 offset:236
	v_mov_b32_e32 v130, 0
	buffer_store_dword v130, off, s[0:3], 0 offset:232
	buffer_store_dword v130, off, s[0:3], 0 offset:236
	s_waitcnt vmcnt(2)
	ds_write_b64 v127, v[128:129]
.LBB62_327:
	s_or_b64 exec, exec, s[4:5]
	s_waitcnt lgkmcnt(0)
	; wave barrier
	buffer_load_dword v137, off, s[0:3], 0 offset:240
	buffer_load_dword v138, off, s[0:3], 0 offset:244
	;; [unrolled: 1-line block ×21, first 2 shown]
	v_mov_b32_e32 v128, 0
	ds_read_b128 v[129:132], v128 offset:752
	ds_read_b128 v[133:136], v128 offset:768
	buffer_load_dword v154, off, s[0:3], 0 offset:324
	v_cmp_lt_u32_e32 vcc, 28, v0
	s_waitcnt vmcnt(20) lgkmcnt(1)
	v_fma_f64 v[129:130], v[137:138], v[129:130], 0
	s_waitcnt vmcnt(18)
	v_fma_f64 v[129:130], v[139:140], v[131:132], v[129:130]
	buffer_load_dword v138, off, s[0:3], 0 offset:332
	buffer_load_dword v139, off, s[0:3], 0 offset:352
	;; [unrolled: 1-line block ×7, first 2 shown]
	s_waitcnt vmcnt(23) lgkmcnt(0)
	v_fma_f64 v[129:130], v[141:142], v[133:134], v[129:130]
	s_waitcnt vmcnt(21)
	v_fma_f64 v[140:141], v[143:144], v[135:136], v[129:130]
	ds_read_b128 v[129:132], v128 offset:784
	ds_read_b128 v[133:136], v128 offset:800
	s_waitcnt vmcnt(19) lgkmcnt(1)
	v_fma_f64 v[129:130], v[145:146], v[129:130], v[140:141]
	buffer_load_dword v140, off, s[0:3], 0 offset:356
	s_waitcnt vmcnt(18)
	v_fma_f64 v[129:130], v[147:148], v[131:132], v[129:130]
	buffer_load_dword v142, off, s[0:3], 0 offset:364
	buffer_load_dword v143, off, s[0:3], 0 offset:384
	buffer_load_dword v145, off, s[0:3], 0 offset:376
	buffer_load_dword v147, off, s[0:3], 0 offset:368
	buffer_load_dword v141, off, s[0:3], 0 offset:360
	buffer_load_dword v148, off, s[0:3], 0 offset:372
	buffer_load_dword v146, off, s[0:3], 0 offset:380
	s_waitcnt vmcnt(23) lgkmcnt(0)
	v_fma_f64 v[129:130], v[149:150], v[133:134], v[129:130]
	s_waitcnt vmcnt(18)
	v_fma_f64 v[149:150], v[151:152], v[135:136], v[129:130]
	ds_read_b128 v[129:132], v128 offset:816
	ds_read_b128 v[133:136], v128 offset:832
	buffer_load_dword v144, off, s[0:3], 0 offset:388
	s_waitcnt vmcnt(18) lgkmcnt(1)
	v_fma_f64 v[129:130], v[157:158], v[129:130], v[149:150]
	s_waitcnt vmcnt(17)
	v_fma_f64 v[129:130], v[155:156], v[131:132], v[129:130]
	buffer_load_dword v150, off, s[0:3], 0 offset:396
	buffer_load_dword v151, off, s[0:3], 0 offset:416
	;; [unrolled: 1-line block ×7, first 2 shown]
	s_waitcnt vmcnt(23) lgkmcnt(0)
	v_fma_f64 v[129:130], v[153:154], v[133:134], v[129:130]
	s_waitcnt vmcnt(18)
	v_fma_f64 v[137:138], v[137:138], v[135:136], v[129:130]
	ds_read_b128 v[129:132], v128 offset:848
	ds_read_b128 v[133:136], v128 offset:864
	buffer_load_dword v152, off, s[0:3], 0 offset:420
	s_waitcnt vmcnt(18) lgkmcnt(1)
	v_fma_f64 v[129:130], v[161:162], v[129:130], v[137:138]
	s_waitcnt vmcnt(17)
	v_fma_f64 v[129:130], v[159:160], v[131:132], v[129:130]
	buffer_load_dword v138, off, s[0:3], 0 offset:428
	buffer_load_dword v153, off, s[0:3], 0 offset:448
	buffer_load_dword v159, off, s[0:3], 0 offset:440
	buffer_load_dword v161, off, s[0:3], 0 offset:432
	buffer_load_dword v137, off, s[0:3], 0 offset:424
	buffer_load_dword v162, off, s[0:3], 0 offset:436
	buffer_load_dword v160, off, s[0:3], 0 offset:444
	buffer_load_dword v154, off, s[0:3], 0 offset:452
	s_waitcnt vmcnt(24) lgkmcnt(0)
	v_fma_f64 v[129:130], v[139:140], v[133:134], v[129:130]
	s_waitcnt vmcnt(19)
	v_fma_f64 v[139:140], v[141:142], v[135:136], v[129:130]
	ds_read_b128 v[129:132], v128 offset:880
	ds_read_b128 v[133:136], v128 offset:896
	s_waitcnt vmcnt(18) lgkmcnt(1)
	v_fma_f64 v[129:130], v[147:148], v[129:130], v[139:140]
	s_waitcnt vmcnt(17)
	v_fma_f64 v[129:130], v[145:146], v[131:132], v[129:130]
	buffer_load_dword v140, off, s[0:3], 0 offset:460
	buffer_load_dword v141, off, s[0:3], 0 offset:480
	;; [unrolled: 1-line block ×7, first 2 shown]
	s_waitcnt vmcnt(23) lgkmcnt(0)
	v_fma_f64 v[129:130], v[143:144], v[133:134], v[129:130]
	s_waitcnt vmcnt(18)
	v_fma_f64 v[142:143], v[149:150], v[135:136], v[129:130]
	ds_read_b128 v[129:132], v128 offset:912
	ds_read_b128 v[133:136], v128 offset:928
	s_waitcnt vmcnt(17) lgkmcnt(1)
	v_fma_f64 v[129:130], v[157:158], v[129:130], v[142:143]
	buffer_load_dword v142, off, s[0:3], 0 offset:484
	buffer_load_dword v144, off, s[0:3], 0 offset:492
	;; [unrolled: 1-line block ×5, first 2 shown]
	s_waitcnt vmcnt(21)
	v_fma_f64 v[129:130], v[155:156], v[131:132], v[129:130]
	s_waitcnt vmcnt(20) lgkmcnt(0)
	v_fma_f64 v[129:130], v[151:152], v[133:134], v[129:130]
	buffer_load_dword v151, off, s[0:3], 0 offset:232
	buffer_load_dword v152, off, s[0:3], 0 offset:236
	s_waitcnt vmcnt(17)
	v_fma_f64 v[137:138], v[137:138], v[135:136], v[129:130]
	ds_read_b128 v[129:132], v128 offset:944
	ds_read_b128 v[133:136], v128 offset:960
	s_waitcnt vmcnt(16) lgkmcnt(1)
	v_fma_f64 v[129:130], v[161:162], v[129:130], v[137:138]
	s_waitcnt vmcnt(15)
	v_fma_f64 v[129:130], v[159:160], v[131:132], v[129:130]
	s_waitcnt vmcnt(14) lgkmcnt(0)
	v_fma_f64 v[129:130], v[153:154], v[133:134], v[129:130]
	s_waitcnt vmcnt(9)
	v_fma_f64 v[137:138], v[139:140], v[135:136], v[129:130]
	ds_read_b128 v[129:132], v128 offset:976
	ds_read_b128 v[133:136], v128 offset:992
	s_waitcnt vmcnt(8) lgkmcnt(1)
	v_fma_f64 v[129:130], v[147:148], v[129:130], v[137:138]
	s_waitcnt vmcnt(7)
	v_fma_f64 v[129:130], v[145:146], v[131:132], v[129:130]
	ds_read_b64 v[131:132], v128 offset:1008
	s_waitcnt vmcnt(6) lgkmcnt(1)
	v_fma_f64 v[129:130], v[141:142], v[133:134], v[129:130]
	s_waitcnt vmcnt(3)
	v_fma_f64 v[129:130], v[143:144], v[135:136], v[129:130]
	s_waitcnt vmcnt(2) lgkmcnt(0)
	v_fma_f64 v[129:130], v[149:150], v[131:132], v[129:130]
	s_waitcnt vmcnt(0)
	v_add_f64 v[129:130], v[151:152], -v[129:130]
	buffer_store_dword v130, off, s[0:3], 0 offset:236
	buffer_store_dword v129, off, s[0:3], 0 offset:232
	s_and_saveexec_b64 s[4:5], vcc
	s_cbranch_execz .LBB62_329
; %bb.328:
	buffer_load_dword v129, off, s[0:3], 0 offset:224
	buffer_load_dword v130, off, s[0:3], 0 offset:228
	s_waitcnt vmcnt(0)
	ds_write_b64 v127, v[129:130]
	buffer_store_dword v128, off, s[0:3], 0 offset:224
	buffer_store_dword v128, off, s[0:3], 0 offset:228
.LBB62_329:
	s_or_b64 exec, exec, s[4:5]
	s_waitcnt lgkmcnt(0)
	; wave barrier
	buffer_load_dword v137, off, s[0:3], 0 offset:232
	buffer_load_dword v138, off, s[0:3], 0 offset:236
	;; [unrolled: 1-line block ×21, first 2 shown]
	ds_read2_b64 v[129:132], v128 offset0:93 offset1:94
	ds_read2_b64 v[133:136], v128 offset0:95 offset1:96
	buffer_load_dword v154, off, s[0:3], 0 offset:316
	v_cmp_lt_u32_e32 vcc, 27, v0
	s_waitcnt vmcnt(20) lgkmcnt(1)
	v_fma_f64 v[129:130], v[137:138], v[129:130], 0
	s_waitcnt vmcnt(18)
	v_fma_f64 v[129:130], v[139:140], v[131:132], v[129:130]
	buffer_load_dword v138, off, s[0:3], 0 offset:324
	buffer_load_dword v139, off, s[0:3], 0 offset:344
	;; [unrolled: 1-line block ×7, first 2 shown]
	s_waitcnt vmcnt(23) lgkmcnt(0)
	v_fma_f64 v[129:130], v[141:142], v[133:134], v[129:130]
	s_waitcnt vmcnt(21)
	v_fma_f64 v[140:141], v[143:144], v[135:136], v[129:130]
	ds_read2_b64 v[129:132], v128 offset0:97 offset1:98
	ds_read2_b64 v[133:136], v128 offset0:99 offset1:100
	s_waitcnt vmcnt(19) lgkmcnt(1)
	v_fma_f64 v[129:130], v[145:146], v[129:130], v[140:141]
	buffer_load_dword v140, off, s[0:3], 0 offset:348
	s_waitcnt vmcnt(18)
	v_fma_f64 v[129:130], v[147:148], v[131:132], v[129:130]
	buffer_load_dword v142, off, s[0:3], 0 offset:356
	buffer_load_dword v143, off, s[0:3], 0 offset:376
	;; [unrolled: 1-line block ×8, first 2 shown]
	s_waitcnt vmcnt(24) lgkmcnt(0)
	v_fma_f64 v[129:130], v[149:150], v[133:134], v[129:130]
	s_waitcnt vmcnt(19)
	v_fma_f64 v[149:150], v[151:152], v[135:136], v[129:130]
	ds_read2_b64 v[129:132], v128 offset0:101 offset1:102
	ds_read2_b64 v[133:136], v128 offset0:103 offset1:104
	s_waitcnt vmcnt(18) lgkmcnt(1)
	v_fma_f64 v[129:130], v[157:158], v[129:130], v[149:150]
	s_waitcnt vmcnt(17)
	v_fma_f64 v[129:130], v[155:156], v[131:132], v[129:130]
	buffer_load_dword v150, off, s[0:3], 0 offset:388
	buffer_load_dword v151, off, s[0:3], 0 offset:408
	;; [unrolled: 1-line block ×7, first 2 shown]
	s_waitcnt vmcnt(23) lgkmcnt(0)
	v_fma_f64 v[129:130], v[153:154], v[133:134], v[129:130]
	s_waitcnt vmcnt(18)
	v_fma_f64 v[137:138], v[137:138], v[135:136], v[129:130]
	ds_read2_b64 v[129:132], v128 offset0:105 offset1:106
	ds_read2_b64 v[133:136], v128 offset0:107 offset1:108
	buffer_load_dword v152, off, s[0:3], 0 offset:412
	s_waitcnt vmcnt(18) lgkmcnt(1)
	v_fma_f64 v[129:130], v[161:162], v[129:130], v[137:138]
	s_waitcnt vmcnt(17)
	v_fma_f64 v[129:130], v[159:160], v[131:132], v[129:130]
	buffer_load_dword v138, off, s[0:3], 0 offset:420
	buffer_load_dword v153, off, s[0:3], 0 offset:440
	;; [unrolled: 1-line block ×8, first 2 shown]
	s_waitcnt vmcnt(24) lgkmcnt(0)
	v_fma_f64 v[129:130], v[139:140], v[133:134], v[129:130]
	s_waitcnt vmcnt(19)
	v_fma_f64 v[139:140], v[141:142], v[135:136], v[129:130]
	ds_read2_b64 v[129:132], v128 offset0:109 offset1:110
	ds_read2_b64 v[133:136], v128 offset0:111 offset1:112
	s_waitcnt vmcnt(18) lgkmcnt(1)
	v_fma_f64 v[129:130], v[147:148], v[129:130], v[139:140]
	s_waitcnt vmcnt(17)
	v_fma_f64 v[129:130], v[145:146], v[131:132], v[129:130]
	buffer_load_dword v140, off, s[0:3], 0 offset:452
	buffer_load_dword v141, off, s[0:3], 0 offset:472
	;; [unrolled: 1-line block ×7, first 2 shown]
	s_waitcnt vmcnt(23) lgkmcnt(0)
	v_fma_f64 v[129:130], v[143:144], v[133:134], v[129:130]
	s_waitcnt vmcnt(18)
	v_fma_f64 v[142:143], v[149:150], v[135:136], v[129:130]
	ds_read2_b64 v[129:132], v128 offset0:113 offset1:114
	ds_read2_b64 v[133:136], v128 offset0:115 offset1:116
	s_waitcnt vmcnt(17) lgkmcnt(1)
	v_fma_f64 v[129:130], v[157:158], v[129:130], v[142:143]
	buffer_load_dword v142, off, s[0:3], 0 offset:476
	s_waitcnt vmcnt(17)
	v_fma_f64 v[129:130], v[155:156], v[131:132], v[129:130]
	buffer_load_dword v144, off, s[0:3], 0 offset:484
	buffer_load_dword v149, off, s[0:3], 0 offset:496
	;; [unrolled: 1-line block ×6, first 2 shown]
	s_waitcnt vmcnt(22) lgkmcnt(0)
	v_fma_f64 v[129:130], v[151:152], v[133:134], v[129:130]
	s_waitcnt vmcnt(17)
	v_fma_f64 v[137:138], v[137:138], v[135:136], v[129:130]
	ds_read2_b64 v[129:132], v128 offset0:117 offset1:118
	buffer_load_dword v151, off, s[0:3], 0 offset:224
	buffer_load_dword v152, off, s[0:3], 0 offset:228
	ds_read2_b64 v[133:136], v128 offset0:119 offset1:120
	s_waitcnt vmcnt(18) lgkmcnt(1)
	v_fma_f64 v[129:130], v[161:162], v[129:130], v[137:138]
	s_waitcnt vmcnt(17)
	v_fma_f64 v[129:130], v[159:160], v[131:132], v[129:130]
	s_waitcnt vmcnt(16) lgkmcnt(0)
	v_fma_f64 v[129:130], v[153:154], v[133:134], v[129:130]
	s_waitcnt vmcnt(11)
	v_fma_f64 v[137:138], v[139:140], v[135:136], v[129:130]
	ds_read2_b64 v[129:132], v128 offset0:121 offset1:122
	ds_read2_b64 v[133:136], v128 offset0:123 offset1:124
	s_waitcnt vmcnt(10) lgkmcnt(1)
	v_fma_f64 v[129:130], v[147:148], v[129:130], v[137:138]
	s_waitcnt vmcnt(9)
	v_fma_f64 v[129:130], v[145:146], v[131:132], v[129:130]
	s_waitcnt vmcnt(8) lgkmcnt(0)
	v_fma_f64 v[129:130], v[141:142], v[133:134], v[129:130]
	s_waitcnt vmcnt(4)
	v_fma_f64 v[132:133], v[143:144], v[135:136], v[129:130]
	ds_read2_b64 v[128:131], v128 offset0:125 offset1:126
	s_waitcnt vmcnt(3) lgkmcnt(0)
	v_fma_f64 v[128:129], v[155:156], v[128:129], v[132:133]
	s_waitcnt vmcnt(2)
	v_fma_f64 v[128:129], v[149:150], v[130:131], v[128:129]
	s_waitcnt vmcnt(0)
	v_add_f64 v[128:129], v[151:152], -v[128:129]
	buffer_store_dword v129, off, s[0:3], 0 offset:228
	buffer_store_dword v128, off, s[0:3], 0 offset:224
	s_and_saveexec_b64 s[4:5], vcc
	s_cbranch_execz .LBB62_331
; %bb.330:
	buffer_load_dword v128, off, s[0:3], 0 offset:216
	buffer_load_dword v129, off, s[0:3], 0 offset:220
	v_mov_b32_e32 v130, 0
	buffer_store_dword v130, off, s[0:3], 0 offset:216
	buffer_store_dword v130, off, s[0:3], 0 offset:220
	s_waitcnt vmcnt(2)
	ds_write_b64 v127, v[128:129]
.LBB62_331:
	s_or_b64 exec, exec, s[4:5]
	s_waitcnt lgkmcnt(0)
	; wave barrier
	buffer_load_dword v137, off, s[0:3], 0 offset:224
	buffer_load_dword v138, off, s[0:3], 0 offset:228
	;; [unrolled: 1-line block ×21, first 2 shown]
	v_mov_b32_e32 v128, 0
	ds_read_b128 v[129:132], v128 offset:736
	ds_read_b128 v[133:136], v128 offset:752
	buffer_load_dword v154, off, s[0:3], 0 offset:308
	v_cmp_lt_u32_e32 vcc, 26, v0
	s_waitcnt vmcnt(20) lgkmcnt(1)
	v_fma_f64 v[129:130], v[137:138], v[129:130], 0
	s_waitcnt vmcnt(18)
	v_fma_f64 v[129:130], v[139:140], v[131:132], v[129:130]
	buffer_load_dword v138, off, s[0:3], 0 offset:316
	buffer_load_dword v139, off, s[0:3], 0 offset:336
	;; [unrolled: 1-line block ×7, first 2 shown]
	s_waitcnt vmcnt(23) lgkmcnt(0)
	v_fma_f64 v[129:130], v[141:142], v[133:134], v[129:130]
	s_waitcnt vmcnt(21)
	v_fma_f64 v[140:141], v[143:144], v[135:136], v[129:130]
	ds_read_b128 v[129:132], v128 offset:768
	ds_read_b128 v[133:136], v128 offset:784
	s_waitcnt vmcnt(19) lgkmcnt(1)
	v_fma_f64 v[129:130], v[145:146], v[129:130], v[140:141]
	buffer_load_dword v140, off, s[0:3], 0 offset:340
	s_waitcnt vmcnt(18)
	v_fma_f64 v[129:130], v[147:148], v[131:132], v[129:130]
	buffer_load_dword v142, off, s[0:3], 0 offset:348
	buffer_load_dword v143, off, s[0:3], 0 offset:368
	;; [unrolled: 1-line block ×8, first 2 shown]
	s_waitcnt vmcnt(24) lgkmcnt(0)
	v_fma_f64 v[129:130], v[149:150], v[133:134], v[129:130]
	s_waitcnt vmcnt(19)
	v_fma_f64 v[149:150], v[151:152], v[135:136], v[129:130]
	ds_read_b128 v[129:132], v128 offset:800
	ds_read_b128 v[133:136], v128 offset:816
	s_waitcnt vmcnt(18) lgkmcnt(1)
	v_fma_f64 v[129:130], v[157:158], v[129:130], v[149:150]
	s_waitcnt vmcnt(17)
	v_fma_f64 v[129:130], v[155:156], v[131:132], v[129:130]
	buffer_load_dword v150, off, s[0:3], 0 offset:380
	buffer_load_dword v151, off, s[0:3], 0 offset:400
	;; [unrolled: 1-line block ×7, first 2 shown]
	s_waitcnt vmcnt(23) lgkmcnt(0)
	v_fma_f64 v[129:130], v[153:154], v[133:134], v[129:130]
	s_waitcnt vmcnt(18)
	v_fma_f64 v[137:138], v[137:138], v[135:136], v[129:130]
	ds_read_b128 v[129:132], v128 offset:832
	ds_read_b128 v[133:136], v128 offset:848
	buffer_load_dword v152, off, s[0:3], 0 offset:404
	s_waitcnt vmcnt(18) lgkmcnt(1)
	v_fma_f64 v[129:130], v[161:162], v[129:130], v[137:138]
	s_waitcnt vmcnt(17)
	v_fma_f64 v[129:130], v[159:160], v[131:132], v[129:130]
	buffer_load_dword v138, off, s[0:3], 0 offset:412
	buffer_load_dword v153, off, s[0:3], 0 offset:432
	;; [unrolled: 1-line block ×8, first 2 shown]
	s_waitcnt vmcnt(24) lgkmcnt(0)
	v_fma_f64 v[129:130], v[139:140], v[133:134], v[129:130]
	s_waitcnt vmcnt(19)
	v_fma_f64 v[139:140], v[141:142], v[135:136], v[129:130]
	ds_read_b128 v[129:132], v128 offset:864
	ds_read_b128 v[133:136], v128 offset:880
	s_waitcnt vmcnt(18) lgkmcnt(1)
	v_fma_f64 v[129:130], v[147:148], v[129:130], v[139:140]
	s_waitcnt vmcnt(17)
	v_fma_f64 v[129:130], v[145:146], v[131:132], v[129:130]
	buffer_load_dword v140, off, s[0:3], 0 offset:444
	buffer_load_dword v141, off, s[0:3], 0 offset:464
	;; [unrolled: 1-line block ×7, first 2 shown]
	s_waitcnt vmcnt(23) lgkmcnt(0)
	v_fma_f64 v[129:130], v[143:144], v[133:134], v[129:130]
	s_waitcnt vmcnt(18)
	v_fma_f64 v[142:143], v[149:150], v[135:136], v[129:130]
	ds_read_b128 v[129:132], v128 offset:896
	ds_read_b128 v[133:136], v128 offset:912
	s_waitcnt vmcnt(17) lgkmcnt(1)
	v_fma_f64 v[129:130], v[157:158], v[129:130], v[142:143]
	buffer_load_dword v142, off, s[0:3], 0 offset:468
	s_waitcnt vmcnt(17)
	v_fma_f64 v[129:130], v[155:156], v[131:132], v[129:130]
	buffer_load_dword v144, off, s[0:3], 0 offset:476
	buffer_load_dword v149, off, s[0:3], 0 offset:496
	;; [unrolled: 1-line block ×8, first 2 shown]
	s_waitcnt vmcnt(24) lgkmcnt(0)
	v_fma_f64 v[129:130], v[151:152], v[133:134], v[129:130]
	s_waitcnt vmcnt(19)
	v_fma_f64 v[137:138], v[137:138], v[135:136], v[129:130]
	ds_read_b128 v[129:132], v128 offset:928
	ds_read_b128 v[133:136], v128 offset:944
	s_waitcnt vmcnt(18) lgkmcnt(1)
	v_fma_f64 v[129:130], v[161:162], v[129:130], v[137:138]
	buffer_load_dword v137, off, s[0:3], 0 offset:216
	buffer_load_dword v138, off, s[0:3], 0 offset:220
	s_waitcnt vmcnt(19)
	v_fma_f64 v[129:130], v[159:160], v[131:132], v[129:130]
	s_waitcnt vmcnt(18) lgkmcnt(0)
	v_fma_f64 v[129:130], v[153:154], v[133:134], v[129:130]
	s_waitcnt vmcnt(13)
	v_fma_f64 v[139:140], v[139:140], v[135:136], v[129:130]
	ds_read_b128 v[129:132], v128 offset:960
	ds_read_b128 v[133:136], v128 offset:976
	s_waitcnt vmcnt(12) lgkmcnt(1)
	v_fma_f64 v[129:130], v[147:148], v[129:130], v[139:140]
	s_waitcnt vmcnt(11)
	v_fma_f64 v[129:130], v[145:146], v[131:132], v[129:130]
	s_waitcnt vmcnt(10) lgkmcnt(0)
	v_fma_f64 v[129:130], v[141:142], v[133:134], v[129:130]
	s_waitcnt vmcnt(5)
	v_fma_f64 v[133:134], v[143:144], v[135:136], v[129:130]
	ds_read_b128 v[129:132], v128 offset:992
	ds_read_b64 v[135:136], v128 offset:1008
	s_waitcnt vmcnt(4) lgkmcnt(1)
	v_fma_f64 v[129:130], v[157:158], v[129:130], v[133:134]
	s_waitcnt vmcnt(3)
	v_fma_f64 v[129:130], v[155:156], v[131:132], v[129:130]
	s_waitcnt vmcnt(2) lgkmcnt(0)
	v_fma_f64 v[129:130], v[149:150], v[135:136], v[129:130]
	s_waitcnt vmcnt(0)
	v_add_f64 v[129:130], v[137:138], -v[129:130]
	buffer_store_dword v130, off, s[0:3], 0 offset:220
	buffer_store_dword v129, off, s[0:3], 0 offset:216
	s_and_saveexec_b64 s[4:5], vcc
	s_cbranch_execz .LBB62_333
; %bb.332:
	buffer_load_dword v129, off, s[0:3], 0 offset:208
	buffer_load_dword v130, off, s[0:3], 0 offset:212
	s_waitcnt vmcnt(0)
	ds_write_b64 v127, v[129:130]
	buffer_store_dword v128, off, s[0:3], 0 offset:208
	buffer_store_dword v128, off, s[0:3], 0 offset:212
.LBB62_333:
	s_or_b64 exec, exec, s[4:5]
	s_waitcnt lgkmcnt(0)
	; wave barrier
	buffer_load_dword v137, off, s[0:3], 0 offset:216
	buffer_load_dword v138, off, s[0:3], 0 offset:220
	;; [unrolled: 1-line block ×21, first 2 shown]
	ds_read2_b64 v[129:132], v128 offset0:91 offset1:92
	ds_read2_b64 v[133:136], v128 offset0:93 offset1:94
	buffer_load_dword v154, off, s[0:3], 0 offset:300
	v_cmp_lt_u32_e32 vcc, 25, v0
	s_waitcnt vmcnt(20) lgkmcnt(1)
	v_fma_f64 v[129:130], v[137:138], v[129:130], 0
	s_waitcnt vmcnt(18)
	v_fma_f64 v[129:130], v[139:140], v[131:132], v[129:130]
	buffer_load_dword v138, off, s[0:3], 0 offset:308
	buffer_load_dword v139, off, s[0:3], 0 offset:328
	buffer_load_dword v159, off, s[0:3], 0 offset:320
	buffer_load_dword v161, off, s[0:3], 0 offset:312
	buffer_load_dword v137, off, s[0:3], 0 offset:304
	buffer_load_dword v162, off, s[0:3], 0 offset:316
	buffer_load_dword v160, off, s[0:3], 0 offset:324
	s_waitcnt vmcnt(23) lgkmcnt(0)
	v_fma_f64 v[129:130], v[141:142], v[133:134], v[129:130]
	s_waitcnt vmcnt(21)
	v_fma_f64 v[140:141], v[143:144], v[135:136], v[129:130]
	ds_read2_b64 v[129:132], v128 offset0:95 offset1:96
	ds_read2_b64 v[133:136], v128 offset0:97 offset1:98
	s_waitcnt vmcnt(19) lgkmcnt(1)
	v_fma_f64 v[129:130], v[145:146], v[129:130], v[140:141]
	buffer_load_dword v140, off, s[0:3], 0 offset:332
	s_waitcnt vmcnt(18)
	v_fma_f64 v[129:130], v[147:148], v[131:132], v[129:130]
	buffer_load_dword v142, off, s[0:3], 0 offset:340
	buffer_load_dword v143, off, s[0:3], 0 offset:360
	;; [unrolled: 1-line block ×8, first 2 shown]
	s_waitcnt vmcnt(24) lgkmcnt(0)
	v_fma_f64 v[129:130], v[149:150], v[133:134], v[129:130]
	s_waitcnt vmcnt(19)
	v_fma_f64 v[149:150], v[151:152], v[135:136], v[129:130]
	ds_read2_b64 v[129:132], v128 offset0:99 offset1:100
	ds_read2_b64 v[133:136], v128 offset0:101 offset1:102
	s_waitcnt vmcnt(18) lgkmcnt(1)
	v_fma_f64 v[129:130], v[157:158], v[129:130], v[149:150]
	s_waitcnt vmcnt(17)
	v_fma_f64 v[129:130], v[155:156], v[131:132], v[129:130]
	buffer_load_dword v150, off, s[0:3], 0 offset:372
	buffer_load_dword v151, off, s[0:3], 0 offset:392
	;; [unrolled: 1-line block ×7, first 2 shown]
	s_waitcnt vmcnt(23) lgkmcnt(0)
	v_fma_f64 v[129:130], v[153:154], v[133:134], v[129:130]
	s_waitcnt vmcnt(18)
	v_fma_f64 v[137:138], v[137:138], v[135:136], v[129:130]
	ds_read2_b64 v[129:132], v128 offset0:103 offset1:104
	ds_read2_b64 v[133:136], v128 offset0:105 offset1:106
	buffer_load_dword v152, off, s[0:3], 0 offset:396
	s_waitcnt vmcnt(18) lgkmcnt(1)
	v_fma_f64 v[129:130], v[161:162], v[129:130], v[137:138]
	s_waitcnt vmcnt(17)
	v_fma_f64 v[129:130], v[159:160], v[131:132], v[129:130]
	buffer_load_dword v138, off, s[0:3], 0 offset:404
	buffer_load_dword v153, off, s[0:3], 0 offset:424
	;; [unrolled: 1-line block ×8, first 2 shown]
	s_waitcnt vmcnt(24) lgkmcnt(0)
	v_fma_f64 v[129:130], v[139:140], v[133:134], v[129:130]
	s_waitcnt vmcnt(19)
	v_fma_f64 v[139:140], v[141:142], v[135:136], v[129:130]
	ds_read2_b64 v[129:132], v128 offset0:107 offset1:108
	ds_read2_b64 v[133:136], v128 offset0:109 offset1:110
	s_waitcnt vmcnt(18) lgkmcnt(1)
	v_fma_f64 v[129:130], v[147:148], v[129:130], v[139:140]
	s_waitcnt vmcnt(17)
	v_fma_f64 v[129:130], v[145:146], v[131:132], v[129:130]
	buffer_load_dword v140, off, s[0:3], 0 offset:436
	buffer_load_dword v141, off, s[0:3], 0 offset:456
	;; [unrolled: 1-line block ×7, first 2 shown]
	s_waitcnt vmcnt(23) lgkmcnt(0)
	v_fma_f64 v[129:130], v[143:144], v[133:134], v[129:130]
	s_waitcnt vmcnt(18)
	v_fma_f64 v[142:143], v[149:150], v[135:136], v[129:130]
	ds_read2_b64 v[129:132], v128 offset0:111 offset1:112
	ds_read2_b64 v[133:136], v128 offset0:113 offset1:114
	s_waitcnt vmcnt(17) lgkmcnt(1)
	v_fma_f64 v[129:130], v[157:158], v[129:130], v[142:143]
	buffer_load_dword v142, off, s[0:3], 0 offset:460
	s_waitcnt vmcnt(17)
	v_fma_f64 v[129:130], v[155:156], v[131:132], v[129:130]
	buffer_load_dword v144, off, s[0:3], 0 offset:468
	buffer_load_dword v149, off, s[0:3], 0 offset:488
	buffer_load_dword v155, off, s[0:3], 0 offset:480
	buffer_load_dword v157, off, s[0:3], 0 offset:472
	buffer_load_dword v143, off, s[0:3], 0 offset:464
	buffer_load_dword v158, off, s[0:3], 0 offset:476
	buffer_load_dword v156, off, s[0:3], 0 offset:484
	buffer_load_dword v150, off, s[0:3], 0 offset:492
	s_waitcnt vmcnt(24) lgkmcnt(0)
	v_fma_f64 v[129:130], v[151:152], v[133:134], v[129:130]
	s_waitcnt vmcnt(19)
	v_fma_f64 v[137:138], v[137:138], v[135:136], v[129:130]
	ds_read2_b64 v[129:132], v128 offset0:115 offset1:116
	ds_read2_b64 v[133:136], v128 offset0:117 offset1:118
	s_waitcnt vmcnt(18) lgkmcnt(1)
	v_fma_f64 v[129:130], v[161:162], v[129:130], v[137:138]
	buffer_load_dword v138, off, s[0:3], 0 offset:500
	buffer_load_dword v137, off, s[0:3], 0 offset:496
	;; [unrolled: 1-line block ×4, first 2 shown]
	s_waitcnt vmcnt(21)
	v_fma_f64 v[129:130], v[159:160], v[131:132], v[129:130]
	s_waitcnt vmcnt(20) lgkmcnt(0)
	v_fma_f64 v[129:130], v[153:154], v[133:134], v[129:130]
	s_waitcnt vmcnt(15)
	v_fma_f64 v[139:140], v[139:140], v[135:136], v[129:130]
	ds_read2_b64 v[129:132], v128 offset0:119 offset1:120
	ds_read2_b64 v[133:136], v128 offset0:121 offset1:122
	s_waitcnt vmcnt(14) lgkmcnt(1)
	v_fma_f64 v[129:130], v[147:148], v[129:130], v[139:140]
	s_waitcnt vmcnt(13)
	v_fma_f64 v[129:130], v[145:146], v[131:132], v[129:130]
	s_waitcnt vmcnt(12) lgkmcnt(0)
	v_fma_f64 v[129:130], v[141:142], v[133:134], v[129:130]
	s_waitcnt vmcnt(7)
	v_fma_f64 v[139:140], v[143:144], v[135:136], v[129:130]
	ds_read2_b64 v[129:132], v128 offset0:123 offset1:124
	ds_read2_b64 v[133:136], v128 offset0:125 offset1:126
	s_waitcnt vmcnt(6) lgkmcnt(1)
	v_fma_f64 v[128:129], v[157:158], v[129:130], v[139:140]
	s_waitcnt vmcnt(5)
	v_fma_f64 v[128:129], v[155:156], v[131:132], v[128:129]
	s_waitcnt vmcnt(4) lgkmcnt(0)
	v_fma_f64 v[128:129], v[149:150], v[133:134], v[128:129]
	s_waitcnt vmcnt(2)
	v_fma_f64 v[128:129], v[137:138], v[135:136], v[128:129]
	s_waitcnt vmcnt(0)
	v_add_f64 v[128:129], v[151:152], -v[128:129]
	buffer_store_dword v129, off, s[0:3], 0 offset:212
	buffer_store_dword v128, off, s[0:3], 0 offset:208
	s_and_saveexec_b64 s[4:5], vcc
	s_cbranch_execz .LBB62_335
; %bb.334:
	buffer_load_dword v128, off, s[0:3], 0 offset:200
	buffer_load_dword v129, off, s[0:3], 0 offset:204
	v_mov_b32_e32 v130, 0
	buffer_store_dword v130, off, s[0:3], 0 offset:200
	buffer_store_dword v130, off, s[0:3], 0 offset:204
	s_waitcnt vmcnt(2)
	ds_write_b64 v127, v[128:129]
.LBB62_335:
	s_or_b64 exec, exec, s[4:5]
	s_waitcnt lgkmcnt(0)
	; wave barrier
	buffer_load_dword v137, off, s[0:3], 0 offset:208
	buffer_load_dword v138, off, s[0:3], 0 offset:212
	;; [unrolled: 1-line block ×21, first 2 shown]
	v_mov_b32_e32 v128, 0
	ds_read_b128 v[129:132], v128 offset:720
	ds_read_b128 v[133:136], v128 offset:736
	buffer_load_dword v154, off, s[0:3], 0 offset:292
	v_cmp_lt_u32_e32 vcc, 24, v0
	s_waitcnt vmcnt(20) lgkmcnt(1)
	v_fma_f64 v[129:130], v[137:138], v[129:130], 0
	s_waitcnt vmcnt(18)
	v_fma_f64 v[129:130], v[139:140], v[131:132], v[129:130]
	buffer_load_dword v138, off, s[0:3], 0 offset:300
	buffer_load_dword v139, off, s[0:3], 0 offset:320
	;; [unrolled: 1-line block ×7, first 2 shown]
	s_waitcnt vmcnt(23) lgkmcnt(0)
	v_fma_f64 v[129:130], v[141:142], v[133:134], v[129:130]
	s_waitcnt vmcnt(21)
	v_fma_f64 v[140:141], v[143:144], v[135:136], v[129:130]
	ds_read_b128 v[129:132], v128 offset:752
	ds_read_b128 v[133:136], v128 offset:768
	s_waitcnt vmcnt(19) lgkmcnt(1)
	v_fma_f64 v[129:130], v[145:146], v[129:130], v[140:141]
	buffer_load_dword v140, off, s[0:3], 0 offset:324
	s_waitcnt vmcnt(18)
	v_fma_f64 v[129:130], v[147:148], v[131:132], v[129:130]
	buffer_load_dword v142, off, s[0:3], 0 offset:332
	buffer_load_dword v143, off, s[0:3], 0 offset:352
	;; [unrolled: 1-line block ×8, first 2 shown]
	s_waitcnt vmcnt(24) lgkmcnt(0)
	v_fma_f64 v[129:130], v[149:150], v[133:134], v[129:130]
	s_waitcnt vmcnt(19)
	v_fma_f64 v[149:150], v[151:152], v[135:136], v[129:130]
	ds_read_b128 v[129:132], v128 offset:784
	ds_read_b128 v[133:136], v128 offset:800
	s_waitcnt vmcnt(18) lgkmcnt(1)
	v_fma_f64 v[129:130], v[157:158], v[129:130], v[149:150]
	s_waitcnt vmcnt(17)
	v_fma_f64 v[129:130], v[155:156], v[131:132], v[129:130]
	buffer_load_dword v150, off, s[0:3], 0 offset:364
	buffer_load_dword v151, off, s[0:3], 0 offset:384
	;; [unrolled: 1-line block ×7, first 2 shown]
	s_waitcnt vmcnt(23) lgkmcnt(0)
	v_fma_f64 v[129:130], v[153:154], v[133:134], v[129:130]
	s_waitcnt vmcnt(18)
	v_fma_f64 v[137:138], v[137:138], v[135:136], v[129:130]
	ds_read_b128 v[129:132], v128 offset:816
	ds_read_b128 v[133:136], v128 offset:832
	buffer_load_dword v152, off, s[0:3], 0 offset:388
	s_waitcnt vmcnt(18) lgkmcnt(1)
	v_fma_f64 v[129:130], v[161:162], v[129:130], v[137:138]
	s_waitcnt vmcnt(17)
	v_fma_f64 v[129:130], v[159:160], v[131:132], v[129:130]
	buffer_load_dword v138, off, s[0:3], 0 offset:396
	buffer_load_dword v153, off, s[0:3], 0 offset:416
	;; [unrolled: 1-line block ×7, first 2 shown]
	s_waitcnt vmcnt(23) lgkmcnt(0)
	v_fma_f64 v[129:130], v[139:140], v[133:134], v[129:130]
	s_waitcnt vmcnt(18)
	v_fma_f64 v[139:140], v[141:142], v[135:136], v[129:130]
	ds_read_b128 v[129:132], v128 offset:848
	ds_read_b128 v[133:136], v128 offset:864
	buffer_load_dword v154, off, s[0:3], 0 offset:420
	s_waitcnt vmcnt(18) lgkmcnt(1)
	v_fma_f64 v[129:130], v[147:148], v[129:130], v[139:140]
	s_waitcnt vmcnt(17)
	v_fma_f64 v[129:130], v[145:146], v[131:132], v[129:130]
	buffer_load_dword v140, off, s[0:3], 0 offset:428
	buffer_load_dword v141, off, s[0:3], 0 offset:448
	;; [unrolled: 1-line block ×7, first 2 shown]
	s_waitcnt vmcnt(23) lgkmcnt(0)
	v_fma_f64 v[129:130], v[143:144], v[133:134], v[129:130]
	s_waitcnt vmcnt(18)
	v_fma_f64 v[142:143], v[149:150], v[135:136], v[129:130]
	ds_read_b128 v[129:132], v128 offset:880
	ds_read_b128 v[133:136], v128 offset:896
	s_waitcnt vmcnt(17) lgkmcnt(1)
	v_fma_f64 v[129:130], v[157:158], v[129:130], v[142:143]
	buffer_load_dword v142, off, s[0:3], 0 offset:452
	s_waitcnt vmcnt(17)
	v_fma_f64 v[129:130], v[155:156], v[131:132], v[129:130]
	buffer_load_dword v144, off, s[0:3], 0 offset:460
	buffer_load_dword v149, off, s[0:3], 0 offset:480
	;; [unrolled: 1-line block ×7, first 2 shown]
	s_waitcnt vmcnt(23) lgkmcnt(0)
	v_fma_f64 v[129:130], v[151:152], v[133:134], v[129:130]
	s_waitcnt vmcnt(18)
	v_fma_f64 v[137:138], v[137:138], v[135:136], v[129:130]
	ds_read_b128 v[129:132], v128 offset:912
	ds_read_b128 v[133:136], v128 offset:928
	buffer_load_dword v150, off, s[0:3], 0 offset:484
	s_waitcnt vmcnt(18) lgkmcnt(1)
	v_fma_f64 v[129:130], v[161:162], v[129:130], v[137:138]
	buffer_load_dword v138, off, s[0:3], 0 offset:492
	buffer_load_dword v151, off, s[0:3], 0 offset:496
	;; [unrolled: 1-line block ×4, first 2 shown]
	s_waitcnt vmcnt(21)
	v_fma_f64 v[129:130], v[159:160], v[131:132], v[129:130]
	s_waitcnt vmcnt(20) lgkmcnt(0)
	v_fma_f64 v[129:130], v[153:154], v[133:134], v[129:130]
	buffer_load_dword v153, off, s[0:3], 0 offset:200
	buffer_load_dword v154, off, s[0:3], 0 offset:204
	s_waitcnt vmcnt(17)
	v_fma_f64 v[139:140], v[139:140], v[135:136], v[129:130]
	ds_read_b128 v[129:132], v128 offset:944
	ds_read_b128 v[133:136], v128 offset:960
	s_waitcnt vmcnt(16) lgkmcnt(1)
	v_fma_f64 v[129:130], v[147:148], v[129:130], v[139:140]
	s_waitcnt vmcnt(15)
	v_fma_f64 v[129:130], v[145:146], v[131:132], v[129:130]
	s_waitcnt vmcnt(14) lgkmcnt(0)
	v_fma_f64 v[129:130], v[141:142], v[133:134], v[129:130]
	s_waitcnt vmcnt(9)
	v_fma_f64 v[139:140], v[143:144], v[135:136], v[129:130]
	ds_read_b128 v[129:132], v128 offset:976
	ds_read_b128 v[133:136], v128 offset:992
	s_waitcnt vmcnt(8) lgkmcnt(1)
	v_fma_f64 v[129:130], v[157:158], v[129:130], v[139:140]
	s_waitcnt vmcnt(7)
	v_fma_f64 v[129:130], v[155:156], v[131:132], v[129:130]
	ds_read_b64 v[131:132], v128 offset:1008
	s_waitcnt vmcnt(6) lgkmcnt(1)
	v_fma_f64 v[129:130], v[149:150], v[133:134], v[129:130]
	s_waitcnt vmcnt(3)
	v_fma_f64 v[129:130], v[137:138], v[135:136], v[129:130]
	s_waitcnt vmcnt(2) lgkmcnt(0)
	v_fma_f64 v[129:130], v[151:152], v[131:132], v[129:130]
	s_waitcnt vmcnt(0)
	v_add_f64 v[129:130], v[153:154], -v[129:130]
	buffer_store_dword v130, off, s[0:3], 0 offset:204
	buffer_store_dword v129, off, s[0:3], 0 offset:200
	s_and_saveexec_b64 s[4:5], vcc
	s_cbranch_execz .LBB62_337
; %bb.336:
	buffer_load_dword v129, off, s[0:3], 0 offset:192
	buffer_load_dword v130, off, s[0:3], 0 offset:196
	s_waitcnt vmcnt(0)
	ds_write_b64 v127, v[129:130]
	buffer_store_dword v128, off, s[0:3], 0 offset:192
	buffer_store_dword v128, off, s[0:3], 0 offset:196
.LBB62_337:
	s_or_b64 exec, exec, s[4:5]
	s_waitcnt lgkmcnt(0)
	; wave barrier
	buffer_load_dword v137, off, s[0:3], 0 offset:200
	buffer_load_dword v138, off, s[0:3], 0 offset:204
	buffer_load_dword v139, off, s[0:3], 0 offset:208
	buffer_load_dword v140, off, s[0:3], 0 offset:212
	buffer_load_dword v141, off, s[0:3], 0 offset:216
	buffer_load_dword v142, off, s[0:3], 0 offset:220
	buffer_load_dword v143, off, s[0:3], 0 offset:224
	buffer_load_dword v144, off, s[0:3], 0 offset:228
	buffer_load_dword v145, off, s[0:3], 0 offset:232
	buffer_load_dword v146, off, s[0:3], 0 offset:236
	buffer_load_dword v147, off, s[0:3], 0 offset:240
	buffer_load_dword v148, off, s[0:3], 0 offset:244
	buffer_load_dword v149, off, s[0:3], 0 offset:248
	buffer_load_dword v150, off, s[0:3], 0 offset:252
	buffer_load_dword v152, off, s[0:3], 0 offset:260
	buffer_load_dword v153, off, s[0:3], 0 offset:280
	buffer_load_dword v155, off, s[0:3], 0 offset:272
	buffer_load_dword v157, off, s[0:3], 0 offset:264
	buffer_load_dword v151, off, s[0:3], 0 offset:256
	buffer_load_dword v158, off, s[0:3], 0 offset:268
	buffer_load_dword v156, off, s[0:3], 0 offset:276
	buffer_load_dword v154, off, s[0:3], 0 offset:284
	ds_read2_b64 v[129:132], v128 offset0:89 offset1:90
	ds_read2_b64 v[133:136], v128 offset0:91 offset1:92
	v_cmp_lt_u32_e32 vcc, 23, v0
	s_waitcnt vmcnt(20) lgkmcnt(1)
	v_fma_f64 v[129:130], v[137:138], v[129:130], 0
	s_waitcnt vmcnt(18)
	v_fma_f64 v[129:130], v[139:140], v[131:132], v[129:130]
	buffer_load_dword v138, off, s[0:3], 0 offset:292
	buffer_load_dword v139, off, s[0:3], 0 offset:312
	;; [unrolled: 1-line block ×7, first 2 shown]
	s_waitcnt vmcnt(23) lgkmcnt(0)
	v_fma_f64 v[129:130], v[141:142], v[133:134], v[129:130]
	s_waitcnt vmcnt(21)
	v_fma_f64 v[140:141], v[143:144], v[135:136], v[129:130]
	ds_read2_b64 v[129:132], v128 offset0:93 offset1:94
	ds_read2_b64 v[133:136], v128 offset0:95 offset1:96
	s_waitcnt vmcnt(19) lgkmcnt(1)
	v_fma_f64 v[129:130], v[145:146], v[129:130], v[140:141]
	buffer_load_dword v140, off, s[0:3], 0 offset:316
	s_waitcnt vmcnt(18)
	v_fma_f64 v[129:130], v[147:148], v[131:132], v[129:130]
	buffer_load_dword v142, off, s[0:3], 0 offset:324
	buffer_load_dword v143, off, s[0:3], 0 offset:344
	buffer_load_dword v145, off, s[0:3], 0 offset:336
	buffer_load_dword v147, off, s[0:3], 0 offset:328
	buffer_load_dword v141, off, s[0:3], 0 offset:320
	buffer_load_dword v148, off, s[0:3], 0 offset:332
	buffer_load_dword v146, off, s[0:3], 0 offset:340
	buffer_load_dword v144, off, s[0:3], 0 offset:348
	s_waitcnt vmcnt(24) lgkmcnt(0)
	v_fma_f64 v[129:130], v[149:150], v[133:134], v[129:130]
	s_waitcnt vmcnt(19)
	v_fma_f64 v[149:150], v[151:152], v[135:136], v[129:130]
	ds_read2_b64 v[129:132], v128 offset0:97 offset1:98
	ds_read2_b64 v[133:136], v128 offset0:99 offset1:100
	s_waitcnt vmcnt(18) lgkmcnt(1)
	v_fma_f64 v[129:130], v[157:158], v[129:130], v[149:150]
	s_waitcnt vmcnt(17)
	v_fma_f64 v[129:130], v[155:156], v[131:132], v[129:130]
	buffer_load_dword v150, off, s[0:3], 0 offset:356
	buffer_load_dword v151, off, s[0:3], 0 offset:376
	;; [unrolled: 1-line block ×8, first 2 shown]
	s_waitcnt vmcnt(24) lgkmcnt(0)
	v_fma_f64 v[129:130], v[153:154], v[133:134], v[129:130]
	s_waitcnt vmcnt(19)
	v_fma_f64 v[137:138], v[137:138], v[135:136], v[129:130]
	ds_read2_b64 v[129:132], v128 offset0:101 offset1:102
	ds_read2_b64 v[133:136], v128 offset0:103 offset1:104
	s_waitcnt vmcnt(18) lgkmcnt(1)
	v_fma_f64 v[129:130], v[161:162], v[129:130], v[137:138]
	s_waitcnt vmcnt(17)
	v_fma_f64 v[129:130], v[159:160], v[131:132], v[129:130]
	buffer_load_dword v138, off, s[0:3], 0 offset:388
	buffer_load_dword v153, off, s[0:3], 0 offset:408
	;; [unrolled: 1-line block ×7, first 2 shown]
	s_waitcnt vmcnt(23) lgkmcnt(0)
	v_fma_f64 v[129:130], v[139:140], v[133:134], v[129:130]
	s_waitcnt vmcnt(18)
	v_fma_f64 v[139:140], v[141:142], v[135:136], v[129:130]
	ds_read2_b64 v[129:132], v128 offset0:105 offset1:106
	ds_read2_b64 v[133:136], v128 offset0:107 offset1:108
	buffer_load_dword v154, off, s[0:3], 0 offset:412
	s_waitcnt vmcnt(18) lgkmcnt(1)
	v_fma_f64 v[129:130], v[147:148], v[129:130], v[139:140]
	s_waitcnt vmcnt(17)
	v_fma_f64 v[129:130], v[145:146], v[131:132], v[129:130]
	buffer_load_dword v140, off, s[0:3], 0 offset:420
	buffer_load_dword v141, off, s[0:3], 0 offset:440
	;; [unrolled: 1-line block ×7, first 2 shown]
	s_waitcnt vmcnt(23) lgkmcnt(0)
	v_fma_f64 v[129:130], v[143:144], v[133:134], v[129:130]
	s_waitcnt vmcnt(18)
	v_fma_f64 v[142:143], v[149:150], v[135:136], v[129:130]
	ds_read2_b64 v[129:132], v128 offset0:109 offset1:110
	ds_read2_b64 v[133:136], v128 offset0:111 offset1:112
	s_waitcnt vmcnt(17) lgkmcnt(1)
	v_fma_f64 v[129:130], v[157:158], v[129:130], v[142:143]
	buffer_load_dword v142, off, s[0:3], 0 offset:444
	s_waitcnt vmcnt(17)
	v_fma_f64 v[129:130], v[155:156], v[131:132], v[129:130]
	buffer_load_dword v144, off, s[0:3], 0 offset:452
	buffer_load_dword v149, off, s[0:3], 0 offset:472
	;; [unrolled: 1-line block ×8, first 2 shown]
	s_waitcnt vmcnt(24) lgkmcnt(0)
	v_fma_f64 v[129:130], v[151:152], v[133:134], v[129:130]
	s_waitcnt vmcnt(19)
	v_fma_f64 v[137:138], v[137:138], v[135:136], v[129:130]
	ds_read2_b64 v[129:132], v128 offset0:113 offset1:114
	ds_read2_b64 v[133:136], v128 offset0:115 offset1:116
	s_waitcnt vmcnt(18) lgkmcnt(1)
	v_fma_f64 v[129:130], v[161:162], v[129:130], v[137:138]
	s_waitcnt vmcnt(17)
	v_fma_f64 v[129:130], v[159:160], v[131:132], v[129:130]
	buffer_load_dword v138, off, s[0:3], 0 offset:484
	buffer_load_dword v151, off, s[0:3], 0 offset:496
	;; [unrolled: 1-line block ×6, first 2 shown]
	s_waitcnt vmcnt(22) lgkmcnt(0)
	v_fma_f64 v[129:130], v[153:154], v[133:134], v[129:130]
	s_waitcnt vmcnt(17)
	v_fma_f64 v[139:140], v[139:140], v[135:136], v[129:130]
	ds_read2_b64 v[129:132], v128 offset0:117 offset1:118
	buffer_load_dword v153, off, s[0:3], 0 offset:192
	buffer_load_dword v154, off, s[0:3], 0 offset:196
	ds_read2_b64 v[133:136], v128 offset0:119 offset1:120
	s_waitcnt vmcnt(18) lgkmcnt(1)
	v_fma_f64 v[129:130], v[147:148], v[129:130], v[139:140]
	s_waitcnt vmcnt(17)
	v_fma_f64 v[129:130], v[145:146], v[131:132], v[129:130]
	s_waitcnt vmcnt(16) lgkmcnt(0)
	v_fma_f64 v[129:130], v[141:142], v[133:134], v[129:130]
	s_waitcnt vmcnt(11)
	v_fma_f64 v[139:140], v[143:144], v[135:136], v[129:130]
	ds_read2_b64 v[129:132], v128 offset0:121 offset1:122
	ds_read2_b64 v[133:136], v128 offset0:123 offset1:124
	s_waitcnt vmcnt(10) lgkmcnt(1)
	v_fma_f64 v[129:130], v[157:158], v[129:130], v[139:140]
	s_waitcnt vmcnt(9)
	v_fma_f64 v[129:130], v[155:156], v[131:132], v[129:130]
	s_waitcnt vmcnt(8) lgkmcnt(0)
	v_fma_f64 v[129:130], v[149:150], v[133:134], v[129:130]
	s_waitcnt vmcnt(4)
	v_fma_f64 v[132:133], v[137:138], v[135:136], v[129:130]
	ds_read2_b64 v[128:131], v128 offset0:125 offset1:126
	s_waitcnt vmcnt(3) lgkmcnt(0)
	v_fma_f64 v[128:129], v[159:160], v[128:129], v[132:133]
	s_waitcnt vmcnt(2)
	v_fma_f64 v[128:129], v[151:152], v[130:131], v[128:129]
	s_waitcnt vmcnt(0)
	v_add_f64 v[128:129], v[153:154], -v[128:129]
	buffer_store_dword v129, off, s[0:3], 0 offset:196
	buffer_store_dword v128, off, s[0:3], 0 offset:192
	s_and_saveexec_b64 s[4:5], vcc
	s_cbranch_execz .LBB62_339
; %bb.338:
	buffer_load_dword v128, off, s[0:3], 0 offset:184
	buffer_load_dword v129, off, s[0:3], 0 offset:188
	v_mov_b32_e32 v130, 0
	buffer_store_dword v130, off, s[0:3], 0 offset:184
	buffer_store_dword v130, off, s[0:3], 0 offset:188
	s_waitcnt vmcnt(2)
	ds_write_b64 v127, v[128:129]
.LBB62_339:
	s_or_b64 exec, exec, s[4:5]
	s_waitcnt lgkmcnt(0)
	; wave barrier
	buffer_load_dword v137, off, s[0:3], 0 offset:192
	buffer_load_dword v138, off, s[0:3], 0 offset:196
	;; [unrolled: 1-line block ×22, first 2 shown]
	v_mov_b32_e32 v128, 0
	ds_read_b128 v[129:132], v128 offset:704
	ds_read_b128 v[133:136], v128 offset:720
	v_cmp_lt_u32_e32 vcc, 22, v0
	s_waitcnt vmcnt(20) lgkmcnt(1)
	v_fma_f64 v[129:130], v[137:138], v[129:130], 0
	s_waitcnt vmcnt(18)
	v_fma_f64 v[129:130], v[139:140], v[131:132], v[129:130]
	buffer_load_dword v138, off, s[0:3], 0 offset:284
	buffer_load_dword v139, off, s[0:3], 0 offset:304
	;; [unrolled: 1-line block ×7, first 2 shown]
	s_waitcnt vmcnt(23) lgkmcnt(0)
	v_fma_f64 v[129:130], v[141:142], v[133:134], v[129:130]
	s_waitcnt vmcnt(21)
	v_fma_f64 v[140:141], v[143:144], v[135:136], v[129:130]
	ds_read_b128 v[129:132], v128 offset:736
	ds_read_b128 v[133:136], v128 offset:752
	s_waitcnt vmcnt(19) lgkmcnt(1)
	v_fma_f64 v[129:130], v[145:146], v[129:130], v[140:141]
	buffer_load_dword v140, off, s[0:3], 0 offset:308
	s_waitcnt vmcnt(18)
	v_fma_f64 v[129:130], v[147:148], v[131:132], v[129:130]
	buffer_load_dword v142, off, s[0:3], 0 offset:316
	buffer_load_dword v143, off, s[0:3], 0 offset:336
	;; [unrolled: 1-line block ×8, first 2 shown]
	s_waitcnt vmcnt(24) lgkmcnt(0)
	v_fma_f64 v[129:130], v[149:150], v[133:134], v[129:130]
	s_waitcnt vmcnt(19)
	v_fma_f64 v[149:150], v[151:152], v[135:136], v[129:130]
	ds_read_b128 v[129:132], v128 offset:768
	ds_read_b128 v[133:136], v128 offset:784
	s_waitcnt vmcnt(18) lgkmcnt(1)
	v_fma_f64 v[129:130], v[157:158], v[129:130], v[149:150]
	s_waitcnt vmcnt(17)
	v_fma_f64 v[129:130], v[155:156], v[131:132], v[129:130]
	buffer_load_dword v150, off, s[0:3], 0 offset:348
	buffer_load_dword v151, off, s[0:3], 0 offset:368
	;; [unrolled: 1-line block ×8, first 2 shown]
	s_waitcnt vmcnt(24) lgkmcnt(0)
	v_fma_f64 v[129:130], v[153:154], v[133:134], v[129:130]
	s_waitcnt vmcnt(19)
	v_fma_f64 v[137:138], v[137:138], v[135:136], v[129:130]
	ds_read_b128 v[129:132], v128 offset:800
	ds_read_b128 v[133:136], v128 offset:816
	s_waitcnt vmcnt(18) lgkmcnt(1)
	v_fma_f64 v[129:130], v[161:162], v[129:130], v[137:138]
	s_waitcnt vmcnt(17)
	v_fma_f64 v[129:130], v[159:160], v[131:132], v[129:130]
	buffer_load_dword v138, off, s[0:3], 0 offset:380
	buffer_load_dword v153, off, s[0:3], 0 offset:400
	;; [unrolled: 1-line block ×7, first 2 shown]
	s_waitcnt vmcnt(23) lgkmcnt(0)
	v_fma_f64 v[129:130], v[139:140], v[133:134], v[129:130]
	s_waitcnt vmcnt(18)
	v_fma_f64 v[139:140], v[141:142], v[135:136], v[129:130]
	ds_read_b128 v[129:132], v128 offset:832
	ds_read_b128 v[133:136], v128 offset:848
	buffer_load_dword v154, off, s[0:3], 0 offset:404
	s_waitcnt vmcnt(18) lgkmcnt(1)
	v_fma_f64 v[129:130], v[147:148], v[129:130], v[139:140]
	s_waitcnt vmcnt(17)
	v_fma_f64 v[129:130], v[145:146], v[131:132], v[129:130]
	buffer_load_dword v140, off, s[0:3], 0 offset:412
	buffer_load_dword v141, off, s[0:3], 0 offset:432
	;; [unrolled: 1-line block ×7, first 2 shown]
	s_waitcnt vmcnt(23) lgkmcnt(0)
	v_fma_f64 v[129:130], v[143:144], v[133:134], v[129:130]
	s_waitcnt vmcnt(18)
	v_fma_f64 v[142:143], v[149:150], v[135:136], v[129:130]
	ds_read_b128 v[129:132], v128 offset:864
	ds_read_b128 v[133:136], v128 offset:880
	s_waitcnt vmcnt(17) lgkmcnt(1)
	v_fma_f64 v[129:130], v[157:158], v[129:130], v[142:143]
	buffer_load_dword v142, off, s[0:3], 0 offset:436
	s_waitcnt vmcnt(17)
	v_fma_f64 v[129:130], v[155:156], v[131:132], v[129:130]
	buffer_load_dword v144, off, s[0:3], 0 offset:444
	buffer_load_dword v149, off, s[0:3], 0 offset:464
	buffer_load_dword v155, off, s[0:3], 0 offset:456
	buffer_load_dword v157, off, s[0:3], 0 offset:448
	buffer_load_dword v143, off, s[0:3], 0 offset:440
	buffer_load_dword v158, off, s[0:3], 0 offset:452
	buffer_load_dword v156, off, s[0:3], 0 offset:460
	buffer_load_dword v150, off, s[0:3], 0 offset:468
	s_waitcnt vmcnt(24) lgkmcnt(0)
	v_fma_f64 v[129:130], v[151:152], v[133:134], v[129:130]
	s_waitcnt vmcnt(19)
	v_fma_f64 v[137:138], v[137:138], v[135:136], v[129:130]
	ds_read_b128 v[129:132], v128 offset:896
	ds_read_b128 v[133:136], v128 offset:912
	s_waitcnt vmcnt(18) lgkmcnt(1)
	v_fma_f64 v[129:130], v[161:162], v[129:130], v[137:138]
	s_waitcnt vmcnt(17)
	v_fma_f64 v[129:130], v[159:160], v[131:132], v[129:130]
	buffer_load_dword v138, off, s[0:3], 0 offset:476
	buffer_load_dword v151, off, s[0:3], 0 offset:496
	buffer_load_dword v159, off, s[0:3], 0 offset:488
	buffer_load_dword v161, off, s[0:3], 0 offset:480
	buffer_load_dword v137, off, s[0:3], 0 offset:472
	buffer_load_dword v162, off, s[0:3], 0 offset:484
	buffer_load_dword v160, off, s[0:3], 0 offset:492
	buffer_load_dword v152, off, s[0:3], 0 offset:500
	s_waitcnt vmcnt(24) lgkmcnt(0)
	v_fma_f64 v[129:130], v[153:154], v[133:134], v[129:130]
	s_waitcnt vmcnt(19)
	v_fma_f64 v[139:140], v[139:140], v[135:136], v[129:130]
	ds_read_b128 v[129:132], v128 offset:928
	ds_read_b128 v[133:136], v128 offset:944
	s_waitcnt vmcnt(18) lgkmcnt(1)
	v_fma_f64 v[129:130], v[147:148], v[129:130], v[139:140]
	buffer_load_dword v139, off, s[0:3], 0 offset:184
	buffer_load_dword v140, off, s[0:3], 0 offset:188
	s_waitcnt vmcnt(19)
	v_fma_f64 v[129:130], v[145:146], v[131:132], v[129:130]
	s_waitcnt vmcnt(18) lgkmcnt(0)
	v_fma_f64 v[129:130], v[141:142], v[133:134], v[129:130]
	s_waitcnt vmcnt(13)
	v_fma_f64 v[141:142], v[143:144], v[135:136], v[129:130]
	ds_read_b128 v[129:132], v128 offset:960
	ds_read_b128 v[133:136], v128 offset:976
	s_waitcnt vmcnt(12) lgkmcnt(1)
	v_fma_f64 v[129:130], v[157:158], v[129:130], v[141:142]
	s_waitcnt vmcnt(11)
	v_fma_f64 v[129:130], v[155:156], v[131:132], v[129:130]
	s_waitcnt vmcnt(10) lgkmcnt(0)
	v_fma_f64 v[129:130], v[149:150], v[133:134], v[129:130]
	s_waitcnt vmcnt(5)
	v_fma_f64 v[133:134], v[137:138], v[135:136], v[129:130]
	ds_read_b128 v[129:132], v128 offset:992
	ds_read_b64 v[135:136], v128 offset:1008
	s_waitcnt vmcnt(4) lgkmcnt(1)
	v_fma_f64 v[129:130], v[161:162], v[129:130], v[133:134]
	s_waitcnt vmcnt(3)
	v_fma_f64 v[129:130], v[159:160], v[131:132], v[129:130]
	s_waitcnt vmcnt(2) lgkmcnt(0)
	v_fma_f64 v[129:130], v[151:152], v[135:136], v[129:130]
	s_waitcnt vmcnt(0)
	v_add_f64 v[129:130], v[139:140], -v[129:130]
	buffer_store_dword v130, off, s[0:3], 0 offset:188
	buffer_store_dword v129, off, s[0:3], 0 offset:184
	s_and_saveexec_b64 s[4:5], vcc
	s_cbranch_execz .LBB62_341
; %bb.340:
	buffer_load_dword v129, off, s[0:3], 0 offset:176
	buffer_load_dword v130, off, s[0:3], 0 offset:180
	s_waitcnt vmcnt(0)
	ds_write_b64 v127, v[129:130]
	buffer_store_dword v128, off, s[0:3], 0 offset:176
	buffer_store_dword v128, off, s[0:3], 0 offset:180
.LBB62_341:
	s_or_b64 exec, exec, s[4:5]
	s_waitcnt lgkmcnt(0)
	; wave barrier
	buffer_load_dword v137, off, s[0:3], 0 offset:184
	buffer_load_dword v138, off, s[0:3], 0 offset:188
	;; [unrolled: 1-line block ×22, first 2 shown]
	ds_read2_b64 v[129:132], v128 offset0:87 offset1:88
	ds_read2_b64 v[133:136], v128 offset0:89 offset1:90
	v_cmp_lt_u32_e32 vcc, 21, v0
	s_waitcnt vmcnt(20) lgkmcnt(1)
	v_fma_f64 v[129:130], v[137:138], v[129:130], 0
	s_waitcnt vmcnt(18)
	v_fma_f64 v[129:130], v[139:140], v[131:132], v[129:130]
	buffer_load_dword v138, off, s[0:3], 0 offset:276
	buffer_load_dword v139, off, s[0:3], 0 offset:296
	;; [unrolled: 1-line block ×7, first 2 shown]
	s_waitcnt vmcnt(23) lgkmcnt(0)
	v_fma_f64 v[129:130], v[141:142], v[133:134], v[129:130]
	s_waitcnt vmcnt(21)
	v_fma_f64 v[140:141], v[143:144], v[135:136], v[129:130]
	ds_read2_b64 v[129:132], v128 offset0:91 offset1:92
	ds_read2_b64 v[133:136], v128 offset0:93 offset1:94
	s_waitcnt vmcnt(19) lgkmcnt(1)
	v_fma_f64 v[129:130], v[145:146], v[129:130], v[140:141]
	buffer_load_dword v140, off, s[0:3], 0 offset:300
	s_waitcnt vmcnt(18)
	v_fma_f64 v[129:130], v[147:148], v[131:132], v[129:130]
	buffer_load_dword v142, off, s[0:3], 0 offset:308
	buffer_load_dword v143, off, s[0:3], 0 offset:328
	;; [unrolled: 1-line block ×8, first 2 shown]
	s_waitcnt vmcnt(24) lgkmcnt(0)
	v_fma_f64 v[129:130], v[149:150], v[133:134], v[129:130]
	s_waitcnt vmcnt(19)
	v_fma_f64 v[149:150], v[151:152], v[135:136], v[129:130]
	ds_read2_b64 v[129:132], v128 offset0:95 offset1:96
	ds_read2_b64 v[133:136], v128 offset0:97 offset1:98
	s_waitcnt vmcnt(18) lgkmcnt(1)
	v_fma_f64 v[129:130], v[157:158], v[129:130], v[149:150]
	s_waitcnt vmcnt(17)
	v_fma_f64 v[129:130], v[155:156], v[131:132], v[129:130]
	buffer_load_dword v150, off, s[0:3], 0 offset:340
	buffer_load_dword v151, off, s[0:3], 0 offset:360
	;; [unrolled: 1-line block ×8, first 2 shown]
	s_waitcnt vmcnt(24) lgkmcnt(0)
	v_fma_f64 v[129:130], v[153:154], v[133:134], v[129:130]
	s_waitcnt vmcnt(19)
	v_fma_f64 v[137:138], v[137:138], v[135:136], v[129:130]
	ds_read2_b64 v[129:132], v128 offset0:99 offset1:100
	ds_read2_b64 v[133:136], v128 offset0:101 offset1:102
	s_waitcnt vmcnt(18) lgkmcnt(1)
	v_fma_f64 v[129:130], v[161:162], v[129:130], v[137:138]
	s_waitcnt vmcnt(17)
	v_fma_f64 v[129:130], v[159:160], v[131:132], v[129:130]
	buffer_load_dword v138, off, s[0:3], 0 offset:372
	buffer_load_dword v153, off, s[0:3], 0 offset:392
	;; [unrolled: 1-line block ×7, first 2 shown]
	s_waitcnt vmcnt(23) lgkmcnt(0)
	v_fma_f64 v[129:130], v[139:140], v[133:134], v[129:130]
	s_waitcnt vmcnt(18)
	v_fma_f64 v[139:140], v[141:142], v[135:136], v[129:130]
	ds_read2_b64 v[129:132], v128 offset0:103 offset1:104
	ds_read2_b64 v[133:136], v128 offset0:105 offset1:106
	buffer_load_dword v154, off, s[0:3], 0 offset:396
	s_waitcnt vmcnt(18) lgkmcnt(1)
	v_fma_f64 v[129:130], v[147:148], v[129:130], v[139:140]
	s_waitcnt vmcnt(17)
	v_fma_f64 v[129:130], v[145:146], v[131:132], v[129:130]
	buffer_load_dword v140, off, s[0:3], 0 offset:404
	buffer_load_dword v141, off, s[0:3], 0 offset:424
	;; [unrolled: 1-line block ×7, first 2 shown]
	s_waitcnt vmcnt(23) lgkmcnt(0)
	v_fma_f64 v[129:130], v[143:144], v[133:134], v[129:130]
	s_waitcnt vmcnt(18)
	v_fma_f64 v[142:143], v[149:150], v[135:136], v[129:130]
	ds_read2_b64 v[129:132], v128 offset0:107 offset1:108
	ds_read2_b64 v[133:136], v128 offset0:109 offset1:110
	s_waitcnt vmcnt(17) lgkmcnt(1)
	v_fma_f64 v[129:130], v[157:158], v[129:130], v[142:143]
	buffer_load_dword v142, off, s[0:3], 0 offset:428
	s_waitcnt vmcnt(17)
	v_fma_f64 v[129:130], v[155:156], v[131:132], v[129:130]
	buffer_load_dword v144, off, s[0:3], 0 offset:436
	buffer_load_dword v149, off, s[0:3], 0 offset:456
	;; [unrolled: 1-line block ×8, first 2 shown]
	s_waitcnt vmcnt(24) lgkmcnt(0)
	v_fma_f64 v[129:130], v[151:152], v[133:134], v[129:130]
	s_waitcnt vmcnt(19)
	v_fma_f64 v[137:138], v[137:138], v[135:136], v[129:130]
	ds_read2_b64 v[129:132], v128 offset0:111 offset1:112
	ds_read2_b64 v[133:136], v128 offset0:113 offset1:114
	s_waitcnt vmcnt(18) lgkmcnt(1)
	v_fma_f64 v[129:130], v[161:162], v[129:130], v[137:138]
	s_waitcnt vmcnt(17)
	v_fma_f64 v[129:130], v[159:160], v[131:132], v[129:130]
	buffer_load_dword v138, off, s[0:3], 0 offset:468
	buffer_load_dword v151, off, s[0:3], 0 offset:488
	;; [unrolled: 1-line block ×8, first 2 shown]
	s_waitcnt vmcnt(24) lgkmcnt(0)
	v_fma_f64 v[129:130], v[153:154], v[133:134], v[129:130]
	s_waitcnt vmcnt(19)
	v_fma_f64 v[139:140], v[139:140], v[135:136], v[129:130]
	ds_read2_b64 v[129:132], v128 offset0:115 offset1:116
	ds_read2_b64 v[133:136], v128 offset0:117 offset1:118
	s_waitcnt vmcnt(18) lgkmcnt(1)
	v_fma_f64 v[129:130], v[147:148], v[129:130], v[139:140]
	buffer_load_dword v140, off, s[0:3], 0 offset:500
	buffer_load_dword v139, off, s[0:3], 0 offset:496
	s_waitcnt vmcnt(19)
	v_fma_f64 v[129:130], v[145:146], v[131:132], v[129:130]
	buffer_load_dword v145, off, s[0:3], 0 offset:176
	buffer_load_dword v146, off, s[0:3], 0 offset:180
	s_waitcnt vmcnt(20) lgkmcnt(0)
	v_fma_f64 v[129:130], v[141:142], v[133:134], v[129:130]
	s_waitcnt vmcnt(15)
	v_fma_f64 v[141:142], v[143:144], v[135:136], v[129:130]
	ds_read2_b64 v[129:132], v128 offset0:119 offset1:120
	ds_read2_b64 v[133:136], v128 offset0:121 offset1:122
	s_waitcnt vmcnt(14) lgkmcnt(1)
	v_fma_f64 v[129:130], v[157:158], v[129:130], v[141:142]
	s_waitcnt vmcnt(13)
	v_fma_f64 v[129:130], v[155:156], v[131:132], v[129:130]
	s_waitcnt vmcnt(12) lgkmcnt(0)
	v_fma_f64 v[129:130], v[149:150], v[133:134], v[129:130]
	s_waitcnt vmcnt(7)
	v_fma_f64 v[137:138], v[137:138], v[135:136], v[129:130]
	ds_read2_b64 v[129:132], v128 offset0:123 offset1:124
	ds_read2_b64 v[133:136], v128 offset0:125 offset1:126
	s_waitcnt vmcnt(6) lgkmcnt(1)
	v_fma_f64 v[128:129], v[161:162], v[129:130], v[137:138]
	s_waitcnt vmcnt(5)
	v_fma_f64 v[128:129], v[159:160], v[131:132], v[128:129]
	s_waitcnt vmcnt(4) lgkmcnt(0)
	v_fma_f64 v[128:129], v[151:152], v[133:134], v[128:129]
	s_waitcnt vmcnt(2)
	v_fma_f64 v[128:129], v[139:140], v[135:136], v[128:129]
	s_waitcnt vmcnt(0)
	v_add_f64 v[128:129], v[145:146], -v[128:129]
	buffer_store_dword v129, off, s[0:3], 0 offset:180
	buffer_store_dword v128, off, s[0:3], 0 offset:176
	s_and_saveexec_b64 s[4:5], vcc
	s_cbranch_execz .LBB62_343
; %bb.342:
	buffer_load_dword v128, off, s[0:3], 0 offset:168
	buffer_load_dword v129, off, s[0:3], 0 offset:172
	v_mov_b32_e32 v130, 0
	buffer_store_dword v130, off, s[0:3], 0 offset:168
	buffer_store_dword v130, off, s[0:3], 0 offset:172
	s_waitcnt vmcnt(2)
	ds_write_b64 v127, v[128:129]
.LBB62_343:
	s_or_b64 exec, exec, s[4:5]
	s_waitcnt lgkmcnt(0)
	; wave barrier
	buffer_load_dword v137, off, s[0:3], 0 offset:176
	buffer_load_dword v138, off, s[0:3], 0 offset:180
	;; [unrolled: 1-line block ×22, first 2 shown]
	v_mov_b32_e32 v128, 0
	ds_read_b128 v[129:132], v128 offset:688
	ds_read_b128 v[133:136], v128 offset:704
	v_cmp_lt_u32_e32 vcc, 20, v0
	s_waitcnt vmcnt(20) lgkmcnt(1)
	v_fma_f64 v[129:130], v[137:138], v[129:130], 0
	s_waitcnt vmcnt(18)
	v_fma_f64 v[129:130], v[139:140], v[131:132], v[129:130]
	buffer_load_dword v138, off, s[0:3], 0 offset:268
	buffer_load_dword v139, off, s[0:3], 0 offset:288
	;; [unrolled: 1-line block ×7, first 2 shown]
	s_waitcnt vmcnt(23) lgkmcnt(0)
	v_fma_f64 v[129:130], v[141:142], v[133:134], v[129:130]
	s_waitcnt vmcnt(21)
	v_fma_f64 v[140:141], v[143:144], v[135:136], v[129:130]
	ds_read_b128 v[129:132], v128 offset:720
	ds_read_b128 v[133:136], v128 offset:736
	s_waitcnt vmcnt(19) lgkmcnt(1)
	v_fma_f64 v[129:130], v[145:146], v[129:130], v[140:141]
	buffer_load_dword v140, off, s[0:3], 0 offset:292
	s_waitcnt vmcnt(18)
	v_fma_f64 v[129:130], v[147:148], v[131:132], v[129:130]
	buffer_load_dword v142, off, s[0:3], 0 offset:300
	buffer_load_dword v143, off, s[0:3], 0 offset:320
	buffer_load_dword v145, off, s[0:3], 0 offset:312
	buffer_load_dword v147, off, s[0:3], 0 offset:304
	buffer_load_dword v141, off, s[0:3], 0 offset:296
	buffer_load_dword v148, off, s[0:3], 0 offset:308
	buffer_load_dword v146, off, s[0:3], 0 offset:316
	s_waitcnt vmcnt(23) lgkmcnt(0)
	v_fma_f64 v[129:130], v[149:150], v[133:134], v[129:130]
	s_waitcnt vmcnt(18)
	v_fma_f64 v[149:150], v[151:152], v[135:136], v[129:130]
	ds_read_b128 v[129:132], v128 offset:752
	ds_read_b128 v[133:136], v128 offset:768
	buffer_load_dword v144, off, s[0:3], 0 offset:324
	s_waitcnt vmcnt(18) lgkmcnt(1)
	v_fma_f64 v[129:130], v[157:158], v[129:130], v[149:150]
	s_waitcnt vmcnt(17)
	v_fma_f64 v[129:130], v[155:156], v[131:132], v[129:130]
	buffer_load_dword v150, off, s[0:3], 0 offset:332
	buffer_load_dword v151, off, s[0:3], 0 offset:352
	;; [unrolled: 1-line block ×8, first 2 shown]
	s_waitcnt vmcnt(24) lgkmcnt(0)
	v_fma_f64 v[129:130], v[153:154], v[133:134], v[129:130]
	s_waitcnt vmcnt(19)
	v_fma_f64 v[137:138], v[137:138], v[135:136], v[129:130]
	ds_read_b128 v[129:132], v128 offset:784
	ds_read_b128 v[133:136], v128 offset:800
	s_waitcnt vmcnt(18) lgkmcnt(1)
	v_fma_f64 v[129:130], v[161:162], v[129:130], v[137:138]
	s_waitcnt vmcnt(17)
	v_fma_f64 v[129:130], v[159:160], v[131:132], v[129:130]
	buffer_load_dword v138, off, s[0:3], 0 offset:364
	buffer_load_dword v153, off, s[0:3], 0 offset:384
	;; [unrolled: 1-line block ×7, first 2 shown]
	s_waitcnt vmcnt(23) lgkmcnt(0)
	v_fma_f64 v[129:130], v[139:140], v[133:134], v[129:130]
	s_waitcnt vmcnt(18)
	v_fma_f64 v[139:140], v[141:142], v[135:136], v[129:130]
	ds_read_b128 v[129:132], v128 offset:816
	ds_read_b128 v[133:136], v128 offset:832
	buffer_load_dword v154, off, s[0:3], 0 offset:388
	s_waitcnt vmcnt(18) lgkmcnt(1)
	v_fma_f64 v[129:130], v[147:148], v[129:130], v[139:140]
	s_waitcnt vmcnt(17)
	v_fma_f64 v[129:130], v[145:146], v[131:132], v[129:130]
	buffer_load_dword v140, off, s[0:3], 0 offset:396
	buffer_load_dword v141, off, s[0:3], 0 offset:416
	;; [unrolled: 1-line block ×7, first 2 shown]
	s_waitcnt vmcnt(23) lgkmcnt(0)
	v_fma_f64 v[129:130], v[143:144], v[133:134], v[129:130]
	s_waitcnt vmcnt(18)
	v_fma_f64 v[142:143], v[149:150], v[135:136], v[129:130]
	ds_read_b128 v[129:132], v128 offset:848
	ds_read_b128 v[133:136], v128 offset:864
	s_waitcnt vmcnt(17) lgkmcnt(1)
	v_fma_f64 v[129:130], v[157:158], v[129:130], v[142:143]
	buffer_load_dword v142, off, s[0:3], 0 offset:420
	s_waitcnt vmcnt(17)
	v_fma_f64 v[129:130], v[155:156], v[131:132], v[129:130]
	buffer_load_dword v144, off, s[0:3], 0 offset:428
	buffer_load_dword v149, off, s[0:3], 0 offset:448
	;; [unrolled: 1-line block ×8, first 2 shown]
	s_waitcnt vmcnt(24) lgkmcnt(0)
	v_fma_f64 v[129:130], v[151:152], v[133:134], v[129:130]
	s_waitcnt vmcnt(19)
	v_fma_f64 v[137:138], v[137:138], v[135:136], v[129:130]
	ds_read_b128 v[129:132], v128 offset:880
	ds_read_b128 v[133:136], v128 offset:896
	s_waitcnt vmcnt(18) lgkmcnt(1)
	v_fma_f64 v[129:130], v[161:162], v[129:130], v[137:138]
	s_waitcnt vmcnt(17)
	v_fma_f64 v[129:130], v[159:160], v[131:132], v[129:130]
	buffer_load_dword v138, off, s[0:3], 0 offset:460
	buffer_load_dword v151, off, s[0:3], 0 offset:480
	buffer_load_dword v159, off, s[0:3], 0 offset:472
	buffer_load_dword v161, off, s[0:3], 0 offset:464
	buffer_load_dword v137, off, s[0:3], 0 offset:456
	buffer_load_dword v162, off, s[0:3], 0 offset:468
	buffer_load_dword v160, off, s[0:3], 0 offset:476
	s_waitcnt vmcnt(23) lgkmcnt(0)
	v_fma_f64 v[129:130], v[153:154], v[133:134], v[129:130]
	s_waitcnt vmcnt(18)
	v_fma_f64 v[139:140], v[139:140], v[135:136], v[129:130]
	ds_read_b128 v[129:132], v128 offset:912
	ds_read_b128 v[133:136], v128 offset:928
	buffer_load_dword v152, off, s[0:3], 0 offset:484
	s_waitcnt vmcnt(18) lgkmcnt(1)
	v_fma_f64 v[129:130], v[147:148], v[129:130], v[139:140]
	s_waitcnt vmcnt(17)
	v_fma_f64 v[129:130], v[145:146], v[131:132], v[129:130]
	buffer_load_dword v140, off, s[0:3], 0 offset:492
	buffer_load_dword v145, off, s[0:3], 0 offset:496
	;; [unrolled: 1-line block ×4, first 2 shown]
	s_waitcnt vmcnt(20) lgkmcnt(0)
	v_fma_f64 v[129:130], v[141:142], v[133:134], v[129:130]
	buffer_load_dword v141, off, s[0:3], 0 offset:168
	buffer_load_dword v142, off, s[0:3], 0 offset:172
	s_waitcnt vmcnt(17)
	v_fma_f64 v[143:144], v[143:144], v[135:136], v[129:130]
	ds_read_b128 v[129:132], v128 offset:944
	ds_read_b128 v[133:136], v128 offset:960
	s_waitcnt vmcnt(16) lgkmcnt(1)
	v_fma_f64 v[129:130], v[157:158], v[129:130], v[143:144]
	s_waitcnt vmcnt(15)
	v_fma_f64 v[129:130], v[155:156], v[131:132], v[129:130]
	s_waitcnt vmcnt(14) lgkmcnt(0)
	v_fma_f64 v[129:130], v[149:150], v[133:134], v[129:130]
	s_waitcnt vmcnt(9)
	v_fma_f64 v[137:138], v[137:138], v[135:136], v[129:130]
	ds_read_b128 v[129:132], v128 offset:976
	ds_read_b128 v[133:136], v128 offset:992
	s_waitcnt vmcnt(8) lgkmcnt(1)
	v_fma_f64 v[129:130], v[161:162], v[129:130], v[137:138]
	s_waitcnt vmcnt(7)
	v_fma_f64 v[129:130], v[159:160], v[131:132], v[129:130]
	ds_read_b64 v[131:132], v128 offset:1008
	s_waitcnt vmcnt(6) lgkmcnt(1)
	v_fma_f64 v[129:130], v[151:152], v[133:134], v[129:130]
	s_waitcnt vmcnt(3)
	v_fma_f64 v[129:130], v[139:140], v[135:136], v[129:130]
	s_waitcnt vmcnt(2) lgkmcnt(0)
	v_fma_f64 v[129:130], v[145:146], v[131:132], v[129:130]
	s_waitcnt vmcnt(0)
	v_add_f64 v[129:130], v[141:142], -v[129:130]
	buffer_store_dword v130, off, s[0:3], 0 offset:172
	buffer_store_dword v129, off, s[0:3], 0 offset:168
	s_and_saveexec_b64 s[4:5], vcc
	s_cbranch_execz .LBB62_345
; %bb.344:
	buffer_load_dword v129, off, s[0:3], 0 offset:160
	buffer_load_dword v130, off, s[0:3], 0 offset:164
	s_waitcnt vmcnt(0)
	ds_write_b64 v127, v[129:130]
	buffer_store_dword v128, off, s[0:3], 0 offset:160
	buffer_store_dword v128, off, s[0:3], 0 offset:164
.LBB62_345:
	s_or_b64 exec, exec, s[4:5]
	s_waitcnt lgkmcnt(0)
	; wave barrier
	buffer_load_dword v137, off, s[0:3], 0 offset:168
	buffer_load_dword v138, off, s[0:3], 0 offset:172
	;; [unrolled: 1-line block ×22, first 2 shown]
	ds_read2_b64 v[129:132], v128 offset0:85 offset1:86
	ds_read2_b64 v[133:136], v128 offset0:87 offset1:88
	v_cmp_lt_u32_e32 vcc, 19, v0
	s_waitcnt vmcnt(20) lgkmcnt(1)
	v_fma_f64 v[129:130], v[137:138], v[129:130], 0
	s_waitcnt vmcnt(18)
	v_fma_f64 v[129:130], v[139:140], v[131:132], v[129:130]
	buffer_load_dword v138, off, s[0:3], 0 offset:260
	buffer_load_dword v139, off, s[0:3], 0 offset:280
	;; [unrolled: 1-line block ×7, first 2 shown]
	s_waitcnt vmcnt(23) lgkmcnt(0)
	v_fma_f64 v[129:130], v[141:142], v[133:134], v[129:130]
	s_waitcnt vmcnt(21)
	v_fma_f64 v[140:141], v[143:144], v[135:136], v[129:130]
	ds_read2_b64 v[129:132], v128 offset0:89 offset1:90
	ds_read2_b64 v[133:136], v128 offset0:91 offset1:92
	s_waitcnt vmcnt(19) lgkmcnt(1)
	v_fma_f64 v[129:130], v[145:146], v[129:130], v[140:141]
	buffer_load_dword v140, off, s[0:3], 0 offset:284
	s_waitcnt vmcnt(18)
	v_fma_f64 v[129:130], v[147:148], v[131:132], v[129:130]
	buffer_load_dword v142, off, s[0:3], 0 offset:292
	buffer_load_dword v143, off, s[0:3], 0 offset:312
	;; [unrolled: 1-line block ×7, first 2 shown]
	s_waitcnt vmcnt(23) lgkmcnt(0)
	v_fma_f64 v[129:130], v[149:150], v[133:134], v[129:130]
	s_waitcnt vmcnt(18)
	v_fma_f64 v[149:150], v[151:152], v[135:136], v[129:130]
	ds_read2_b64 v[129:132], v128 offset0:93 offset1:94
	ds_read2_b64 v[133:136], v128 offset0:95 offset1:96
	buffer_load_dword v144, off, s[0:3], 0 offset:316
	s_waitcnt vmcnt(18) lgkmcnt(1)
	v_fma_f64 v[129:130], v[157:158], v[129:130], v[149:150]
	s_waitcnt vmcnt(17)
	v_fma_f64 v[129:130], v[155:156], v[131:132], v[129:130]
	buffer_load_dword v150, off, s[0:3], 0 offset:324
	buffer_load_dword v151, off, s[0:3], 0 offset:344
	buffer_load_dword v155, off, s[0:3], 0 offset:336
	buffer_load_dword v157, off, s[0:3], 0 offset:328
	buffer_load_dword v149, off, s[0:3], 0 offset:320
	buffer_load_dword v158, off, s[0:3], 0 offset:332
	buffer_load_dword v156, off, s[0:3], 0 offset:340
	buffer_load_dword v152, off, s[0:3], 0 offset:348
	s_waitcnt vmcnt(24) lgkmcnt(0)
	v_fma_f64 v[129:130], v[153:154], v[133:134], v[129:130]
	s_waitcnt vmcnt(19)
	v_fma_f64 v[137:138], v[137:138], v[135:136], v[129:130]
	ds_read2_b64 v[129:132], v128 offset0:97 offset1:98
	ds_read2_b64 v[133:136], v128 offset0:99 offset1:100
	s_waitcnt vmcnt(18) lgkmcnt(1)
	v_fma_f64 v[129:130], v[161:162], v[129:130], v[137:138]
	s_waitcnt vmcnt(17)
	v_fma_f64 v[129:130], v[159:160], v[131:132], v[129:130]
	buffer_load_dword v138, off, s[0:3], 0 offset:356
	buffer_load_dword v153, off, s[0:3], 0 offset:376
	;; [unrolled: 1-line block ×8, first 2 shown]
	s_waitcnt vmcnt(24) lgkmcnt(0)
	v_fma_f64 v[129:130], v[139:140], v[133:134], v[129:130]
	s_waitcnt vmcnt(19)
	v_fma_f64 v[139:140], v[141:142], v[135:136], v[129:130]
	ds_read2_b64 v[129:132], v128 offset0:101 offset1:102
	ds_read2_b64 v[133:136], v128 offset0:103 offset1:104
	s_waitcnt vmcnt(18) lgkmcnt(1)
	v_fma_f64 v[129:130], v[147:148], v[129:130], v[139:140]
	s_waitcnt vmcnt(17)
	v_fma_f64 v[129:130], v[145:146], v[131:132], v[129:130]
	buffer_load_dword v140, off, s[0:3], 0 offset:388
	buffer_load_dword v141, off, s[0:3], 0 offset:408
	buffer_load_dword v145, off, s[0:3], 0 offset:400
	buffer_load_dword v147, off, s[0:3], 0 offset:392
	buffer_load_dword v139, off, s[0:3], 0 offset:384
	buffer_load_dword v148, off, s[0:3], 0 offset:396
	buffer_load_dword v146, off, s[0:3], 0 offset:404
	s_waitcnt vmcnt(23) lgkmcnt(0)
	v_fma_f64 v[129:130], v[143:144], v[133:134], v[129:130]
	s_waitcnt vmcnt(18)
	v_fma_f64 v[142:143], v[149:150], v[135:136], v[129:130]
	ds_read2_b64 v[129:132], v128 offset0:105 offset1:106
	ds_read2_b64 v[133:136], v128 offset0:107 offset1:108
	s_waitcnt vmcnt(17) lgkmcnt(1)
	v_fma_f64 v[129:130], v[157:158], v[129:130], v[142:143]
	buffer_load_dword v142, off, s[0:3], 0 offset:412
	s_waitcnt vmcnt(17)
	v_fma_f64 v[129:130], v[155:156], v[131:132], v[129:130]
	buffer_load_dword v144, off, s[0:3], 0 offset:420
	buffer_load_dword v149, off, s[0:3], 0 offset:440
	;; [unrolled: 1-line block ×8, first 2 shown]
	s_waitcnt vmcnt(24) lgkmcnt(0)
	v_fma_f64 v[129:130], v[151:152], v[133:134], v[129:130]
	s_waitcnt vmcnt(19)
	v_fma_f64 v[137:138], v[137:138], v[135:136], v[129:130]
	ds_read2_b64 v[129:132], v128 offset0:109 offset1:110
	ds_read2_b64 v[133:136], v128 offset0:111 offset1:112
	s_waitcnt vmcnt(18) lgkmcnt(1)
	v_fma_f64 v[129:130], v[161:162], v[129:130], v[137:138]
	s_waitcnt vmcnt(17)
	v_fma_f64 v[129:130], v[159:160], v[131:132], v[129:130]
	buffer_load_dword v138, off, s[0:3], 0 offset:452
	buffer_load_dword v151, off, s[0:3], 0 offset:472
	;; [unrolled: 1-line block ×8, first 2 shown]
	s_waitcnt vmcnt(24) lgkmcnt(0)
	v_fma_f64 v[129:130], v[153:154], v[133:134], v[129:130]
	s_waitcnt vmcnt(19)
	v_fma_f64 v[139:140], v[139:140], v[135:136], v[129:130]
	ds_read2_b64 v[129:132], v128 offset0:113 offset1:114
	ds_read2_b64 v[133:136], v128 offset0:115 offset1:116
	s_waitcnt vmcnt(18) lgkmcnt(1)
	v_fma_f64 v[129:130], v[147:148], v[129:130], v[139:140]
	s_waitcnt vmcnt(17)
	v_fma_f64 v[129:130], v[145:146], v[131:132], v[129:130]
	buffer_load_dword v140, off, s[0:3], 0 offset:484
	buffer_load_dword v145, off, s[0:3], 0 offset:496
	buffer_load_dword v147, off, s[0:3], 0 offset:488
	buffer_load_dword v139, off, s[0:3], 0 offset:480
	buffer_load_dword v148, off, s[0:3], 0 offset:492
	buffer_load_dword v146, off, s[0:3], 0 offset:500
	s_waitcnt vmcnt(22) lgkmcnt(0)
	v_fma_f64 v[129:130], v[141:142], v[133:134], v[129:130]
	s_waitcnt vmcnt(17)
	v_fma_f64 v[141:142], v[143:144], v[135:136], v[129:130]
	ds_read2_b64 v[129:132], v128 offset0:117 offset1:118
	buffer_load_dword v143, off, s[0:3], 0 offset:160
	buffer_load_dword v144, off, s[0:3], 0 offset:164
	ds_read2_b64 v[133:136], v128 offset0:119 offset1:120
	s_waitcnt vmcnt(18) lgkmcnt(1)
	v_fma_f64 v[129:130], v[157:158], v[129:130], v[141:142]
	s_waitcnt vmcnt(17)
	v_fma_f64 v[129:130], v[155:156], v[131:132], v[129:130]
	s_waitcnt vmcnt(16) lgkmcnt(0)
	v_fma_f64 v[129:130], v[149:150], v[133:134], v[129:130]
	s_waitcnt vmcnt(11)
	v_fma_f64 v[137:138], v[137:138], v[135:136], v[129:130]
	ds_read2_b64 v[129:132], v128 offset0:121 offset1:122
	ds_read2_b64 v[133:136], v128 offset0:123 offset1:124
	s_waitcnt vmcnt(10) lgkmcnt(1)
	v_fma_f64 v[129:130], v[161:162], v[129:130], v[137:138]
	s_waitcnt vmcnt(9)
	v_fma_f64 v[129:130], v[159:160], v[131:132], v[129:130]
	s_waitcnt vmcnt(8) lgkmcnt(0)
	v_fma_f64 v[129:130], v[151:152], v[133:134], v[129:130]
	s_waitcnt vmcnt(4)
	v_fma_f64 v[132:133], v[139:140], v[135:136], v[129:130]
	ds_read2_b64 v[128:131], v128 offset0:125 offset1:126
	s_waitcnt vmcnt(3) lgkmcnt(0)
	v_fma_f64 v[128:129], v[147:148], v[128:129], v[132:133]
	s_waitcnt vmcnt(2)
	v_fma_f64 v[128:129], v[145:146], v[130:131], v[128:129]
	s_waitcnt vmcnt(0)
	v_add_f64 v[128:129], v[143:144], -v[128:129]
	buffer_store_dword v129, off, s[0:3], 0 offset:164
	buffer_store_dword v128, off, s[0:3], 0 offset:160
	s_and_saveexec_b64 s[4:5], vcc
	s_cbranch_execz .LBB62_347
; %bb.346:
	buffer_load_dword v128, off, s[0:3], 0 offset:152
	buffer_load_dword v129, off, s[0:3], 0 offset:156
	v_mov_b32_e32 v130, 0
	buffer_store_dword v130, off, s[0:3], 0 offset:152
	buffer_store_dword v130, off, s[0:3], 0 offset:156
	s_waitcnt vmcnt(2)
	ds_write_b64 v127, v[128:129]
.LBB62_347:
	s_or_b64 exec, exec, s[4:5]
	s_waitcnt lgkmcnt(0)
	; wave barrier
	buffer_load_dword v137, off, s[0:3], 0 offset:160
	buffer_load_dword v138, off, s[0:3], 0 offset:164
	;; [unrolled: 1-line block ×22, first 2 shown]
	v_mov_b32_e32 v128, 0
	ds_read_b128 v[129:132], v128 offset:672
	ds_read_b128 v[133:136], v128 offset:688
	v_cmp_lt_u32_e32 vcc, 18, v0
	s_waitcnt vmcnt(20) lgkmcnt(1)
	v_fma_f64 v[129:130], v[137:138], v[129:130], 0
	s_waitcnt vmcnt(18)
	v_fma_f64 v[129:130], v[139:140], v[131:132], v[129:130]
	buffer_load_dword v138, off, s[0:3], 0 offset:252
	buffer_load_dword v139, off, s[0:3], 0 offset:272
	;; [unrolled: 1-line block ×7, first 2 shown]
	s_waitcnt vmcnt(23) lgkmcnt(0)
	v_fma_f64 v[129:130], v[141:142], v[133:134], v[129:130]
	s_waitcnt vmcnt(21)
	v_fma_f64 v[140:141], v[143:144], v[135:136], v[129:130]
	ds_read_b128 v[129:132], v128 offset:704
	ds_read_b128 v[133:136], v128 offset:720
	s_waitcnt vmcnt(19) lgkmcnt(1)
	v_fma_f64 v[129:130], v[145:146], v[129:130], v[140:141]
	buffer_load_dword v140, off, s[0:3], 0 offset:276
	s_waitcnt vmcnt(18)
	v_fma_f64 v[129:130], v[147:148], v[131:132], v[129:130]
	buffer_load_dword v142, off, s[0:3], 0 offset:284
	buffer_load_dword v143, off, s[0:3], 0 offset:304
	;; [unrolled: 1-line block ×7, first 2 shown]
	s_waitcnt vmcnt(23) lgkmcnt(0)
	v_fma_f64 v[129:130], v[149:150], v[133:134], v[129:130]
	s_waitcnt vmcnt(18)
	v_fma_f64 v[149:150], v[151:152], v[135:136], v[129:130]
	ds_read_b128 v[129:132], v128 offset:736
	ds_read_b128 v[133:136], v128 offset:752
	buffer_load_dword v144, off, s[0:3], 0 offset:308
	s_waitcnt vmcnt(18) lgkmcnt(1)
	v_fma_f64 v[129:130], v[157:158], v[129:130], v[149:150]
	s_waitcnt vmcnt(17)
	v_fma_f64 v[129:130], v[155:156], v[131:132], v[129:130]
	buffer_load_dword v150, off, s[0:3], 0 offset:316
	buffer_load_dword v151, off, s[0:3], 0 offset:336
	;; [unrolled: 1-line block ×8, first 2 shown]
	s_waitcnt vmcnt(24) lgkmcnt(0)
	v_fma_f64 v[129:130], v[153:154], v[133:134], v[129:130]
	s_waitcnt vmcnt(19)
	v_fma_f64 v[137:138], v[137:138], v[135:136], v[129:130]
	ds_read_b128 v[129:132], v128 offset:768
	ds_read_b128 v[133:136], v128 offset:784
	s_waitcnt vmcnt(18) lgkmcnt(1)
	v_fma_f64 v[129:130], v[161:162], v[129:130], v[137:138]
	s_waitcnt vmcnt(17)
	v_fma_f64 v[129:130], v[159:160], v[131:132], v[129:130]
	buffer_load_dword v138, off, s[0:3], 0 offset:348
	buffer_load_dword v153, off, s[0:3], 0 offset:368
	;; [unrolled: 1-line block ×8, first 2 shown]
	s_waitcnt vmcnt(24) lgkmcnt(0)
	v_fma_f64 v[129:130], v[139:140], v[133:134], v[129:130]
	s_waitcnt vmcnt(19)
	v_fma_f64 v[139:140], v[141:142], v[135:136], v[129:130]
	ds_read_b128 v[129:132], v128 offset:800
	ds_read_b128 v[133:136], v128 offset:816
	s_waitcnt vmcnt(18) lgkmcnt(1)
	v_fma_f64 v[129:130], v[147:148], v[129:130], v[139:140]
	s_waitcnt vmcnt(17)
	v_fma_f64 v[129:130], v[145:146], v[131:132], v[129:130]
	buffer_load_dword v140, off, s[0:3], 0 offset:380
	buffer_load_dword v141, off, s[0:3], 0 offset:400
	;; [unrolled: 1-line block ×7, first 2 shown]
	s_waitcnt vmcnt(23) lgkmcnt(0)
	v_fma_f64 v[129:130], v[143:144], v[133:134], v[129:130]
	s_waitcnt vmcnt(18)
	v_fma_f64 v[142:143], v[149:150], v[135:136], v[129:130]
	ds_read_b128 v[129:132], v128 offset:832
	ds_read_b128 v[133:136], v128 offset:848
	s_waitcnt vmcnt(17) lgkmcnt(1)
	v_fma_f64 v[129:130], v[157:158], v[129:130], v[142:143]
	buffer_load_dword v142, off, s[0:3], 0 offset:404
	s_waitcnt vmcnt(17)
	v_fma_f64 v[129:130], v[155:156], v[131:132], v[129:130]
	buffer_load_dword v144, off, s[0:3], 0 offset:412
	buffer_load_dword v149, off, s[0:3], 0 offset:432
	buffer_load_dword v155, off, s[0:3], 0 offset:424
	buffer_load_dword v157, off, s[0:3], 0 offset:416
	buffer_load_dword v143, off, s[0:3], 0 offset:408
	buffer_load_dword v158, off, s[0:3], 0 offset:420
	buffer_load_dword v156, off, s[0:3], 0 offset:428
	buffer_load_dword v150, off, s[0:3], 0 offset:436
	s_waitcnt vmcnt(24) lgkmcnt(0)
	v_fma_f64 v[129:130], v[151:152], v[133:134], v[129:130]
	s_waitcnt vmcnt(19)
	v_fma_f64 v[137:138], v[137:138], v[135:136], v[129:130]
	ds_read_b128 v[129:132], v128 offset:864
	ds_read_b128 v[133:136], v128 offset:880
	s_waitcnt vmcnt(18) lgkmcnt(1)
	v_fma_f64 v[129:130], v[161:162], v[129:130], v[137:138]
	s_waitcnt vmcnt(17)
	v_fma_f64 v[129:130], v[159:160], v[131:132], v[129:130]
	buffer_load_dword v138, off, s[0:3], 0 offset:444
	buffer_load_dword v151, off, s[0:3], 0 offset:464
	buffer_load_dword v159, off, s[0:3], 0 offset:456
	buffer_load_dword v161, off, s[0:3], 0 offset:448
	buffer_load_dword v137, off, s[0:3], 0 offset:440
	buffer_load_dword v162, off, s[0:3], 0 offset:452
	buffer_load_dword v160, off, s[0:3], 0 offset:460
	buffer_load_dword v152, off, s[0:3], 0 offset:468
	s_waitcnt vmcnt(24) lgkmcnt(0)
	v_fma_f64 v[129:130], v[153:154], v[133:134], v[129:130]
	s_waitcnt vmcnt(19)
	v_fma_f64 v[139:140], v[139:140], v[135:136], v[129:130]
	ds_read_b128 v[129:132], v128 offset:896
	ds_read_b128 v[133:136], v128 offset:912
	s_waitcnt vmcnt(18) lgkmcnt(1)
	v_fma_f64 v[129:130], v[147:148], v[129:130], v[139:140]
	s_waitcnt vmcnt(17)
	v_fma_f64 v[129:130], v[145:146], v[131:132], v[129:130]
	buffer_load_dword v140, off, s[0:3], 0 offset:476
	buffer_load_dword v145, off, s[0:3], 0 offset:496
	buffer_load_dword v147, off, s[0:3], 0 offset:488
	buffer_load_dword v153, off, s[0:3], 0 offset:480
	buffer_load_dword v139, off, s[0:3], 0 offset:472
	buffer_load_dword v154, off, s[0:3], 0 offset:484
	buffer_load_dword v148, off, s[0:3], 0 offset:492
	buffer_load_dword v146, off, s[0:3], 0 offset:500
	s_waitcnt vmcnt(24) lgkmcnt(0)
	v_fma_f64 v[129:130], v[141:142], v[133:134], v[129:130]
	s_waitcnt vmcnt(19)
	v_fma_f64 v[141:142], v[143:144], v[135:136], v[129:130]
	ds_read_b128 v[129:132], v128 offset:928
	ds_read_b128 v[133:136], v128 offset:944
	s_waitcnt vmcnt(18) lgkmcnt(1)
	v_fma_f64 v[129:130], v[157:158], v[129:130], v[141:142]
	buffer_load_dword v141, off, s[0:3], 0 offset:152
	buffer_load_dword v142, off, s[0:3], 0 offset:156
	s_waitcnt vmcnt(19)
	v_fma_f64 v[129:130], v[155:156], v[131:132], v[129:130]
	s_waitcnt vmcnt(18) lgkmcnt(0)
	v_fma_f64 v[129:130], v[149:150], v[133:134], v[129:130]
	s_waitcnt vmcnt(13)
	v_fma_f64 v[137:138], v[137:138], v[135:136], v[129:130]
	ds_read_b128 v[129:132], v128 offset:960
	ds_read_b128 v[133:136], v128 offset:976
	s_waitcnt vmcnt(12) lgkmcnt(1)
	v_fma_f64 v[129:130], v[161:162], v[129:130], v[137:138]
	s_waitcnt vmcnt(11)
	v_fma_f64 v[129:130], v[159:160], v[131:132], v[129:130]
	s_waitcnt vmcnt(10) lgkmcnt(0)
	v_fma_f64 v[129:130], v[151:152], v[133:134], v[129:130]
	s_waitcnt vmcnt(5)
	v_fma_f64 v[133:134], v[139:140], v[135:136], v[129:130]
	ds_read_b128 v[129:132], v128 offset:992
	ds_read_b64 v[135:136], v128 offset:1008
	s_waitcnt vmcnt(4) lgkmcnt(1)
	v_fma_f64 v[129:130], v[153:154], v[129:130], v[133:134]
	s_waitcnt vmcnt(3)
	v_fma_f64 v[129:130], v[147:148], v[131:132], v[129:130]
	s_waitcnt vmcnt(2) lgkmcnt(0)
	v_fma_f64 v[129:130], v[145:146], v[135:136], v[129:130]
	s_waitcnt vmcnt(0)
	v_add_f64 v[129:130], v[141:142], -v[129:130]
	buffer_store_dword v130, off, s[0:3], 0 offset:156
	buffer_store_dword v129, off, s[0:3], 0 offset:152
	s_and_saveexec_b64 s[4:5], vcc
	s_cbranch_execz .LBB62_349
; %bb.348:
	buffer_load_dword v129, off, s[0:3], 0 offset:144
	buffer_load_dword v130, off, s[0:3], 0 offset:148
	s_waitcnt vmcnt(0)
	ds_write_b64 v127, v[129:130]
	buffer_store_dword v128, off, s[0:3], 0 offset:144
	buffer_store_dword v128, off, s[0:3], 0 offset:148
.LBB62_349:
	s_or_b64 exec, exec, s[4:5]
	s_waitcnt lgkmcnt(0)
	; wave barrier
	buffer_load_dword v137, off, s[0:3], 0 offset:152
	buffer_load_dword v138, off, s[0:3], 0 offset:156
	;; [unrolled: 1-line block ×22, first 2 shown]
	ds_read2_b64 v[129:132], v128 offset0:83 offset1:84
	ds_read2_b64 v[133:136], v128 offset0:85 offset1:86
	v_cmp_lt_u32_e32 vcc, 17, v0
	s_waitcnt vmcnt(20) lgkmcnt(1)
	v_fma_f64 v[129:130], v[137:138], v[129:130], 0
	s_waitcnt vmcnt(18)
	v_fma_f64 v[129:130], v[139:140], v[131:132], v[129:130]
	buffer_load_dword v138, off, s[0:3], 0 offset:244
	buffer_load_dword v139, off, s[0:3], 0 offset:264
	;; [unrolled: 1-line block ×7, first 2 shown]
	s_waitcnt vmcnt(23) lgkmcnt(0)
	v_fma_f64 v[129:130], v[141:142], v[133:134], v[129:130]
	s_waitcnt vmcnt(21)
	v_fma_f64 v[140:141], v[143:144], v[135:136], v[129:130]
	ds_read2_b64 v[129:132], v128 offset0:87 offset1:88
	ds_read2_b64 v[133:136], v128 offset0:89 offset1:90
	s_waitcnt vmcnt(19) lgkmcnt(1)
	v_fma_f64 v[129:130], v[145:146], v[129:130], v[140:141]
	buffer_load_dword v140, off, s[0:3], 0 offset:268
	s_waitcnt vmcnt(18)
	v_fma_f64 v[129:130], v[147:148], v[131:132], v[129:130]
	buffer_load_dword v142, off, s[0:3], 0 offset:276
	buffer_load_dword v143, off, s[0:3], 0 offset:296
	;; [unrolled: 1-line block ×7, first 2 shown]
	s_waitcnt vmcnt(23) lgkmcnt(0)
	v_fma_f64 v[129:130], v[149:150], v[133:134], v[129:130]
	s_waitcnt vmcnt(18)
	v_fma_f64 v[149:150], v[151:152], v[135:136], v[129:130]
	ds_read2_b64 v[129:132], v128 offset0:91 offset1:92
	ds_read2_b64 v[133:136], v128 offset0:93 offset1:94
	buffer_load_dword v144, off, s[0:3], 0 offset:300
	s_waitcnt vmcnt(18) lgkmcnt(1)
	v_fma_f64 v[129:130], v[157:158], v[129:130], v[149:150]
	s_waitcnt vmcnt(17)
	v_fma_f64 v[129:130], v[155:156], v[131:132], v[129:130]
	buffer_load_dword v150, off, s[0:3], 0 offset:308
	buffer_load_dword v151, off, s[0:3], 0 offset:328
	buffer_load_dword v155, off, s[0:3], 0 offset:320
	buffer_load_dword v157, off, s[0:3], 0 offset:312
	buffer_load_dword v149, off, s[0:3], 0 offset:304
	buffer_load_dword v158, off, s[0:3], 0 offset:316
	buffer_load_dword v156, off, s[0:3], 0 offset:324
	buffer_load_dword v152, off, s[0:3], 0 offset:332
	s_waitcnt vmcnt(24) lgkmcnt(0)
	v_fma_f64 v[129:130], v[153:154], v[133:134], v[129:130]
	s_waitcnt vmcnt(19)
	v_fma_f64 v[137:138], v[137:138], v[135:136], v[129:130]
	ds_read2_b64 v[129:132], v128 offset0:95 offset1:96
	ds_read2_b64 v[133:136], v128 offset0:97 offset1:98
	s_waitcnt vmcnt(18) lgkmcnt(1)
	v_fma_f64 v[129:130], v[161:162], v[129:130], v[137:138]
	s_waitcnt vmcnt(17)
	v_fma_f64 v[129:130], v[159:160], v[131:132], v[129:130]
	buffer_load_dword v138, off, s[0:3], 0 offset:340
	buffer_load_dword v153, off, s[0:3], 0 offset:360
	;; [unrolled: 1-line block ×8, first 2 shown]
	s_waitcnt vmcnt(24) lgkmcnt(0)
	v_fma_f64 v[129:130], v[139:140], v[133:134], v[129:130]
	s_waitcnt vmcnt(19)
	v_fma_f64 v[139:140], v[141:142], v[135:136], v[129:130]
	ds_read2_b64 v[129:132], v128 offset0:99 offset1:100
	ds_read2_b64 v[133:136], v128 offset0:101 offset1:102
	s_waitcnt vmcnt(18) lgkmcnt(1)
	v_fma_f64 v[129:130], v[147:148], v[129:130], v[139:140]
	s_waitcnt vmcnt(17)
	v_fma_f64 v[129:130], v[145:146], v[131:132], v[129:130]
	buffer_load_dword v140, off, s[0:3], 0 offset:372
	buffer_load_dword v141, off, s[0:3], 0 offset:392
	;; [unrolled: 1-line block ×7, first 2 shown]
	s_waitcnt vmcnt(23) lgkmcnt(0)
	v_fma_f64 v[129:130], v[143:144], v[133:134], v[129:130]
	s_waitcnt vmcnt(18)
	v_fma_f64 v[142:143], v[149:150], v[135:136], v[129:130]
	ds_read2_b64 v[129:132], v128 offset0:103 offset1:104
	ds_read2_b64 v[133:136], v128 offset0:105 offset1:106
	s_waitcnt vmcnt(17) lgkmcnt(1)
	v_fma_f64 v[129:130], v[157:158], v[129:130], v[142:143]
	buffer_load_dword v142, off, s[0:3], 0 offset:396
	s_waitcnt vmcnt(17)
	v_fma_f64 v[129:130], v[155:156], v[131:132], v[129:130]
	buffer_load_dword v144, off, s[0:3], 0 offset:404
	buffer_load_dword v149, off, s[0:3], 0 offset:424
	buffer_load_dword v155, off, s[0:3], 0 offset:416
	buffer_load_dword v157, off, s[0:3], 0 offset:408
	buffer_load_dword v143, off, s[0:3], 0 offset:400
	buffer_load_dword v158, off, s[0:3], 0 offset:412
	buffer_load_dword v156, off, s[0:3], 0 offset:420
	buffer_load_dword v150, off, s[0:3], 0 offset:428
	s_waitcnt vmcnt(24) lgkmcnt(0)
	v_fma_f64 v[129:130], v[151:152], v[133:134], v[129:130]
	s_waitcnt vmcnt(19)
	v_fma_f64 v[137:138], v[137:138], v[135:136], v[129:130]
	ds_read2_b64 v[129:132], v128 offset0:107 offset1:108
	ds_read2_b64 v[133:136], v128 offset0:109 offset1:110
	s_waitcnt vmcnt(18) lgkmcnt(1)
	v_fma_f64 v[129:130], v[161:162], v[129:130], v[137:138]
	s_waitcnt vmcnt(17)
	v_fma_f64 v[129:130], v[159:160], v[131:132], v[129:130]
	buffer_load_dword v138, off, s[0:3], 0 offset:436
	buffer_load_dword v151, off, s[0:3], 0 offset:456
	buffer_load_dword v159, off, s[0:3], 0 offset:448
	buffer_load_dword v161, off, s[0:3], 0 offset:440
	buffer_load_dword v137, off, s[0:3], 0 offset:432
	buffer_load_dword v162, off, s[0:3], 0 offset:444
	buffer_load_dword v160, off, s[0:3], 0 offset:452
	buffer_load_dword v152, off, s[0:3], 0 offset:460
	s_waitcnt vmcnt(24) lgkmcnt(0)
	v_fma_f64 v[129:130], v[153:154], v[133:134], v[129:130]
	s_waitcnt vmcnt(19)
	v_fma_f64 v[139:140], v[139:140], v[135:136], v[129:130]
	ds_read2_b64 v[129:132], v128 offset0:111 offset1:112
	ds_read2_b64 v[133:136], v128 offset0:113 offset1:114
	s_waitcnt vmcnt(18) lgkmcnt(1)
	v_fma_f64 v[129:130], v[147:148], v[129:130], v[139:140]
	;; [unrolled: 18-line block ×3, first 2 shown]
	buffer_load_dword v142, off, s[0:3], 0 offset:500
	buffer_load_dword v141, off, s[0:3], 0 offset:496
	;; [unrolled: 1-line block ×4, first 2 shown]
	s_waitcnt vmcnt(21)
	v_fma_f64 v[129:130], v[155:156], v[131:132], v[129:130]
	s_waitcnt vmcnt(20) lgkmcnt(0)
	v_fma_f64 v[129:130], v[149:150], v[133:134], v[129:130]
	s_waitcnt vmcnt(15)
	v_fma_f64 v[137:138], v[137:138], v[135:136], v[129:130]
	ds_read2_b64 v[129:132], v128 offset0:119 offset1:120
	ds_read2_b64 v[133:136], v128 offset0:121 offset1:122
	s_waitcnt vmcnt(14) lgkmcnt(1)
	v_fma_f64 v[129:130], v[161:162], v[129:130], v[137:138]
	s_waitcnt vmcnt(13)
	v_fma_f64 v[129:130], v[159:160], v[131:132], v[129:130]
	s_waitcnt vmcnt(12) lgkmcnt(0)
	v_fma_f64 v[129:130], v[151:152], v[133:134], v[129:130]
	s_waitcnt vmcnt(7)
	v_fma_f64 v[137:138], v[139:140], v[135:136], v[129:130]
	ds_read2_b64 v[129:132], v128 offset0:123 offset1:124
	ds_read2_b64 v[133:136], v128 offset0:125 offset1:126
	s_waitcnt vmcnt(6) lgkmcnt(1)
	v_fma_f64 v[128:129], v[153:154], v[129:130], v[137:138]
	s_waitcnt vmcnt(5)
	v_fma_f64 v[128:129], v[147:148], v[131:132], v[128:129]
	s_waitcnt vmcnt(4) lgkmcnt(0)
	v_fma_f64 v[128:129], v[145:146], v[133:134], v[128:129]
	s_waitcnt vmcnt(2)
	v_fma_f64 v[128:129], v[141:142], v[135:136], v[128:129]
	s_waitcnt vmcnt(0)
	v_add_f64 v[128:129], v[143:144], -v[128:129]
	buffer_store_dword v129, off, s[0:3], 0 offset:148
	buffer_store_dword v128, off, s[0:3], 0 offset:144
	s_and_saveexec_b64 s[4:5], vcc
	s_cbranch_execz .LBB62_351
; %bb.350:
	buffer_load_dword v128, off, s[0:3], 0 offset:136
	buffer_load_dword v129, off, s[0:3], 0 offset:140
	v_mov_b32_e32 v130, 0
	buffer_store_dword v130, off, s[0:3], 0 offset:136
	buffer_store_dword v130, off, s[0:3], 0 offset:140
	s_waitcnt vmcnt(2)
	ds_write_b64 v127, v[128:129]
.LBB62_351:
	s_or_b64 exec, exec, s[4:5]
	s_waitcnt lgkmcnt(0)
	; wave barrier
	buffer_load_dword v137, off, s[0:3], 0 offset:144
	buffer_load_dword v138, off, s[0:3], 0 offset:148
	;; [unrolled: 1-line block ×21, first 2 shown]
	v_mov_b32_e32 v128, 0
	ds_read_b128 v[129:132], v128 offset:656
	ds_read_b128 v[133:136], v128 offset:672
	buffer_load_dword v154, off, s[0:3], 0 offset:228
	v_cmp_lt_u32_e32 vcc, 16, v0
	s_waitcnt vmcnt(20) lgkmcnt(1)
	v_fma_f64 v[129:130], v[137:138], v[129:130], 0
	s_waitcnt vmcnt(18)
	v_fma_f64 v[129:130], v[139:140], v[131:132], v[129:130]
	buffer_load_dword v138, off, s[0:3], 0 offset:236
	buffer_load_dword v139, off, s[0:3], 0 offset:256
	buffer_load_dword v159, off, s[0:3], 0 offset:248
	buffer_load_dword v161, off, s[0:3], 0 offset:240
	buffer_load_dword v137, off, s[0:3], 0 offset:232
	buffer_load_dword v162, off, s[0:3], 0 offset:244
	buffer_load_dword v160, off, s[0:3], 0 offset:252
	s_waitcnt vmcnt(23) lgkmcnt(0)
	v_fma_f64 v[129:130], v[141:142], v[133:134], v[129:130]
	s_waitcnt vmcnt(21)
	v_fma_f64 v[140:141], v[143:144], v[135:136], v[129:130]
	ds_read_b128 v[129:132], v128 offset:688
	ds_read_b128 v[133:136], v128 offset:704
	s_waitcnt vmcnt(19) lgkmcnt(1)
	v_fma_f64 v[129:130], v[145:146], v[129:130], v[140:141]
	buffer_load_dword v140, off, s[0:3], 0 offset:260
	s_waitcnt vmcnt(18)
	v_fma_f64 v[129:130], v[147:148], v[131:132], v[129:130]
	buffer_load_dword v142, off, s[0:3], 0 offset:268
	buffer_load_dword v143, off, s[0:3], 0 offset:288
	;; [unrolled: 1-line block ×7, first 2 shown]
	s_waitcnt vmcnt(23) lgkmcnt(0)
	v_fma_f64 v[129:130], v[149:150], v[133:134], v[129:130]
	s_waitcnt vmcnt(18)
	v_fma_f64 v[149:150], v[151:152], v[135:136], v[129:130]
	ds_read_b128 v[129:132], v128 offset:720
	ds_read_b128 v[133:136], v128 offset:736
	buffer_load_dword v144, off, s[0:3], 0 offset:292
	s_waitcnt vmcnt(18) lgkmcnt(1)
	v_fma_f64 v[129:130], v[157:158], v[129:130], v[149:150]
	s_waitcnt vmcnt(17)
	v_fma_f64 v[129:130], v[155:156], v[131:132], v[129:130]
	buffer_load_dword v150, off, s[0:3], 0 offset:300
	buffer_load_dword v151, off, s[0:3], 0 offset:320
	;; [unrolled: 1-line block ×7, first 2 shown]
	s_waitcnt vmcnt(23) lgkmcnt(0)
	v_fma_f64 v[129:130], v[153:154], v[133:134], v[129:130]
	s_waitcnt vmcnt(18)
	v_fma_f64 v[137:138], v[137:138], v[135:136], v[129:130]
	ds_read_b128 v[129:132], v128 offset:752
	ds_read_b128 v[133:136], v128 offset:768
	buffer_load_dword v152, off, s[0:3], 0 offset:324
	s_waitcnt vmcnt(18) lgkmcnt(1)
	v_fma_f64 v[129:130], v[161:162], v[129:130], v[137:138]
	s_waitcnt vmcnt(17)
	v_fma_f64 v[129:130], v[159:160], v[131:132], v[129:130]
	buffer_load_dword v138, off, s[0:3], 0 offset:332
	buffer_load_dword v153, off, s[0:3], 0 offset:352
	;; [unrolled: 1-line block ×8, first 2 shown]
	s_waitcnt vmcnt(24) lgkmcnt(0)
	v_fma_f64 v[129:130], v[139:140], v[133:134], v[129:130]
	s_waitcnt vmcnt(19)
	v_fma_f64 v[139:140], v[141:142], v[135:136], v[129:130]
	ds_read_b128 v[129:132], v128 offset:784
	ds_read_b128 v[133:136], v128 offset:800
	s_waitcnt vmcnt(18) lgkmcnt(1)
	v_fma_f64 v[129:130], v[147:148], v[129:130], v[139:140]
	s_waitcnt vmcnt(17)
	v_fma_f64 v[129:130], v[145:146], v[131:132], v[129:130]
	buffer_load_dword v140, off, s[0:3], 0 offset:364
	buffer_load_dword v141, off, s[0:3], 0 offset:384
	;; [unrolled: 1-line block ×7, first 2 shown]
	s_waitcnt vmcnt(23) lgkmcnt(0)
	v_fma_f64 v[129:130], v[143:144], v[133:134], v[129:130]
	s_waitcnt vmcnt(18)
	v_fma_f64 v[142:143], v[149:150], v[135:136], v[129:130]
	ds_read_b128 v[129:132], v128 offset:816
	ds_read_b128 v[133:136], v128 offset:832
	s_waitcnt vmcnt(17) lgkmcnt(1)
	v_fma_f64 v[129:130], v[157:158], v[129:130], v[142:143]
	buffer_load_dword v142, off, s[0:3], 0 offset:388
	s_waitcnt vmcnt(17)
	v_fma_f64 v[129:130], v[155:156], v[131:132], v[129:130]
	buffer_load_dword v144, off, s[0:3], 0 offset:396
	buffer_load_dword v149, off, s[0:3], 0 offset:416
	;; [unrolled: 1-line block ×7, first 2 shown]
	s_waitcnt vmcnt(23) lgkmcnt(0)
	v_fma_f64 v[129:130], v[151:152], v[133:134], v[129:130]
	s_waitcnt vmcnt(18)
	v_fma_f64 v[137:138], v[137:138], v[135:136], v[129:130]
	ds_read_b128 v[129:132], v128 offset:848
	ds_read_b128 v[133:136], v128 offset:864
	buffer_load_dword v150, off, s[0:3], 0 offset:420
	s_waitcnt vmcnt(18) lgkmcnt(1)
	v_fma_f64 v[129:130], v[161:162], v[129:130], v[137:138]
	s_waitcnt vmcnt(17)
	v_fma_f64 v[129:130], v[159:160], v[131:132], v[129:130]
	buffer_load_dword v138, off, s[0:3], 0 offset:428
	buffer_load_dword v151, off, s[0:3], 0 offset:448
	;; [unrolled: 1-line block ×8, first 2 shown]
	s_waitcnt vmcnt(24) lgkmcnt(0)
	v_fma_f64 v[129:130], v[153:154], v[133:134], v[129:130]
	s_waitcnt vmcnt(19)
	v_fma_f64 v[139:140], v[139:140], v[135:136], v[129:130]
	ds_read_b128 v[129:132], v128 offset:880
	ds_read_b128 v[133:136], v128 offset:896
	s_waitcnt vmcnt(18) lgkmcnt(1)
	v_fma_f64 v[129:130], v[147:148], v[129:130], v[139:140]
	s_waitcnt vmcnt(17)
	v_fma_f64 v[129:130], v[145:146], v[131:132], v[129:130]
	buffer_load_dword v140, off, s[0:3], 0 offset:460
	buffer_load_dword v145, off, s[0:3], 0 offset:480
	;; [unrolled: 1-line block ×7, first 2 shown]
	s_waitcnt vmcnt(23) lgkmcnt(0)
	v_fma_f64 v[129:130], v[141:142], v[133:134], v[129:130]
	s_waitcnt vmcnt(18)
	v_fma_f64 v[141:142], v[143:144], v[135:136], v[129:130]
	ds_read_b128 v[129:132], v128 offset:912
	ds_read_b128 v[133:136], v128 offset:928
	buffer_load_dword v146, off, s[0:3], 0 offset:484
	s_waitcnt vmcnt(18) lgkmcnt(1)
	v_fma_f64 v[129:130], v[157:158], v[129:130], v[141:142]
	buffer_load_dword v142, off, s[0:3], 0 offset:492
	buffer_load_dword v143, off, s[0:3], 0 offset:496
	;; [unrolled: 1-line block ×4, first 2 shown]
	s_waitcnt vmcnt(21)
	v_fma_f64 v[129:130], v[155:156], v[131:132], v[129:130]
	s_waitcnt vmcnt(20) lgkmcnt(0)
	v_fma_f64 v[129:130], v[149:150], v[133:134], v[129:130]
	buffer_load_dword v149, off, s[0:3], 0 offset:136
	buffer_load_dword v150, off, s[0:3], 0 offset:140
	s_waitcnt vmcnt(17)
	v_fma_f64 v[137:138], v[137:138], v[135:136], v[129:130]
	ds_read_b128 v[129:132], v128 offset:944
	ds_read_b128 v[133:136], v128 offset:960
	s_waitcnt vmcnt(16) lgkmcnt(1)
	v_fma_f64 v[129:130], v[161:162], v[129:130], v[137:138]
	s_waitcnt vmcnt(15)
	v_fma_f64 v[129:130], v[159:160], v[131:132], v[129:130]
	s_waitcnt vmcnt(14) lgkmcnt(0)
	v_fma_f64 v[129:130], v[151:152], v[133:134], v[129:130]
	s_waitcnt vmcnt(9)
	v_fma_f64 v[137:138], v[139:140], v[135:136], v[129:130]
	ds_read_b128 v[129:132], v128 offset:976
	ds_read_b128 v[133:136], v128 offset:992
	s_waitcnt vmcnt(8) lgkmcnt(1)
	v_fma_f64 v[129:130], v[153:154], v[129:130], v[137:138]
	s_waitcnt vmcnt(7)
	v_fma_f64 v[129:130], v[147:148], v[131:132], v[129:130]
	ds_read_b64 v[131:132], v128 offset:1008
	s_waitcnt vmcnt(6) lgkmcnt(1)
	v_fma_f64 v[129:130], v[145:146], v[133:134], v[129:130]
	s_waitcnt vmcnt(3)
	v_fma_f64 v[129:130], v[141:142], v[135:136], v[129:130]
	s_waitcnt vmcnt(2) lgkmcnt(0)
	v_fma_f64 v[129:130], v[143:144], v[131:132], v[129:130]
	s_waitcnt vmcnt(0)
	v_add_f64 v[129:130], v[149:150], -v[129:130]
	buffer_store_dword v130, off, s[0:3], 0 offset:140
	buffer_store_dword v129, off, s[0:3], 0 offset:136
	s_and_saveexec_b64 s[4:5], vcc
	s_cbranch_execz .LBB62_353
; %bb.352:
	buffer_load_dword v129, off, s[0:3], 0 offset:128
	buffer_load_dword v130, off, s[0:3], 0 offset:132
	s_waitcnt vmcnt(0)
	ds_write_b64 v127, v[129:130]
	buffer_store_dword v128, off, s[0:3], 0 offset:128
	buffer_store_dword v128, off, s[0:3], 0 offset:132
.LBB62_353:
	s_or_b64 exec, exec, s[4:5]
	s_waitcnt lgkmcnt(0)
	; wave barrier
	buffer_load_dword v137, off, s[0:3], 0 offset:136
	buffer_load_dword v138, off, s[0:3], 0 offset:140
	;; [unrolled: 1-line block ×21, first 2 shown]
	ds_read2_b64 v[129:132], v128 offset0:81 offset1:82
	ds_read2_b64 v[133:136], v128 offset0:83 offset1:84
	buffer_load_dword v154, off, s[0:3], 0 offset:220
	v_cmp_lt_u32_e32 vcc, 15, v0
	s_waitcnt vmcnt(20) lgkmcnt(1)
	v_fma_f64 v[129:130], v[137:138], v[129:130], 0
	s_waitcnt vmcnt(18)
	v_fma_f64 v[129:130], v[139:140], v[131:132], v[129:130]
	buffer_load_dword v138, off, s[0:3], 0 offset:228
	buffer_load_dword v139, off, s[0:3], 0 offset:248
	;; [unrolled: 1-line block ×7, first 2 shown]
	s_waitcnt vmcnt(23) lgkmcnt(0)
	v_fma_f64 v[129:130], v[141:142], v[133:134], v[129:130]
	s_waitcnt vmcnt(21)
	v_fma_f64 v[140:141], v[143:144], v[135:136], v[129:130]
	ds_read2_b64 v[129:132], v128 offset0:85 offset1:86
	ds_read2_b64 v[133:136], v128 offset0:87 offset1:88
	s_waitcnt vmcnt(19) lgkmcnt(1)
	v_fma_f64 v[129:130], v[145:146], v[129:130], v[140:141]
	buffer_load_dword v140, off, s[0:3], 0 offset:252
	s_waitcnt vmcnt(18)
	v_fma_f64 v[129:130], v[147:148], v[131:132], v[129:130]
	buffer_load_dword v142, off, s[0:3], 0 offset:260
	buffer_load_dword v143, off, s[0:3], 0 offset:280
	;; [unrolled: 1-line block ×8, first 2 shown]
	s_waitcnt vmcnt(24) lgkmcnt(0)
	v_fma_f64 v[129:130], v[149:150], v[133:134], v[129:130]
	s_waitcnt vmcnt(19)
	v_fma_f64 v[149:150], v[151:152], v[135:136], v[129:130]
	ds_read2_b64 v[129:132], v128 offset0:89 offset1:90
	ds_read2_b64 v[133:136], v128 offset0:91 offset1:92
	s_waitcnt vmcnt(18) lgkmcnt(1)
	v_fma_f64 v[129:130], v[157:158], v[129:130], v[149:150]
	s_waitcnt vmcnt(17)
	v_fma_f64 v[129:130], v[155:156], v[131:132], v[129:130]
	buffer_load_dword v150, off, s[0:3], 0 offset:292
	buffer_load_dword v151, off, s[0:3], 0 offset:312
	;; [unrolled: 1-line block ×7, first 2 shown]
	s_waitcnt vmcnt(23) lgkmcnt(0)
	v_fma_f64 v[129:130], v[153:154], v[133:134], v[129:130]
	s_waitcnt vmcnt(18)
	v_fma_f64 v[137:138], v[137:138], v[135:136], v[129:130]
	ds_read2_b64 v[129:132], v128 offset0:93 offset1:94
	ds_read2_b64 v[133:136], v128 offset0:95 offset1:96
	buffer_load_dword v152, off, s[0:3], 0 offset:316
	s_waitcnt vmcnt(18) lgkmcnt(1)
	v_fma_f64 v[129:130], v[161:162], v[129:130], v[137:138]
	s_waitcnt vmcnt(17)
	v_fma_f64 v[129:130], v[159:160], v[131:132], v[129:130]
	buffer_load_dword v138, off, s[0:3], 0 offset:324
	buffer_load_dword v153, off, s[0:3], 0 offset:344
	;; [unrolled: 1-line block ×8, first 2 shown]
	s_waitcnt vmcnt(24) lgkmcnt(0)
	v_fma_f64 v[129:130], v[139:140], v[133:134], v[129:130]
	s_waitcnt vmcnt(19)
	v_fma_f64 v[139:140], v[141:142], v[135:136], v[129:130]
	ds_read2_b64 v[129:132], v128 offset0:97 offset1:98
	ds_read2_b64 v[133:136], v128 offset0:99 offset1:100
	s_waitcnt vmcnt(18) lgkmcnt(1)
	v_fma_f64 v[129:130], v[147:148], v[129:130], v[139:140]
	s_waitcnt vmcnt(17)
	v_fma_f64 v[129:130], v[145:146], v[131:132], v[129:130]
	buffer_load_dword v140, off, s[0:3], 0 offset:356
	buffer_load_dword v141, off, s[0:3], 0 offset:376
	;; [unrolled: 1-line block ×7, first 2 shown]
	s_waitcnt vmcnt(23) lgkmcnt(0)
	v_fma_f64 v[129:130], v[143:144], v[133:134], v[129:130]
	s_waitcnt vmcnt(18)
	v_fma_f64 v[142:143], v[149:150], v[135:136], v[129:130]
	ds_read2_b64 v[129:132], v128 offset0:101 offset1:102
	ds_read2_b64 v[133:136], v128 offset0:103 offset1:104
	s_waitcnt vmcnt(17) lgkmcnt(1)
	v_fma_f64 v[129:130], v[157:158], v[129:130], v[142:143]
	buffer_load_dword v142, off, s[0:3], 0 offset:380
	s_waitcnt vmcnt(17)
	v_fma_f64 v[129:130], v[155:156], v[131:132], v[129:130]
	buffer_load_dword v144, off, s[0:3], 0 offset:388
	buffer_load_dword v149, off, s[0:3], 0 offset:408
	;; [unrolled: 1-line block ×7, first 2 shown]
	s_waitcnt vmcnt(23) lgkmcnt(0)
	v_fma_f64 v[129:130], v[151:152], v[133:134], v[129:130]
	s_waitcnt vmcnt(18)
	v_fma_f64 v[137:138], v[137:138], v[135:136], v[129:130]
	ds_read2_b64 v[129:132], v128 offset0:105 offset1:106
	ds_read2_b64 v[133:136], v128 offset0:107 offset1:108
	buffer_load_dword v150, off, s[0:3], 0 offset:412
	s_waitcnt vmcnt(18) lgkmcnt(1)
	v_fma_f64 v[129:130], v[161:162], v[129:130], v[137:138]
	s_waitcnt vmcnt(17)
	v_fma_f64 v[129:130], v[159:160], v[131:132], v[129:130]
	buffer_load_dword v138, off, s[0:3], 0 offset:420
	buffer_load_dword v151, off, s[0:3], 0 offset:440
	;; [unrolled: 1-line block ×8, first 2 shown]
	s_waitcnt vmcnt(24) lgkmcnt(0)
	v_fma_f64 v[129:130], v[153:154], v[133:134], v[129:130]
	s_waitcnt vmcnt(19)
	v_fma_f64 v[139:140], v[139:140], v[135:136], v[129:130]
	ds_read2_b64 v[129:132], v128 offset0:109 offset1:110
	ds_read2_b64 v[133:136], v128 offset0:111 offset1:112
	s_waitcnt vmcnt(18) lgkmcnt(1)
	v_fma_f64 v[129:130], v[147:148], v[129:130], v[139:140]
	s_waitcnt vmcnt(17)
	v_fma_f64 v[129:130], v[145:146], v[131:132], v[129:130]
	buffer_load_dword v140, off, s[0:3], 0 offset:452
	buffer_load_dword v145, off, s[0:3], 0 offset:472
	;; [unrolled: 1-line block ×8, first 2 shown]
	s_waitcnt vmcnt(24) lgkmcnt(0)
	v_fma_f64 v[129:130], v[141:142], v[133:134], v[129:130]
	s_waitcnt vmcnt(19)
	v_fma_f64 v[141:142], v[143:144], v[135:136], v[129:130]
	ds_read2_b64 v[129:132], v128 offset0:113 offset1:114
	ds_read2_b64 v[133:136], v128 offset0:115 offset1:116
	s_waitcnt vmcnt(18) lgkmcnt(1)
	v_fma_f64 v[129:130], v[157:158], v[129:130], v[141:142]
	s_waitcnt vmcnt(17)
	v_fma_f64 v[129:130], v[155:156], v[131:132], v[129:130]
	buffer_load_dword v142, off, s[0:3], 0 offset:484
	buffer_load_dword v143, off, s[0:3], 0 offset:496
	;; [unrolled: 1-line block ×6, first 2 shown]
	s_waitcnt vmcnt(22) lgkmcnt(0)
	v_fma_f64 v[129:130], v[149:150], v[133:134], v[129:130]
	s_waitcnt vmcnt(17)
	v_fma_f64 v[137:138], v[137:138], v[135:136], v[129:130]
	ds_read2_b64 v[129:132], v128 offset0:117 offset1:118
	buffer_load_dword v149, off, s[0:3], 0 offset:128
	buffer_load_dword v150, off, s[0:3], 0 offset:132
	ds_read2_b64 v[133:136], v128 offset0:119 offset1:120
	s_waitcnt vmcnt(18) lgkmcnt(1)
	v_fma_f64 v[129:130], v[161:162], v[129:130], v[137:138]
	s_waitcnt vmcnt(17)
	v_fma_f64 v[129:130], v[159:160], v[131:132], v[129:130]
	s_waitcnt vmcnt(16) lgkmcnt(0)
	v_fma_f64 v[129:130], v[151:152], v[133:134], v[129:130]
	s_waitcnt vmcnt(11)
	v_fma_f64 v[137:138], v[139:140], v[135:136], v[129:130]
	ds_read2_b64 v[129:132], v128 offset0:121 offset1:122
	ds_read2_b64 v[133:136], v128 offset0:123 offset1:124
	s_waitcnt vmcnt(10) lgkmcnt(1)
	v_fma_f64 v[129:130], v[153:154], v[129:130], v[137:138]
	s_waitcnt vmcnt(9)
	v_fma_f64 v[129:130], v[147:148], v[131:132], v[129:130]
	s_waitcnt vmcnt(8) lgkmcnt(0)
	v_fma_f64 v[129:130], v[145:146], v[133:134], v[129:130]
	s_waitcnt vmcnt(4)
	v_fma_f64 v[132:133], v[141:142], v[135:136], v[129:130]
	ds_read2_b64 v[128:131], v128 offset0:125 offset1:126
	s_waitcnt vmcnt(3) lgkmcnt(0)
	v_fma_f64 v[128:129], v[155:156], v[128:129], v[132:133]
	s_waitcnt vmcnt(2)
	v_fma_f64 v[128:129], v[143:144], v[130:131], v[128:129]
	s_waitcnt vmcnt(0)
	v_add_f64 v[128:129], v[149:150], -v[128:129]
	buffer_store_dword v129, off, s[0:3], 0 offset:132
	buffer_store_dword v128, off, s[0:3], 0 offset:128
	s_and_saveexec_b64 s[4:5], vcc
	s_cbranch_execz .LBB62_355
; %bb.354:
	buffer_load_dword v128, off, s[0:3], 0 offset:120
	buffer_load_dword v129, off, s[0:3], 0 offset:124
	v_mov_b32_e32 v130, 0
	buffer_store_dword v130, off, s[0:3], 0 offset:120
	buffer_store_dword v130, off, s[0:3], 0 offset:124
	s_waitcnt vmcnt(2)
	ds_write_b64 v127, v[128:129]
.LBB62_355:
	s_or_b64 exec, exec, s[4:5]
	s_waitcnt lgkmcnt(0)
	; wave barrier
	buffer_load_dword v137, off, s[0:3], 0 offset:128
	buffer_load_dword v138, off, s[0:3], 0 offset:132
	;; [unrolled: 1-line block ×21, first 2 shown]
	v_mov_b32_e32 v128, 0
	ds_read_b128 v[129:132], v128 offset:640
	ds_read_b128 v[133:136], v128 offset:656
	buffer_load_dword v154, off, s[0:3], 0 offset:212
	v_cmp_lt_u32_e32 vcc, 14, v0
	s_waitcnt vmcnt(20) lgkmcnt(1)
	v_fma_f64 v[129:130], v[137:138], v[129:130], 0
	s_waitcnt vmcnt(18)
	v_fma_f64 v[129:130], v[139:140], v[131:132], v[129:130]
	buffer_load_dword v138, off, s[0:3], 0 offset:220
	buffer_load_dword v139, off, s[0:3], 0 offset:240
	;; [unrolled: 1-line block ×7, first 2 shown]
	s_waitcnt vmcnt(23) lgkmcnt(0)
	v_fma_f64 v[129:130], v[141:142], v[133:134], v[129:130]
	s_waitcnt vmcnt(21)
	v_fma_f64 v[140:141], v[143:144], v[135:136], v[129:130]
	ds_read_b128 v[129:132], v128 offset:672
	ds_read_b128 v[133:136], v128 offset:688
	s_waitcnt vmcnt(19) lgkmcnt(1)
	v_fma_f64 v[129:130], v[145:146], v[129:130], v[140:141]
	buffer_load_dword v140, off, s[0:3], 0 offset:244
	s_waitcnt vmcnt(18)
	v_fma_f64 v[129:130], v[147:148], v[131:132], v[129:130]
	buffer_load_dword v142, off, s[0:3], 0 offset:252
	buffer_load_dword v143, off, s[0:3], 0 offset:272
	;; [unrolled: 1-line block ×8, first 2 shown]
	s_waitcnt vmcnt(24) lgkmcnt(0)
	v_fma_f64 v[129:130], v[149:150], v[133:134], v[129:130]
	s_waitcnt vmcnt(19)
	v_fma_f64 v[149:150], v[151:152], v[135:136], v[129:130]
	ds_read_b128 v[129:132], v128 offset:704
	ds_read_b128 v[133:136], v128 offset:720
	s_waitcnt vmcnt(18) lgkmcnt(1)
	v_fma_f64 v[129:130], v[157:158], v[129:130], v[149:150]
	s_waitcnt vmcnt(17)
	v_fma_f64 v[129:130], v[155:156], v[131:132], v[129:130]
	buffer_load_dword v150, off, s[0:3], 0 offset:284
	buffer_load_dword v151, off, s[0:3], 0 offset:304
	;; [unrolled: 1-line block ×7, first 2 shown]
	s_waitcnt vmcnt(23) lgkmcnt(0)
	v_fma_f64 v[129:130], v[153:154], v[133:134], v[129:130]
	s_waitcnt vmcnt(18)
	v_fma_f64 v[137:138], v[137:138], v[135:136], v[129:130]
	ds_read_b128 v[129:132], v128 offset:736
	ds_read_b128 v[133:136], v128 offset:752
	buffer_load_dword v152, off, s[0:3], 0 offset:308
	s_waitcnt vmcnt(18) lgkmcnt(1)
	v_fma_f64 v[129:130], v[161:162], v[129:130], v[137:138]
	s_waitcnt vmcnt(17)
	v_fma_f64 v[129:130], v[159:160], v[131:132], v[129:130]
	buffer_load_dword v138, off, s[0:3], 0 offset:316
	buffer_load_dword v153, off, s[0:3], 0 offset:336
	;; [unrolled: 1-line block ×8, first 2 shown]
	s_waitcnt vmcnt(24) lgkmcnt(0)
	v_fma_f64 v[129:130], v[139:140], v[133:134], v[129:130]
	s_waitcnt vmcnt(19)
	v_fma_f64 v[139:140], v[141:142], v[135:136], v[129:130]
	ds_read_b128 v[129:132], v128 offset:768
	ds_read_b128 v[133:136], v128 offset:784
	s_waitcnt vmcnt(18) lgkmcnt(1)
	v_fma_f64 v[129:130], v[147:148], v[129:130], v[139:140]
	s_waitcnt vmcnt(17)
	v_fma_f64 v[129:130], v[145:146], v[131:132], v[129:130]
	buffer_load_dword v140, off, s[0:3], 0 offset:348
	buffer_load_dword v141, off, s[0:3], 0 offset:368
	;; [unrolled: 1-line block ×7, first 2 shown]
	s_waitcnt vmcnt(23) lgkmcnt(0)
	v_fma_f64 v[129:130], v[143:144], v[133:134], v[129:130]
	s_waitcnt vmcnt(18)
	v_fma_f64 v[142:143], v[149:150], v[135:136], v[129:130]
	ds_read_b128 v[129:132], v128 offset:800
	ds_read_b128 v[133:136], v128 offset:816
	s_waitcnt vmcnt(17) lgkmcnt(1)
	v_fma_f64 v[129:130], v[157:158], v[129:130], v[142:143]
	buffer_load_dword v142, off, s[0:3], 0 offset:372
	s_waitcnt vmcnt(17)
	v_fma_f64 v[129:130], v[155:156], v[131:132], v[129:130]
	buffer_load_dword v144, off, s[0:3], 0 offset:380
	buffer_load_dword v149, off, s[0:3], 0 offset:400
	;; [unrolled: 1-line block ×7, first 2 shown]
	s_waitcnt vmcnt(23) lgkmcnt(0)
	v_fma_f64 v[129:130], v[151:152], v[133:134], v[129:130]
	s_waitcnt vmcnt(18)
	v_fma_f64 v[137:138], v[137:138], v[135:136], v[129:130]
	ds_read_b128 v[129:132], v128 offset:832
	ds_read_b128 v[133:136], v128 offset:848
	buffer_load_dword v150, off, s[0:3], 0 offset:404
	s_waitcnt vmcnt(18) lgkmcnt(1)
	v_fma_f64 v[129:130], v[161:162], v[129:130], v[137:138]
	s_waitcnt vmcnt(17)
	v_fma_f64 v[129:130], v[159:160], v[131:132], v[129:130]
	buffer_load_dword v138, off, s[0:3], 0 offset:412
	buffer_load_dword v151, off, s[0:3], 0 offset:432
	buffer_load_dword v159, off, s[0:3], 0 offset:424
	buffer_load_dword v161, off, s[0:3], 0 offset:416
	buffer_load_dword v137, off, s[0:3], 0 offset:408
	buffer_load_dword v162, off, s[0:3], 0 offset:420
	buffer_load_dword v160, off, s[0:3], 0 offset:428
	buffer_load_dword v152, off, s[0:3], 0 offset:436
	s_waitcnt vmcnt(24) lgkmcnt(0)
	v_fma_f64 v[129:130], v[153:154], v[133:134], v[129:130]
	s_waitcnt vmcnt(19)
	v_fma_f64 v[139:140], v[139:140], v[135:136], v[129:130]
	ds_read_b128 v[129:132], v128 offset:864
	ds_read_b128 v[133:136], v128 offset:880
	s_waitcnt vmcnt(18) lgkmcnt(1)
	v_fma_f64 v[129:130], v[147:148], v[129:130], v[139:140]
	s_waitcnt vmcnt(17)
	v_fma_f64 v[129:130], v[145:146], v[131:132], v[129:130]
	buffer_load_dword v140, off, s[0:3], 0 offset:444
	buffer_load_dword v145, off, s[0:3], 0 offset:464
	buffer_load_dword v147, off, s[0:3], 0 offset:456
	buffer_load_dword v153, off, s[0:3], 0 offset:448
	buffer_load_dword v139, off, s[0:3], 0 offset:440
	buffer_load_dword v154, off, s[0:3], 0 offset:452
	buffer_load_dword v148, off, s[0:3], 0 offset:460
	buffer_load_dword v146, off, s[0:3], 0 offset:468
	s_waitcnt vmcnt(24) lgkmcnt(0)
	v_fma_f64 v[129:130], v[141:142], v[133:134], v[129:130]
	s_waitcnt vmcnt(19)
	v_fma_f64 v[141:142], v[143:144], v[135:136], v[129:130]
	ds_read_b128 v[129:132], v128 offset:896
	ds_read_b128 v[133:136], v128 offset:912
	s_waitcnt vmcnt(18) lgkmcnt(1)
	v_fma_f64 v[129:130], v[157:158], v[129:130], v[141:142]
	s_waitcnt vmcnt(17)
	v_fma_f64 v[129:130], v[155:156], v[131:132], v[129:130]
	buffer_load_dword v142, off, s[0:3], 0 offset:476
	buffer_load_dword v143, off, s[0:3], 0 offset:496
	buffer_load_dword v155, off, s[0:3], 0 offset:488
	buffer_load_dword v157, off, s[0:3], 0 offset:480
	buffer_load_dword v141, off, s[0:3], 0 offset:472
	buffer_load_dword v158, off, s[0:3], 0 offset:484
	buffer_load_dword v156, off, s[0:3], 0 offset:492
	buffer_load_dword v144, off, s[0:3], 0 offset:500
	s_waitcnt vmcnt(24) lgkmcnt(0)
	v_fma_f64 v[129:130], v[149:150], v[133:134], v[129:130]
	s_waitcnt vmcnt(19)
	v_fma_f64 v[137:138], v[137:138], v[135:136], v[129:130]
	ds_read_b128 v[129:132], v128 offset:928
	ds_read_b128 v[133:136], v128 offset:944
	s_waitcnt vmcnt(18) lgkmcnt(1)
	v_fma_f64 v[129:130], v[161:162], v[129:130], v[137:138]
	buffer_load_dword v137, off, s[0:3], 0 offset:120
	buffer_load_dword v138, off, s[0:3], 0 offset:124
	s_waitcnt vmcnt(19)
	v_fma_f64 v[129:130], v[159:160], v[131:132], v[129:130]
	s_waitcnt vmcnt(18) lgkmcnt(0)
	v_fma_f64 v[129:130], v[151:152], v[133:134], v[129:130]
	s_waitcnt vmcnt(13)
	v_fma_f64 v[139:140], v[139:140], v[135:136], v[129:130]
	ds_read_b128 v[129:132], v128 offset:960
	ds_read_b128 v[133:136], v128 offset:976
	s_waitcnt vmcnt(12) lgkmcnt(1)
	v_fma_f64 v[129:130], v[153:154], v[129:130], v[139:140]
	s_waitcnt vmcnt(11)
	v_fma_f64 v[129:130], v[147:148], v[131:132], v[129:130]
	s_waitcnt vmcnt(10) lgkmcnt(0)
	v_fma_f64 v[129:130], v[145:146], v[133:134], v[129:130]
	s_waitcnt vmcnt(5)
	v_fma_f64 v[133:134], v[141:142], v[135:136], v[129:130]
	ds_read_b128 v[129:132], v128 offset:992
	ds_read_b64 v[135:136], v128 offset:1008
	s_waitcnt vmcnt(4) lgkmcnt(1)
	v_fma_f64 v[129:130], v[157:158], v[129:130], v[133:134]
	s_waitcnt vmcnt(3)
	v_fma_f64 v[129:130], v[155:156], v[131:132], v[129:130]
	s_waitcnt vmcnt(2) lgkmcnt(0)
	v_fma_f64 v[129:130], v[143:144], v[135:136], v[129:130]
	s_waitcnt vmcnt(0)
	v_add_f64 v[129:130], v[137:138], -v[129:130]
	buffer_store_dword v130, off, s[0:3], 0 offset:124
	buffer_store_dword v129, off, s[0:3], 0 offset:120
	s_and_saveexec_b64 s[4:5], vcc
	s_cbranch_execz .LBB62_357
; %bb.356:
	buffer_load_dword v129, off, s[0:3], 0 offset:112
	buffer_load_dword v130, off, s[0:3], 0 offset:116
	s_waitcnt vmcnt(0)
	ds_write_b64 v127, v[129:130]
	buffer_store_dword v128, off, s[0:3], 0 offset:112
	buffer_store_dword v128, off, s[0:3], 0 offset:116
.LBB62_357:
	s_or_b64 exec, exec, s[4:5]
	s_waitcnt lgkmcnt(0)
	; wave barrier
	buffer_load_dword v137, off, s[0:3], 0 offset:120
	buffer_load_dword v138, off, s[0:3], 0 offset:124
	buffer_load_dword v139, off, s[0:3], 0 offset:128
	buffer_load_dword v140, off, s[0:3], 0 offset:132
	buffer_load_dword v141, off, s[0:3], 0 offset:136
	buffer_load_dword v142, off, s[0:3], 0 offset:140
	buffer_load_dword v143, off, s[0:3], 0 offset:144
	buffer_load_dword v144, off, s[0:3], 0 offset:148
	buffer_load_dword v145, off, s[0:3], 0 offset:152
	buffer_load_dword v146, off, s[0:3], 0 offset:156
	buffer_load_dword v147, off, s[0:3], 0 offset:160
	buffer_load_dword v148, off, s[0:3], 0 offset:164
	buffer_load_dword v149, off, s[0:3], 0 offset:168
	buffer_load_dword v150, off, s[0:3], 0 offset:172
	buffer_load_dword v152, off, s[0:3], 0 offset:180
	buffer_load_dword v153, off, s[0:3], 0 offset:200
	buffer_load_dword v155, off, s[0:3], 0 offset:192
	buffer_load_dword v157, off, s[0:3], 0 offset:184
	buffer_load_dword v151, off, s[0:3], 0 offset:176
	buffer_load_dword v158, off, s[0:3], 0 offset:188
	buffer_load_dword v156, off, s[0:3], 0 offset:196
	ds_read2_b64 v[129:132], v128 offset0:79 offset1:80
	ds_read2_b64 v[133:136], v128 offset0:81 offset1:82
	buffer_load_dword v154, off, s[0:3], 0 offset:204
	v_cmp_lt_u32_e32 vcc, 13, v0
	s_waitcnt vmcnt(20) lgkmcnt(1)
	v_fma_f64 v[129:130], v[137:138], v[129:130], 0
	s_waitcnt vmcnt(18)
	v_fma_f64 v[129:130], v[139:140], v[131:132], v[129:130]
	buffer_load_dword v138, off, s[0:3], 0 offset:212
	buffer_load_dword v139, off, s[0:3], 0 offset:232
	buffer_load_dword v159, off, s[0:3], 0 offset:224
	buffer_load_dword v161, off, s[0:3], 0 offset:216
	buffer_load_dword v137, off, s[0:3], 0 offset:208
	buffer_load_dword v162, off, s[0:3], 0 offset:220
	buffer_load_dword v160, off, s[0:3], 0 offset:228
	s_waitcnt vmcnt(23) lgkmcnt(0)
	v_fma_f64 v[129:130], v[141:142], v[133:134], v[129:130]
	s_waitcnt vmcnt(21)
	v_fma_f64 v[140:141], v[143:144], v[135:136], v[129:130]
	ds_read2_b64 v[129:132], v128 offset0:83 offset1:84
	ds_read2_b64 v[133:136], v128 offset0:85 offset1:86
	s_waitcnt vmcnt(19) lgkmcnt(1)
	v_fma_f64 v[129:130], v[145:146], v[129:130], v[140:141]
	buffer_load_dword v140, off, s[0:3], 0 offset:236
	s_waitcnt vmcnt(18)
	v_fma_f64 v[129:130], v[147:148], v[131:132], v[129:130]
	buffer_load_dword v142, off, s[0:3], 0 offset:244
	buffer_load_dword v143, off, s[0:3], 0 offset:264
	;; [unrolled: 1-line block ×8, first 2 shown]
	s_waitcnt vmcnt(24) lgkmcnt(0)
	v_fma_f64 v[129:130], v[149:150], v[133:134], v[129:130]
	s_waitcnt vmcnt(19)
	v_fma_f64 v[149:150], v[151:152], v[135:136], v[129:130]
	ds_read2_b64 v[129:132], v128 offset0:87 offset1:88
	ds_read2_b64 v[133:136], v128 offset0:89 offset1:90
	s_waitcnt vmcnt(18) lgkmcnt(1)
	v_fma_f64 v[129:130], v[157:158], v[129:130], v[149:150]
	s_waitcnt vmcnt(17)
	v_fma_f64 v[129:130], v[155:156], v[131:132], v[129:130]
	buffer_load_dword v150, off, s[0:3], 0 offset:276
	buffer_load_dword v151, off, s[0:3], 0 offset:296
	;; [unrolled: 1-line block ×7, first 2 shown]
	s_waitcnt vmcnt(23) lgkmcnt(0)
	v_fma_f64 v[129:130], v[153:154], v[133:134], v[129:130]
	s_waitcnt vmcnt(18)
	v_fma_f64 v[137:138], v[137:138], v[135:136], v[129:130]
	ds_read2_b64 v[129:132], v128 offset0:91 offset1:92
	ds_read2_b64 v[133:136], v128 offset0:93 offset1:94
	buffer_load_dword v152, off, s[0:3], 0 offset:300
	s_waitcnt vmcnt(18) lgkmcnt(1)
	v_fma_f64 v[129:130], v[161:162], v[129:130], v[137:138]
	s_waitcnt vmcnt(17)
	v_fma_f64 v[129:130], v[159:160], v[131:132], v[129:130]
	buffer_load_dword v138, off, s[0:3], 0 offset:308
	buffer_load_dword v153, off, s[0:3], 0 offset:328
	;; [unrolled: 1-line block ×8, first 2 shown]
	s_waitcnt vmcnt(24) lgkmcnt(0)
	v_fma_f64 v[129:130], v[139:140], v[133:134], v[129:130]
	s_waitcnt vmcnt(19)
	v_fma_f64 v[139:140], v[141:142], v[135:136], v[129:130]
	ds_read2_b64 v[129:132], v128 offset0:95 offset1:96
	ds_read2_b64 v[133:136], v128 offset0:97 offset1:98
	s_waitcnt vmcnt(18) lgkmcnt(1)
	v_fma_f64 v[129:130], v[147:148], v[129:130], v[139:140]
	s_waitcnt vmcnt(17)
	v_fma_f64 v[129:130], v[145:146], v[131:132], v[129:130]
	buffer_load_dword v140, off, s[0:3], 0 offset:340
	buffer_load_dword v141, off, s[0:3], 0 offset:360
	;; [unrolled: 1-line block ×7, first 2 shown]
	s_waitcnt vmcnt(23) lgkmcnt(0)
	v_fma_f64 v[129:130], v[143:144], v[133:134], v[129:130]
	s_waitcnt vmcnt(18)
	v_fma_f64 v[142:143], v[149:150], v[135:136], v[129:130]
	ds_read2_b64 v[129:132], v128 offset0:99 offset1:100
	ds_read2_b64 v[133:136], v128 offset0:101 offset1:102
	s_waitcnt vmcnt(17) lgkmcnt(1)
	v_fma_f64 v[129:130], v[157:158], v[129:130], v[142:143]
	buffer_load_dword v142, off, s[0:3], 0 offset:364
	s_waitcnt vmcnt(17)
	v_fma_f64 v[129:130], v[155:156], v[131:132], v[129:130]
	buffer_load_dword v144, off, s[0:3], 0 offset:372
	buffer_load_dword v149, off, s[0:3], 0 offset:392
	;; [unrolled: 1-line block ×7, first 2 shown]
	s_waitcnt vmcnt(23) lgkmcnt(0)
	v_fma_f64 v[129:130], v[151:152], v[133:134], v[129:130]
	s_waitcnt vmcnt(18)
	v_fma_f64 v[137:138], v[137:138], v[135:136], v[129:130]
	ds_read2_b64 v[129:132], v128 offset0:103 offset1:104
	ds_read2_b64 v[133:136], v128 offset0:105 offset1:106
	buffer_load_dword v150, off, s[0:3], 0 offset:396
	s_waitcnt vmcnt(18) lgkmcnt(1)
	v_fma_f64 v[129:130], v[161:162], v[129:130], v[137:138]
	s_waitcnt vmcnt(17)
	v_fma_f64 v[129:130], v[159:160], v[131:132], v[129:130]
	buffer_load_dword v138, off, s[0:3], 0 offset:404
	buffer_load_dword v151, off, s[0:3], 0 offset:424
	buffer_load_dword v159, off, s[0:3], 0 offset:416
	buffer_load_dword v161, off, s[0:3], 0 offset:408
	buffer_load_dword v137, off, s[0:3], 0 offset:400
	buffer_load_dword v162, off, s[0:3], 0 offset:412
	buffer_load_dword v160, off, s[0:3], 0 offset:420
	buffer_load_dword v152, off, s[0:3], 0 offset:428
	s_waitcnt vmcnt(24) lgkmcnt(0)
	v_fma_f64 v[129:130], v[153:154], v[133:134], v[129:130]
	s_waitcnt vmcnt(19)
	v_fma_f64 v[139:140], v[139:140], v[135:136], v[129:130]
	ds_read2_b64 v[129:132], v128 offset0:107 offset1:108
	ds_read2_b64 v[133:136], v128 offset0:109 offset1:110
	s_waitcnt vmcnt(18) lgkmcnt(1)
	v_fma_f64 v[129:130], v[147:148], v[129:130], v[139:140]
	s_waitcnt vmcnt(17)
	v_fma_f64 v[129:130], v[145:146], v[131:132], v[129:130]
	buffer_load_dword v140, off, s[0:3], 0 offset:436
	buffer_load_dword v145, off, s[0:3], 0 offset:456
	buffer_load_dword v147, off, s[0:3], 0 offset:448
	buffer_load_dword v153, off, s[0:3], 0 offset:440
	buffer_load_dword v139, off, s[0:3], 0 offset:432
	buffer_load_dword v154, off, s[0:3], 0 offset:444
	buffer_load_dword v148, off, s[0:3], 0 offset:452
	buffer_load_dword v146, off, s[0:3], 0 offset:460
	s_waitcnt vmcnt(24) lgkmcnt(0)
	v_fma_f64 v[129:130], v[141:142], v[133:134], v[129:130]
	s_waitcnt vmcnt(19)
	v_fma_f64 v[141:142], v[143:144], v[135:136], v[129:130]
	ds_read2_b64 v[129:132], v128 offset0:111 offset1:112
	ds_read2_b64 v[133:136], v128 offset0:113 offset1:114
	;; [unrolled: 18-line block ×3, first 2 shown]
	s_waitcnt vmcnt(18) lgkmcnt(1)
	v_fma_f64 v[129:130], v[161:162], v[129:130], v[137:138]
	buffer_load_dword v138, off, s[0:3], 0 offset:500
	buffer_load_dword v137, off, s[0:3], 0 offset:496
	;; [unrolled: 1-line block ×4, first 2 shown]
	s_waitcnt vmcnt(21)
	v_fma_f64 v[129:130], v[159:160], v[131:132], v[129:130]
	s_waitcnt vmcnt(20) lgkmcnt(0)
	v_fma_f64 v[129:130], v[151:152], v[133:134], v[129:130]
	s_waitcnt vmcnt(15)
	v_fma_f64 v[139:140], v[139:140], v[135:136], v[129:130]
	ds_read2_b64 v[129:132], v128 offset0:119 offset1:120
	ds_read2_b64 v[133:136], v128 offset0:121 offset1:122
	s_waitcnt vmcnt(14) lgkmcnt(1)
	v_fma_f64 v[129:130], v[153:154], v[129:130], v[139:140]
	s_waitcnt vmcnt(13)
	v_fma_f64 v[129:130], v[147:148], v[131:132], v[129:130]
	s_waitcnt vmcnt(12) lgkmcnt(0)
	v_fma_f64 v[129:130], v[145:146], v[133:134], v[129:130]
	s_waitcnt vmcnt(7)
	v_fma_f64 v[139:140], v[141:142], v[135:136], v[129:130]
	ds_read2_b64 v[129:132], v128 offset0:123 offset1:124
	ds_read2_b64 v[133:136], v128 offset0:125 offset1:126
	s_waitcnt vmcnt(6) lgkmcnt(1)
	v_fma_f64 v[128:129], v[157:158], v[129:130], v[139:140]
	s_waitcnt vmcnt(5)
	v_fma_f64 v[128:129], v[155:156], v[131:132], v[128:129]
	s_waitcnt vmcnt(4) lgkmcnt(0)
	v_fma_f64 v[128:129], v[143:144], v[133:134], v[128:129]
	s_waitcnt vmcnt(2)
	v_fma_f64 v[128:129], v[137:138], v[135:136], v[128:129]
	s_waitcnt vmcnt(0)
	v_add_f64 v[128:129], v[149:150], -v[128:129]
	buffer_store_dword v129, off, s[0:3], 0 offset:116
	buffer_store_dword v128, off, s[0:3], 0 offset:112
	s_and_saveexec_b64 s[4:5], vcc
	s_cbranch_execz .LBB62_359
; %bb.358:
	buffer_load_dword v128, off, s[0:3], 0 offset:104
	buffer_load_dword v129, off, s[0:3], 0 offset:108
	v_mov_b32_e32 v130, 0
	buffer_store_dword v130, off, s[0:3], 0 offset:104
	buffer_store_dword v130, off, s[0:3], 0 offset:108
	s_waitcnt vmcnt(2)
	ds_write_b64 v127, v[128:129]
.LBB62_359:
	s_or_b64 exec, exec, s[4:5]
	s_waitcnt lgkmcnt(0)
	; wave barrier
	buffer_load_dword v137, off, s[0:3], 0 offset:112
	buffer_load_dword v138, off, s[0:3], 0 offset:116
	;; [unrolled: 1-line block ×21, first 2 shown]
	v_mov_b32_e32 v128, 0
	ds_read_b128 v[129:132], v128 offset:624
	ds_read_b128 v[133:136], v128 offset:640
	buffer_load_dword v154, off, s[0:3], 0 offset:196
	v_cmp_lt_u32_e32 vcc, 12, v0
	s_waitcnt vmcnt(20) lgkmcnt(1)
	v_fma_f64 v[129:130], v[137:138], v[129:130], 0
	s_waitcnt vmcnt(18)
	v_fma_f64 v[129:130], v[139:140], v[131:132], v[129:130]
	buffer_load_dword v138, off, s[0:3], 0 offset:204
	buffer_load_dword v139, off, s[0:3], 0 offset:224
	;; [unrolled: 1-line block ×7, first 2 shown]
	s_waitcnt vmcnt(23) lgkmcnt(0)
	v_fma_f64 v[129:130], v[141:142], v[133:134], v[129:130]
	s_waitcnt vmcnt(21)
	v_fma_f64 v[140:141], v[143:144], v[135:136], v[129:130]
	ds_read_b128 v[129:132], v128 offset:656
	ds_read_b128 v[133:136], v128 offset:672
	s_waitcnt vmcnt(19) lgkmcnt(1)
	v_fma_f64 v[129:130], v[145:146], v[129:130], v[140:141]
	buffer_load_dword v140, off, s[0:3], 0 offset:228
	s_waitcnt vmcnt(18)
	v_fma_f64 v[129:130], v[147:148], v[131:132], v[129:130]
	buffer_load_dword v142, off, s[0:3], 0 offset:236
	buffer_load_dword v143, off, s[0:3], 0 offset:256
	;; [unrolled: 1-line block ×8, first 2 shown]
	s_waitcnt vmcnt(24) lgkmcnt(0)
	v_fma_f64 v[129:130], v[149:150], v[133:134], v[129:130]
	s_waitcnt vmcnt(19)
	v_fma_f64 v[149:150], v[151:152], v[135:136], v[129:130]
	ds_read_b128 v[129:132], v128 offset:688
	ds_read_b128 v[133:136], v128 offset:704
	s_waitcnt vmcnt(18) lgkmcnt(1)
	v_fma_f64 v[129:130], v[157:158], v[129:130], v[149:150]
	s_waitcnt vmcnt(17)
	v_fma_f64 v[129:130], v[155:156], v[131:132], v[129:130]
	buffer_load_dword v150, off, s[0:3], 0 offset:268
	buffer_load_dword v151, off, s[0:3], 0 offset:288
	;; [unrolled: 1-line block ×7, first 2 shown]
	s_waitcnt vmcnt(23) lgkmcnt(0)
	v_fma_f64 v[129:130], v[153:154], v[133:134], v[129:130]
	s_waitcnt vmcnt(18)
	v_fma_f64 v[137:138], v[137:138], v[135:136], v[129:130]
	ds_read_b128 v[129:132], v128 offset:720
	ds_read_b128 v[133:136], v128 offset:736
	buffer_load_dword v152, off, s[0:3], 0 offset:292
	s_waitcnt vmcnt(18) lgkmcnt(1)
	v_fma_f64 v[129:130], v[161:162], v[129:130], v[137:138]
	s_waitcnt vmcnt(17)
	v_fma_f64 v[129:130], v[159:160], v[131:132], v[129:130]
	buffer_load_dword v138, off, s[0:3], 0 offset:300
	buffer_load_dword v153, off, s[0:3], 0 offset:320
	;; [unrolled: 1-line block ×7, first 2 shown]
	s_waitcnt vmcnt(23) lgkmcnt(0)
	v_fma_f64 v[129:130], v[139:140], v[133:134], v[129:130]
	s_waitcnt vmcnt(18)
	v_fma_f64 v[139:140], v[141:142], v[135:136], v[129:130]
	ds_read_b128 v[129:132], v128 offset:752
	ds_read_b128 v[133:136], v128 offset:768
	buffer_load_dword v154, off, s[0:3], 0 offset:324
	s_waitcnt vmcnt(18) lgkmcnt(1)
	v_fma_f64 v[129:130], v[147:148], v[129:130], v[139:140]
	s_waitcnt vmcnt(17)
	v_fma_f64 v[129:130], v[145:146], v[131:132], v[129:130]
	buffer_load_dword v140, off, s[0:3], 0 offset:332
	buffer_load_dword v141, off, s[0:3], 0 offset:352
	buffer_load_dword v145, off, s[0:3], 0 offset:344
	buffer_load_dword v147, off, s[0:3], 0 offset:336
	buffer_load_dword v139, off, s[0:3], 0 offset:328
	buffer_load_dword v148, off, s[0:3], 0 offset:340
	buffer_load_dword v146, off, s[0:3], 0 offset:348
	s_waitcnt vmcnt(23) lgkmcnt(0)
	v_fma_f64 v[129:130], v[143:144], v[133:134], v[129:130]
	s_waitcnt vmcnt(18)
	v_fma_f64 v[142:143], v[149:150], v[135:136], v[129:130]
	ds_read_b128 v[129:132], v128 offset:784
	ds_read_b128 v[133:136], v128 offset:800
	s_waitcnt vmcnt(17) lgkmcnt(1)
	v_fma_f64 v[129:130], v[157:158], v[129:130], v[142:143]
	buffer_load_dword v142, off, s[0:3], 0 offset:356
	s_waitcnt vmcnt(17)
	v_fma_f64 v[129:130], v[155:156], v[131:132], v[129:130]
	buffer_load_dword v144, off, s[0:3], 0 offset:364
	buffer_load_dword v149, off, s[0:3], 0 offset:384
	;; [unrolled: 1-line block ×7, first 2 shown]
	s_waitcnt vmcnt(23) lgkmcnt(0)
	v_fma_f64 v[129:130], v[151:152], v[133:134], v[129:130]
	s_waitcnt vmcnt(18)
	v_fma_f64 v[137:138], v[137:138], v[135:136], v[129:130]
	ds_read_b128 v[129:132], v128 offset:816
	ds_read_b128 v[133:136], v128 offset:832
	buffer_load_dword v150, off, s[0:3], 0 offset:388
	s_waitcnt vmcnt(18) lgkmcnt(1)
	v_fma_f64 v[129:130], v[161:162], v[129:130], v[137:138]
	s_waitcnt vmcnt(17)
	v_fma_f64 v[129:130], v[159:160], v[131:132], v[129:130]
	buffer_load_dword v138, off, s[0:3], 0 offset:396
	buffer_load_dword v151, off, s[0:3], 0 offset:416
	;; [unrolled: 1-line block ×7, first 2 shown]
	s_waitcnt vmcnt(23) lgkmcnt(0)
	v_fma_f64 v[129:130], v[153:154], v[133:134], v[129:130]
	s_waitcnt vmcnt(18)
	v_fma_f64 v[139:140], v[139:140], v[135:136], v[129:130]
	ds_read_b128 v[129:132], v128 offset:848
	ds_read_b128 v[133:136], v128 offset:864
	buffer_load_dword v152, off, s[0:3], 0 offset:420
	s_waitcnt vmcnt(18) lgkmcnt(1)
	v_fma_f64 v[129:130], v[147:148], v[129:130], v[139:140]
	s_waitcnt vmcnt(17)
	v_fma_f64 v[129:130], v[145:146], v[131:132], v[129:130]
	buffer_load_dword v140, off, s[0:3], 0 offset:428
	buffer_load_dword v145, off, s[0:3], 0 offset:448
	;; [unrolled: 1-line block ×8, first 2 shown]
	s_waitcnt vmcnt(24) lgkmcnt(0)
	v_fma_f64 v[129:130], v[141:142], v[133:134], v[129:130]
	s_waitcnt vmcnt(19)
	v_fma_f64 v[141:142], v[143:144], v[135:136], v[129:130]
	ds_read_b128 v[129:132], v128 offset:880
	ds_read_b128 v[133:136], v128 offset:896
	s_waitcnt vmcnt(18) lgkmcnt(1)
	v_fma_f64 v[129:130], v[157:158], v[129:130], v[141:142]
	s_waitcnt vmcnt(17)
	v_fma_f64 v[129:130], v[155:156], v[131:132], v[129:130]
	buffer_load_dword v142, off, s[0:3], 0 offset:460
	buffer_load_dword v143, off, s[0:3], 0 offset:480
	;; [unrolled: 1-line block ×7, first 2 shown]
	s_waitcnt vmcnt(23) lgkmcnt(0)
	v_fma_f64 v[129:130], v[149:150], v[133:134], v[129:130]
	s_waitcnt vmcnt(18)
	v_fma_f64 v[137:138], v[137:138], v[135:136], v[129:130]
	ds_read_b128 v[129:132], v128 offset:912
	ds_read_b128 v[133:136], v128 offset:928
	buffer_load_dword v144, off, s[0:3], 0 offset:484
	s_waitcnt vmcnt(18) lgkmcnt(1)
	v_fma_f64 v[129:130], v[161:162], v[129:130], v[137:138]
	buffer_load_dword v138, off, s[0:3], 0 offset:492
	buffer_load_dword v149, off, s[0:3], 0 offset:496
	;; [unrolled: 1-line block ×4, first 2 shown]
	s_waitcnt vmcnt(21)
	v_fma_f64 v[129:130], v[159:160], v[131:132], v[129:130]
	s_waitcnt vmcnt(20) lgkmcnt(0)
	v_fma_f64 v[129:130], v[151:152], v[133:134], v[129:130]
	buffer_load_dword v151, off, s[0:3], 0 offset:104
	buffer_load_dword v152, off, s[0:3], 0 offset:108
	s_waitcnt vmcnt(17)
	v_fma_f64 v[139:140], v[139:140], v[135:136], v[129:130]
	ds_read_b128 v[129:132], v128 offset:944
	ds_read_b128 v[133:136], v128 offset:960
	s_waitcnt vmcnt(16) lgkmcnt(1)
	v_fma_f64 v[129:130], v[153:154], v[129:130], v[139:140]
	s_waitcnt vmcnt(15)
	v_fma_f64 v[129:130], v[147:148], v[131:132], v[129:130]
	s_waitcnt vmcnt(14) lgkmcnt(0)
	v_fma_f64 v[129:130], v[145:146], v[133:134], v[129:130]
	s_waitcnt vmcnt(9)
	v_fma_f64 v[139:140], v[141:142], v[135:136], v[129:130]
	ds_read_b128 v[129:132], v128 offset:976
	ds_read_b128 v[133:136], v128 offset:992
	s_waitcnt vmcnt(8) lgkmcnt(1)
	v_fma_f64 v[129:130], v[157:158], v[129:130], v[139:140]
	s_waitcnt vmcnt(7)
	v_fma_f64 v[129:130], v[155:156], v[131:132], v[129:130]
	ds_read_b64 v[131:132], v128 offset:1008
	s_waitcnt vmcnt(6) lgkmcnt(1)
	v_fma_f64 v[129:130], v[143:144], v[133:134], v[129:130]
	s_waitcnt vmcnt(3)
	v_fma_f64 v[129:130], v[137:138], v[135:136], v[129:130]
	s_waitcnt vmcnt(2) lgkmcnt(0)
	v_fma_f64 v[129:130], v[149:150], v[131:132], v[129:130]
	s_waitcnt vmcnt(0)
	v_add_f64 v[129:130], v[151:152], -v[129:130]
	buffer_store_dword v130, off, s[0:3], 0 offset:108
	buffer_store_dword v129, off, s[0:3], 0 offset:104
	s_and_saveexec_b64 s[4:5], vcc
	s_cbranch_execz .LBB62_361
; %bb.360:
	buffer_load_dword v129, off, s[0:3], 0 offset:96
	buffer_load_dword v130, off, s[0:3], 0 offset:100
	s_waitcnt vmcnt(0)
	ds_write_b64 v127, v[129:130]
	buffer_store_dword v128, off, s[0:3], 0 offset:96
	buffer_store_dword v128, off, s[0:3], 0 offset:100
.LBB62_361:
	s_or_b64 exec, exec, s[4:5]
	s_waitcnt lgkmcnt(0)
	; wave barrier
	buffer_load_dword v137, off, s[0:3], 0 offset:104
	buffer_load_dword v138, off, s[0:3], 0 offset:108
	;; [unrolled: 1-line block ×22, first 2 shown]
	ds_read2_b64 v[129:132], v128 offset0:77 offset1:78
	ds_read2_b64 v[133:136], v128 offset0:79 offset1:80
	v_cmp_lt_u32_e32 vcc, 11, v0
	s_waitcnt vmcnt(20) lgkmcnt(1)
	v_fma_f64 v[129:130], v[137:138], v[129:130], 0
	s_waitcnt vmcnt(18)
	v_fma_f64 v[129:130], v[139:140], v[131:132], v[129:130]
	buffer_load_dword v138, off, s[0:3], 0 offset:196
	buffer_load_dword v139, off, s[0:3], 0 offset:216
	;; [unrolled: 1-line block ×7, first 2 shown]
	s_waitcnt vmcnt(23) lgkmcnt(0)
	v_fma_f64 v[129:130], v[141:142], v[133:134], v[129:130]
	s_waitcnt vmcnt(21)
	v_fma_f64 v[140:141], v[143:144], v[135:136], v[129:130]
	ds_read2_b64 v[129:132], v128 offset0:81 offset1:82
	ds_read2_b64 v[133:136], v128 offset0:83 offset1:84
	s_waitcnt vmcnt(19) lgkmcnt(1)
	v_fma_f64 v[129:130], v[145:146], v[129:130], v[140:141]
	buffer_load_dword v140, off, s[0:3], 0 offset:220
	s_waitcnt vmcnt(18)
	v_fma_f64 v[129:130], v[147:148], v[131:132], v[129:130]
	buffer_load_dword v142, off, s[0:3], 0 offset:228
	buffer_load_dword v143, off, s[0:3], 0 offset:248
	;; [unrolled: 1-line block ×8, first 2 shown]
	s_waitcnt vmcnt(24) lgkmcnt(0)
	v_fma_f64 v[129:130], v[149:150], v[133:134], v[129:130]
	s_waitcnt vmcnt(19)
	v_fma_f64 v[149:150], v[151:152], v[135:136], v[129:130]
	ds_read2_b64 v[129:132], v128 offset0:85 offset1:86
	ds_read2_b64 v[133:136], v128 offset0:87 offset1:88
	s_waitcnt vmcnt(18) lgkmcnt(1)
	v_fma_f64 v[129:130], v[157:158], v[129:130], v[149:150]
	s_waitcnt vmcnt(17)
	v_fma_f64 v[129:130], v[155:156], v[131:132], v[129:130]
	buffer_load_dword v150, off, s[0:3], 0 offset:260
	buffer_load_dword v151, off, s[0:3], 0 offset:280
	;; [unrolled: 1-line block ×8, first 2 shown]
	s_waitcnt vmcnt(24) lgkmcnt(0)
	v_fma_f64 v[129:130], v[153:154], v[133:134], v[129:130]
	s_waitcnt vmcnt(19)
	v_fma_f64 v[137:138], v[137:138], v[135:136], v[129:130]
	ds_read2_b64 v[129:132], v128 offset0:89 offset1:90
	ds_read2_b64 v[133:136], v128 offset0:91 offset1:92
	s_waitcnt vmcnt(18) lgkmcnt(1)
	v_fma_f64 v[129:130], v[161:162], v[129:130], v[137:138]
	s_waitcnt vmcnt(17)
	v_fma_f64 v[129:130], v[159:160], v[131:132], v[129:130]
	buffer_load_dword v138, off, s[0:3], 0 offset:292
	buffer_load_dword v153, off, s[0:3], 0 offset:312
	;; [unrolled: 1-line block ×7, first 2 shown]
	s_waitcnt vmcnt(23) lgkmcnt(0)
	v_fma_f64 v[129:130], v[139:140], v[133:134], v[129:130]
	s_waitcnt vmcnt(18)
	v_fma_f64 v[139:140], v[141:142], v[135:136], v[129:130]
	ds_read2_b64 v[129:132], v128 offset0:93 offset1:94
	ds_read2_b64 v[133:136], v128 offset0:95 offset1:96
	buffer_load_dword v154, off, s[0:3], 0 offset:316
	s_waitcnt vmcnt(18) lgkmcnt(1)
	v_fma_f64 v[129:130], v[147:148], v[129:130], v[139:140]
	s_waitcnt vmcnt(17)
	v_fma_f64 v[129:130], v[145:146], v[131:132], v[129:130]
	buffer_load_dword v140, off, s[0:3], 0 offset:324
	buffer_load_dword v141, off, s[0:3], 0 offset:344
	;; [unrolled: 1-line block ×7, first 2 shown]
	s_waitcnt vmcnt(23) lgkmcnt(0)
	v_fma_f64 v[129:130], v[143:144], v[133:134], v[129:130]
	s_waitcnt vmcnt(18)
	v_fma_f64 v[142:143], v[149:150], v[135:136], v[129:130]
	ds_read2_b64 v[129:132], v128 offset0:97 offset1:98
	ds_read2_b64 v[133:136], v128 offset0:99 offset1:100
	s_waitcnt vmcnt(17) lgkmcnt(1)
	v_fma_f64 v[129:130], v[157:158], v[129:130], v[142:143]
	buffer_load_dword v142, off, s[0:3], 0 offset:348
	s_waitcnt vmcnt(17)
	v_fma_f64 v[129:130], v[155:156], v[131:132], v[129:130]
	buffer_load_dword v144, off, s[0:3], 0 offset:356
	buffer_load_dword v149, off, s[0:3], 0 offset:376
	;; [unrolled: 1-line block ×8, first 2 shown]
	s_waitcnt vmcnt(24) lgkmcnt(0)
	v_fma_f64 v[129:130], v[151:152], v[133:134], v[129:130]
	s_waitcnt vmcnt(19)
	v_fma_f64 v[137:138], v[137:138], v[135:136], v[129:130]
	ds_read2_b64 v[129:132], v128 offset0:101 offset1:102
	ds_read2_b64 v[133:136], v128 offset0:103 offset1:104
	s_waitcnt vmcnt(18) lgkmcnt(1)
	v_fma_f64 v[129:130], v[161:162], v[129:130], v[137:138]
	s_waitcnt vmcnt(17)
	v_fma_f64 v[129:130], v[159:160], v[131:132], v[129:130]
	buffer_load_dword v138, off, s[0:3], 0 offset:388
	buffer_load_dword v151, off, s[0:3], 0 offset:408
	;; [unrolled: 1-line block ×7, first 2 shown]
	s_waitcnt vmcnt(23) lgkmcnt(0)
	v_fma_f64 v[129:130], v[153:154], v[133:134], v[129:130]
	s_waitcnt vmcnt(18)
	v_fma_f64 v[139:140], v[139:140], v[135:136], v[129:130]
	ds_read2_b64 v[129:132], v128 offset0:105 offset1:106
	ds_read2_b64 v[133:136], v128 offset0:107 offset1:108
	buffer_load_dword v152, off, s[0:3], 0 offset:412
	s_waitcnt vmcnt(18) lgkmcnt(1)
	v_fma_f64 v[129:130], v[147:148], v[129:130], v[139:140]
	s_waitcnt vmcnt(17)
	v_fma_f64 v[129:130], v[145:146], v[131:132], v[129:130]
	buffer_load_dword v140, off, s[0:3], 0 offset:420
	buffer_load_dword v145, off, s[0:3], 0 offset:440
	;; [unrolled: 1-line block ×8, first 2 shown]
	s_waitcnt vmcnt(24) lgkmcnt(0)
	v_fma_f64 v[129:130], v[141:142], v[133:134], v[129:130]
	s_waitcnt vmcnt(19)
	v_fma_f64 v[141:142], v[143:144], v[135:136], v[129:130]
	ds_read2_b64 v[129:132], v128 offset0:109 offset1:110
	ds_read2_b64 v[133:136], v128 offset0:111 offset1:112
	s_waitcnt vmcnt(18) lgkmcnt(1)
	v_fma_f64 v[129:130], v[157:158], v[129:130], v[141:142]
	s_waitcnt vmcnt(17)
	v_fma_f64 v[129:130], v[155:156], v[131:132], v[129:130]
	buffer_load_dword v142, off, s[0:3], 0 offset:452
	buffer_load_dword v143, off, s[0:3], 0 offset:472
	;; [unrolled: 1-line block ×8, first 2 shown]
	s_waitcnt vmcnt(24) lgkmcnt(0)
	v_fma_f64 v[129:130], v[149:150], v[133:134], v[129:130]
	s_waitcnt vmcnt(19)
	v_fma_f64 v[137:138], v[137:138], v[135:136], v[129:130]
	ds_read2_b64 v[129:132], v128 offset0:113 offset1:114
	ds_read2_b64 v[133:136], v128 offset0:115 offset1:116
	s_waitcnt vmcnt(18) lgkmcnt(1)
	v_fma_f64 v[129:130], v[161:162], v[129:130], v[137:138]
	s_waitcnt vmcnt(17)
	v_fma_f64 v[129:130], v[159:160], v[131:132], v[129:130]
	buffer_load_dword v138, off, s[0:3], 0 offset:484
	buffer_load_dword v149, off, s[0:3], 0 offset:496
	;; [unrolled: 1-line block ×6, first 2 shown]
	s_waitcnt vmcnt(22) lgkmcnt(0)
	v_fma_f64 v[129:130], v[151:152], v[133:134], v[129:130]
	s_waitcnt vmcnt(17)
	v_fma_f64 v[139:140], v[139:140], v[135:136], v[129:130]
	ds_read2_b64 v[129:132], v128 offset0:117 offset1:118
	buffer_load_dword v151, off, s[0:3], 0 offset:96
	buffer_load_dword v152, off, s[0:3], 0 offset:100
	ds_read2_b64 v[133:136], v128 offset0:119 offset1:120
	s_waitcnt vmcnt(18) lgkmcnt(1)
	v_fma_f64 v[129:130], v[153:154], v[129:130], v[139:140]
	s_waitcnt vmcnt(17)
	v_fma_f64 v[129:130], v[147:148], v[131:132], v[129:130]
	s_waitcnt vmcnt(16) lgkmcnt(0)
	v_fma_f64 v[129:130], v[145:146], v[133:134], v[129:130]
	s_waitcnt vmcnt(11)
	v_fma_f64 v[139:140], v[141:142], v[135:136], v[129:130]
	ds_read2_b64 v[129:132], v128 offset0:121 offset1:122
	ds_read2_b64 v[133:136], v128 offset0:123 offset1:124
	s_waitcnt vmcnt(10) lgkmcnt(1)
	v_fma_f64 v[129:130], v[157:158], v[129:130], v[139:140]
	s_waitcnt vmcnt(9)
	v_fma_f64 v[129:130], v[155:156], v[131:132], v[129:130]
	s_waitcnt vmcnt(8) lgkmcnt(0)
	v_fma_f64 v[129:130], v[143:144], v[133:134], v[129:130]
	s_waitcnt vmcnt(4)
	v_fma_f64 v[132:133], v[137:138], v[135:136], v[129:130]
	ds_read2_b64 v[128:131], v128 offset0:125 offset1:126
	s_waitcnt vmcnt(3) lgkmcnt(0)
	v_fma_f64 v[128:129], v[159:160], v[128:129], v[132:133]
	s_waitcnt vmcnt(2)
	v_fma_f64 v[128:129], v[149:150], v[130:131], v[128:129]
	s_waitcnt vmcnt(0)
	v_add_f64 v[128:129], v[151:152], -v[128:129]
	buffer_store_dword v129, off, s[0:3], 0 offset:100
	buffer_store_dword v128, off, s[0:3], 0 offset:96
	s_and_saveexec_b64 s[4:5], vcc
	s_cbranch_execz .LBB62_363
; %bb.362:
	buffer_load_dword v128, off, s[0:3], 0 offset:88
	buffer_load_dword v129, off, s[0:3], 0 offset:92
	v_mov_b32_e32 v130, 0
	buffer_store_dword v130, off, s[0:3], 0 offset:88
	buffer_store_dword v130, off, s[0:3], 0 offset:92
	s_waitcnt vmcnt(2)
	ds_write_b64 v127, v[128:129]
.LBB62_363:
	s_or_b64 exec, exec, s[4:5]
	s_waitcnt lgkmcnt(0)
	; wave barrier
	buffer_load_dword v137, off, s[0:3], 0 offset:96
	buffer_load_dword v138, off, s[0:3], 0 offset:100
	;; [unrolled: 1-line block ×22, first 2 shown]
	v_mov_b32_e32 v128, 0
	ds_read_b128 v[129:132], v128 offset:608
	ds_read_b128 v[133:136], v128 offset:624
	v_cmp_lt_u32_e32 vcc, 10, v0
	s_waitcnt vmcnt(20) lgkmcnt(1)
	v_fma_f64 v[129:130], v[137:138], v[129:130], 0
	s_waitcnt vmcnt(18)
	v_fma_f64 v[129:130], v[139:140], v[131:132], v[129:130]
	buffer_load_dword v138, off, s[0:3], 0 offset:188
	buffer_load_dword v139, off, s[0:3], 0 offset:208
	;; [unrolled: 1-line block ×7, first 2 shown]
	s_waitcnt vmcnt(23) lgkmcnt(0)
	v_fma_f64 v[129:130], v[141:142], v[133:134], v[129:130]
	s_waitcnt vmcnt(21)
	v_fma_f64 v[140:141], v[143:144], v[135:136], v[129:130]
	ds_read_b128 v[129:132], v128 offset:640
	ds_read_b128 v[133:136], v128 offset:656
	s_waitcnt vmcnt(19) lgkmcnt(1)
	v_fma_f64 v[129:130], v[145:146], v[129:130], v[140:141]
	buffer_load_dword v140, off, s[0:3], 0 offset:212
	s_waitcnt vmcnt(18)
	v_fma_f64 v[129:130], v[147:148], v[131:132], v[129:130]
	buffer_load_dword v142, off, s[0:3], 0 offset:220
	buffer_load_dword v143, off, s[0:3], 0 offset:240
	;; [unrolled: 1-line block ×8, first 2 shown]
	s_waitcnt vmcnt(24) lgkmcnt(0)
	v_fma_f64 v[129:130], v[149:150], v[133:134], v[129:130]
	s_waitcnt vmcnt(19)
	v_fma_f64 v[149:150], v[151:152], v[135:136], v[129:130]
	ds_read_b128 v[129:132], v128 offset:672
	ds_read_b128 v[133:136], v128 offset:688
	s_waitcnt vmcnt(18) lgkmcnt(1)
	v_fma_f64 v[129:130], v[157:158], v[129:130], v[149:150]
	s_waitcnt vmcnt(17)
	v_fma_f64 v[129:130], v[155:156], v[131:132], v[129:130]
	buffer_load_dword v150, off, s[0:3], 0 offset:252
	buffer_load_dword v151, off, s[0:3], 0 offset:272
	;; [unrolled: 1-line block ×8, first 2 shown]
	s_waitcnt vmcnt(24) lgkmcnt(0)
	v_fma_f64 v[129:130], v[153:154], v[133:134], v[129:130]
	s_waitcnt vmcnt(19)
	v_fma_f64 v[137:138], v[137:138], v[135:136], v[129:130]
	ds_read_b128 v[129:132], v128 offset:704
	ds_read_b128 v[133:136], v128 offset:720
	s_waitcnt vmcnt(18) lgkmcnt(1)
	v_fma_f64 v[129:130], v[161:162], v[129:130], v[137:138]
	s_waitcnt vmcnt(17)
	v_fma_f64 v[129:130], v[159:160], v[131:132], v[129:130]
	buffer_load_dword v138, off, s[0:3], 0 offset:284
	buffer_load_dword v153, off, s[0:3], 0 offset:304
	;; [unrolled: 1-line block ×7, first 2 shown]
	s_waitcnt vmcnt(23) lgkmcnt(0)
	v_fma_f64 v[129:130], v[139:140], v[133:134], v[129:130]
	s_waitcnt vmcnt(18)
	v_fma_f64 v[139:140], v[141:142], v[135:136], v[129:130]
	ds_read_b128 v[129:132], v128 offset:736
	ds_read_b128 v[133:136], v128 offset:752
	buffer_load_dword v154, off, s[0:3], 0 offset:308
	s_waitcnt vmcnt(18) lgkmcnt(1)
	v_fma_f64 v[129:130], v[147:148], v[129:130], v[139:140]
	s_waitcnt vmcnt(17)
	v_fma_f64 v[129:130], v[145:146], v[131:132], v[129:130]
	buffer_load_dword v140, off, s[0:3], 0 offset:316
	buffer_load_dword v141, off, s[0:3], 0 offset:336
	buffer_load_dword v145, off, s[0:3], 0 offset:328
	buffer_load_dword v147, off, s[0:3], 0 offset:320
	buffer_load_dword v139, off, s[0:3], 0 offset:312
	buffer_load_dword v148, off, s[0:3], 0 offset:324
	buffer_load_dword v146, off, s[0:3], 0 offset:332
	s_waitcnt vmcnt(23) lgkmcnt(0)
	v_fma_f64 v[129:130], v[143:144], v[133:134], v[129:130]
	s_waitcnt vmcnt(18)
	v_fma_f64 v[142:143], v[149:150], v[135:136], v[129:130]
	ds_read_b128 v[129:132], v128 offset:768
	ds_read_b128 v[133:136], v128 offset:784
	s_waitcnt vmcnt(17) lgkmcnt(1)
	v_fma_f64 v[129:130], v[157:158], v[129:130], v[142:143]
	buffer_load_dword v142, off, s[0:3], 0 offset:340
	s_waitcnt vmcnt(17)
	v_fma_f64 v[129:130], v[155:156], v[131:132], v[129:130]
	buffer_load_dword v144, off, s[0:3], 0 offset:348
	buffer_load_dword v149, off, s[0:3], 0 offset:368
	;; [unrolled: 1-line block ×8, first 2 shown]
	s_waitcnt vmcnt(24) lgkmcnt(0)
	v_fma_f64 v[129:130], v[151:152], v[133:134], v[129:130]
	s_waitcnt vmcnt(19)
	v_fma_f64 v[137:138], v[137:138], v[135:136], v[129:130]
	ds_read_b128 v[129:132], v128 offset:800
	ds_read_b128 v[133:136], v128 offset:816
	s_waitcnt vmcnt(18) lgkmcnt(1)
	v_fma_f64 v[129:130], v[161:162], v[129:130], v[137:138]
	s_waitcnt vmcnt(17)
	v_fma_f64 v[129:130], v[159:160], v[131:132], v[129:130]
	buffer_load_dword v138, off, s[0:3], 0 offset:380
	buffer_load_dword v151, off, s[0:3], 0 offset:400
	;; [unrolled: 1-line block ×7, first 2 shown]
	s_waitcnt vmcnt(23) lgkmcnt(0)
	v_fma_f64 v[129:130], v[153:154], v[133:134], v[129:130]
	s_waitcnt vmcnt(18)
	v_fma_f64 v[139:140], v[139:140], v[135:136], v[129:130]
	ds_read_b128 v[129:132], v128 offset:832
	ds_read_b128 v[133:136], v128 offset:848
	buffer_load_dword v152, off, s[0:3], 0 offset:404
	s_waitcnt vmcnt(18) lgkmcnt(1)
	v_fma_f64 v[129:130], v[147:148], v[129:130], v[139:140]
	s_waitcnt vmcnt(17)
	v_fma_f64 v[129:130], v[145:146], v[131:132], v[129:130]
	buffer_load_dword v140, off, s[0:3], 0 offset:412
	buffer_load_dword v145, off, s[0:3], 0 offset:432
	buffer_load_dword v147, off, s[0:3], 0 offset:424
	buffer_load_dword v153, off, s[0:3], 0 offset:416
	buffer_load_dword v139, off, s[0:3], 0 offset:408
	buffer_load_dword v154, off, s[0:3], 0 offset:420
	buffer_load_dword v148, off, s[0:3], 0 offset:428
	buffer_load_dword v146, off, s[0:3], 0 offset:436
	s_waitcnt vmcnt(24) lgkmcnt(0)
	v_fma_f64 v[129:130], v[141:142], v[133:134], v[129:130]
	s_waitcnt vmcnt(19)
	v_fma_f64 v[141:142], v[143:144], v[135:136], v[129:130]
	ds_read_b128 v[129:132], v128 offset:864
	ds_read_b128 v[133:136], v128 offset:880
	s_waitcnt vmcnt(18) lgkmcnt(1)
	v_fma_f64 v[129:130], v[157:158], v[129:130], v[141:142]
	s_waitcnt vmcnt(17)
	v_fma_f64 v[129:130], v[155:156], v[131:132], v[129:130]
	buffer_load_dword v142, off, s[0:3], 0 offset:444
	buffer_load_dword v143, off, s[0:3], 0 offset:464
	buffer_load_dword v155, off, s[0:3], 0 offset:456
	buffer_load_dword v157, off, s[0:3], 0 offset:448
	buffer_load_dword v141, off, s[0:3], 0 offset:440
	buffer_load_dword v158, off, s[0:3], 0 offset:452
	buffer_load_dword v156, off, s[0:3], 0 offset:460
	buffer_load_dword v144, off, s[0:3], 0 offset:468
	s_waitcnt vmcnt(24) lgkmcnt(0)
	v_fma_f64 v[129:130], v[149:150], v[133:134], v[129:130]
	s_waitcnt vmcnt(19)
	v_fma_f64 v[137:138], v[137:138], v[135:136], v[129:130]
	ds_read_b128 v[129:132], v128 offset:896
	ds_read_b128 v[133:136], v128 offset:912
	;; [unrolled: 18-line block ×3, first 2 shown]
	s_waitcnt vmcnt(18) lgkmcnt(1)
	v_fma_f64 v[129:130], v[153:154], v[129:130], v[139:140]
	buffer_load_dword v139, off, s[0:3], 0 offset:88
	buffer_load_dword v140, off, s[0:3], 0 offset:92
	s_waitcnt vmcnt(19)
	v_fma_f64 v[129:130], v[147:148], v[131:132], v[129:130]
	s_waitcnt vmcnt(18) lgkmcnt(0)
	v_fma_f64 v[129:130], v[145:146], v[133:134], v[129:130]
	s_waitcnt vmcnt(13)
	v_fma_f64 v[141:142], v[141:142], v[135:136], v[129:130]
	ds_read_b128 v[129:132], v128 offset:960
	ds_read_b128 v[133:136], v128 offset:976
	s_waitcnt vmcnt(12) lgkmcnt(1)
	v_fma_f64 v[129:130], v[157:158], v[129:130], v[141:142]
	s_waitcnt vmcnt(11)
	v_fma_f64 v[129:130], v[155:156], v[131:132], v[129:130]
	s_waitcnt vmcnt(10) lgkmcnt(0)
	v_fma_f64 v[129:130], v[143:144], v[133:134], v[129:130]
	s_waitcnt vmcnt(5)
	v_fma_f64 v[133:134], v[137:138], v[135:136], v[129:130]
	ds_read_b128 v[129:132], v128 offset:992
	ds_read_b64 v[135:136], v128 offset:1008
	s_waitcnt vmcnt(4) lgkmcnt(1)
	v_fma_f64 v[129:130], v[161:162], v[129:130], v[133:134]
	s_waitcnt vmcnt(3)
	v_fma_f64 v[129:130], v[159:160], v[131:132], v[129:130]
	s_waitcnt vmcnt(2) lgkmcnt(0)
	v_fma_f64 v[129:130], v[149:150], v[135:136], v[129:130]
	s_waitcnt vmcnt(0)
	v_add_f64 v[129:130], v[139:140], -v[129:130]
	buffer_store_dword v130, off, s[0:3], 0 offset:92
	buffer_store_dword v129, off, s[0:3], 0 offset:88
	s_and_saveexec_b64 s[4:5], vcc
	s_cbranch_execz .LBB62_365
; %bb.364:
	buffer_load_dword v129, off, s[0:3], 0 offset:80
	buffer_load_dword v130, off, s[0:3], 0 offset:84
	s_waitcnt vmcnt(0)
	ds_write_b64 v127, v[129:130]
	buffer_store_dword v128, off, s[0:3], 0 offset:80
	buffer_store_dword v128, off, s[0:3], 0 offset:84
.LBB62_365:
	s_or_b64 exec, exec, s[4:5]
	s_waitcnt lgkmcnt(0)
	; wave barrier
	buffer_load_dword v137, off, s[0:3], 0 offset:88
	buffer_load_dword v138, off, s[0:3], 0 offset:92
	;; [unrolled: 1-line block ×22, first 2 shown]
	ds_read2_b64 v[129:132], v128 offset0:75 offset1:76
	ds_read2_b64 v[133:136], v128 offset0:77 offset1:78
	v_cmp_lt_u32_e32 vcc, 9, v0
	s_waitcnt vmcnt(20) lgkmcnt(1)
	v_fma_f64 v[129:130], v[137:138], v[129:130], 0
	s_waitcnt vmcnt(18)
	v_fma_f64 v[129:130], v[139:140], v[131:132], v[129:130]
	buffer_load_dword v138, off, s[0:3], 0 offset:180
	buffer_load_dword v139, off, s[0:3], 0 offset:200
	;; [unrolled: 1-line block ×7, first 2 shown]
	s_waitcnt vmcnt(23) lgkmcnt(0)
	v_fma_f64 v[129:130], v[141:142], v[133:134], v[129:130]
	s_waitcnt vmcnt(21)
	v_fma_f64 v[140:141], v[143:144], v[135:136], v[129:130]
	ds_read2_b64 v[129:132], v128 offset0:79 offset1:80
	ds_read2_b64 v[133:136], v128 offset0:81 offset1:82
	s_waitcnt vmcnt(19) lgkmcnt(1)
	v_fma_f64 v[129:130], v[145:146], v[129:130], v[140:141]
	buffer_load_dword v140, off, s[0:3], 0 offset:204
	s_waitcnt vmcnt(18)
	v_fma_f64 v[129:130], v[147:148], v[131:132], v[129:130]
	buffer_load_dword v142, off, s[0:3], 0 offset:212
	buffer_load_dword v143, off, s[0:3], 0 offset:232
	buffer_load_dword v145, off, s[0:3], 0 offset:224
	buffer_load_dword v147, off, s[0:3], 0 offset:216
	buffer_load_dword v141, off, s[0:3], 0 offset:208
	buffer_load_dword v148, off, s[0:3], 0 offset:220
	buffer_load_dword v146, off, s[0:3], 0 offset:228
	buffer_load_dword v144, off, s[0:3], 0 offset:236
	s_waitcnt vmcnt(24) lgkmcnt(0)
	v_fma_f64 v[129:130], v[149:150], v[133:134], v[129:130]
	s_waitcnt vmcnt(19)
	v_fma_f64 v[149:150], v[151:152], v[135:136], v[129:130]
	ds_read2_b64 v[129:132], v128 offset0:83 offset1:84
	ds_read2_b64 v[133:136], v128 offset0:85 offset1:86
	s_waitcnt vmcnt(18) lgkmcnt(1)
	v_fma_f64 v[129:130], v[157:158], v[129:130], v[149:150]
	s_waitcnt vmcnt(17)
	v_fma_f64 v[129:130], v[155:156], v[131:132], v[129:130]
	buffer_load_dword v150, off, s[0:3], 0 offset:244
	buffer_load_dword v151, off, s[0:3], 0 offset:264
	;; [unrolled: 1-line block ×8, first 2 shown]
	s_waitcnt vmcnt(24) lgkmcnt(0)
	v_fma_f64 v[129:130], v[153:154], v[133:134], v[129:130]
	s_waitcnt vmcnt(19)
	v_fma_f64 v[137:138], v[137:138], v[135:136], v[129:130]
	ds_read2_b64 v[129:132], v128 offset0:87 offset1:88
	ds_read2_b64 v[133:136], v128 offset0:89 offset1:90
	s_waitcnt vmcnt(18) lgkmcnt(1)
	v_fma_f64 v[129:130], v[161:162], v[129:130], v[137:138]
	s_waitcnt vmcnt(17)
	v_fma_f64 v[129:130], v[159:160], v[131:132], v[129:130]
	buffer_load_dword v138, off, s[0:3], 0 offset:276
	buffer_load_dword v153, off, s[0:3], 0 offset:296
	;; [unrolled: 1-line block ×7, first 2 shown]
	s_waitcnt vmcnt(23) lgkmcnt(0)
	v_fma_f64 v[129:130], v[139:140], v[133:134], v[129:130]
	s_waitcnt vmcnt(18)
	v_fma_f64 v[139:140], v[141:142], v[135:136], v[129:130]
	ds_read2_b64 v[129:132], v128 offset0:91 offset1:92
	ds_read2_b64 v[133:136], v128 offset0:93 offset1:94
	buffer_load_dword v154, off, s[0:3], 0 offset:300
	s_waitcnt vmcnt(18) lgkmcnt(1)
	v_fma_f64 v[129:130], v[147:148], v[129:130], v[139:140]
	s_waitcnt vmcnt(17)
	v_fma_f64 v[129:130], v[145:146], v[131:132], v[129:130]
	buffer_load_dword v140, off, s[0:3], 0 offset:308
	buffer_load_dword v141, off, s[0:3], 0 offset:328
	;; [unrolled: 1-line block ×7, first 2 shown]
	s_waitcnt vmcnt(23) lgkmcnt(0)
	v_fma_f64 v[129:130], v[143:144], v[133:134], v[129:130]
	s_waitcnt vmcnt(18)
	v_fma_f64 v[142:143], v[149:150], v[135:136], v[129:130]
	ds_read2_b64 v[129:132], v128 offset0:95 offset1:96
	ds_read2_b64 v[133:136], v128 offset0:97 offset1:98
	s_waitcnt vmcnt(17) lgkmcnt(1)
	v_fma_f64 v[129:130], v[157:158], v[129:130], v[142:143]
	buffer_load_dword v142, off, s[0:3], 0 offset:332
	s_waitcnt vmcnt(17)
	v_fma_f64 v[129:130], v[155:156], v[131:132], v[129:130]
	buffer_load_dword v144, off, s[0:3], 0 offset:340
	buffer_load_dword v149, off, s[0:3], 0 offset:360
	;; [unrolled: 1-line block ×8, first 2 shown]
	s_waitcnt vmcnt(24) lgkmcnt(0)
	v_fma_f64 v[129:130], v[151:152], v[133:134], v[129:130]
	s_waitcnt vmcnt(19)
	v_fma_f64 v[137:138], v[137:138], v[135:136], v[129:130]
	ds_read2_b64 v[129:132], v128 offset0:99 offset1:100
	ds_read2_b64 v[133:136], v128 offset0:101 offset1:102
	s_waitcnt vmcnt(18) lgkmcnt(1)
	v_fma_f64 v[129:130], v[161:162], v[129:130], v[137:138]
	s_waitcnt vmcnt(17)
	v_fma_f64 v[129:130], v[159:160], v[131:132], v[129:130]
	buffer_load_dword v138, off, s[0:3], 0 offset:372
	buffer_load_dword v151, off, s[0:3], 0 offset:392
	;; [unrolled: 1-line block ×7, first 2 shown]
	s_waitcnt vmcnt(23) lgkmcnt(0)
	v_fma_f64 v[129:130], v[153:154], v[133:134], v[129:130]
	s_waitcnt vmcnt(18)
	v_fma_f64 v[139:140], v[139:140], v[135:136], v[129:130]
	ds_read2_b64 v[129:132], v128 offset0:103 offset1:104
	ds_read2_b64 v[133:136], v128 offset0:105 offset1:106
	buffer_load_dword v152, off, s[0:3], 0 offset:396
	s_waitcnt vmcnt(18) lgkmcnt(1)
	v_fma_f64 v[129:130], v[147:148], v[129:130], v[139:140]
	s_waitcnt vmcnt(17)
	v_fma_f64 v[129:130], v[145:146], v[131:132], v[129:130]
	buffer_load_dword v140, off, s[0:3], 0 offset:404
	buffer_load_dword v145, off, s[0:3], 0 offset:424
	buffer_load_dword v147, off, s[0:3], 0 offset:416
	buffer_load_dword v153, off, s[0:3], 0 offset:408
	buffer_load_dword v139, off, s[0:3], 0 offset:400
	buffer_load_dword v154, off, s[0:3], 0 offset:412
	buffer_load_dword v148, off, s[0:3], 0 offset:420
	buffer_load_dword v146, off, s[0:3], 0 offset:428
	s_waitcnt vmcnt(24) lgkmcnt(0)
	v_fma_f64 v[129:130], v[141:142], v[133:134], v[129:130]
	s_waitcnt vmcnt(19)
	v_fma_f64 v[141:142], v[143:144], v[135:136], v[129:130]
	ds_read2_b64 v[129:132], v128 offset0:107 offset1:108
	ds_read2_b64 v[133:136], v128 offset0:109 offset1:110
	s_waitcnt vmcnt(18) lgkmcnt(1)
	v_fma_f64 v[129:130], v[157:158], v[129:130], v[141:142]
	s_waitcnt vmcnt(17)
	v_fma_f64 v[129:130], v[155:156], v[131:132], v[129:130]
	buffer_load_dword v142, off, s[0:3], 0 offset:436
	buffer_load_dword v143, off, s[0:3], 0 offset:456
	buffer_load_dword v155, off, s[0:3], 0 offset:448
	buffer_load_dword v157, off, s[0:3], 0 offset:440
	buffer_load_dword v141, off, s[0:3], 0 offset:432
	buffer_load_dword v158, off, s[0:3], 0 offset:444
	buffer_load_dword v156, off, s[0:3], 0 offset:452
	buffer_load_dword v144, off, s[0:3], 0 offset:460
	s_waitcnt vmcnt(24) lgkmcnt(0)
	v_fma_f64 v[129:130], v[149:150], v[133:134], v[129:130]
	s_waitcnt vmcnt(19)
	v_fma_f64 v[137:138], v[137:138], v[135:136], v[129:130]
	ds_read2_b64 v[129:132], v128 offset0:111 offset1:112
	ds_read2_b64 v[133:136], v128 offset0:113 offset1:114
	s_waitcnt vmcnt(18) lgkmcnt(1)
	v_fma_f64 v[129:130], v[161:162], v[129:130], v[137:138]
	s_waitcnt vmcnt(17)
	v_fma_f64 v[129:130], v[159:160], v[131:132], v[129:130]
	buffer_load_dword v138, off, s[0:3], 0 offset:468
	buffer_load_dword v149, off, s[0:3], 0 offset:488
	buffer_load_dword v159, off, s[0:3], 0 offset:480
	buffer_load_dword v161, off, s[0:3], 0 offset:472
	buffer_load_dword v137, off, s[0:3], 0 offset:464
	buffer_load_dword v162, off, s[0:3], 0 offset:476
	buffer_load_dword v160, off, s[0:3], 0 offset:484
	buffer_load_dword v150, off, s[0:3], 0 offset:492
	s_waitcnt vmcnt(24) lgkmcnt(0)
	v_fma_f64 v[129:130], v[151:152], v[133:134], v[129:130]
	s_waitcnt vmcnt(19)
	v_fma_f64 v[139:140], v[139:140], v[135:136], v[129:130]
	ds_read2_b64 v[129:132], v128 offset0:115 offset1:116
	ds_read2_b64 v[133:136], v128 offset0:117 offset1:118
	s_waitcnt vmcnt(18) lgkmcnt(1)
	v_fma_f64 v[129:130], v[153:154], v[129:130], v[139:140]
	buffer_load_dword v140, off, s[0:3], 0 offset:500
	buffer_load_dword v139, off, s[0:3], 0 offset:496
	s_waitcnt vmcnt(19)
	v_fma_f64 v[129:130], v[147:148], v[131:132], v[129:130]
	buffer_load_dword v147, off, s[0:3], 0 offset:80
	buffer_load_dword v148, off, s[0:3], 0 offset:84
	s_waitcnt vmcnt(20) lgkmcnt(0)
	v_fma_f64 v[129:130], v[145:146], v[133:134], v[129:130]
	s_waitcnt vmcnt(15)
	v_fma_f64 v[141:142], v[141:142], v[135:136], v[129:130]
	ds_read2_b64 v[129:132], v128 offset0:119 offset1:120
	ds_read2_b64 v[133:136], v128 offset0:121 offset1:122
	s_waitcnt vmcnt(14) lgkmcnt(1)
	v_fma_f64 v[129:130], v[157:158], v[129:130], v[141:142]
	s_waitcnt vmcnt(13)
	v_fma_f64 v[129:130], v[155:156], v[131:132], v[129:130]
	s_waitcnt vmcnt(12) lgkmcnt(0)
	v_fma_f64 v[129:130], v[143:144], v[133:134], v[129:130]
	s_waitcnt vmcnt(7)
	v_fma_f64 v[137:138], v[137:138], v[135:136], v[129:130]
	ds_read2_b64 v[129:132], v128 offset0:123 offset1:124
	ds_read2_b64 v[133:136], v128 offset0:125 offset1:126
	s_waitcnt vmcnt(6) lgkmcnt(1)
	v_fma_f64 v[128:129], v[161:162], v[129:130], v[137:138]
	s_waitcnt vmcnt(5)
	v_fma_f64 v[128:129], v[159:160], v[131:132], v[128:129]
	s_waitcnt vmcnt(4) lgkmcnt(0)
	v_fma_f64 v[128:129], v[149:150], v[133:134], v[128:129]
	s_waitcnt vmcnt(2)
	v_fma_f64 v[128:129], v[139:140], v[135:136], v[128:129]
	s_waitcnt vmcnt(0)
	v_add_f64 v[128:129], v[147:148], -v[128:129]
	buffer_store_dword v129, off, s[0:3], 0 offset:84
	buffer_store_dword v128, off, s[0:3], 0 offset:80
	s_and_saveexec_b64 s[4:5], vcc
	s_cbranch_execz .LBB62_367
; %bb.366:
	buffer_load_dword v128, off, s[0:3], 0 offset:72
	buffer_load_dword v129, off, s[0:3], 0 offset:76
	v_mov_b32_e32 v130, 0
	buffer_store_dword v130, off, s[0:3], 0 offset:72
	buffer_store_dword v130, off, s[0:3], 0 offset:76
	s_waitcnt vmcnt(2)
	ds_write_b64 v127, v[128:129]
.LBB62_367:
	s_or_b64 exec, exec, s[4:5]
	s_waitcnt lgkmcnt(0)
	; wave barrier
	buffer_load_dword v137, off, s[0:3], 0 offset:80
	buffer_load_dword v138, off, s[0:3], 0 offset:84
	;; [unrolled: 1-line block ×22, first 2 shown]
	v_mov_b32_e32 v128, 0
	ds_read_b128 v[129:132], v128 offset:592
	ds_read_b128 v[133:136], v128 offset:608
	v_cmp_lt_u32_e32 vcc, 8, v0
	s_waitcnt vmcnt(20) lgkmcnt(1)
	v_fma_f64 v[129:130], v[137:138], v[129:130], 0
	s_waitcnt vmcnt(18)
	v_fma_f64 v[129:130], v[139:140], v[131:132], v[129:130]
	buffer_load_dword v138, off, s[0:3], 0 offset:172
	buffer_load_dword v139, off, s[0:3], 0 offset:192
	;; [unrolled: 1-line block ×7, first 2 shown]
	s_waitcnt vmcnt(23) lgkmcnt(0)
	v_fma_f64 v[129:130], v[141:142], v[133:134], v[129:130]
	s_waitcnt vmcnt(21)
	v_fma_f64 v[140:141], v[143:144], v[135:136], v[129:130]
	ds_read_b128 v[129:132], v128 offset:624
	ds_read_b128 v[133:136], v128 offset:640
	s_waitcnt vmcnt(19) lgkmcnt(1)
	v_fma_f64 v[129:130], v[145:146], v[129:130], v[140:141]
	buffer_load_dword v140, off, s[0:3], 0 offset:196
	s_waitcnt vmcnt(18)
	v_fma_f64 v[129:130], v[147:148], v[131:132], v[129:130]
	buffer_load_dword v142, off, s[0:3], 0 offset:204
	buffer_load_dword v143, off, s[0:3], 0 offset:224
	;; [unrolled: 1-line block ×7, first 2 shown]
	s_waitcnt vmcnt(23) lgkmcnt(0)
	v_fma_f64 v[129:130], v[149:150], v[133:134], v[129:130]
	s_waitcnt vmcnt(18)
	v_fma_f64 v[149:150], v[151:152], v[135:136], v[129:130]
	ds_read_b128 v[129:132], v128 offset:656
	ds_read_b128 v[133:136], v128 offset:672
	buffer_load_dword v144, off, s[0:3], 0 offset:228
	s_waitcnt vmcnt(18) lgkmcnt(1)
	v_fma_f64 v[129:130], v[157:158], v[129:130], v[149:150]
	s_waitcnt vmcnt(17)
	v_fma_f64 v[129:130], v[155:156], v[131:132], v[129:130]
	buffer_load_dword v150, off, s[0:3], 0 offset:236
	buffer_load_dword v151, off, s[0:3], 0 offset:256
	;; [unrolled: 1-line block ×8, first 2 shown]
	s_waitcnt vmcnt(24) lgkmcnt(0)
	v_fma_f64 v[129:130], v[153:154], v[133:134], v[129:130]
	s_waitcnt vmcnt(19)
	v_fma_f64 v[137:138], v[137:138], v[135:136], v[129:130]
	ds_read_b128 v[129:132], v128 offset:688
	ds_read_b128 v[133:136], v128 offset:704
	s_waitcnt vmcnt(18) lgkmcnt(1)
	v_fma_f64 v[129:130], v[161:162], v[129:130], v[137:138]
	s_waitcnt vmcnt(17)
	v_fma_f64 v[129:130], v[159:160], v[131:132], v[129:130]
	buffer_load_dword v138, off, s[0:3], 0 offset:268
	buffer_load_dword v153, off, s[0:3], 0 offset:288
	;; [unrolled: 1-line block ×7, first 2 shown]
	s_waitcnt vmcnt(23) lgkmcnt(0)
	v_fma_f64 v[129:130], v[139:140], v[133:134], v[129:130]
	s_waitcnt vmcnt(18)
	v_fma_f64 v[139:140], v[141:142], v[135:136], v[129:130]
	ds_read_b128 v[129:132], v128 offset:720
	ds_read_b128 v[133:136], v128 offset:736
	buffer_load_dword v154, off, s[0:3], 0 offset:292
	s_waitcnt vmcnt(18) lgkmcnt(1)
	v_fma_f64 v[129:130], v[147:148], v[129:130], v[139:140]
	s_waitcnt vmcnt(17)
	v_fma_f64 v[129:130], v[145:146], v[131:132], v[129:130]
	buffer_load_dword v140, off, s[0:3], 0 offset:300
	buffer_load_dword v141, off, s[0:3], 0 offset:320
	;; [unrolled: 1-line block ×7, first 2 shown]
	s_waitcnt vmcnt(23) lgkmcnt(0)
	v_fma_f64 v[129:130], v[143:144], v[133:134], v[129:130]
	s_waitcnt vmcnt(18)
	v_fma_f64 v[142:143], v[149:150], v[135:136], v[129:130]
	ds_read_b128 v[129:132], v128 offset:752
	ds_read_b128 v[133:136], v128 offset:768
	s_waitcnt vmcnt(17) lgkmcnt(1)
	v_fma_f64 v[129:130], v[157:158], v[129:130], v[142:143]
	buffer_load_dword v142, off, s[0:3], 0 offset:324
	s_waitcnt vmcnt(17)
	v_fma_f64 v[129:130], v[155:156], v[131:132], v[129:130]
	buffer_load_dword v144, off, s[0:3], 0 offset:332
	buffer_load_dword v149, off, s[0:3], 0 offset:352
	;; [unrolled: 1-line block ×8, first 2 shown]
	s_waitcnt vmcnt(24) lgkmcnt(0)
	v_fma_f64 v[129:130], v[151:152], v[133:134], v[129:130]
	s_waitcnt vmcnt(19)
	v_fma_f64 v[137:138], v[137:138], v[135:136], v[129:130]
	ds_read_b128 v[129:132], v128 offset:784
	ds_read_b128 v[133:136], v128 offset:800
	s_waitcnt vmcnt(18) lgkmcnt(1)
	v_fma_f64 v[129:130], v[161:162], v[129:130], v[137:138]
	s_waitcnt vmcnt(17)
	v_fma_f64 v[129:130], v[159:160], v[131:132], v[129:130]
	buffer_load_dword v138, off, s[0:3], 0 offset:364
	buffer_load_dword v151, off, s[0:3], 0 offset:384
	;; [unrolled: 1-line block ×7, first 2 shown]
	s_waitcnt vmcnt(23) lgkmcnt(0)
	v_fma_f64 v[129:130], v[153:154], v[133:134], v[129:130]
	s_waitcnt vmcnt(18)
	v_fma_f64 v[139:140], v[139:140], v[135:136], v[129:130]
	ds_read_b128 v[129:132], v128 offset:816
	ds_read_b128 v[133:136], v128 offset:832
	buffer_load_dword v152, off, s[0:3], 0 offset:388
	s_waitcnt vmcnt(18) lgkmcnt(1)
	v_fma_f64 v[129:130], v[147:148], v[129:130], v[139:140]
	s_waitcnt vmcnt(17)
	v_fma_f64 v[129:130], v[145:146], v[131:132], v[129:130]
	buffer_load_dword v140, off, s[0:3], 0 offset:396
	buffer_load_dword v145, off, s[0:3], 0 offset:416
	;; [unrolled: 1-line block ×7, first 2 shown]
	s_waitcnt vmcnt(23) lgkmcnt(0)
	v_fma_f64 v[129:130], v[141:142], v[133:134], v[129:130]
	s_waitcnt vmcnt(18)
	v_fma_f64 v[141:142], v[143:144], v[135:136], v[129:130]
	ds_read_b128 v[129:132], v128 offset:848
	ds_read_b128 v[133:136], v128 offset:864
	buffer_load_dword v146, off, s[0:3], 0 offset:420
	s_waitcnt vmcnt(18) lgkmcnt(1)
	v_fma_f64 v[129:130], v[157:158], v[129:130], v[141:142]
	s_waitcnt vmcnt(17)
	v_fma_f64 v[129:130], v[155:156], v[131:132], v[129:130]
	buffer_load_dword v142, off, s[0:3], 0 offset:428
	buffer_load_dword v143, off, s[0:3], 0 offset:448
	;; [unrolled: 1-line block ×8, first 2 shown]
	s_waitcnt vmcnt(24) lgkmcnt(0)
	v_fma_f64 v[129:130], v[149:150], v[133:134], v[129:130]
	s_waitcnt vmcnt(19)
	v_fma_f64 v[137:138], v[137:138], v[135:136], v[129:130]
	ds_read_b128 v[129:132], v128 offset:880
	ds_read_b128 v[133:136], v128 offset:896
	s_waitcnt vmcnt(18) lgkmcnt(1)
	v_fma_f64 v[129:130], v[161:162], v[129:130], v[137:138]
	s_waitcnt vmcnt(17)
	v_fma_f64 v[129:130], v[159:160], v[131:132], v[129:130]
	buffer_load_dword v138, off, s[0:3], 0 offset:460
	buffer_load_dword v149, off, s[0:3], 0 offset:480
	buffer_load_dword v159, off, s[0:3], 0 offset:472
	buffer_load_dword v161, off, s[0:3], 0 offset:464
	buffer_load_dword v137, off, s[0:3], 0 offset:456
	buffer_load_dword v162, off, s[0:3], 0 offset:468
	buffer_load_dword v160, off, s[0:3], 0 offset:476
	s_waitcnt vmcnt(23) lgkmcnt(0)
	v_fma_f64 v[129:130], v[151:152], v[133:134], v[129:130]
	s_waitcnt vmcnt(18)
	v_fma_f64 v[139:140], v[139:140], v[135:136], v[129:130]
	ds_read_b128 v[129:132], v128 offset:912
	ds_read_b128 v[133:136], v128 offset:928
	buffer_load_dword v150, off, s[0:3], 0 offset:484
	s_waitcnt vmcnt(18) lgkmcnt(1)
	v_fma_f64 v[129:130], v[153:154], v[129:130], v[139:140]
	s_waitcnt vmcnt(17)
	v_fma_f64 v[129:130], v[147:148], v[131:132], v[129:130]
	buffer_load_dword v140, off, s[0:3], 0 offset:492
	buffer_load_dword v147, off, s[0:3], 0 offset:496
	;; [unrolled: 1-line block ×4, first 2 shown]
	s_waitcnt vmcnt(20) lgkmcnt(0)
	v_fma_f64 v[129:130], v[145:146], v[133:134], v[129:130]
	buffer_load_dword v145, off, s[0:3], 0 offset:72
	buffer_load_dword v146, off, s[0:3], 0 offset:76
	s_waitcnt vmcnt(17)
	v_fma_f64 v[141:142], v[141:142], v[135:136], v[129:130]
	ds_read_b128 v[129:132], v128 offset:944
	ds_read_b128 v[133:136], v128 offset:960
	s_waitcnt vmcnt(16) lgkmcnt(1)
	v_fma_f64 v[129:130], v[157:158], v[129:130], v[141:142]
	s_waitcnt vmcnt(15)
	v_fma_f64 v[129:130], v[155:156], v[131:132], v[129:130]
	s_waitcnt vmcnt(14) lgkmcnt(0)
	v_fma_f64 v[129:130], v[143:144], v[133:134], v[129:130]
	s_waitcnt vmcnt(9)
	v_fma_f64 v[137:138], v[137:138], v[135:136], v[129:130]
	ds_read_b128 v[129:132], v128 offset:976
	ds_read_b128 v[133:136], v128 offset:992
	s_waitcnt vmcnt(8) lgkmcnt(1)
	v_fma_f64 v[129:130], v[161:162], v[129:130], v[137:138]
	s_waitcnt vmcnt(7)
	v_fma_f64 v[129:130], v[159:160], v[131:132], v[129:130]
	ds_read_b64 v[131:132], v128 offset:1008
	s_waitcnt vmcnt(6) lgkmcnt(1)
	v_fma_f64 v[129:130], v[149:150], v[133:134], v[129:130]
	s_waitcnt vmcnt(3)
	v_fma_f64 v[129:130], v[139:140], v[135:136], v[129:130]
	s_waitcnt vmcnt(2) lgkmcnt(0)
	v_fma_f64 v[129:130], v[147:148], v[131:132], v[129:130]
	s_waitcnt vmcnt(0)
	v_add_f64 v[129:130], v[145:146], -v[129:130]
	buffer_store_dword v130, off, s[0:3], 0 offset:76
	buffer_store_dword v129, off, s[0:3], 0 offset:72
	s_and_saveexec_b64 s[4:5], vcc
	s_cbranch_execz .LBB62_369
; %bb.368:
	buffer_load_dword v129, off, s[0:3], 0 offset:64
	buffer_load_dword v130, off, s[0:3], 0 offset:68
	s_waitcnt vmcnt(0)
	ds_write_b64 v127, v[129:130]
	buffer_store_dword v128, off, s[0:3], 0 offset:64
	buffer_store_dword v128, off, s[0:3], 0 offset:68
.LBB62_369:
	s_or_b64 exec, exec, s[4:5]
	s_waitcnt lgkmcnt(0)
	; wave barrier
	buffer_load_dword v137, off, s[0:3], 0 offset:72
	buffer_load_dword v138, off, s[0:3], 0 offset:76
	;; [unrolled: 1-line block ×22, first 2 shown]
	ds_read2_b64 v[129:132], v128 offset0:73 offset1:74
	ds_read2_b64 v[133:136], v128 offset0:75 offset1:76
	v_cmp_lt_u32_e32 vcc, 7, v0
	s_waitcnt vmcnt(20) lgkmcnt(1)
	v_fma_f64 v[129:130], v[137:138], v[129:130], 0
	s_waitcnt vmcnt(18)
	v_fma_f64 v[129:130], v[139:140], v[131:132], v[129:130]
	buffer_load_dword v138, off, s[0:3], 0 offset:164
	buffer_load_dword v139, off, s[0:3], 0 offset:184
	;; [unrolled: 1-line block ×7, first 2 shown]
	s_waitcnt vmcnt(23) lgkmcnt(0)
	v_fma_f64 v[129:130], v[141:142], v[133:134], v[129:130]
	s_waitcnt vmcnt(21)
	v_fma_f64 v[140:141], v[143:144], v[135:136], v[129:130]
	ds_read2_b64 v[129:132], v128 offset0:77 offset1:78
	ds_read2_b64 v[133:136], v128 offset0:79 offset1:80
	s_waitcnt vmcnt(19) lgkmcnt(1)
	v_fma_f64 v[129:130], v[145:146], v[129:130], v[140:141]
	buffer_load_dword v140, off, s[0:3], 0 offset:188
	s_waitcnt vmcnt(18)
	v_fma_f64 v[129:130], v[147:148], v[131:132], v[129:130]
	buffer_load_dword v142, off, s[0:3], 0 offset:196
	buffer_load_dword v143, off, s[0:3], 0 offset:216
	;; [unrolled: 1-line block ×7, first 2 shown]
	s_waitcnt vmcnt(23) lgkmcnt(0)
	v_fma_f64 v[129:130], v[149:150], v[133:134], v[129:130]
	s_waitcnt vmcnt(18)
	v_fma_f64 v[149:150], v[151:152], v[135:136], v[129:130]
	ds_read2_b64 v[129:132], v128 offset0:81 offset1:82
	ds_read2_b64 v[133:136], v128 offset0:83 offset1:84
	buffer_load_dword v144, off, s[0:3], 0 offset:220
	s_waitcnt vmcnt(18) lgkmcnt(1)
	v_fma_f64 v[129:130], v[157:158], v[129:130], v[149:150]
	s_waitcnt vmcnt(17)
	v_fma_f64 v[129:130], v[155:156], v[131:132], v[129:130]
	buffer_load_dword v150, off, s[0:3], 0 offset:228
	buffer_load_dword v151, off, s[0:3], 0 offset:248
	;; [unrolled: 1-line block ×8, first 2 shown]
	s_waitcnt vmcnt(24) lgkmcnt(0)
	v_fma_f64 v[129:130], v[153:154], v[133:134], v[129:130]
	s_waitcnt vmcnt(19)
	v_fma_f64 v[137:138], v[137:138], v[135:136], v[129:130]
	ds_read2_b64 v[129:132], v128 offset0:85 offset1:86
	ds_read2_b64 v[133:136], v128 offset0:87 offset1:88
	s_waitcnt vmcnt(18) lgkmcnt(1)
	v_fma_f64 v[129:130], v[161:162], v[129:130], v[137:138]
	s_waitcnt vmcnt(17)
	v_fma_f64 v[129:130], v[159:160], v[131:132], v[129:130]
	buffer_load_dword v138, off, s[0:3], 0 offset:260
	buffer_load_dword v153, off, s[0:3], 0 offset:280
	;; [unrolled: 1-line block ×8, first 2 shown]
	s_waitcnt vmcnt(24) lgkmcnt(0)
	v_fma_f64 v[129:130], v[139:140], v[133:134], v[129:130]
	s_waitcnt vmcnt(19)
	v_fma_f64 v[139:140], v[141:142], v[135:136], v[129:130]
	ds_read2_b64 v[129:132], v128 offset0:89 offset1:90
	ds_read2_b64 v[133:136], v128 offset0:91 offset1:92
	s_waitcnt vmcnt(18) lgkmcnt(1)
	v_fma_f64 v[129:130], v[147:148], v[129:130], v[139:140]
	s_waitcnt vmcnt(17)
	v_fma_f64 v[129:130], v[145:146], v[131:132], v[129:130]
	buffer_load_dword v140, off, s[0:3], 0 offset:292
	buffer_load_dword v141, off, s[0:3], 0 offset:312
	buffer_load_dword v145, off, s[0:3], 0 offset:304
	buffer_load_dword v147, off, s[0:3], 0 offset:296
	buffer_load_dword v139, off, s[0:3], 0 offset:288
	buffer_load_dword v148, off, s[0:3], 0 offset:300
	buffer_load_dword v146, off, s[0:3], 0 offset:308
	s_waitcnt vmcnt(23) lgkmcnt(0)
	v_fma_f64 v[129:130], v[143:144], v[133:134], v[129:130]
	s_waitcnt vmcnt(18)
	v_fma_f64 v[142:143], v[149:150], v[135:136], v[129:130]
	ds_read2_b64 v[129:132], v128 offset0:93 offset1:94
	ds_read2_b64 v[133:136], v128 offset0:95 offset1:96
	s_waitcnt vmcnt(17) lgkmcnt(1)
	v_fma_f64 v[129:130], v[157:158], v[129:130], v[142:143]
	buffer_load_dword v142, off, s[0:3], 0 offset:316
	s_waitcnt vmcnt(17)
	v_fma_f64 v[129:130], v[155:156], v[131:132], v[129:130]
	buffer_load_dword v144, off, s[0:3], 0 offset:324
	buffer_load_dword v149, off, s[0:3], 0 offset:344
	;; [unrolled: 1-line block ×8, first 2 shown]
	s_waitcnt vmcnt(24) lgkmcnt(0)
	v_fma_f64 v[129:130], v[151:152], v[133:134], v[129:130]
	s_waitcnt vmcnt(19)
	v_fma_f64 v[137:138], v[137:138], v[135:136], v[129:130]
	ds_read2_b64 v[129:132], v128 offset0:97 offset1:98
	ds_read2_b64 v[133:136], v128 offset0:99 offset1:100
	s_waitcnt vmcnt(18) lgkmcnt(1)
	v_fma_f64 v[129:130], v[161:162], v[129:130], v[137:138]
	s_waitcnt vmcnt(17)
	v_fma_f64 v[129:130], v[159:160], v[131:132], v[129:130]
	buffer_load_dword v138, off, s[0:3], 0 offset:356
	buffer_load_dword v151, off, s[0:3], 0 offset:376
	;; [unrolled: 1-line block ×8, first 2 shown]
	s_waitcnt vmcnt(24) lgkmcnt(0)
	v_fma_f64 v[129:130], v[153:154], v[133:134], v[129:130]
	s_waitcnt vmcnt(19)
	v_fma_f64 v[139:140], v[139:140], v[135:136], v[129:130]
	ds_read2_b64 v[129:132], v128 offset0:101 offset1:102
	ds_read2_b64 v[133:136], v128 offset0:103 offset1:104
	s_waitcnt vmcnt(18) lgkmcnt(1)
	v_fma_f64 v[129:130], v[147:148], v[129:130], v[139:140]
	s_waitcnt vmcnt(17)
	v_fma_f64 v[129:130], v[145:146], v[131:132], v[129:130]
	buffer_load_dword v140, off, s[0:3], 0 offset:388
	buffer_load_dword v145, off, s[0:3], 0 offset:408
	buffer_load_dword v147, off, s[0:3], 0 offset:400
	buffer_load_dword v153, off, s[0:3], 0 offset:392
	buffer_load_dword v139, off, s[0:3], 0 offset:384
	buffer_load_dword v154, off, s[0:3], 0 offset:396
	buffer_load_dword v148, off, s[0:3], 0 offset:404
	s_waitcnt vmcnt(23) lgkmcnt(0)
	v_fma_f64 v[129:130], v[141:142], v[133:134], v[129:130]
	s_waitcnt vmcnt(18)
	v_fma_f64 v[141:142], v[143:144], v[135:136], v[129:130]
	ds_read2_b64 v[129:132], v128 offset0:105 offset1:106
	ds_read2_b64 v[133:136], v128 offset0:107 offset1:108
	buffer_load_dword v146, off, s[0:3], 0 offset:412
	s_waitcnt vmcnt(18) lgkmcnt(1)
	v_fma_f64 v[129:130], v[157:158], v[129:130], v[141:142]
	s_waitcnt vmcnt(17)
	v_fma_f64 v[129:130], v[155:156], v[131:132], v[129:130]
	buffer_load_dword v142, off, s[0:3], 0 offset:420
	buffer_load_dword v143, off, s[0:3], 0 offset:440
	;; [unrolled: 1-line block ×8, first 2 shown]
	s_waitcnt vmcnt(24) lgkmcnt(0)
	v_fma_f64 v[129:130], v[149:150], v[133:134], v[129:130]
	s_waitcnt vmcnt(19)
	v_fma_f64 v[137:138], v[137:138], v[135:136], v[129:130]
	ds_read2_b64 v[129:132], v128 offset0:109 offset1:110
	ds_read2_b64 v[133:136], v128 offset0:111 offset1:112
	s_waitcnt vmcnt(18) lgkmcnt(1)
	v_fma_f64 v[129:130], v[161:162], v[129:130], v[137:138]
	s_waitcnt vmcnt(17)
	v_fma_f64 v[129:130], v[159:160], v[131:132], v[129:130]
	buffer_load_dword v138, off, s[0:3], 0 offset:452
	buffer_load_dword v149, off, s[0:3], 0 offset:472
	;; [unrolled: 1-line block ×8, first 2 shown]
	s_waitcnt vmcnt(24) lgkmcnt(0)
	v_fma_f64 v[129:130], v[151:152], v[133:134], v[129:130]
	s_waitcnt vmcnt(19)
	v_fma_f64 v[139:140], v[139:140], v[135:136], v[129:130]
	ds_read2_b64 v[129:132], v128 offset0:113 offset1:114
	ds_read2_b64 v[133:136], v128 offset0:115 offset1:116
	s_waitcnt vmcnt(18) lgkmcnt(1)
	v_fma_f64 v[129:130], v[153:154], v[129:130], v[139:140]
	s_waitcnt vmcnt(17)
	v_fma_f64 v[129:130], v[147:148], v[131:132], v[129:130]
	buffer_load_dword v140, off, s[0:3], 0 offset:484
	buffer_load_dword v147, off, s[0:3], 0 offset:496
	;; [unrolled: 1-line block ×6, first 2 shown]
	s_waitcnt vmcnt(22) lgkmcnt(0)
	v_fma_f64 v[129:130], v[145:146], v[133:134], v[129:130]
	s_waitcnt vmcnt(17)
	v_fma_f64 v[141:142], v[141:142], v[135:136], v[129:130]
	ds_read2_b64 v[129:132], v128 offset0:117 offset1:118
	buffer_load_dword v145, off, s[0:3], 0 offset:64
	buffer_load_dword v146, off, s[0:3], 0 offset:68
	ds_read2_b64 v[133:136], v128 offset0:119 offset1:120
	s_waitcnt vmcnt(18) lgkmcnt(1)
	v_fma_f64 v[129:130], v[157:158], v[129:130], v[141:142]
	s_waitcnt vmcnt(17)
	v_fma_f64 v[129:130], v[155:156], v[131:132], v[129:130]
	s_waitcnt vmcnt(16) lgkmcnt(0)
	v_fma_f64 v[129:130], v[143:144], v[133:134], v[129:130]
	s_waitcnt vmcnt(11)
	v_fma_f64 v[137:138], v[137:138], v[135:136], v[129:130]
	ds_read2_b64 v[129:132], v128 offset0:121 offset1:122
	ds_read2_b64 v[133:136], v128 offset0:123 offset1:124
	s_waitcnt vmcnt(10) lgkmcnt(1)
	v_fma_f64 v[129:130], v[161:162], v[129:130], v[137:138]
	s_waitcnt vmcnt(9)
	v_fma_f64 v[129:130], v[159:160], v[131:132], v[129:130]
	s_waitcnt vmcnt(8) lgkmcnt(0)
	v_fma_f64 v[129:130], v[149:150], v[133:134], v[129:130]
	s_waitcnt vmcnt(4)
	v_fma_f64 v[132:133], v[139:140], v[135:136], v[129:130]
	ds_read2_b64 v[128:131], v128 offset0:125 offset1:126
	s_waitcnt vmcnt(3) lgkmcnt(0)
	v_fma_f64 v[128:129], v[151:152], v[128:129], v[132:133]
	s_waitcnt vmcnt(2)
	v_fma_f64 v[128:129], v[147:148], v[130:131], v[128:129]
	s_waitcnt vmcnt(0)
	v_add_f64 v[128:129], v[145:146], -v[128:129]
	buffer_store_dword v129, off, s[0:3], 0 offset:68
	buffer_store_dword v128, off, s[0:3], 0 offset:64
	s_and_saveexec_b64 s[4:5], vcc
	s_cbranch_execz .LBB62_371
; %bb.370:
	buffer_load_dword v128, off, s[0:3], 0 offset:56
	buffer_load_dword v129, off, s[0:3], 0 offset:60
	v_mov_b32_e32 v130, 0
	buffer_store_dword v130, off, s[0:3], 0 offset:56
	buffer_store_dword v130, off, s[0:3], 0 offset:60
	s_waitcnt vmcnt(2)
	ds_write_b64 v127, v[128:129]
.LBB62_371:
	s_or_b64 exec, exec, s[4:5]
	s_waitcnt lgkmcnt(0)
	; wave barrier
	buffer_load_dword v137, off, s[0:3], 0 offset:64
	buffer_load_dword v138, off, s[0:3], 0 offset:68
	;; [unrolled: 1-line block ×22, first 2 shown]
	v_mov_b32_e32 v128, 0
	ds_read_b128 v[129:132], v128 offset:576
	ds_read_b128 v[133:136], v128 offset:592
	v_cmp_lt_u32_e32 vcc, 6, v0
	s_waitcnt vmcnt(20) lgkmcnt(1)
	v_fma_f64 v[129:130], v[137:138], v[129:130], 0
	s_waitcnt vmcnt(18)
	v_fma_f64 v[129:130], v[139:140], v[131:132], v[129:130]
	buffer_load_dword v138, off, s[0:3], 0 offset:156
	buffer_load_dword v139, off, s[0:3], 0 offset:176
	buffer_load_dword v159, off, s[0:3], 0 offset:168
	buffer_load_dword v161, off, s[0:3], 0 offset:160
	buffer_load_dword v137, off, s[0:3], 0 offset:152
	buffer_load_dword v162, off, s[0:3], 0 offset:164
	buffer_load_dword v160, off, s[0:3], 0 offset:172
	s_waitcnt vmcnt(23) lgkmcnt(0)
	v_fma_f64 v[129:130], v[141:142], v[133:134], v[129:130]
	s_waitcnt vmcnt(21)
	v_fma_f64 v[140:141], v[143:144], v[135:136], v[129:130]
	ds_read_b128 v[129:132], v128 offset:608
	ds_read_b128 v[133:136], v128 offset:624
	s_waitcnt vmcnt(19) lgkmcnt(1)
	v_fma_f64 v[129:130], v[145:146], v[129:130], v[140:141]
	buffer_load_dword v140, off, s[0:3], 0 offset:180
	s_waitcnt vmcnt(18)
	v_fma_f64 v[129:130], v[147:148], v[131:132], v[129:130]
	buffer_load_dword v142, off, s[0:3], 0 offset:188
	buffer_load_dword v143, off, s[0:3], 0 offset:208
	buffer_load_dword v145, off, s[0:3], 0 offset:200
	buffer_load_dword v147, off, s[0:3], 0 offset:192
	buffer_load_dword v141, off, s[0:3], 0 offset:184
	buffer_load_dword v148, off, s[0:3], 0 offset:196
	buffer_load_dword v146, off, s[0:3], 0 offset:204
	s_waitcnt vmcnt(23) lgkmcnt(0)
	v_fma_f64 v[129:130], v[149:150], v[133:134], v[129:130]
	s_waitcnt vmcnt(18)
	v_fma_f64 v[149:150], v[151:152], v[135:136], v[129:130]
	ds_read_b128 v[129:132], v128 offset:640
	ds_read_b128 v[133:136], v128 offset:656
	buffer_load_dword v144, off, s[0:3], 0 offset:212
	s_waitcnt vmcnt(18) lgkmcnt(1)
	v_fma_f64 v[129:130], v[157:158], v[129:130], v[149:150]
	s_waitcnt vmcnt(17)
	v_fma_f64 v[129:130], v[155:156], v[131:132], v[129:130]
	buffer_load_dword v150, off, s[0:3], 0 offset:220
	buffer_load_dword v151, off, s[0:3], 0 offset:240
	;; [unrolled: 1-line block ×8, first 2 shown]
	s_waitcnt vmcnt(24) lgkmcnt(0)
	v_fma_f64 v[129:130], v[153:154], v[133:134], v[129:130]
	s_waitcnt vmcnt(19)
	v_fma_f64 v[137:138], v[137:138], v[135:136], v[129:130]
	ds_read_b128 v[129:132], v128 offset:672
	ds_read_b128 v[133:136], v128 offset:688
	s_waitcnt vmcnt(18) lgkmcnt(1)
	v_fma_f64 v[129:130], v[161:162], v[129:130], v[137:138]
	s_waitcnt vmcnt(17)
	v_fma_f64 v[129:130], v[159:160], v[131:132], v[129:130]
	buffer_load_dword v138, off, s[0:3], 0 offset:252
	buffer_load_dword v153, off, s[0:3], 0 offset:272
	;; [unrolled: 1-line block ×8, first 2 shown]
	s_waitcnt vmcnt(24) lgkmcnt(0)
	v_fma_f64 v[129:130], v[139:140], v[133:134], v[129:130]
	s_waitcnt vmcnt(19)
	v_fma_f64 v[139:140], v[141:142], v[135:136], v[129:130]
	ds_read_b128 v[129:132], v128 offset:704
	ds_read_b128 v[133:136], v128 offset:720
	s_waitcnt vmcnt(18) lgkmcnt(1)
	v_fma_f64 v[129:130], v[147:148], v[129:130], v[139:140]
	s_waitcnt vmcnt(17)
	v_fma_f64 v[129:130], v[145:146], v[131:132], v[129:130]
	buffer_load_dword v140, off, s[0:3], 0 offset:284
	buffer_load_dword v141, off, s[0:3], 0 offset:304
	;; [unrolled: 1-line block ×7, first 2 shown]
	s_waitcnt vmcnt(23) lgkmcnt(0)
	v_fma_f64 v[129:130], v[143:144], v[133:134], v[129:130]
	s_waitcnt vmcnt(18)
	v_fma_f64 v[142:143], v[149:150], v[135:136], v[129:130]
	ds_read_b128 v[129:132], v128 offset:736
	ds_read_b128 v[133:136], v128 offset:752
	s_waitcnt vmcnt(17) lgkmcnt(1)
	v_fma_f64 v[129:130], v[157:158], v[129:130], v[142:143]
	buffer_load_dword v142, off, s[0:3], 0 offset:308
	s_waitcnt vmcnt(17)
	v_fma_f64 v[129:130], v[155:156], v[131:132], v[129:130]
	buffer_load_dword v144, off, s[0:3], 0 offset:316
	buffer_load_dword v149, off, s[0:3], 0 offset:336
	;; [unrolled: 1-line block ×8, first 2 shown]
	s_waitcnt vmcnt(24) lgkmcnt(0)
	v_fma_f64 v[129:130], v[151:152], v[133:134], v[129:130]
	s_waitcnt vmcnt(19)
	v_fma_f64 v[137:138], v[137:138], v[135:136], v[129:130]
	ds_read_b128 v[129:132], v128 offset:768
	ds_read_b128 v[133:136], v128 offset:784
	s_waitcnt vmcnt(18) lgkmcnt(1)
	v_fma_f64 v[129:130], v[161:162], v[129:130], v[137:138]
	s_waitcnt vmcnt(17)
	v_fma_f64 v[129:130], v[159:160], v[131:132], v[129:130]
	buffer_load_dword v138, off, s[0:3], 0 offset:348
	buffer_load_dword v151, off, s[0:3], 0 offset:368
	;; [unrolled: 1-line block ×8, first 2 shown]
	s_waitcnt vmcnt(24) lgkmcnt(0)
	v_fma_f64 v[129:130], v[153:154], v[133:134], v[129:130]
	s_waitcnt vmcnt(19)
	v_fma_f64 v[139:140], v[139:140], v[135:136], v[129:130]
	ds_read_b128 v[129:132], v128 offset:800
	ds_read_b128 v[133:136], v128 offset:816
	s_waitcnt vmcnt(18) lgkmcnt(1)
	v_fma_f64 v[129:130], v[147:148], v[129:130], v[139:140]
	s_waitcnt vmcnt(17)
	v_fma_f64 v[129:130], v[145:146], v[131:132], v[129:130]
	buffer_load_dword v140, off, s[0:3], 0 offset:380
	buffer_load_dword v145, off, s[0:3], 0 offset:400
	;; [unrolled: 1-line block ×7, first 2 shown]
	s_waitcnt vmcnt(23) lgkmcnt(0)
	v_fma_f64 v[129:130], v[141:142], v[133:134], v[129:130]
	s_waitcnt vmcnt(18)
	v_fma_f64 v[141:142], v[143:144], v[135:136], v[129:130]
	ds_read_b128 v[129:132], v128 offset:832
	ds_read_b128 v[133:136], v128 offset:848
	buffer_load_dword v146, off, s[0:3], 0 offset:404
	s_waitcnt vmcnt(18) lgkmcnt(1)
	v_fma_f64 v[129:130], v[157:158], v[129:130], v[141:142]
	s_waitcnt vmcnt(17)
	v_fma_f64 v[129:130], v[155:156], v[131:132], v[129:130]
	buffer_load_dword v142, off, s[0:3], 0 offset:412
	buffer_load_dword v143, off, s[0:3], 0 offset:432
	buffer_load_dword v155, off, s[0:3], 0 offset:424
	buffer_load_dword v157, off, s[0:3], 0 offset:416
	buffer_load_dword v141, off, s[0:3], 0 offset:408
	buffer_load_dword v158, off, s[0:3], 0 offset:420
	buffer_load_dword v156, off, s[0:3], 0 offset:428
	buffer_load_dword v144, off, s[0:3], 0 offset:436
	s_waitcnt vmcnt(24) lgkmcnt(0)
	v_fma_f64 v[129:130], v[149:150], v[133:134], v[129:130]
	s_waitcnt vmcnt(19)
	v_fma_f64 v[137:138], v[137:138], v[135:136], v[129:130]
	ds_read_b128 v[129:132], v128 offset:864
	ds_read_b128 v[133:136], v128 offset:880
	s_waitcnt vmcnt(18) lgkmcnt(1)
	v_fma_f64 v[129:130], v[161:162], v[129:130], v[137:138]
	s_waitcnt vmcnt(17)
	v_fma_f64 v[129:130], v[159:160], v[131:132], v[129:130]
	buffer_load_dword v138, off, s[0:3], 0 offset:444
	buffer_load_dword v149, off, s[0:3], 0 offset:464
	buffer_load_dword v159, off, s[0:3], 0 offset:456
	buffer_load_dword v161, off, s[0:3], 0 offset:448
	buffer_load_dword v137, off, s[0:3], 0 offset:440
	buffer_load_dword v162, off, s[0:3], 0 offset:452
	buffer_load_dword v160, off, s[0:3], 0 offset:460
	buffer_load_dword v150, off, s[0:3], 0 offset:468
	s_waitcnt vmcnt(24) lgkmcnt(0)
	v_fma_f64 v[129:130], v[151:152], v[133:134], v[129:130]
	s_waitcnt vmcnt(19)
	v_fma_f64 v[139:140], v[139:140], v[135:136], v[129:130]
	ds_read_b128 v[129:132], v128 offset:896
	ds_read_b128 v[133:136], v128 offset:912
	;; [unrolled: 18-line block ×3, first 2 shown]
	s_waitcnt vmcnt(18) lgkmcnt(1)
	v_fma_f64 v[129:130], v[157:158], v[129:130], v[141:142]
	buffer_load_dword v141, off, s[0:3], 0 offset:56
	buffer_load_dword v142, off, s[0:3], 0 offset:60
	s_waitcnt vmcnt(19)
	v_fma_f64 v[129:130], v[155:156], v[131:132], v[129:130]
	s_waitcnt vmcnt(18) lgkmcnt(0)
	v_fma_f64 v[129:130], v[143:144], v[133:134], v[129:130]
	s_waitcnt vmcnt(13)
	v_fma_f64 v[137:138], v[137:138], v[135:136], v[129:130]
	ds_read_b128 v[129:132], v128 offset:960
	ds_read_b128 v[133:136], v128 offset:976
	s_waitcnt vmcnt(12) lgkmcnt(1)
	v_fma_f64 v[129:130], v[161:162], v[129:130], v[137:138]
	s_waitcnt vmcnt(11)
	v_fma_f64 v[129:130], v[159:160], v[131:132], v[129:130]
	s_waitcnt vmcnt(10) lgkmcnt(0)
	v_fma_f64 v[129:130], v[149:150], v[133:134], v[129:130]
	s_waitcnt vmcnt(5)
	v_fma_f64 v[133:134], v[139:140], v[135:136], v[129:130]
	ds_read_b128 v[129:132], v128 offset:992
	ds_read_b64 v[135:136], v128 offset:1008
	s_waitcnt vmcnt(4) lgkmcnt(1)
	v_fma_f64 v[129:130], v[153:154], v[129:130], v[133:134]
	s_waitcnt vmcnt(3)
	v_fma_f64 v[129:130], v[151:152], v[131:132], v[129:130]
	s_waitcnt vmcnt(2) lgkmcnt(0)
	v_fma_f64 v[129:130], v[147:148], v[135:136], v[129:130]
	s_waitcnt vmcnt(0)
	v_add_f64 v[129:130], v[141:142], -v[129:130]
	buffer_store_dword v130, off, s[0:3], 0 offset:60
	buffer_store_dword v129, off, s[0:3], 0 offset:56
	s_and_saveexec_b64 s[4:5], vcc
	s_cbranch_execz .LBB62_373
; %bb.372:
	buffer_load_dword v129, off, s[0:3], 0 offset:48
	buffer_load_dword v130, off, s[0:3], 0 offset:52
	s_waitcnt vmcnt(0)
	ds_write_b64 v127, v[129:130]
	buffer_store_dword v128, off, s[0:3], 0 offset:48
	buffer_store_dword v128, off, s[0:3], 0 offset:52
.LBB62_373:
	s_or_b64 exec, exec, s[4:5]
	s_waitcnt lgkmcnt(0)
	; wave barrier
	buffer_load_dword v137, off, s[0:3], 0 offset:56
	buffer_load_dword v138, off, s[0:3], 0 offset:60
	;; [unrolled: 1-line block ×22, first 2 shown]
	ds_read2_b64 v[129:132], v128 offset0:71 offset1:72
	ds_read2_b64 v[133:136], v128 offset0:73 offset1:74
	v_cmp_lt_u32_e32 vcc, 5, v0
	s_waitcnt vmcnt(20) lgkmcnt(1)
	v_fma_f64 v[129:130], v[137:138], v[129:130], 0
	s_waitcnt vmcnt(18)
	v_fma_f64 v[129:130], v[139:140], v[131:132], v[129:130]
	buffer_load_dword v138, off, s[0:3], 0 offset:148
	buffer_load_dword v139, off, s[0:3], 0 offset:168
	;; [unrolled: 1-line block ×7, first 2 shown]
	s_waitcnt vmcnt(23) lgkmcnt(0)
	v_fma_f64 v[129:130], v[141:142], v[133:134], v[129:130]
	s_waitcnt vmcnt(21)
	v_fma_f64 v[140:141], v[143:144], v[135:136], v[129:130]
	ds_read2_b64 v[129:132], v128 offset0:75 offset1:76
	ds_read2_b64 v[133:136], v128 offset0:77 offset1:78
	s_waitcnt vmcnt(19) lgkmcnt(1)
	v_fma_f64 v[129:130], v[145:146], v[129:130], v[140:141]
	buffer_load_dword v140, off, s[0:3], 0 offset:172
	s_waitcnt vmcnt(18)
	v_fma_f64 v[129:130], v[147:148], v[131:132], v[129:130]
	buffer_load_dword v142, off, s[0:3], 0 offset:180
	buffer_load_dword v143, off, s[0:3], 0 offset:200
	;; [unrolled: 1-line block ×7, first 2 shown]
	s_waitcnt vmcnt(23) lgkmcnt(0)
	v_fma_f64 v[129:130], v[149:150], v[133:134], v[129:130]
	s_waitcnt vmcnt(18)
	v_fma_f64 v[149:150], v[151:152], v[135:136], v[129:130]
	ds_read2_b64 v[129:132], v128 offset0:79 offset1:80
	ds_read2_b64 v[133:136], v128 offset0:81 offset1:82
	buffer_load_dword v144, off, s[0:3], 0 offset:204
	s_waitcnt vmcnt(18) lgkmcnt(1)
	v_fma_f64 v[129:130], v[157:158], v[129:130], v[149:150]
	s_waitcnt vmcnt(17)
	v_fma_f64 v[129:130], v[155:156], v[131:132], v[129:130]
	buffer_load_dword v150, off, s[0:3], 0 offset:212
	buffer_load_dword v151, off, s[0:3], 0 offset:232
	;; [unrolled: 1-line block ×8, first 2 shown]
	s_waitcnt vmcnt(24) lgkmcnt(0)
	v_fma_f64 v[129:130], v[153:154], v[133:134], v[129:130]
	s_waitcnt vmcnt(19)
	v_fma_f64 v[137:138], v[137:138], v[135:136], v[129:130]
	ds_read2_b64 v[129:132], v128 offset0:83 offset1:84
	ds_read2_b64 v[133:136], v128 offset0:85 offset1:86
	s_waitcnt vmcnt(18) lgkmcnt(1)
	v_fma_f64 v[129:130], v[161:162], v[129:130], v[137:138]
	s_waitcnt vmcnt(17)
	v_fma_f64 v[129:130], v[159:160], v[131:132], v[129:130]
	buffer_load_dword v138, off, s[0:3], 0 offset:244
	buffer_load_dword v153, off, s[0:3], 0 offset:264
	;; [unrolled: 1-line block ×8, first 2 shown]
	s_waitcnt vmcnt(24) lgkmcnt(0)
	v_fma_f64 v[129:130], v[139:140], v[133:134], v[129:130]
	s_waitcnt vmcnt(19)
	v_fma_f64 v[139:140], v[141:142], v[135:136], v[129:130]
	ds_read2_b64 v[129:132], v128 offset0:87 offset1:88
	ds_read2_b64 v[133:136], v128 offset0:89 offset1:90
	s_waitcnt vmcnt(18) lgkmcnt(1)
	v_fma_f64 v[129:130], v[147:148], v[129:130], v[139:140]
	s_waitcnt vmcnt(17)
	v_fma_f64 v[129:130], v[145:146], v[131:132], v[129:130]
	buffer_load_dword v140, off, s[0:3], 0 offset:276
	buffer_load_dword v141, off, s[0:3], 0 offset:296
	;; [unrolled: 1-line block ×7, first 2 shown]
	s_waitcnt vmcnt(23) lgkmcnt(0)
	v_fma_f64 v[129:130], v[143:144], v[133:134], v[129:130]
	s_waitcnt vmcnt(18)
	v_fma_f64 v[142:143], v[149:150], v[135:136], v[129:130]
	ds_read2_b64 v[129:132], v128 offset0:91 offset1:92
	ds_read2_b64 v[133:136], v128 offset0:93 offset1:94
	s_waitcnt vmcnt(17) lgkmcnt(1)
	v_fma_f64 v[129:130], v[157:158], v[129:130], v[142:143]
	buffer_load_dword v142, off, s[0:3], 0 offset:300
	s_waitcnt vmcnt(17)
	v_fma_f64 v[129:130], v[155:156], v[131:132], v[129:130]
	buffer_load_dword v144, off, s[0:3], 0 offset:308
	buffer_load_dword v149, off, s[0:3], 0 offset:328
	;; [unrolled: 1-line block ×8, first 2 shown]
	s_waitcnt vmcnt(24) lgkmcnt(0)
	v_fma_f64 v[129:130], v[151:152], v[133:134], v[129:130]
	s_waitcnt vmcnt(19)
	v_fma_f64 v[137:138], v[137:138], v[135:136], v[129:130]
	ds_read2_b64 v[129:132], v128 offset0:95 offset1:96
	ds_read2_b64 v[133:136], v128 offset0:97 offset1:98
	s_waitcnt vmcnt(18) lgkmcnt(1)
	v_fma_f64 v[129:130], v[161:162], v[129:130], v[137:138]
	s_waitcnt vmcnt(17)
	v_fma_f64 v[129:130], v[159:160], v[131:132], v[129:130]
	buffer_load_dword v138, off, s[0:3], 0 offset:340
	buffer_load_dword v151, off, s[0:3], 0 offset:360
	;; [unrolled: 1-line block ×8, first 2 shown]
	s_waitcnt vmcnt(24) lgkmcnt(0)
	v_fma_f64 v[129:130], v[153:154], v[133:134], v[129:130]
	s_waitcnt vmcnt(19)
	v_fma_f64 v[139:140], v[139:140], v[135:136], v[129:130]
	ds_read2_b64 v[129:132], v128 offset0:99 offset1:100
	ds_read2_b64 v[133:136], v128 offset0:101 offset1:102
	s_waitcnt vmcnt(18) lgkmcnt(1)
	v_fma_f64 v[129:130], v[147:148], v[129:130], v[139:140]
	s_waitcnt vmcnt(17)
	v_fma_f64 v[129:130], v[145:146], v[131:132], v[129:130]
	buffer_load_dword v140, off, s[0:3], 0 offset:372
	buffer_load_dword v145, off, s[0:3], 0 offset:392
	;; [unrolled: 1-line block ×7, first 2 shown]
	s_waitcnt vmcnt(23) lgkmcnt(0)
	v_fma_f64 v[129:130], v[141:142], v[133:134], v[129:130]
	s_waitcnt vmcnt(18)
	v_fma_f64 v[141:142], v[143:144], v[135:136], v[129:130]
	ds_read2_b64 v[129:132], v128 offset0:103 offset1:104
	ds_read2_b64 v[133:136], v128 offset0:105 offset1:106
	buffer_load_dword v146, off, s[0:3], 0 offset:396
	s_waitcnt vmcnt(18) lgkmcnt(1)
	v_fma_f64 v[129:130], v[157:158], v[129:130], v[141:142]
	s_waitcnt vmcnt(17)
	v_fma_f64 v[129:130], v[155:156], v[131:132], v[129:130]
	buffer_load_dword v142, off, s[0:3], 0 offset:404
	buffer_load_dword v143, off, s[0:3], 0 offset:424
	buffer_load_dword v155, off, s[0:3], 0 offset:416
	buffer_load_dword v157, off, s[0:3], 0 offset:408
	buffer_load_dword v141, off, s[0:3], 0 offset:400
	buffer_load_dword v158, off, s[0:3], 0 offset:412
	buffer_load_dword v156, off, s[0:3], 0 offset:420
	buffer_load_dword v144, off, s[0:3], 0 offset:428
	s_waitcnt vmcnt(24) lgkmcnt(0)
	v_fma_f64 v[129:130], v[149:150], v[133:134], v[129:130]
	s_waitcnt vmcnt(19)
	v_fma_f64 v[137:138], v[137:138], v[135:136], v[129:130]
	ds_read2_b64 v[129:132], v128 offset0:107 offset1:108
	ds_read2_b64 v[133:136], v128 offset0:109 offset1:110
	s_waitcnt vmcnt(18) lgkmcnt(1)
	v_fma_f64 v[129:130], v[161:162], v[129:130], v[137:138]
	s_waitcnt vmcnt(17)
	v_fma_f64 v[129:130], v[159:160], v[131:132], v[129:130]
	buffer_load_dword v138, off, s[0:3], 0 offset:436
	buffer_load_dword v149, off, s[0:3], 0 offset:456
	buffer_load_dword v159, off, s[0:3], 0 offset:448
	buffer_load_dword v161, off, s[0:3], 0 offset:440
	buffer_load_dword v137, off, s[0:3], 0 offset:432
	buffer_load_dword v162, off, s[0:3], 0 offset:444
	buffer_load_dword v160, off, s[0:3], 0 offset:452
	buffer_load_dword v150, off, s[0:3], 0 offset:460
	s_waitcnt vmcnt(24) lgkmcnt(0)
	v_fma_f64 v[129:130], v[151:152], v[133:134], v[129:130]
	s_waitcnt vmcnt(19)
	v_fma_f64 v[139:140], v[139:140], v[135:136], v[129:130]
	ds_read2_b64 v[129:132], v128 offset0:111 offset1:112
	ds_read2_b64 v[133:136], v128 offset0:113 offset1:114
	;; [unrolled: 18-line block ×3, first 2 shown]
	s_waitcnt vmcnt(18) lgkmcnt(1)
	v_fma_f64 v[129:130], v[157:158], v[129:130], v[141:142]
	buffer_load_dword v142, off, s[0:3], 0 offset:500
	buffer_load_dword v141, off, s[0:3], 0 offset:496
	;; [unrolled: 1-line block ×4, first 2 shown]
	s_waitcnt vmcnt(21)
	v_fma_f64 v[129:130], v[155:156], v[131:132], v[129:130]
	s_waitcnt vmcnt(20) lgkmcnt(0)
	v_fma_f64 v[129:130], v[143:144], v[133:134], v[129:130]
	s_waitcnt vmcnt(15)
	v_fma_f64 v[137:138], v[137:138], v[135:136], v[129:130]
	ds_read2_b64 v[129:132], v128 offset0:119 offset1:120
	ds_read2_b64 v[133:136], v128 offset0:121 offset1:122
	s_waitcnt vmcnt(14) lgkmcnt(1)
	v_fma_f64 v[129:130], v[161:162], v[129:130], v[137:138]
	s_waitcnt vmcnt(13)
	v_fma_f64 v[129:130], v[159:160], v[131:132], v[129:130]
	s_waitcnt vmcnt(12) lgkmcnt(0)
	v_fma_f64 v[129:130], v[149:150], v[133:134], v[129:130]
	s_waitcnt vmcnt(7)
	v_fma_f64 v[137:138], v[139:140], v[135:136], v[129:130]
	ds_read2_b64 v[129:132], v128 offset0:123 offset1:124
	ds_read2_b64 v[133:136], v128 offset0:125 offset1:126
	s_waitcnt vmcnt(6) lgkmcnt(1)
	v_fma_f64 v[128:129], v[153:154], v[129:130], v[137:138]
	s_waitcnt vmcnt(5)
	v_fma_f64 v[128:129], v[151:152], v[131:132], v[128:129]
	s_waitcnt vmcnt(4) lgkmcnt(0)
	v_fma_f64 v[128:129], v[147:148], v[133:134], v[128:129]
	s_waitcnt vmcnt(2)
	v_fma_f64 v[128:129], v[141:142], v[135:136], v[128:129]
	s_waitcnt vmcnt(0)
	v_add_f64 v[128:129], v[145:146], -v[128:129]
	buffer_store_dword v129, off, s[0:3], 0 offset:52
	buffer_store_dword v128, off, s[0:3], 0 offset:48
	s_and_saveexec_b64 s[4:5], vcc
	s_cbranch_execz .LBB62_375
; %bb.374:
	buffer_load_dword v128, off, s[0:3], 0 offset:40
	buffer_load_dword v129, off, s[0:3], 0 offset:44
	v_mov_b32_e32 v130, 0
	buffer_store_dword v130, off, s[0:3], 0 offset:40
	buffer_store_dword v130, off, s[0:3], 0 offset:44
	s_waitcnt vmcnt(2)
	ds_write_b64 v127, v[128:129]
.LBB62_375:
	s_or_b64 exec, exec, s[4:5]
	s_waitcnt lgkmcnt(0)
	; wave barrier
	buffer_load_dword v137, off, s[0:3], 0 offset:48
	buffer_load_dword v138, off, s[0:3], 0 offset:52
	;; [unrolled: 1-line block ×21, first 2 shown]
	v_mov_b32_e32 v128, 0
	ds_read_b128 v[129:132], v128 offset:560
	ds_read_b128 v[133:136], v128 offset:576
	buffer_load_dword v154, off, s[0:3], 0 offset:132
	v_cmp_lt_u32_e32 vcc, 4, v0
	s_waitcnt vmcnt(20) lgkmcnt(1)
	v_fma_f64 v[129:130], v[137:138], v[129:130], 0
	s_waitcnt vmcnt(18)
	v_fma_f64 v[129:130], v[139:140], v[131:132], v[129:130]
	buffer_load_dword v138, off, s[0:3], 0 offset:140
	buffer_load_dword v139, off, s[0:3], 0 offset:160
	;; [unrolled: 1-line block ×7, first 2 shown]
	s_waitcnt vmcnt(23) lgkmcnt(0)
	v_fma_f64 v[129:130], v[141:142], v[133:134], v[129:130]
	s_waitcnt vmcnt(21)
	v_fma_f64 v[140:141], v[143:144], v[135:136], v[129:130]
	ds_read_b128 v[129:132], v128 offset:592
	ds_read_b128 v[133:136], v128 offset:608
	s_waitcnt vmcnt(19) lgkmcnt(1)
	v_fma_f64 v[129:130], v[145:146], v[129:130], v[140:141]
	buffer_load_dword v140, off, s[0:3], 0 offset:164
	s_waitcnt vmcnt(18)
	v_fma_f64 v[129:130], v[147:148], v[131:132], v[129:130]
	buffer_load_dword v142, off, s[0:3], 0 offset:172
	buffer_load_dword v143, off, s[0:3], 0 offset:192
	;; [unrolled: 1-line block ×7, first 2 shown]
	s_waitcnt vmcnt(23) lgkmcnt(0)
	v_fma_f64 v[129:130], v[149:150], v[133:134], v[129:130]
	s_waitcnt vmcnt(18)
	v_fma_f64 v[149:150], v[151:152], v[135:136], v[129:130]
	ds_read_b128 v[129:132], v128 offset:624
	ds_read_b128 v[133:136], v128 offset:640
	buffer_load_dword v144, off, s[0:3], 0 offset:196
	s_waitcnt vmcnt(18) lgkmcnt(1)
	v_fma_f64 v[129:130], v[157:158], v[129:130], v[149:150]
	s_waitcnt vmcnt(17)
	v_fma_f64 v[129:130], v[155:156], v[131:132], v[129:130]
	buffer_load_dword v150, off, s[0:3], 0 offset:204
	buffer_load_dword v151, off, s[0:3], 0 offset:224
	;; [unrolled: 1-line block ×7, first 2 shown]
	s_waitcnt vmcnt(23) lgkmcnt(0)
	v_fma_f64 v[129:130], v[153:154], v[133:134], v[129:130]
	s_waitcnt vmcnt(18)
	v_fma_f64 v[137:138], v[137:138], v[135:136], v[129:130]
	ds_read_b128 v[129:132], v128 offset:656
	ds_read_b128 v[133:136], v128 offset:672
	buffer_load_dword v152, off, s[0:3], 0 offset:228
	s_waitcnt vmcnt(18) lgkmcnt(1)
	v_fma_f64 v[129:130], v[161:162], v[129:130], v[137:138]
	s_waitcnt vmcnt(17)
	v_fma_f64 v[129:130], v[159:160], v[131:132], v[129:130]
	buffer_load_dword v138, off, s[0:3], 0 offset:236
	buffer_load_dword v153, off, s[0:3], 0 offset:256
	;; [unrolled: 1-line block ×8, first 2 shown]
	s_waitcnt vmcnt(24) lgkmcnt(0)
	v_fma_f64 v[129:130], v[139:140], v[133:134], v[129:130]
	s_waitcnt vmcnt(19)
	v_fma_f64 v[139:140], v[141:142], v[135:136], v[129:130]
	ds_read_b128 v[129:132], v128 offset:688
	ds_read_b128 v[133:136], v128 offset:704
	s_waitcnt vmcnt(18) lgkmcnt(1)
	v_fma_f64 v[129:130], v[147:148], v[129:130], v[139:140]
	s_waitcnt vmcnt(17)
	v_fma_f64 v[129:130], v[145:146], v[131:132], v[129:130]
	buffer_load_dword v140, off, s[0:3], 0 offset:268
	buffer_load_dword v141, off, s[0:3], 0 offset:288
	;; [unrolled: 1-line block ×7, first 2 shown]
	s_waitcnt vmcnt(23) lgkmcnt(0)
	v_fma_f64 v[129:130], v[143:144], v[133:134], v[129:130]
	s_waitcnt vmcnt(18)
	v_fma_f64 v[142:143], v[149:150], v[135:136], v[129:130]
	ds_read_b128 v[129:132], v128 offset:720
	ds_read_b128 v[133:136], v128 offset:736
	s_waitcnt vmcnt(17) lgkmcnt(1)
	v_fma_f64 v[129:130], v[157:158], v[129:130], v[142:143]
	buffer_load_dword v142, off, s[0:3], 0 offset:292
	s_waitcnt vmcnt(17)
	v_fma_f64 v[129:130], v[155:156], v[131:132], v[129:130]
	buffer_load_dword v144, off, s[0:3], 0 offset:300
	buffer_load_dword v149, off, s[0:3], 0 offset:320
	;; [unrolled: 1-line block ×7, first 2 shown]
	s_waitcnt vmcnt(23) lgkmcnt(0)
	v_fma_f64 v[129:130], v[151:152], v[133:134], v[129:130]
	s_waitcnt vmcnt(18)
	v_fma_f64 v[137:138], v[137:138], v[135:136], v[129:130]
	ds_read_b128 v[129:132], v128 offset:752
	ds_read_b128 v[133:136], v128 offset:768
	buffer_load_dword v150, off, s[0:3], 0 offset:324
	s_waitcnt vmcnt(18) lgkmcnt(1)
	v_fma_f64 v[129:130], v[161:162], v[129:130], v[137:138]
	s_waitcnt vmcnt(17)
	v_fma_f64 v[129:130], v[159:160], v[131:132], v[129:130]
	buffer_load_dword v138, off, s[0:3], 0 offset:332
	buffer_load_dword v151, off, s[0:3], 0 offset:352
	;; [unrolled: 1-line block ×8, first 2 shown]
	s_waitcnt vmcnt(24) lgkmcnt(0)
	v_fma_f64 v[129:130], v[153:154], v[133:134], v[129:130]
	s_waitcnt vmcnt(19)
	v_fma_f64 v[139:140], v[139:140], v[135:136], v[129:130]
	ds_read_b128 v[129:132], v128 offset:784
	ds_read_b128 v[133:136], v128 offset:800
	s_waitcnt vmcnt(18) lgkmcnt(1)
	v_fma_f64 v[129:130], v[147:148], v[129:130], v[139:140]
	s_waitcnt vmcnt(17)
	v_fma_f64 v[129:130], v[145:146], v[131:132], v[129:130]
	buffer_load_dword v140, off, s[0:3], 0 offset:364
	buffer_load_dword v145, off, s[0:3], 0 offset:384
	;; [unrolled: 1-line block ×7, first 2 shown]
	s_waitcnt vmcnt(23) lgkmcnt(0)
	v_fma_f64 v[129:130], v[141:142], v[133:134], v[129:130]
	s_waitcnt vmcnt(18)
	v_fma_f64 v[141:142], v[143:144], v[135:136], v[129:130]
	ds_read_b128 v[129:132], v128 offset:816
	ds_read_b128 v[133:136], v128 offset:832
	buffer_load_dword v146, off, s[0:3], 0 offset:388
	s_waitcnt vmcnt(18) lgkmcnt(1)
	v_fma_f64 v[129:130], v[157:158], v[129:130], v[141:142]
	s_waitcnt vmcnt(17)
	v_fma_f64 v[129:130], v[155:156], v[131:132], v[129:130]
	buffer_load_dword v142, off, s[0:3], 0 offset:396
	buffer_load_dword v143, off, s[0:3], 0 offset:416
	;; [unrolled: 1-line block ×7, first 2 shown]
	s_waitcnt vmcnt(23) lgkmcnt(0)
	v_fma_f64 v[129:130], v[149:150], v[133:134], v[129:130]
	s_waitcnt vmcnt(18)
	v_fma_f64 v[137:138], v[137:138], v[135:136], v[129:130]
	ds_read_b128 v[129:132], v128 offset:848
	ds_read_b128 v[133:136], v128 offset:864
	buffer_load_dword v144, off, s[0:3], 0 offset:420
	s_waitcnt vmcnt(18) lgkmcnt(1)
	v_fma_f64 v[129:130], v[161:162], v[129:130], v[137:138]
	s_waitcnt vmcnt(17)
	v_fma_f64 v[129:130], v[159:160], v[131:132], v[129:130]
	buffer_load_dword v138, off, s[0:3], 0 offset:428
	buffer_load_dword v149, off, s[0:3], 0 offset:448
	buffer_load_dword v159, off, s[0:3], 0 offset:440
	buffer_load_dword v161, off, s[0:3], 0 offset:432
	buffer_load_dword v137, off, s[0:3], 0 offset:424
	buffer_load_dword v162, off, s[0:3], 0 offset:436
	buffer_load_dword v160, off, s[0:3], 0 offset:444
	buffer_load_dword v150, off, s[0:3], 0 offset:452
	s_waitcnt vmcnt(24) lgkmcnt(0)
	v_fma_f64 v[129:130], v[151:152], v[133:134], v[129:130]
	s_waitcnt vmcnt(19)
	v_fma_f64 v[139:140], v[139:140], v[135:136], v[129:130]
	ds_read_b128 v[129:132], v128 offset:880
	ds_read_b128 v[133:136], v128 offset:896
	s_waitcnt vmcnt(18) lgkmcnt(1)
	v_fma_f64 v[129:130], v[153:154], v[129:130], v[139:140]
	s_waitcnt vmcnt(17)
	v_fma_f64 v[129:130], v[147:148], v[131:132], v[129:130]
	buffer_load_dword v140, off, s[0:3], 0 offset:460
	buffer_load_dword v147, off, s[0:3], 0 offset:480
	;; [unrolled: 1-line block ×7, first 2 shown]
	s_waitcnt vmcnt(23) lgkmcnt(0)
	v_fma_f64 v[129:130], v[145:146], v[133:134], v[129:130]
	s_waitcnt vmcnt(18)
	v_fma_f64 v[141:142], v[141:142], v[135:136], v[129:130]
	ds_read_b128 v[129:132], v128 offset:912
	ds_read_b128 v[133:136], v128 offset:928
	buffer_load_dword v148, off, s[0:3], 0 offset:484
	s_waitcnt vmcnt(18) lgkmcnt(1)
	v_fma_f64 v[129:130], v[157:158], v[129:130], v[141:142]
	buffer_load_dword v142, off, s[0:3], 0 offset:492
	buffer_load_dword v145, off, s[0:3], 0 offset:496
	;; [unrolled: 1-line block ×4, first 2 shown]
	s_waitcnt vmcnt(21)
	v_fma_f64 v[129:130], v[155:156], v[131:132], v[129:130]
	s_waitcnt vmcnt(20) lgkmcnt(0)
	v_fma_f64 v[129:130], v[143:144], v[133:134], v[129:130]
	buffer_load_dword v143, off, s[0:3], 0 offset:40
	buffer_load_dword v144, off, s[0:3], 0 offset:44
	s_waitcnt vmcnt(17)
	v_fma_f64 v[137:138], v[137:138], v[135:136], v[129:130]
	ds_read_b128 v[129:132], v128 offset:944
	ds_read_b128 v[133:136], v128 offset:960
	s_waitcnt vmcnt(16) lgkmcnt(1)
	v_fma_f64 v[129:130], v[161:162], v[129:130], v[137:138]
	s_waitcnt vmcnt(15)
	v_fma_f64 v[129:130], v[159:160], v[131:132], v[129:130]
	s_waitcnt vmcnt(14) lgkmcnt(0)
	v_fma_f64 v[129:130], v[149:150], v[133:134], v[129:130]
	s_waitcnt vmcnt(9)
	v_fma_f64 v[137:138], v[139:140], v[135:136], v[129:130]
	ds_read_b128 v[129:132], v128 offset:976
	ds_read_b128 v[133:136], v128 offset:992
	s_waitcnt vmcnt(8) lgkmcnt(1)
	v_fma_f64 v[129:130], v[153:154], v[129:130], v[137:138]
	s_waitcnt vmcnt(7)
	v_fma_f64 v[129:130], v[151:152], v[131:132], v[129:130]
	ds_read_b64 v[131:132], v128 offset:1008
	s_waitcnt vmcnt(6) lgkmcnt(1)
	v_fma_f64 v[129:130], v[147:148], v[133:134], v[129:130]
	s_waitcnt vmcnt(3)
	v_fma_f64 v[129:130], v[141:142], v[135:136], v[129:130]
	s_waitcnt vmcnt(2) lgkmcnt(0)
	v_fma_f64 v[129:130], v[145:146], v[131:132], v[129:130]
	s_waitcnt vmcnt(0)
	v_add_f64 v[129:130], v[143:144], -v[129:130]
	buffer_store_dword v130, off, s[0:3], 0 offset:44
	buffer_store_dword v129, off, s[0:3], 0 offset:40
	s_and_saveexec_b64 s[4:5], vcc
	s_cbranch_execz .LBB62_377
; %bb.376:
	buffer_load_dword v129, off, s[0:3], 0 offset:32
	buffer_load_dword v130, off, s[0:3], 0 offset:36
	s_waitcnt vmcnt(0)
	ds_write_b64 v127, v[129:130]
	buffer_store_dword v128, off, s[0:3], 0 offset:32
	buffer_store_dword v128, off, s[0:3], 0 offset:36
.LBB62_377:
	s_or_b64 exec, exec, s[4:5]
	s_waitcnt lgkmcnt(0)
	; wave barrier
	buffer_load_dword v137, off, s[0:3], 0 offset:40
	buffer_load_dword v138, off, s[0:3], 0 offset:44
	;; [unrolled: 1-line block ×21, first 2 shown]
	ds_read2_b64 v[129:132], v128 offset0:69 offset1:70
	ds_read2_b64 v[133:136], v128 offset0:71 offset1:72
	buffer_load_dword v154, off, s[0:3], 0 offset:124
	v_cmp_lt_u32_e32 vcc, 3, v0
	s_waitcnt vmcnt(20) lgkmcnt(1)
	v_fma_f64 v[129:130], v[137:138], v[129:130], 0
	s_waitcnt vmcnt(18)
	v_fma_f64 v[129:130], v[139:140], v[131:132], v[129:130]
	buffer_load_dword v138, off, s[0:3], 0 offset:132
	buffer_load_dword v139, off, s[0:3], 0 offset:152
	;; [unrolled: 1-line block ×7, first 2 shown]
	s_waitcnt vmcnt(23) lgkmcnt(0)
	v_fma_f64 v[129:130], v[141:142], v[133:134], v[129:130]
	s_waitcnt vmcnt(21)
	v_fma_f64 v[140:141], v[143:144], v[135:136], v[129:130]
	ds_read2_b64 v[129:132], v128 offset0:73 offset1:74
	ds_read2_b64 v[133:136], v128 offset0:75 offset1:76
	s_waitcnt vmcnt(19) lgkmcnt(1)
	v_fma_f64 v[129:130], v[145:146], v[129:130], v[140:141]
	buffer_load_dword v140, off, s[0:3], 0 offset:156
	s_waitcnt vmcnt(18)
	v_fma_f64 v[129:130], v[147:148], v[131:132], v[129:130]
	buffer_load_dword v142, off, s[0:3], 0 offset:164
	buffer_load_dword v143, off, s[0:3], 0 offset:184
	;; [unrolled: 1-line block ×8, first 2 shown]
	s_waitcnt vmcnt(24) lgkmcnt(0)
	v_fma_f64 v[129:130], v[149:150], v[133:134], v[129:130]
	s_waitcnt vmcnt(19)
	v_fma_f64 v[149:150], v[151:152], v[135:136], v[129:130]
	ds_read2_b64 v[129:132], v128 offset0:77 offset1:78
	ds_read2_b64 v[133:136], v128 offset0:79 offset1:80
	s_waitcnt vmcnt(18) lgkmcnt(1)
	v_fma_f64 v[129:130], v[157:158], v[129:130], v[149:150]
	s_waitcnt vmcnt(17)
	v_fma_f64 v[129:130], v[155:156], v[131:132], v[129:130]
	buffer_load_dword v150, off, s[0:3], 0 offset:196
	buffer_load_dword v151, off, s[0:3], 0 offset:216
	;; [unrolled: 1-line block ×7, first 2 shown]
	s_waitcnt vmcnt(23) lgkmcnt(0)
	v_fma_f64 v[129:130], v[153:154], v[133:134], v[129:130]
	s_waitcnt vmcnt(18)
	v_fma_f64 v[137:138], v[137:138], v[135:136], v[129:130]
	ds_read2_b64 v[129:132], v128 offset0:81 offset1:82
	ds_read2_b64 v[133:136], v128 offset0:83 offset1:84
	buffer_load_dword v152, off, s[0:3], 0 offset:220
	s_waitcnt vmcnt(18) lgkmcnt(1)
	v_fma_f64 v[129:130], v[161:162], v[129:130], v[137:138]
	s_waitcnt vmcnt(17)
	v_fma_f64 v[129:130], v[159:160], v[131:132], v[129:130]
	buffer_load_dword v138, off, s[0:3], 0 offset:228
	buffer_load_dword v153, off, s[0:3], 0 offset:248
	;; [unrolled: 1-line block ×8, first 2 shown]
	s_waitcnt vmcnt(24) lgkmcnt(0)
	v_fma_f64 v[129:130], v[139:140], v[133:134], v[129:130]
	s_waitcnt vmcnt(19)
	v_fma_f64 v[139:140], v[141:142], v[135:136], v[129:130]
	ds_read2_b64 v[129:132], v128 offset0:85 offset1:86
	ds_read2_b64 v[133:136], v128 offset0:87 offset1:88
	s_waitcnt vmcnt(18) lgkmcnt(1)
	v_fma_f64 v[129:130], v[147:148], v[129:130], v[139:140]
	s_waitcnt vmcnt(17)
	v_fma_f64 v[129:130], v[145:146], v[131:132], v[129:130]
	buffer_load_dword v140, off, s[0:3], 0 offset:260
	buffer_load_dword v141, off, s[0:3], 0 offset:280
	buffer_load_dword v145, off, s[0:3], 0 offset:272
	buffer_load_dword v147, off, s[0:3], 0 offset:264
	buffer_load_dword v139, off, s[0:3], 0 offset:256
	buffer_load_dword v148, off, s[0:3], 0 offset:268
	buffer_load_dword v146, off, s[0:3], 0 offset:276
	s_waitcnt vmcnt(23) lgkmcnt(0)
	v_fma_f64 v[129:130], v[143:144], v[133:134], v[129:130]
	s_waitcnt vmcnt(18)
	v_fma_f64 v[142:143], v[149:150], v[135:136], v[129:130]
	ds_read2_b64 v[129:132], v128 offset0:89 offset1:90
	ds_read2_b64 v[133:136], v128 offset0:91 offset1:92
	s_waitcnt vmcnt(17) lgkmcnt(1)
	v_fma_f64 v[129:130], v[157:158], v[129:130], v[142:143]
	buffer_load_dword v142, off, s[0:3], 0 offset:284
	s_waitcnt vmcnt(17)
	v_fma_f64 v[129:130], v[155:156], v[131:132], v[129:130]
	buffer_load_dword v144, off, s[0:3], 0 offset:292
	buffer_load_dword v149, off, s[0:3], 0 offset:312
	;; [unrolled: 1-line block ×7, first 2 shown]
	s_waitcnt vmcnt(23) lgkmcnt(0)
	v_fma_f64 v[129:130], v[151:152], v[133:134], v[129:130]
	s_waitcnt vmcnt(18)
	v_fma_f64 v[137:138], v[137:138], v[135:136], v[129:130]
	ds_read2_b64 v[129:132], v128 offset0:93 offset1:94
	ds_read2_b64 v[133:136], v128 offset0:95 offset1:96
	buffer_load_dword v150, off, s[0:3], 0 offset:316
	s_waitcnt vmcnt(18) lgkmcnt(1)
	v_fma_f64 v[129:130], v[161:162], v[129:130], v[137:138]
	s_waitcnt vmcnt(17)
	v_fma_f64 v[129:130], v[159:160], v[131:132], v[129:130]
	buffer_load_dword v138, off, s[0:3], 0 offset:324
	buffer_load_dword v151, off, s[0:3], 0 offset:344
	;; [unrolled: 1-line block ×8, first 2 shown]
	s_waitcnt vmcnt(24) lgkmcnt(0)
	v_fma_f64 v[129:130], v[153:154], v[133:134], v[129:130]
	s_waitcnt vmcnt(19)
	v_fma_f64 v[139:140], v[139:140], v[135:136], v[129:130]
	ds_read2_b64 v[129:132], v128 offset0:97 offset1:98
	ds_read2_b64 v[133:136], v128 offset0:99 offset1:100
	s_waitcnt vmcnt(18) lgkmcnt(1)
	v_fma_f64 v[129:130], v[147:148], v[129:130], v[139:140]
	s_waitcnt vmcnt(17)
	v_fma_f64 v[129:130], v[145:146], v[131:132], v[129:130]
	buffer_load_dword v140, off, s[0:3], 0 offset:356
	buffer_load_dword v145, off, s[0:3], 0 offset:376
	;; [unrolled: 1-line block ×8, first 2 shown]
	s_waitcnt vmcnt(24) lgkmcnt(0)
	v_fma_f64 v[129:130], v[141:142], v[133:134], v[129:130]
	s_waitcnt vmcnt(19)
	v_fma_f64 v[141:142], v[143:144], v[135:136], v[129:130]
	ds_read2_b64 v[129:132], v128 offset0:101 offset1:102
	ds_read2_b64 v[133:136], v128 offset0:103 offset1:104
	s_waitcnt vmcnt(18) lgkmcnt(1)
	v_fma_f64 v[129:130], v[157:158], v[129:130], v[141:142]
	s_waitcnt vmcnt(17)
	v_fma_f64 v[129:130], v[155:156], v[131:132], v[129:130]
	buffer_load_dword v142, off, s[0:3], 0 offset:388
	buffer_load_dword v143, off, s[0:3], 0 offset:408
	;; [unrolled: 1-line block ×7, first 2 shown]
	s_waitcnt vmcnt(23) lgkmcnt(0)
	v_fma_f64 v[129:130], v[149:150], v[133:134], v[129:130]
	s_waitcnt vmcnt(18)
	v_fma_f64 v[137:138], v[137:138], v[135:136], v[129:130]
	ds_read2_b64 v[129:132], v128 offset0:105 offset1:106
	ds_read2_b64 v[133:136], v128 offset0:107 offset1:108
	buffer_load_dword v144, off, s[0:3], 0 offset:412
	s_waitcnt vmcnt(18) lgkmcnt(1)
	v_fma_f64 v[129:130], v[161:162], v[129:130], v[137:138]
	s_waitcnt vmcnt(17)
	v_fma_f64 v[129:130], v[159:160], v[131:132], v[129:130]
	buffer_load_dword v138, off, s[0:3], 0 offset:420
	buffer_load_dword v149, off, s[0:3], 0 offset:440
	;; [unrolled: 1-line block ×8, first 2 shown]
	s_waitcnt vmcnt(24) lgkmcnt(0)
	v_fma_f64 v[129:130], v[151:152], v[133:134], v[129:130]
	s_waitcnt vmcnt(19)
	v_fma_f64 v[139:140], v[139:140], v[135:136], v[129:130]
	ds_read2_b64 v[129:132], v128 offset0:109 offset1:110
	ds_read2_b64 v[133:136], v128 offset0:111 offset1:112
	s_waitcnt vmcnt(18) lgkmcnt(1)
	v_fma_f64 v[129:130], v[153:154], v[129:130], v[139:140]
	s_waitcnt vmcnt(17)
	v_fma_f64 v[129:130], v[147:148], v[131:132], v[129:130]
	buffer_load_dword v140, off, s[0:3], 0 offset:452
	buffer_load_dword v147, off, s[0:3], 0 offset:472
	;; [unrolled: 1-line block ×8, first 2 shown]
	s_waitcnt vmcnt(24) lgkmcnt(0)
	v_fma_f64 v[129:130], v[145:146], v[133:134], v[129:130]
	s_waitcnt vmcnt(19)
	v_fma_f64 v[141:142], v[141:142], v[135:136], v[129:130]
	ds_read2_b64 v[129:132], v128 offset0:113 offset1:114
	ds_read2_b64 v[133:136], v128 offset0:115 offset1:116
	s_waitcnt vmcnt(18) lgkmcnt(1)
	v_fma_f64 v[129:130], v[157:158], v[129:130], v[141:142]
	s_waitcnt vmcnt(17)
	v_fma_f64 v[129:130], v[155:156], v[131:132], v[129:130]
	buffer_load_dword v142, off, s[0:3], 0 offset:484
	buffer_load_dword v145, off, s[0:3], 0 offset:496
	;; [unrolled: 1-line block ×6, first 2 shown]
	s_waitcnt vmcnt(22) lgkmcnt(0)
	v_fma_f64 v[129:130], v[143:144], v[133:134], v[129:130]
	s_waitcnt vmcnt(17)
	v_fma_f64 v[137:138], v[137:138], v[135:136], v[129:130]
	ds_read2_b64 v[129:132], v128 offset0:117 offset1:118
	buffer_load_dword v143, off, s[0:3], 0 offset:32
	buffer_load_dword v144, off, s[0:3], 0 offset:36
	ds_read2_b64 v[133:136], v128 offset0:119 offset1:120
	s_waitcnt vmcnt(18) lgkmcnt(1)
	v_fma_f64 v[129:130], v[161:162], v[129:130], v[137:138]
	s_waitcnt vmcnt(17)
	v_fma_f64 v[129:130], v[159:160], v[131:132], v[129:130]
	s_waitcnt vmcnt(16) lgkmcnt(0)
	v_fma_f64 v[129:130], v[149:150], v[133:134], v[129:130]
	s_waitcnt vmcnt(11)
	v_fma_f64 v[137:138], v[139:140], v[135:136], v[129:130]
	ds_read2_b64 v[129:132], v128 offset0:121 offset1:122
	ds_read2_b64 v[133:136], v128 offset0:123 offset1:124
	s_waitcnt vmcnt(10) lgkmcnt(1)
	v_fma_f64 v[129:130], v[153:154], v[129:130], v[137:138]
	s_waitcnt vmcnt(9)
	v_fma_f64 v[129:130], v[151:152], v[131:132], v[129:130]
	s_waitcnt vmcnt(8) lgkmcnt(0)
	v_fma_f64 v[129:130], v[147:148], v[133:134], v[129:130]
	s_waitcnt vmcnt(4)
	v_fma_f64 v[132:133], v[141:142], v[135:136], v[129:130]
	ds_read2_b64 v[128:131], v128 offset0:125 offset1:126
	s_waitcnt vmcnt(3) lgkmcnt(0)
	v_fma_f64 v[128:129], v[155:156], v[128:129], v[132:133]
	s_waitcnt vmcnt(2)
	v_fma_f64 v[128:129], v[145:146], v[130:131], v[128:129]
	s_waitcnt vmcnt(0)
	v_add_f64 v[128:129], v[143:144], -v[128:129]
	buffer_store_dword v129, off, s[0:3], 0 offset:36
	buffer_store_dword v128, off, s[0:3], 0 offset:32
	s_and_saveexec_b64 s[4:5], vcc
	s_cbranch_execz .LBB62_379
; %bb.378:
	buffer_load_dword v128, off, s[0:3], 0 offset:24
	buffer_load_dword v129, off, s[0:3], 0 offset:28
	v_mov_b32_e32 v130, 0
	buffer_store_dword v130, off, s[0:3], 0 offset:24
	buffer_store_dword v130, off, s[0:3], 0 offset:28
	s_waitcnt vmcnt(2)
	ds_write_b64 v127, v[128:129]
.LBB62_379:
	s_or_b64 exec, exec, s[4:5]
	s_waitcnt lgkmcnt(0)
	; wave barrier
	buffer_load_dword v137, off, s[0:3], 0 offset:32
	buffer_load_dword v138, off, s[0:3], 0 offset:36
	buffer_load_dword v139, off, s[0:3], 0 offset:40
	buffer_load_dword v140, off, s[0:3], 0 offset:44
	buffer_load_dword v141, off, s[0:3], 0 offset:48
	buffer_load_dword v142, off, s[0:3], 0 offset:52
	buffer_load_dword v143, off, s[0:3], 0 offset:56
	buffer_load_dword v144, off, s[0:3], 0 offset:60
	buffer_load_dword v145, off, s[0:3], 0 offset:64
	buffer_load_dword v146, off, s[0:3], 0 offset:68
	buffer_load_dword v147, off, s[0:3], 0 offset:72
	buffer_load_dword v148, off, s[0:3], 0 offset:76
	buffer_load_dword v149, off, s[0:3], 0 offset:80
	buffer_load_dword v150, off, s[0:3], 0 offset:84
	buffer_load_dword v152, off, s[0:3], 0 offset:92
	buffer_load_dword v153, off, s[0:3], 0 offset:112
	buffer_load_dword v155, off, s[0:3], 0 offset:104
	buffer_load_dword v157, off, s[0:3], 0 offset:96
	buffer_load_dword v151, off, s[0:3], 0 offset:88
	buffer_load_dword v158, off, s[0:3], 0 offset:100
	buffer_load_dword v156, off, s[0:3], 0 offset:108
	v_mov_b32_e32 v128, 0
	ds_read_b128 v[129:132], v128 offset:544
	ds_read_b128 v[133:136], v128 offset:560
	buffer_load_dword v154, off, s[0:3], 0 offset:116
	v_cmp_lt_u32_e32 vcc, 2, v0
	s_waitcnt vmcnt(20) lgkmcnt(1)
	v_fma_f64 v[129:130], v[137:138], v[129:130], 0
	s_waitcnt vmcnt(18)
	v_fma_f64 v[129:130], v[139:140], v[131:132], v[129:130]
	buffer_load_dword v138, off, s[0:3], 0 offset:124
	buffer_load_dword v139, off, s[0:3], 0 offset:144
	;; [unrolled: 1-line block ×7, first 2 shown]
	s_waitcnt vmcnt(23) lgkmcnt(0)
	v_fma_f64 v[129:130], v[141:142], v[133:134], v[129:130]
	s_waitcnt vmcnt(21)
	v_fma_f64 v[140:141], v[143:144], v[135:136], v[129:130]
	ds_read_b128 v[129:132], v128 offset:576
	ds_read_b128 v[133:136], v128 offset:592
	s_waitcnt vmcnt(19) lgkmcnt(1)
	v_fma_f64 v[129:130], v[145:146], v[129:130], v[140:141]
	buffer_load_dword v140, off, s[0:3], 0 offset:148
	s_waitcnt vmcnt(18)
	v_fma_f64 v[129:130], v[147:148], v[131:132], v[129:130]
	buffer_load_dword v142, off, s[0:3], 0 offset:156
	buffer_load_dword v143, off, s[0:3], 0 offset:176
	;; [unrolled: 1-line block ×8, first 2 shown]
	s_waitcnt vmcnt(24) lgkmcnt(0)
	v_fma_f64 v[129:130], v[149:150], v[133:134], v[129:130]
	s_waitcnt vmcnt(19)
	v_fma_f64 v[149:150], v[151:152], v[135:136], v[129:130]
	ds_read_b128 v[129:132], v128 offset:608
	ds_read_b128 v[133:136], v128 offset:624
	s_waitcnt vmcnt(18) lgkmcnt(1)
	v_fma_f64 v[129:130], v[157:158], v[129:130], v[149:150]
	s_waitcnt vmcnt(17)
	v_fma_f64 v[129:130], v[155:156], v[131:132], v[129:130]
	buffer_load_dword v150, off, s[0:3], 0 offset:188
	buffer_load_dword v151, off, s[0:3], 0 offset:208
	;; [unrolled: 1-line block ×7, first 2 shown]
	s_waitcnt vmcnt(23) lgkmcnt(0)
	v_fma_f64 v[129:130], v[153:154], v[133:134], v[129:130]
	s_waitcnt vmcnt(18)
	v_fma_f64 v[137:138], v[137:138], v[135:136], v[129:130]
	ds_read_b128 v[129:132], v128 offset:640
	ds_read_b128 v[133:136], v128 offset:656
	buffer_load_dword v152, off, s[0:3], 0 offset:212
	s_waitcnt vmcnt(18) lgkmcnt(1)
	v_fma_f64 v[129:130], v[161:162], v[129:130], v[137:138]
	s_waitcnt vmcnt(17)
	v_fma_f64 v[129:130], v[159:160], v[131:132], v[129:130]
	buffer_load_dword v138, off, s[0:3], 0 offset:220
	buffer_load_dword v153, off, s[0:3], 0 offset:240
	;; [unrolled: 1-line block ×8, first 2 shown]
	s_waitcnt vmcnt(24) lgkmcnt(0)
	v_fma_f64 v[129:130], v[139:140], v[133:134], v[129:130]
	s_waitcnt vmcnt(19)
	v_fma_f64 v[139:140], v[141:142], v[135:136], v[129:130]
	ds_read_b128 v[129:132], v128 offset:672
	ds_read_b128 v[133:136], v128 offset:688
	s_waitcnt vmcnt(18) lgkmcnt(1)
	v_fma_f64 v[129:130], v[147:148], v[129:130], v[139:140]
	s_waitcnt vmcnt(17)
	v_fma_f64 v[129:130], v[145:146], v[131:132], v[129:130]
	buffer_load_dword v140, off, s[0:3], 0 offset:252
	buffer_load_dword v141, off, s[0:3], 0 offset:272
	;; [unrolled: 1-line block ×7, first 2 shown]
	s_waitcnt vmcnt(23) lgkmcnt(0)
	v_fma_f64 v[129:130], v[143:144], v[133:134], v[129:130]
	s_waitcnt vmcnt(18)
	v_fma_f64 v[142:143], v[149:150], v[135:136], v[129:130]
	ds_read_b128 v[129:132], v128 offset:704
	ds_read_b128 v[133:136], v128 offset:720
	s_waitcnt vmcnt(17) lgkmcnt(1)
	v_fma_f64 v[129:130], v[157:158], v[129:130], v[142:143]
	buffer_load_dword v142, off, s[0:3], 0 offset:276
	s_waitcnt vmcnt(17)
	v_fma_f64 v[129:130], v[155:156], v[131:132], v[129:130]
	buffer_load_dword v144, off, s[0:3], 0 offset:284
	buffer_load_dword v149, off, s[0:3], 0 offset:304
	;; [unrolled: 1-line block ×7, first 2 shown]
	s_waitcnt vmcnt(23) lgkmcnt(0)
	v_fma_f64 v[129:130], v[151:152], v[133:134], v[129:130]
	s_waitcnt vmcnt(18)
	v_fma_f64 v[137:138], v[137:138], v[135:136], v[129:130]
	ds_read_b128 v[129:132], v128 offset:736
	ds_read_b128 v[133:136], v128 offset:752
	buffer_load_dword v150, off, s[0:3], 0 offset:308
	s_waitcnt vmcnt(18) lgkmcnt(1)
	v_fma_f64 v[129:130], v[161:162], v[129:130], v[137:138]
	s_waitcnt vmcnt(17)
	v_fma_f64 v[129:130], v[159:160], v[131:132], v[129:130]
	buffer_load_dword v138, off, s[0:3], 0 offset:316
	buffer_load_dword v151, off, s[0:3], 0 offset:336
	;; [unrolled: 1-line block ×8, first 2 shown]
	s_waitcnt vmcnt(24) lgkmcnt(0)
	v_fma_f64 v[129:130], v[153:154], v[133:134], v[129:130]
	s_waitcnt vmcnt(19)
	v_fma_f64 v[139:140], v[139:140], v[135:136], v[129:130]
	ds_read_b128 v[129:132], v128 offset:768
	ds_read_b128 v[133:136], v128 offset:784
	s_waitcnt vmcnt(18) lgkmcnt(1)
	v_fma_f64 v[129:130], v[147:148], v[129:130], v[139:140]
	s_waitcnt vmcnt(17)
	v_fma_f64 v[129:130], v[145:146], v[131:132], v[129:130]
	buffer_load_dword v140, off, s[0:3], 0 offset:348
	buffer_load_dword v145, off, s[0:3], 0 offset:368
	;; [unrolled: 1-line block ×8, first 2 shown]
	s_waitcnt vmcnt(24) lgkmcnt(0)
	v_fma_f64 v[129:130], v[141:142], v[133:134], v[129:130]
	s_waitcnt vmcnt(19)
	v_fma_f64 v[141:142], v[143:144], v[135:136], v[129:130]
	ds_read_b128 v[129:132], v128 offset:800
	ds_read_b128 v[133:136], v128 offset:816
	s_waitcnt vmcnt(18) lgkmcnt(1)
	v_fma_f64 v[129:130], v[157:158], v[129:130], v[141:142]
	s_waitcnt vmcnt(17)
	v_fma_f64 v[129:130], v[155:156], v[131:132], v[129:130]
	buffer_load_dword v142, off, s[0:3], 0 offset:380
	buffer_load_dword v143, off, s[0:3], 0 offset:400
	;; [unrolled: 1-line block ×7, first 2 shown]
	s_waitcnt vmcnt(23) lgkmcnt(0)
	v_fma_f64 v[129:130], v[149:150], v[133:134], v[129:130]
	s_waitcnt vmcnt(18)
	v_fma_f64 v[137:138], v[137:138], v[135:136], v[129:130]
	ds_read_b128 v[129:132], v128 offset:832
	ds_read_b128 v[133:136], v128 offset:848
	buffer_load_dword v144, off, s[0:3], 0 offset:404
	s_waitcnt vmcnt(18) lgkmcnt(1)
	v_fma_f64 v[129:130], v[161:162], v[129:130], v[137:138]
	s_waitcnt vmcnt(17)
	v_fma_f64 v[129:130], v[159:160], v[131:132], v[129:130]
	buffer_load_dword v138, off, s[0:3], 0 offset:412
	buffer_load_dword v149, off, s[0:3], 0 offset:432
	buffer_load_dword v159, off, s[0:3], 0 offset:424
	buffer_load_dword v161, off, s[0:3], 0 offset:416
	buffer_load_dword v137, off, s[0:3], 0 offset:408
	buffer_load_dword v162, off, s[0:3], 0 offset:420
	buffer_load_dword v160, off, s[0:3], 0 offset:428
	buffer_load_dword v150, off, s[0:3], 0 offset:436
	s_waitcnt vmcnt(24) lgkmcnt(0)
	v_fma_f64 v[129:130], v[151:152], v[133:134], v[129:130]
	s_waitcnt vmcnt(19)
	v_fma_f64 v[139:140], v[139:140], v[135:136], v[129:130]
	ds_read_b128 v[129:132], v128 offset:864
	ds_read_b128 v[133:136], v128 offset:880
	s_waitcnt vmcnt(18) lgkmcnt(1)
	v_fma_f64 v[129:130], v[153:154], v[129:130], v[139:140]
	s_waitcnt vmcnt(17)
	v_fma_f64 v[129:130], v[147:148], v[131:132], v[129:130]
	buffer_load_dword v140, off, s[0:3], 0 offset:444
	buffer_load_dword v147, off, s[0:3], 0 offset:464
	buffer_load_dword v151, off, s[0:3], 0 offset:456
	buffer_load_dword v153, off, s[0:3], 0 offset:448
	buffer_load_dword v139, off, s[0:3], 0 offset:440
	buffer_load_dword v154, off, s[0:3], 0 offset:452
	buffer_load_dword v152, off, s[0:3], 0 offset:460
	buffer_load_dword v148, off, s[0:3], 0 offset:468
	s_waitcnt vmcnt(24) lgkmcnt(0)
	v_fma_f64 v[129:130], v[145:146], v[133:134], v[129:130]
	s_waitcnt vmcnt(19)
	v_fma_f64 v[141:142], v[141:142], v[135:136], v[129:130]
	ds_read_b128 v[129:132], v128 offset:896
	ds_read_b128 v[133:136], v128 offset:912
	;; [unrolled: 18-line block ×3, first 2 shown]
	s_waitcnt vmcnt(18) lgkmcnt(1)
	v_fma_f64 v[129:130], v[161:162], v[129:130], v[137:138]
	buffer_load_dword v137, off, s[0:3], 0 offset:24
	buffer_load_dword v138, off, s[0:3], 0 offset:28
	s_waitcnt vmcnt(19)
	v_fma_f64 v[129:130], v[159:160], v[131:132], v[129:130]
	s_waitcnt vmcnt(18) lgkmcnt(0)
	v_fma_f64 v[129:130], v[149:150], v[133:134], v[129:130]
	s_waitcnt vmcnt(13)
	v_fma_f64 v[139:140], v[139:140], v[135:136], v[129:130]
	ds_read_b128 v[129:132], v128 offset:960
	ds_read_b128 v[133:136], v128 offset:976
	s_waitcnt vmcnt(12) lgkmcnt(1)
	v_fma_f64 v[129:130], v[153:154], v[129:130], v[139:140]
	s_waitcnt vmcnt(11)
	v_fma_f64 v[129:130], v[151:152], v[131:132], v[129:130]
	s_waitcnt vmcnt(10) lgkmcnt(0)
	v_fma_f64 v[129:130], v[147:148], v[133:134], v[129:130]
	s_waitcnt vmcnt(5)
	v_fma_f64 v[133:134], v[141:142], v[135:136], v[129:130]
	ds_read_b128 v[129:132], v128 offset:992
	ds_read_b64 v[135:136], v128 offset:1008
	s_waitcnt vmcnt(4) lgkmcnt(1)
	v_fma_f64 v[129:130], v[157:158], v[129:130], v[133:134]
	s_waitcnt vmcnt(3)
	v_fma_f64 v[129:130], v[155:156], v[131:132], v[129:130]
	s_waitcnt vmcnt(2) lgkmcnt(0)
	v_fma_f64 v[129:130], v[145:146], v[135:136], v[129:130]
	s_waitcnt vmcnt(0)
	v_add_f64 v[129:130], v[137:138], -v[129:130]
	buffer_store_dword v130, off, s[0:3], 0 offset:28
	buffer_store_dword v129, off, s[0:3], 0 offset:24
	s_and_saveexec_b64 s[4:5], vcc
	s_cbranch_execz .LBB62_381
; %bb.380:
	buffer_load_dword v129, off, s[0:3], 0 offset:16
	buffer_load_dword v130, off, s[0:3], 0 offset:20
	s_waitcnt vmcnt(0)
	ds_write_b64 v127, v[129:130]
	buffer_store_dword v128, off, s[0:3], 0 offset:16
	buffer_store_dword v128, off, s[0:3], 0 offset:20
.LBB62_381:
	s_or_b64 exec, exec, s[4:5]
	s_waitcnt lgkmcnt(0)
	; wave barrier
	buffer_load_dword v137, off, s[0:3], 0 offset:24
	buffer_load_dword v138, off, s[0:3], 0 offset:28
	;; [unrolled: 1-line block ×21, first 2 shown]
	ds_read2_b64 v[129:132], v128 offset0:67 offset1:68
	ds_read2_b64 v[133:136], v128 offset0:69 offset1:70
	buffer_load_dword v154, off, s[0:3], 0 offset:108
	v_cmp_lt_u32_e32 vcc, 1, v0
	s_waitcnt vmcnt(20) lgkmcnt(1)
	v_fma_f64 v[129:130], v[137:138], v[129:130], 0
	s_waitcnt vmcnt(18)
	v_fma_f64 v[129:130], v[139:140], v[131:132], v[129:130]
	buffer_load_dword v138, off, s[0:3], 0 offset:116
	buffer_load_dword v139, off, s[0:3], 0 offset:136
	;; [unrolled: 1-line block ×7, first 2 shown]
	s_waitcnt vmcnt(23) lgkmcnt(0)
	v_fma_f64 v[129:130], v[141:142], v[133:134], v[129:130]
	s_waitcnt vmcnt(21)
	v_fma_f64 v[140:141], v[143:144], v[135:136], v[129:130]
	ds_read2_b64 v[129:132], v128 offset0:71 offset1:72
	ds_read2_b64 v[133:136], v128 offset0:73 offset1:74
	s_waitcnt vmcnt(19) lgkmcnt(1)
	v_fma_f64 v[129:130], v[145:146], v[129:130], v[140:141]
	buffer_load_dword v140, off, s[0:3], 0 offset:140
	s_waitcnt vmcnt(18)
	v_fma_f64 v[129:130], v[147:148], v[131:132], v[129:130]
	buffer_load_dword v142, off, s[0:3], 0 offset:148
	buffer_load_dword v143, off, s[0:3], 0 offset:168
	;; [unrolled: 1-line block ×8, first 2 shown]
	s_waitcnt vmcnt(24) lgkmcnt(0)
	v_fma_f64 v[129:130], v[149:150], v[133:134], v[129:130]
	s_waitcnt vmcnt(19)
	v_fma_f64 v[149:150], v[151:152], v[135:136], v[129:130]
	ds_read2_b64 v[129:132], v128 offset0:75 offset1:76
	ds_read2_b64 v[133:136], v128 offset0:77 offset1:78
	s_waitcnt vmcnt(18) lgkmcnt(1)
	v_fma_f64 v[129:130], v[157:158], v[129:130], v[149:150]
	s_waitcnt vmcnt(17)
	v_fma_f64 v[129:130], v[155:156], v[131:132], v[129:130]
	buffer_load_dword v150, off, s[0:3], 0 offset:180
	buffer_load_dword v151, off, s[0:3], 0 offset:200
	;; [unrolled: 1-line block ×7, first 2 shown]
	s_waitcnt vmcnt(23) lgkmcnt(0)
	v_fma_f64 v[129:130], v[153:154], v[133:134], v[129:130]
	s_waitcnt vmcnt(18)
	v_fma_f64 v[137:138], v[137:138], v[135:136], v[129:130]
	ds_read2_b64 v[129:132], v128 offset0:79 offset1:80
	ds_read2_b64 v[133:136], v128 offset0:81 offset1:82
	buffer_load_dword v152, off, s[0:3], 0 offset:204
	s_waitcnt vmcnt(18) lgkmcnt(1)
	v_fma_f64 v[129:130], v[161:162], v[129:130], v[137:138]
	s_waitcnt vmcnt(17)
	v_fma_f64 v[129:130], v[159:160], v[131:132], v[129:130]
	buffer_load_dword v138, off, s[0:3], 0 offset:212
	buffer_load_dword v153, off, s[0:3], 0 offset:232
	;; [unrolled: 1-line block ×8, first 2 shown]
	s_waitcnt vmcnt(24) lgkmcnt(0)
	v_fma_f64 v[129:130], v[139:140], v[133:134], v[129:130]
	s_waitcnt vmcnt(19)
	v_fma_f64 v[139:140], v[141:142], v[135:136], v[129:130]
	ds_read2_b64 v[129:132], v128 offset0:83 offset1:84
	ds_read2_b64 v[133:136], v128 offset0:85 offset1:86
	s_waitcnt vmcnt(18) lgkmcnt(1)
	v_fma_f64 v[129:130], v[147:148], v[129:130], v[139:140]
	s_waitcnt vmcnt(17)
	v_fma_f64 v[129:130], v[145:146], v[131:132], v[129:130]
	buffer_load_dword v140, off, s[0:3], 0 offset:244
	buffer_load_dword v141, off, s[0:3], 0 offset:264
	buffer_load_dword v145, off, s[0:3], 0 offset:256
	buffer_load_dword v147, off, s[0:3], 0 offset:248
	buffer_load_dword v139, off, s[0:3], 0 offset:240
	buffer_load_dword v148, off, s[0:3], 0 offset:252
	buffer_load_dword v146, off, s[0:3], 0 offset:260
	s_waitcnt vmcnt(23) lgkmcnt(0)
	v_fma_f64 v[129:130], v[143:144], v[133:134], v[129:130]
	s_waitcnt vmcnt(18)
	v_fma_f64 v[142:143], v[149:150], v[135:136], v[129:130]
	ds_read2_b64 v[129:132], v128 offset0:87 offset1:88
	ds_read2_b64 v[133:136], v128 offset0:89 offset1:90
	s_waitcnt vmcnt(17) lgkmcnt(1)
	v_fma_f64 v[129:130], v[157:158], v[129:130], v[142:143]
	buffer_load_dword v142, off, s[0:3], 0 offset:268
	s_waitcnt vmcnt(17)
	v_fma_f64 v[129:130], v[155:156], v[131:132], v[129:130]
	buffer_load_dword v144, off, s[0:3], 0 offset:276
	buffer_load_dword v149, off, s[0:3], 0 offset:296
	;; [unrolled: 1-line block ×7, first 2 shown]
	s_waitcnt vmcnt(23) lgkmcnt(0)
	v_fma_f64 v[129:130], v[151:152], v[133:134], v[129:130]
	s_waitcnt vmcnt(18)
	v_fma_f64 v[137:138], v[137:138], v[135:136], v[129:130]
	ds_read2_b64 v[129:132], v128 offset0:91 offset1:92
	ds_read2_b64 v[133:136], v128 offset0:93 offset1:94
	buffer_load_dword v150, off, s[0:3], 0 offset:300
	s_waitcnt vmcnt(18) lgkmcnt(1)
	v_fma_f64 v[129:130], v[161:162], v[129:130], v[137:138]
	s_waitcnt vmcnt(17)
	v_fma_f64 v[129:130], v[159:160], v[131:132], v[129:130]
	buffer_load_dword v138, off, s[0:3], 0 offset:308
	buffer_load_dword v151, off, s[0:3], 0 offset:328
	;; [unrolled: 1-line block ×8, first 2 shown]
	s_waitcnt vmcnt(24) lgkmcnt(0)
	v_fma_f64 v[129:130], v[153:154], v[133:134], v[129:130]
	s_waitcnt vmcnt(19)
	v_fma_f64 v[139:140], v[139:140], v[135:136], v[129:130]
	ds_read2_b64 v[129:132], v128 offset0:95 offset1:96
	ds_read2_b64 v[133:136], v128 offset0:97 offset1:98
	s_waitcnt vmcnt(18) lgkmcnt(1)
	v_fma_f64 v[129:130], v[147:148], v[129:130], v[139:140]
	s_waitcnt vmcnt(17)
	v_fma_f64 v[129:130], v[145:146], v[131:132], v[129:130]
	buffer_load_dword v140, off, s[0:3], 0 offset:340
	buffer_load_dword v145, off, s[0:3], 0 offset:360
	;; [unrolled: 1-line block ×8, first 2 shown]
	s_waitcnt vmcnt(24) lgkmcnt(0)
	v_fma_f64 v[129:130], v[141:142], v[133:134], v[129:130]
	s_waitcnt vmcnt(19)
	v_fma_f64 v[141:142], v[143:144], v[135:136], v[129:130]
	ds_read2_b64 v[129:132], v128 offset0:99 offset1:100
	ds_read2_b64 v[133:136], v128 offset0:101 offset1:102
	s_waitcnt vmcnt(18) lgkmcnt(1)
	v_fma_f64 v[129:130], v[157:158], v[129:130], v[141:142]
	s_waitcnt vmcnt(17)
	v_fma_f64 v[129:130], v[155:156], v[131:132], v[129:130]
	buffer_load_dword v142, off, s[0:3], 0 offset:372
	buffer_load_dword v143, off, s[0:3], 0 offset:392
	;; [unrolled: 1-line block ×7, first 2 shown]
	s_waitcnt vmcnt(23) lgkmcnt(0)
	v_fma_f64 v[129:130], v[149:150], v[133:134], v[129:130]
	s_waitcnt vmcnt(18)
	v_fma_f64 v[137:138], v[137:138], v[135:136], v[129:130]
	ds_read2_b64 v[129:132], v128 offset0:103 offset1:104
	ds_read2_b64 v[133:136], v128 offset0:105 offset1:106
	buffer_load_dword v144, off, s[0:3], 0 offset:396
	s_waitcnt vmcnt(18) lgkmcnt(1)
	v_fma_f64 v[129:130], v[161:162], v[129:130], v[137:138]
	s_waitcnt vmcnt(17)
	v_fma_f64 v[129:130], v[159:160], v[131:132], v[129:130]
	buffer_load_dword v138, off, s[0:3], 0 offset:404
	buffer_load_dword v149, off, s[0:3], 0 offset:424
	buffer_load_dword v159, off, s[0:3], 0 offset:416
	buffer_load_dword v161, off, s[0:3], 0 offset:408
	buffer_load_dword v137, off, s[0:3], 0 offset:400
	buffer_load_dword v162, off, s[0:3], 0 offset:412
	buffer_load_dword v160, off, s[0:3], 0 offset:420
	buffer_load_dword v150, off, s[0:3], 0 offset:428
	s_waitcnt vmcnt(24) lgkmcnt(0)
	v_fma_f64 v[129:130], v[151:152], v[133:134], v[129:130]
	s_waitcnt vmcnt(19)
	v_fma_f64 v[139:140], v[139:140], v[135:136], v[129:130]
	ds_read2_b64 v[129:132], v128 offset0:107 offset1:108
	ds_read2_b64 v[133:136], v128 offset0:109 offset1:110
	s_waitcnt vmcnt(18) lgkmcnt(1)
	v_fma_f64 v[129:130], v[153:154], v[129:130], v[139:140]
	s_waitcnt vmcnt(17)
	v_fma_f64 v[129:130], v[147:148], v[131:132], v[129:130]
	buffer_load_dword v140, off, s[0:3], 0 offset:436
	buffer_load_dword v147, off, s[0:3], 0 offset:456
	buffer_load_dword v151, off, s[0:3], 0 offset:448
	buffer_load_dword v153, off, s[0:3], 0 offset:440
	buffer_load_dword v139, off, s[0:3], 0 offset:432
	buffer_load_dword v154, off, s[0:3], 0 offset:444
	buffer_load_dword v152, off, s[0:3], 0 offset:452
	buffer_load_dword v148, off, s[0:3], 0 offset:460
	s_waitcnt vmcnt(24) lgkmcnt(0)
	v_fma_f64 v[129:130], v[145:146], v[133:134], v[129:130]
	s_waitcnt vmcnt(19)
	v_fma_f64 v[141:142], v[141:142], v[135:136], v[129:130]
	ds_read2_b64 v[129:132], v128 offset0:111 offset1:112
	ds_read2_b64 v[133:136], v128 offset0:113 offset1:114
	;; [unrolled: 18-line block ×3, first 2 shown]
	s_waitcnt vmcnt(18) lgkmcnt(1)
	v_fma_f64 v[129:130], v[161:162], v[129:130], v[137:138]
	buffer_load_dword v138, off, s[0:3], 0 offset:500
	buffer_load_dword v137, off, s[0:3], 0 offset:496
	;; [unrolled: 1-line block ×4, first 2 shown]
	s_waitcnt vmcnt(21)
	v_fma_f64 v[129:130], v[159:160], v[131:132], v[129:130]
	s_waitcnt vmcnt(20) lgkmcnt(0)
	v_fma_f64 v[129:130], v[149:150], v[133:134], v[129:130]
	s_waitcnt vmcnt(15)
	v_fma_f64 v[139:140], v[139:140], v[135:136], v[129:130]
	ds_read2_b64 v[129:132], v128 offset0:119 offset1:120
	ds_read2_b64 v[133:136], v128 offset0:121 offset1:122
	s_waitcnt vmcnt(14) lgkmcnt(1)
	v_fma_f64 v[129:130], v[153:154], v[129:130], v[139:140]
	s_waitcnt vmcnt(13)
	v_fma_f64 v[129:130], v[151:152], v[131:132], v[129:130]
	s_waitcnt vmcnt(12) lgkmcnt(0)
	v_fma_f64 v[129:130], v[147:148], v[133:134], v[129:130]
	s_waitcnt vmcnt(7)
	v_fma_f64 v[139:140], v[141:142], v[135:136], v[129:130]
	ds_read2_b64 v[129:132], v128 offset0:123 offset1:124
	ds_read2_b64 v[133:136], v128 offset0:125 offset1:126
	s_waitcnt vmcnt(6) lgkmcnt(1)
	v_fma_f64 v[128:129], v[157:158], v[129:130], v[139:140]
	s_waitcnt vmcnt(5)
	v_fma_f64 v[128:129], v[155:156], v[131:132], v[128:129]
	s_waitcnt vmcnt(4) lgkmcnt(0)
	v_fma_f64 v[128:129], v[145:146], v[133:134], v[128:129]
	s_waitcnt vmcnt(2)
	v_fma_f64 v[128:129], v[137:138], v[135:136], v[128:129]
	s_waitcnt vmcnt(0)
	v_add_f64 v[128:129], v[143:144], -v[128:129]
	buffer_store_dword v129, off, s[0:3], 0 offset:20
	buffer_store_dword v128, off, s[0:3], 0 offset:16
	s_and_saveexec_b64 s[4:5], vcc
	s_cbranch_execz .LBB62_383
; %bb.382:
	buffer_load_dword v128, off, s[0:3], 0 offset:8
	buffer_load_dword v129, off, s[0:3], 0 offset:12
	v_mov_b32_e32 v130, 0
	buffer_store_dword v130, off, s[0:3], 0 offset:8
	buffer_store_dword v130, off, s[0:3], 0 offset:12
	s_waitcnt vmcnt(2)
	ds_write_b64 v127, v[128:129]
.LBB62_383:
	s_or_b64 exec, exec, s[4:5]
	s_waitcnt lgkmcnt(0)
	; wave barrier
	buffer_load_dword v137, off, s[0:3], 0 offset:16
	buffer_load_dword v138, off, s[0:3], 0 offset:20
	;; [unrolled: 1-line block ×21, first 2 shown]
	v_mov_b32_e32 v128, 0
	ds_read_b128 v[129:132], v128 offset:528
	ds_read_b128 v[133:136], v128 offset:544
	buffer_load_dword v154, off, s[0:3], 0 offset:100
	v_cmp_ne_u32_e32 vcc, 0, v0
	s_waitcnt vmcnt(20) lgkmcnt(1)
	v_fma_f64 v[129:130], v[137:138], v[129:130], 0
	s_waitcnt vmcnt(18)
	v_fma_f64 v[129:130], v[139:140], v[131:132], v[129:130]
	buffer_load_dword v138, off, s[0:3], 0 offset:108
	buffer_load_dword v139, off, s[0:3], 0 offset:128
	;; [unrolled: 1-line block ×7, first 2 shown]
	s_waitcnt vmcnt(23) lgkmcnt(0)
	v_fma_f64 v[129:130], v[141:142], v[133:134], v[129:130]
	s_waitcnt vmcnt(21)
	v_fma_f64 v[140:141], v[143:144], v[135:136], v[129:130]
	ds_read_b128 v[129:132], v128 offset:560
	ds_read_b128 v[133:136], v128 offset:576
	s_waitcnt vmcnt(19) lgkmcnt(1)
	v_fma_f64 v[129:130], v[145:146], v[129:130], v[140:141]
	buffer_load_dword v140, off, s[0:3], 0 offset:132
	s_waitcnt vmcnt(18)
	v_fma_f64 v[129:130], v[147:148], v[131:132], v[129:130]
	buffer_load_dword v142, off, s[0:3], 0 offset:140
	buffer_load_dword v143, off, s[0:3], 0 offset:160
	;; [unrolled: 1-line block ×8, first 2 shown]
	s_waitcnt vmcnt(24) lgkmcnt(0)
	v_fma_f64 v[129:130], v[149:150], v[133:134], v[129:130]
	s_waitcnt vmcnt(19)
	v_fma_f64 v[149:150], v[151:152], v[135:136], v[129:130]
	ds_read_b128 v[129:132], v128 offset:592
	ds_read_b128 v[133:136], v128 offset:608
	s_waitcnt vmcnt(18) lgkmcnt(1)
	v_fma_f64 v[129:130], v[157:158], v[129:130], v[149:150]
	s_waitcnt vmcnt(17)
	v_fma_f64 v[129:130], v[155:156], v[131:132], v[129:130]
	buffer_load_dword v150, off, s[0:3], 0 offset:172
	buffer_load_dword v151, off, s[0:3], 0 offset:192
	buffer_load_dword v155, off, s[0:3], 0 offset:184
	buffer_load_dword v157, off, s[0:3], 0 offset:176
	buffer_load_dword v149, off, s[0:3], 0 offset:168
	buffer_load_dword v158, off, s[0:3], 0 offset:180
	buffer_load_dword v156, off, s[0:3], 0 offset:188
	s_waitcnt vmcnt(23) lgkmcnt(0)
	v_fma_f64 v[129:130], v[153:154], v[133:134], v[129:130]
	s_waitcnt vmcnt(18)
	v_fma_f64 v[137:138], v[137:138], v[135:136], v[129:130]
	ds_read_b128 v[129:132], v128 offset:624
	ds_read_b128 v[133:136], v128 offset:640
	buffer_load_dword v152, off, s[0:3], 0 offset:196
	s_waitcnt vmcnt(18) lgkmcnt(1)
	v_fma_f64 v[129:130], v[161:162], v[129:130], v[137:138]
	s_waitcnt vmcnt(17)
	v_fma_f64 v[129:130], v[159:160], v[131:132], v[129:130]
	buffer_load_dword v138, off, s[0:3], 0 offset:204
	buffer_load_dword v153, off, s[0:3], 0 offset:224
	;; [unrolled: 1-line block ×7, first 2 shown]
	s_waitcnt vmcnt(23) lgkmcnt(0)
	v_fma_f64 v[129:130], v[139:140], v[133:134], v[129:130]
	s_waitcnt vmcnt(18)
	v_fma_f64 v[139:140], v[141:142], v[135:136], v[129:130]
	ds_read_b128 v[129:132], v128 offset:656
	ds_read_b128 v[133:136], v128 offset:672
	buffer_load_dword v154, off, s[0:3], 0 offset:228
	s_waitcnt vmcnt(18) lgkmcnt(1)
	v_fma_f64 v[129:130], v[147:148], v[129:130], v[139:140]
	s_waitcnt vmcnt(17)
	v_fma_f64 v[129:130], v[145:146], v[131:132], v[129:130]
	buffer_load_dword v140, off, s[0:3], 0 offset:236
	buffer_load_dword v141, off, s[0:3], 0 offset:256
	;; [unrolled: 1-line block ×7, first 2 shown]
	s_waitcnt vmcnt(23) lgkmcnt(0)
	v_fma_f64 v[129:130], v[143:144], v[133:134], v[129:130]
	s_waitcnt vmcnt(18)
	v_fma_f64 v[142:143], v[149:150], v[135:136], v[129:130]
	ds_read_b128 v[129:132], v128 offset:688
	ds_read_b128 v[133:136], v128 offset:704
	s_waitcnt vmcnt(17) lgkmcnt(1)
	v_fma_f64 v[129:130], v[157:158], v[129:130], v[142:143]
	buffer_load_dword v142, off, s[0:3], 0 offset:260
	s_waitcnt vmcnt(17)
	v_fma_f64 v[129:130], v[155:156], v[131:132], v[129:130]
	buffer_load_dword v144, off, s[0:3], 0 offset:268
	buffer_load_dword v149, off, s[0:3], 0 offset:288
	;; [unrolled: 1-line block ×7, first 2 shown]
	s_waitcnt vmcnt(23) lgkmcnt(0)
	v_fma_f64 v[129:130], v[151:152], v[133:134], v[129:130]
	s_waitcnt vmcnt(18)
	v_fma_f64 v[137:138], v[137:138], v[135:136], v[129:130]
	ds_read_b128 v[129:132], v128 offset:720
	ds_read_b128 v[133:136], v128 offset:736
	buffer_load_dword v150, off, s[0:3], 0 offset:292
	s_waitcnt vmcnt(18) lgkmcnt(1)
	v_fma_f64 v[129:130], v[161:162], v[129:130], v[137:138]
	s_waitcnt vmcnt(17)
	v_fma_f64 v[129:130], v[159:160], v[131:132], v[129:130]
	buffer_load_dword v138, off, s[0:3], 0 offset:300
	buffer_load_dword v151, off, s[0:3], 0 offset:320
	;; [unrolled: 1-line block ×7, first 2 shown]
	s_waitcnt vmcnt(23) lgkmcnt(0)
	v_fma_f64 v[129:130], v[153:154], v[133:134], v[129:130]
	s_waitcnt vmcnt(18)
	v_fma_f64 v[139:140], v[139:140], v[135:136], v[129:130]
	ds_read_b128 v[129:132], v128 offset:752
	ds_read_b128 v[133:136], v128 offset:768
	buffer_load_dword v152, off, s[0:3], 0 offset:324
	s_waitcnt vmcnt(18) lgkmcnt(1)
	v_fma_f64 v[129:130], v[147:148], v[129:130], v[139:140]
	s_waitcnt vmcnt(17)
	v_fma_f64 v[129:130], v[145:146], v[131:132], v[129:130]
	buffer_load_dword v140, off, s[0:3], 0 offset:332
	buffer_load_dword v145, off, s[0:3], 0 offset:352
	;; [unrolled: 1-line block ×8, first 2 shown]
	s_waitcnt vmcnt(24) lgkmcnt(0)
	v_fma_f64 v[129:130], v[141:142], v[133:134], v[129:130]
	s_waitcnt vmcnt(19)
	v_fma_f64 v[141:142], v[143:144], v[135:136], v[129:130]
	ds_read_b128 v[129:132], v128 offset:784
	ds_read_b128 v[133:136], v128 offset:800
	s_waitcnt vmcnt(18) lgkmcnt(1)
	v_fma_f64 v[129:130], v[157:158], v[129:130], v[141:142]
	s_waitcnt vmcnt(17)
	v_fma_f64 v[129:130], v[155:156], v[131:132], v[129:130]
	buffer_load_dword v142, off, s[0:3], 0 offset:364
	buffer_load_dword v143, off, s[0:3], 0 offset:384
	buffer_load_dword v155, off, s[0:3], 0 offset:376
	buffer_load_dword v157, off, s[0:3], 0 offset:368
	buffer_load_dword v141, off, s[0:3], 0 offset:360
	buffer_load_dword v158, off, s[0:3], 0 offset:372
	buffer_load_dword v156, off, s[0:3], 0 offset:380
	s_waitcnt vmcnt(23) lgkmcnt(0)
	v_fma_f64 v[129:130], v[149:150], v[133:134], v[129:130]
	s_waitcnt vmcnt(18)
	v_fma_f64 v[137:138], v[137:138], v[135:136], v[129:130]
	ds_read_b128 v[129:132], v128 offset:816
	ds_read_b128 v[133:136], v128 offset:832
	buffer_load_dword v144, off, s[0:3], 0 offset:388
	s_waitcnt vmcnt(18) lgkmcnt(1)
	v_fma_f64 v[129:130], v[161:162], v[129:130], v[137:138]
	s_waitcnt vmcnt(17)
	v_fma_f64 v[129:130], v[159:160], v[131:132], v[129:130]
	buffer_load_dword v138, off, s[0:3], 0 offset:396
	buffer_load_dword v149, off, s[0:3], 0 offset:416
	;; [unrolled: 1-line block ×7, first 2 shown]
	s_waitcnt vmcnt(23) lgkmcnt(0)
	v_fma_f64 v[129:130], v[151:152], v[133:134], v[129:130]
	s_waitcnt vmcnt(18)
	v_fma_f64 v[139:140], v[139:140], v[135:136], v[129:130]
	ds_read_b128 v[129:132], v128 offset:848
	ds_read_b128 v[133:136], v128 offset:864
	buffer_load_dword v150, off, s[0:3], 0 offset:420
	s_waitcnt vmcnt(18) lgkmcnt(1)
	v_fma_f64 v[129:130], v[153:154], v[129:130], v[139:140]
	s_waitcnt vmcnt(17)
	v_fma_f64 v[129:130], v[147:148], v[131:132], v[129:130]
	buffer_load_dword v140, off, s[0:3], 0 offset:428
	buffer_load_dword v147, off, s[0:3], 0 offset:448
	;; [unrolled: 1-line block ×8, first 2 shown]
	s_waitcnt vmcnt(24) lgkmcnt(0)
	v_fma_f64 v[129:130], v[145:146], v[133:134], v[129:130]
	s_waitcnt vmcnt(19)
	v_fma_f64 v[141:142], v[141:142], v[135:136], v[129:130]
	ds_read_b128 v[129:132], v128 offset:880
	ds_read_b128 v[133:136], v128 offset:896
	s_waitcnt vmcnt(18) lgkmcnt(1)
	v_fma_f64 v[129:130], v[157:158], v[129:130], v[141:142]
	s_waitcnt vmcnt(17)
	v_fma_f64 v[129:130], v[155:156], v[131:132], v[129:130]
	buffer_load_dword v142, off, s[0:3], 0 offset:460
	buffer_load_dword v145, off, s[0:3], 0 offset:480
	buffer_load_dword v155, off, s[0:3], 0 offset:472
	buffer_load_dword v157, off, s[0:3], 0 offset:464
	buffer_load_dword v141, off, s[0:3], 0 offset:456
	buffer_load_dword v158, off, s[0:3], 0 offset:468
	buffer_load_dword v156, off, s[0:3], 0 offset:476
	s_waitcnt vmcnt(23) lgkmcnt(0)
	v_fma_f64 v[129:130], v[143:144], v[133:134], v[129:130]
	s_waitcnt vmcnt(18)
	v_fma_f64 v[137:138], v[137:138], v[135:136], v[129:130]
	ds_read_b128 v[129:132], v128 offset:912
	ds_read_b128 v[133:136], v128 offset:928
	buffer_load_dword v146, off, s[0:3], 0 offset:484
	s_waitcnt vmcnt(18) lgkmcnt(1)
	v_fma_f64 v[129:130], v[161:162], v[129:130], v[137:138]
	buffer_load_dword v138, off, s[0:3], 0 offset:492
	buffer_load_dword v143, off, s[0:3], 0 offset:496
	;; [unrolled: 1-line block ×4, first 2 shown]
	s_waitcnt vmcnt(21)
	v_fma_f64 v[129:130], v[159:160], v[131:132], v[129:130]
	s_waitcnt vmcnt(20) lgkmcnt(0)
	v_fma_f64 v[129:130], v[149:150], v[133:134], v[129:130]
	buffer_load_dword v149, off, s[0:3], 0 offset:8
	buffer_load_dword v150, off, s[0:3], 0 offset:12
	s_waitcnt vmcnt(17)
	v_fma_f64 v[139:140], v[139:140], v[135:136], v[129:130]
	ds_read_b128 v[129:132], v128 offset:944
	ds_read_b128 v[133:136], v128 offset:960
	s_waitcnt vmcnt(16) lgkmcnt(1)
	v_fma_f64 v[129:130], v[153:154], v[129:130], v[139:140]
	s_waitcnt vmcnt(15)
	v_fma_f64 v[129:130], v[151:152], v[131:132], v[129:130]
	s_waitcnt vmcnt(14) lgkmcnt(0)
	v_fma_f64 v[129:130], v[147:148], v[133:134], v[129:130]
	s_waitcnt vmcnt(9)
	v_fma_f64 v[139:140], v[141:142], v[135:136], v[129:130]
	ds_read_b128 v[129:132], v128 offset:976
	ds_read_b128 v[133:136], v128 offset:992
	s_waitcnt vmcnt(8) lgkmcnt(1)
	v_fma_f64 v[129:130], v[157:158], v[129:130], v[139:140]
	s_waitcnt vmcnt(7)
	v_fma_f64 v[129:130], v[155:156], v[131:132], v[129:130]
	ds_read_b64 v[131:132], v128 offset:1008
	s_waitcnt vmcnt(6) lgkmcnt(1)
	v_fma_f64 v[129:130], v[145:146], v[133:134], v[129:130]
	s_waitcnt vmcnt(3)
	v_fma_f64 v[129:130], v[137:138], v[135:136], v[129:130]
	s_waitcnt vmcnt(2) lgkmcnt(0)
	v_fma_f64 v[129:130], v[143:144], v[131:132], v[129:130]
	s_waitcnt vmcnt(0)
	v_add_f64 v[129:130], v[149:150], -v[129:130]
	buffer_store_dword v130, off, s[0:3], 0 offset:12
	buffer_store_dword v129, off, s[0:3], 0 offset:8
	s_and_saveexec_b64 s[4:5], vcc
	s_cbranch_execz .LBB62_385
; %bb.384:
	buffer_load_dword v129, off, s[0:3], 0
	buffer_load_dword v130, off, s[0:3], 0 offset:4
	s_waitcnt vmcnt(0)
	ds_write_b64 v127, v[129:130]
	buffer_store_dword v128, off, s[0:3], 0
	buffer_store_dword v128, off, s[0:3], 0 offset:4
.LBB62_385:
	s_or_b64 exec, exec, s[4:5]
	s_waitcnt lgkmcnt(0)
	; wave barrier
	buffer_load_dword v137, off, s[0:3], 0 offset:8
	buffer_load_dword v138, off, s[0:3], 0 offset:12
	;; [unrolled: 1-line block ×22, first 2 shown]
	ds_read2_b64 v[129:132], v128 offset0:65 offset1:66
	ds_read2_b64 v[133:136], v128 offset0:67 offset1:68
	s_and_b64 vcc, exec, s[22:23]
	s_waitcnt vmcnt(20) lgkmcnt(1)
	v_fma_f64 v[129:130], v[137:138], v[129:130], 0
	s_waitcnt vmcnt(18)
	v_fma_f64 v[129:130], v[139:140], v[131:132], v[129:130]
	buffer_load_dword v138, off, s[0:3], 0 offset:100
	buffer_load_dword v139, off, s[0:3], 0 offset:120
	;; [unrolled: 1-line block ×7, first 2 shown]
	s_waitcnt vmcnt(23) lgkmcnt(0)
	v_fma_f64 v[129:130], v[141:142], v[133:134], v[129:130]
	s_waitcnt vmcnt(21)
	v_fma_f64 v[140:141], v[143:144], v[135:136], v[129:130]
	ds_read2_b64 v[129:132], v128 offset0:69 offset1:70
	ds_read2_b64 v[133:136], v128 offset0:71 offset1:72
	s_waitcnt vmcnt(19) lgkmcnt(1)
	v_fma_f64 v[129:130], v[145:146], v[129:130], v[140:141]
	buffer_load_dword v140, off, s[0:3], 0 offset:124
	s_waitcnt vmcnt(18)
	v_fma_f64 v[129:130], v[147:148], v[131:132], v[129:130]
	buffer_load_dword v142, off, s[0:3], 0 offset:132
	buffer_load_dword v143, off, s[0:3], 0 offset:152
	;; [unrolled: 1-line block ×8, first 2 shown]
	s_waitcnt vmcnt(24) lgkmcnt(0)
	v_fma_f64 v[129:130], v[149:150], v[133:134], v[129:130]
	s_waitcnt vmcnt(19)
	v_fma_f64 v[149:150], v[151:152], v[135:136], v[129:130]
	ds_read2_b64 v[129:132], v128 offset0:73 offset1:74
	ds_read2_b64 v[133:136], v128 offset0:75 offset1:76
	s_waitcnt vmcnt(18) lgkmcnt(1)
	v_fma_f64 v[129:130], v[157:158], v[129:130], v[149:150]
	s_waitcnt vmcnt(17)
	v_fma_f64 v[129:130], v[155:156], v[131:132], v[129:130]
	buffer_load_dword v150, off, s[0:3], 0 offset:164
	buffer_load_dword v151, off, s[0:3], 0 offset:184
	;; [unrolled: 1-line block ×8, first 2 shown]
	s_waitcnt vmcnt(24) lgkmcnt(0)
	v_fma_f64 v[129:130], v[153:154], v[133:134], v[129:130]
	s_waitcnt vmcnt(19)
	v_fma_f64 v[137:138], v[137:138], v[135:136], v[129:130]
	ds_read2_b64 v[129:132], v128 offset0:77 offset1:78
	ds_read2_b64 v[133:136], v128 offset0:79 offset1:80
	s_waitcnt vmcnt(18) lgkmcnt(1)
	v_fma_f64 v[129:130], v[161:162], v[129:130], v[137:138]
	s_waitcnt vmcnt(17)
	v_fma_f64 v[129:130], v[159:160], v[131:132], v[129:130]
	buffer_load_dword v138, off, s[0:3], 0 offset:196
	buffer_load_dword v153, off, s[0:3], 0 offset:216
	;; [unrolled: 1-line block ×7, first 2 shown]
	s_waitcnt vmcnt(23) lgkmcnt(0)
	v_fma_f64 v[129:130], v[139:140], v[133:134], v[129:130]
	s_waitcnt vmcnt(18)
	v_fma_f64 v[139:140], v[141:142], v[135:136], v[129:130]
	ds_read2_b64 v[129:132], v128 offset0:81 offset1:82
	ds_read2_b64 v[133:136], v128 offset0:83 offset1:84
	buffer_load_dword v154, off, s[0:3], 0 offset:220
	s_waitcnt vmcnt(18) lgkmcnt(1)
	v_fma_f64 v[129:130], v[147:148], v[129:130], v[139:140]
	s_waitcnt vmcnt(17)
	v_fma_f64 v[129:130], v[145:146], v[131:132], v[129:130]
	buffer_load_dword v140, off, s[0:3], 0 offset:228
	buffer_load_dword v141, off, s[0:3], 0 offset:248
	buffer_load_dword v145, off, s[0:3], 0 offset:240
	buffer_load_dword v147, off, s[0:3], 0 offset:232
	buffer_load_dword v139, off, s[0:3], 0 offset:224
	buffer_load_dword v148, off, s[0:3], 0 offset:236
	buffer_load_dword v146, off, s[0:3], 0 offset:244
	s_waitcnt vmcnt(23) lgkmcnt(0)
	v_fma_f64 v[129:130], v[143:144], v[133:134], v[129:130]
	s_waitcnt vmcnt(18)
	v_fma_f64 v[142:143], v[149:150], v[135:136], v[129:130]
	ds_read2_b64 v[129:132], v128 offset0:85 offset1:86
	ds_read2_b64 v[133:136], v128 offset0:87 offset1:88
	s_waitcnt vmcnt(17) lgkmcnt(1)
	v_fma_f64 v[129:130], v[157:158], v[129:130], v[142:143]
	buffer_load_dword v142, off, s[0:3], 0 offset:252
	s_waitcnt vmcnt(17)
	v_fma_f64 v[129:130], v[155:156], v[131:132], v[129:130]
	buffer_load_dword v144, off, s[0:3], 0 offset:260
	buffer_load_dword v149, off, s[0:3], 0 offset:280
	;; [unrolled: 1-line block ×8, first 2 shown]
	s_waitcnt vmcnt(24) lgkmcnt(0)
	v_fma_f64 v[129:130], v[151:152], v[133:134], v[129:130]
	s_waitcnt vmcnt(19)
	v_fma_f64 v[137:138], v[137:138], v[135:136], v[129:130]
	ds_read2_b64 v[129:132], v128 offset0:89 offset1:90
	ds_read2_b64 v[133:136], v128 offset0:91 offset1:92
	s_waitcnt vmcnt(18) lgkmcnt(1)
	v_fma_f64 v[129:130], v[161:162], v[129:130], v[137:138]
	s_waitcnt vmcnt(17)
	v_fma_f64 v[129:130], v[159:160], v[131:132], v[129:130]
	buffer_load_dword v138, off, s[0:3], 0 offset:292
	buffer_load_dword v151, off, s[0:3], 0 offset:312
	;; [unrolled: 1-line block ×7, first 2 shown]
	s_waitcnt vmcnt(23) lgkmcnt(0)
	v_fma_f64 v[129:130], v[153:154], v[133:134], v[129:130]
	s_waitcnt vmcnt(18)
	v_fma_f64 v[139:140], v[139:140], v[135:136], v[129:130]
	ds_read2_b64 v[129:132], v128 offset0:93 offset1:94
	ds_read2_b64 v[133:136], v128 offset0:95 offset1:96
	buffer_load_dword v152, off, s[0:3], 0 offset:316
	s_waitcnt vmcnt(18) lgkmcnt(1)
	v_fma_f64 v[129:130], v[147:148], v[129:130], v[139:140]
	s_waitcnt vmcnt(17)
	v_fma_f64 v[129:130], v[145:146], v[131:132], v[129:130]
	buffer_load_dword v140, off, s[0:3], 0 offset:324
	buffer_load_dword v145, off, s[0:3], 0 offset:344
	;; [unrolled: 1-line block ×8, first 2 shown]
	s_waitcnt vmcnt(24) lgkmcnt(0)
	v_fma_f64 v[129:130], v[141:142], v[133:134], v[129:130]
	s_waitcnt vmcnt(19)
	v_fma_f64 v[141:142], v[143:144], v[135:136], v[129:130]
	ds_read2_b64 v[129:132], v128 offset0:97 offset1:98
	ds_read2_b64 v[133:136], v128 offset0:99 offset1:100
	s_waitcnt vmcnt(18) lgkmcnt(1)
	v_fma_f64 v[129:130], v[157:158], v[129:130], v[141:142]
	s_waitcnt vmcnt(17)
	v_fma_f64 v[129:130], v[155:156], v[131:132], v[129:130]
	buffer_load_dword v142, off, s[0:3], 0 offset:356
	buffer_load_dword v143, off, s[0:3], 0 offset:376
	;; [unrolled: 1-line block ×8, first 2 shown]
	s_waitcnt vmcnt(24) lgkmcnt(0)
	v_fma_f64 v[129:130], v[149:150], v[133:134], v[129:130]
	s_waitcnt vmcnt(19)
	v_fma_f64 v[137:138], v[137:138], v[135:136], v[129:130]
	ds_read2_b64 v[129:132], v128 offset0:101 offset1:102
	ds_read2_b64 v[133:136], v128 offset0:103 offset1:104
	s_waitcnt vmcnt(18) lgkmcnt(1)
	v_fma_f64 v[129:130], v[161:162], v[129:130], v[137:138]
	s_waitcnt vmcnt(17)
	v_fma_f64 v[129:130], v[159:160], v[131:132], v[129:130]
	buffer_load_dword v138, off, s[0:3], 0 offset:388
	buffer_load_dword v149, off, s[0:3], 0 offset:408
	;; [unrolled: 1-line block ×7, first 2 shown]
	s_waitcnt vmcnt(23) lgkmcnt(0)
	v_fma_f64 v[129:130], v[151:152], v[133:134], v[129:130]
	s_waitcnt vmcnt(18)
	v_fma_f64 v[139:140], v[139:140], v[135:136], v[129:130]
	ds_read2_b64 v[129:132], v128 offset0:105 offset1:106
	ds_read2_b64 v[133:136], v128 offset0:107 offset1:108
	buffer_load_dword v150, off, s[0:3], 0 offset:412
	s_waitcnt vmcnt(18) lgkmcnt(1)
	v_fma_f64 v[129:130], v[153:154], v[129:130], v[139:140]
	s_waitcnt vmcnt(17)
	v_fma_f64 v[129:130], v[147:148], v[131:132], v[129:130]
	buffer_load_dword v140, off, s[0:3], 0 offset:420
	buffer_load_dword v147, off, s[0:3], 0 offset:440
	;; [unrolled: 1-line block ×8, first 2 shown]
	s_waitcnt vmcnt(24) lgkmcnt(0)
	v_fma_f64 v[129:130], v[145:146], v[133:134], v[129:130]
	s_waitcnt vmcnt(19)
	v_fma_f64 v[141:142], v[141:142], v[135:136], v[129:130]
	ds_read2_b64 v[129:132], v128 offset0:109 offset1:110
	ds_read2_b64 v[133:136], v128 offset0:111 offset1:112
	s_waitcnt vmcnt(18) lgkmcnt(1)
	v_fma_f64 v[129:130], v[157:158], v[129:130], v[141:142]
	s_waitcnt vmcnt(17)
	v_fma_f64 v[129:130], v[155:156], v[131:132], v[129:130]
	buffer_load_dword v142, off, s[0:3], 0 offset:452
	buffer_load_dword v145, off, s[0:3], 0 offset:472
	;; [unrolled: 1-line block ×8, first 2 shown]
	s_waitcnt vmcnt(24) lgkmcnt(0)
	v_fma_f64 v[129:130], v[143:144], v[133:134], v[129:130]
	s_waitcnt vmcnt(19)
	v_fma_f64 v[137:138], v[137:138], v[135:136], v[129:130]
	ds_read2_b64 v[129:132], v128 offset0:113 offset1:114
	ds_read2_b64 v[133:136], v128 offset0:115 offset1:116
	s_waitcnt vmcnt(18) lgkmcnt(1)
	v_fma_f64 v[129:130], v[161:162], v[129:130], v[137:138]
	s_waitcnt vmcnt(17)
	v_fma_f64 v[130:131], v[159:160], v[131:132], v[129:130]
	buffer_load_dword v144, off, s[0:3], 0 offset:484
	buffer_load_dword v159, off, s[0:3], 0 offset:496
	;; [unrolled: 1-line block ×4, first 2 shown]
	s_waitcnt vmcnt(20) lgkmcnt(0)
	v_fma_f64 v[131:132], v[149:150], v[133:134], v[130:131]
	buffer_load_dword v130, off, s[0:3], 0 offset:492
	buffer_load_dword v160, off, s[0:3], 0 offset:500
	s_waitcnt vmcnt(17)
	v_fma_f64 v[139:140], v[139:140], v[135:136], v[131:132]
	ds_read2_b64 v[131:134], v128 offset0:117 offset1:118
	buffer_load_dword v149, off, s[0:3], 0
	buffer_load_dword v150, off, s[0:3], 0 offset:4
	ds_read2_b64 v[135:138], v128 offset0:119 offset1:120
	s_waitcnt vmcnt(18) lgkmcnt(1)
	v_fma_f64 v[131:132], v[153:154], v[131:132], v[139:140]
	s_waitcnt vmcnt(17)
	v_fma_f64 v[131:132], v[151:152], v[133:134], v[131:132]
	s_waitcnt vmcnt(16) lgkmcnt(0)
	v_fma_f64 v[131:132], v[147:148], v[135:136], v[131:132]
	s_waitcnt vmcnt(11)
	v_fma_f64 v[139:140], v[141:142], v[137:138], v[131:132]
	ds_read2_b64 v[131:134], v128 offset0:121 offset1:122
	ds_read2_b64 v[135:138], v128 offset0:123 offset1:124
	s_waitcnt vmcnt(10) lgkmcnt(1)
	v_fma_f64 v[131:132], v[157:158], v[131:132], v[139:140]
	s_waitcnt vmcnt(9)
	v_fma_f64 v[131:132], v[155:156], v[133:134], v[131:132]
	s_waitcnt vmcnt(8) lgkmcnt(0)
	v_fma_f64 v[131:132], v[145:146], v[135:136], v[131:132]
	s_waitcnt vmcnt(4)
	v_fma_f64 v[135:136], v[143:144], v[137:138], v[131:132]
	ds_read2_b64 v[131:134], v128 offset0:125 offset1:126
	s_waitcnt vmcnt(3) lgkmcnt(0)
	v_fma_f64 v[127:128], v[129:130], v[131:132], v[135:136]
	s_waitcnt vmcnt(2)
	v_fma_f64 v[127:128], v[159:160], v[133:134], v[127:128]
	s_waitcnt vmcnt(0)
	v_add_f64 v[127:128], v[149:150], -v[127:128]
	buffer_store_dword v128, off, s[0:3], 0 offset:4
	buffer_store_dword v127, off, s[0:3], 0
	s_cbranch_vccz .LBB62_510
; %bb.386:
	v_mov_b32_e32 v0, 0
	global_load_dword v127, v0, s[20:21] offset:244
	s_waitcnt vmcnt(0)
	v_add_u32_e32 v127, -1, v127
	v_cmp_ne_u32_e32 vcc, 61, v127
	s_cbranch_vccz .LBB62_388
; %bb.387:
	v_lshlrev_b32_e32 v127, 3, v127
	buffer_load_dword v128, v127, s[0:3], 0 offen
	buffer_load_dword v131, v127, s[0:3], 0 offen offset:4
	s_waitcnt vmcnt(1)
	buffer_store_dword v128, off, s[0:3], 0 offset:488
	s_waitcnt vmcnt(1)
	buffer_store_dword v131, off, s[0:3], 0 offset:492
	buffer_store_dword v129, v127, s[0:3], 0 offen
	buffer_store_dword v130, v127, s[0:3], 0 offen offset:4
.LBB62_388:
	global_load_dword v0, v0, s[20:21] offset:240
	s_waitcnt vmcnt(0)
	v_add_u32_e32 v0, -1, v0
	v_cmp_eq_u32_e32 vcc, 60, v0
	s_cbranch_vccnz .LBB62_390
; %bb.389:
	v_lshlrev_b32_e32 v0, 3, v0
	buffer_load_dword v127, v0, s[0:3], 0 offen
	buffer_load_dword v128, v0, s[0:3], 0 offen offset:4
	buffer_load_dword v129, off, s[0:3], 0 offset:484
	buffer_load_dword v130, off, s[0:3], 0 offset:480
	s_waitcnt vmcnt(3)
	buffer_store_dword v127, off, s[0:3], 0 offset:480
	s_waitcnt vmcnt(3)
	buffer_store_dword v128, off, s[0:3], 0 offset:484
	s_waitcnt vmcnt(3)
	buffer_store_dword v129, v0, s[0:3], 0 offen offset:4
	s_waitcnt vmcnt(3)
	buffer_store_dword v130, v0, s[0:3], 0 offen
.LBB62_390:
	v_mov_b32_e32 v0, 0
	global_load_dword v127, v0, s[20:21] offset:236
	s_waitcnt vmcnt(0)
	v_add_u32_e32 v127, -1, v127
	v_cmp_eq_u32_e32 vcc, 59, v127
	s_cbranch_vccnz .LBB62_392
; %bb.391:
	v_lshlrev_b32_e32 v127, 3, v127
	buffer_load_dword v128, v127, s[0:3], 0 offen
	buffer_load_dword v129, v127, s[0:3], 0 offen offset:4
	buffer_load_dword v130, off, s[0:3], 0 offset:472
	buffer_load_dword v131, off, s[0:3], 0 offset:476
	s_waitcnt vmcnt(3)
	buffer_store_dword v128, off, s[0:3], 0 offset:472
	s_waitcnt vmcnt(3)
	buffer_store_dword v129, off, s[0:3], 0 offset:476
	s_waitcnt vmcnt(3)
	buffer_store_dword v130, v127, s[0:3], 0 offen
	s_waitcnt vmcnt(3)
	buffer_store_dword v131, v127, s[0:3], 0 offen offset:4
.LBB62_392:
	global_load_dword v0, v0, s[20:21] offset:232
	s_waitcnt vmcnt(0)
	v_add_u32_e32 v0, -1, v0
	v_cmp_eq_u32_e32 vcc, 58, v0
	s_cbranch_vccnz .LBB62_394
; %bb.393:
	v_lshlrev_b32_e32 v0, 3, v0
	buffer_load_dword v127, v0, s[0:3], 0 offen
	buffer_load_dword v128, v0, s[0:3], 0 offen offset:4
	buffer_load_dword v129, off, s[0:3], 0 offset:468
	buffer_load_dword v130, off, s[0:3], 0 offset:464
	s_waitcnt vmcnt(3)
	buffer_store_dword v127, off, s[0:3], 0 offset:464
	s_waitcnt vmcnt(3)
	buffer_store_dword v128, off, s[0:3], 0 offset:468
	s_waitcnt vmcnt(3)
	buffer_store_dword v129, v0, s[0:3], 0 offen offset:4
	s_waitcnt vmcnt(3)
	buffer_store_dword v130, v0, s[0:3], 0 offen
.LBB62_394:
	v_mov_b32_e32 v0, 0
	global_load_dword v127, v0, s[20:21] offset:228
	s_waitcnt vmcnt(0)
	v_add_u32_e32 v127, -1, v127
	v_cmp_eq_u32_e32 vcc, 57, v127
	s_cbranch_vccnz .LBB62_396
; %bb.395:
	v_lshlrev_b32_e32 v127, 3, v127
	buffer_load_dword v128, v127, s[0:3], 0 offen
	buffer_load_dword v129, v127, s[0:3], 0 offen offset:4
	buffer_load_dword v130, off, s[0:3], 0 offset:456
	buffer_load_dword v131, off, s[0:3], 0 offset:460
	s_waitcnt vmcnt(3)
	buffer_store_dword v128, off, s[0:3], 0 offset:456
	s_waitcnt vmcnt(3)
	buffer_store_dword v129, off, s[0:3], 0 offset:460
	s_waitcnt vmcnt(3)
	buffer_store_dword v130, v127, s[0:3], 0 offen
	s_waitcnt vmcnt(3)
	buffer_store_dword v131, v127, s[0:3], 0 offen offset:4
.LBB62_396:
	;; [unrolled: 41-line block ×30, first 2 shown]
	global_load_dword v0, v0, s[20:21]
	s_nop 0
	buffer_load_dword v127, off, s[0:3], 0
	buffer_load_dword v128, off, s[0:3], 0 offset:4
	s_waitcnt vmcnt(2)
	v_add_u32_e32 v0, -1, v0
	v_cmp_eq_u32_e32 vcc, 0, v0
	s_cbranch_vccnz .LBB62_510
; %bb.509:
	v_lshlrev_b32_e32 v0, 3, v0
	buffer_load_dword v129, v0, s[0:3], 0 offen offset:4
	buffer_load_dword v130, v0, s[0:3], 0 offen
	s_waitcnt vmcnt(1)
	buffer_store_dword v129, off, s[0:3], 0 offset:4
	s_waitcnt vmcnt(1)
	buffer_store_dword v130, off, s[0:3], 0
	buffer_store_dword v128, v0, s[0:3], 0 offen offset:4
	buffer_store_dword v127, v0, s[0:3], 0 offen
	buffer_load_dword v127, off, s[0:3], 0
	s_nop 0
	buffer_load_dword v128, off, s[0:3], 0 offset:4
.LBB62_510:
	buffer_load_dword v129, off, s[0:3], 0 offset:8
	buffer_load_dword v130, off, s[0:3], 0 offset:12
	;; [unrolled: 1-line block ×124, first 2 shown]
	s_waitcnt vmcnt(62)
	global_store_dwordx2 v[113:114], v[127:128], off
	global_store_dwordx2 v[115:116], v[129:130], off
	;; [unrolled: 1-line block ×32, first 2 shown]
	s_waitcnt vmcnt(62)
	global_store_dwordx2 v[61:62], v[191:192], off
	global_store_dwordx2 v[63:64], v[193:194], off
	;; [unrolled: 1-line block ×16, first 2 shown]
	s_waitcnt vmcnt(62)
	global_store_dwordx2 v[93:94], v[223:224], off
	global_store_dwordx2 v[95:96], v[225:226], off
	;; [unrolled: 1-line block ×8, first 2 shown]
	s_waitcnt vmcnt(62)
	global_store_dwordx2 v[109:110], v[239:240], off
	global_store_dwordx2 v[111:112], v[241:242], off
	;; [unrolled: 1-line block ×4, first 2 shown]
	s_waitcnt vmcnt(62)
	global_store_dwordx2 v[121:122], v[247:248], off
	global_store_dwordx2 v[123:124], v[249:250], off
	s_waitcnt vmcnt(62)
	global_store_dwordx2 v[125:126], v[251:252], off
	s_endpgm
	.section	.rodata,"a",@progbits
	.p2align	6, 0x0
	.amdhsa_kernel _ZN9rocsolver6v33100L18getri_kernel_smallILi63EdPdEEvT1_iilPiilS4_bb
		.amdhsa_group_segment_fixed_size 1016
		.amdhsa_private_segment_fixed_size 512
		.amdhsa_kernarg_size 60
		.amdhsa_user_sgpr_count 6
		.amdhsa_user_sgpr_private_segment_buffer 1
		.amdhsa_user_sgpr_dispatch_ptr 0
		.amdhsa_user_sgpr_queue_ptr 0
		.amdhsa_user_sgpr_kernarg_segment_ptr 1
		.amdhsa_user_sgpr_dispatch_id 0
		.amdhsa_user_sgpr_flat_scratch_init 0
		.amdhsa_user_sgpr_private_segment_size 0
		.amdhsa_uses_dynamic_stack 0
		.amdhsa_system_sgpr_private_segment_wavefront_offset 1
		.amdhsa_system_sgpr_workgroup_id_x 1
		.amdhsa_system_sgpr_workgroup_id_y 0
		.amdhsa_system_sgpr_workgroup_id_z 0
		.amdhsa_system_sgpr_workgroup_info 0
		.amdhsa_system_vgpr_workitem_id 0
		.amdhsa_next_free_vgpr 253
		.amdhsa_next_free_sgpr 24
		.amdhsa_reserve_vcc 1
		.amdhsa_reserve_flat_scratch 0
		.amdhsa_float_round_mode_32 0
		.amdhsa_float_round_mode_16_64 0
		.amdhsa_float_denorm_mode_32 3
		.amdhsa_float_denorm_mode_16_64 3
		.amdhsa_dx10_clamp 1
		.amdhsa_ieee_mode 1
		.amdhsa_fp16_overflow 0
		.amdhsa_exception_fp_ieee_invalid_op 0
		.amdhsa_exception_fp_denorm_src 0
		.amdhsa_exception_fp_ieee_div_zero 0
		.amdhsa_exception_fp_ieee_overflow 0
		.amdhsa_exception_fp_ieee_underflow 0
		.amdhsa_exception_fp_ieee_inexact 0
		.amdhsa_exception_int_div_zero 0
	.end_amdhsa_kernel
	.section	.text._ZN9rocsolver6v33100L18getri_kernel_smallILi63EdPdEEvT1_iilPiilS4_bb,"axG",@progbits,_ZN9rocsolver6v33100L18getri_kernel_smallILi63EdPdEEvT1_iilPiilS4_bb,comdat
.Lfunc_end62:
	.size	_ZN9rocsolver6v33100L18getri_kernel_smallILi63EdPdEEvT1_iilPiilS4_bb, .Lfunc_end62-_ZN9rocsolver6v33100L18getri_kernel_smallILi63EdPdEEvT1_iilPiilS4_bb
                                        ; -- End function
	.set _ZN9rocsolver6v33100L18getri_kernel_smallILi63EdPdEEvT1_iilPiilS4_bb.num_vgpr, 253
	.set _ZN9rocsolver6v33100L18getri_kernel_smallILi63EdPdEEvT1_iilPiilS4_bb.num_agpr, 0
	.set _ZN9rocsolver6v33100L18getri_kernel_smallILi63EdPdEEvT1_iilPiilS4_bb.numbered_sgpr, 24
	.set _ZN9rocsolver6v33100L18getri_kernel_smallILi63EdPdEEvT1_iilPiilS4_bb.num_named_barrier, 0
	.set _ZN9rocsolver6v33100L18getri_kernel_smallILi63EdPdEEvT1_iilPiilS4_bb.private_seg_size, 512
	.set _ZN9rocsolver6v33100L18getri_kernel_smallILi63EdPdEEvT1_iilPiilS4_bb.uses_vcc, 1
	.set _ZN9rocsolver6v33100L18getri_kernel_smallILi63EdPdEEvT1_iilPiilS4_bb.uses_flat_scratch, 0
	.set _ZN9rocsolver6v33100L18getri_kernel_smallILi63EdPdEEvT1_iilPiilS4_bb.has_dyn_sized_stack, 0
	.set _ZN9rocsolver6v33100L18getri_kernel_smallILi63EdPdEEvT1_iilPiilS4_bb.has_recursion, 0
	.set _ZN9rocsolver6v33100L18getri_kernel_smallILi63EdPdEEvT1_iilPiilS4_bb.has_indirect_call, 0
	.section	.AMDGPU.csdata,"",@progbits
; Kernel info:
; codeLenInByte = 93300
; TotalNumSgprs: 28
; NumVgprs: 253
; ScratchSize: 512
; MemoryBound: 1
; FloatMode: 240
; IeeeMode: 1
; LDSByteSize: 1016 bytes/workgroup (compile time only)
; SGPRBlocks: 3
; VGPRBlocks: 63
; NumSGPRsForWavesPerEU: 28
; NumVGPRsForWavesPerEU: 253
; Occupancy: 1
; WaveLimiterHint : 1
; COMPUTE_PGM_RSRC2:SCRATCH_EN: 1
; COMPUTE_PGM_RSRC2:USER_SGPR: 6
; COMPUTE_PGM_RSRC2:TRAP_HANDLER: 0
; COMPUTE_PGM_RSRC2:TGID_X_EN: 1
; COMPUTE_PGM_RSRC2:TGID_Y_EN: 0
; COMPUTE_PGM_RSRC2:TGID_Z_EN: 0
; COMPUTE_PGM_RSRC2:TIDIG_COMP_CNT: 0
	.section	.text._ZN9rocsolver6v33100L18getri_kernel_smallILi64EdPdEEvT1_iilPiilS4_bb,"axG",@progbits,_ZN9rocsolver6v33100L18getri_kernel_smallILi64EdPdEEvT1_iilPiilS4_bb,comdat
	.globl	_ZN9rocsolver6v33100L18getri_kernel_smallILi64EdPdEEvT1_iilPiilS4_bb ; -- Begin function _ZN9rocsolver6v33100L18getri_kernel_smallILi64EdPdEEvT1_iilPiilS4_bb
	.p2align	8
	.type	_ZN9rocsolver6v33100L18getri_kernel_smallILi64EdPdEEvT1_iilPiilS4_bb,@function
_ZN9rocsolver6v33100L18getri_kernel_smallILi64EdPdEEvT1_iilPiilS4_bb: ; @_ZN9rocsolver6v33100L18getri_kernel_smallILi64EdPdEEvT1_iilPiilS4_bb
; %bb.0:
	s_add_u32 s0, s0, s7
	s_addc_u32 s1, s1, 0
	v_cmp_gt_u32_e32 vcc, 64, v0
	s_and_saveexec_b64 s[8:9], vcc
	s_cbranch_execz .LBB63_264
; %bb.1:
	s_load_dword s12, s[4:5], 0x38
	s_load_dwordx4 s[16:19], s[4:5], 0x10
	s_load_dwordx4 s[8:11], s[4:5], 0x28
                                        ; implicit-def: $sgpr20_sgpr21
	s_waitcnt lgkmcnt(0)
	s_bitcmp1_b32 s12, 8
	s_cselect_b64 s[22:23], -1, 0
	s_ashr_i32 s7, s6, 31
	s_bfe_u32 s12, s12, 0x10008
	s_cmp_eq_u32 s12, 0
	s_cbranch_scc1 .LBB63_3
; %bb.2:
	s_load_dword s12, s[4:5], 0x20
	s_mul_i32 s13, s8, s7
	s_mul_hi_u32 s14, s8, s6
	s_mul_i32 s9, s9, s6
	s_add_i32 s14, s14, s13
	s_add_i32 s9, s14, s9
	s_mul_i32 s8, s8, s6
	s_waitcnt lgkmcnt(0)
	s_ashr_i32 s13, s12, 31
	s_lshl_b64 s[8:9], s[8:9], 2
	s_add_u32 s14, s18, s8
	s_addc_u32 s15, s19, s9
	s_lshl_b64 s[8:9], s[12:13], 2
	s_add_u32 s20, s14, s8
	s_addc_u32 s21, s15, s9
.LBB63_3:
	s_load_dwordx4 s[12:15], s[4:5], 0x0
	s_load_dword s8, s[4:5], 0x38
	s_mul_i32 s9, s16, s7
	s_mul_hi_u32 s18, s16, s6
	s_add_i32 s9, s18, s9
	s_waitcnt lgkmcnt(0)
	s_ashr_i32 s5, s14, 31
	s_mov_b32 s4, s14
	s_mul_i32 s14, s17, s6
	s_add_i32 s17, s9, s14
	s_mul_i32 s16, s16, s6
	s_lshl_b64 s[16:17], s[16:17], 3
	s_add_u32 s9, s12, s16
	s_addc_u32 s12, s13, s17
	s_lshl_b64 s[4:5], s[4:5], 3
	s_add_u32 s4, s9, s4
	s_addc_u32 s5, s12, s5
	s_add_i32 s9, s15, s15
	v_add_u32_e32 v3, s9, v0
	v_ashrrev_i32_e32 v4, 31, v3
	v_lshlrev_b64 v[1:2], 3, v[3:4]
	v_add_u32_e32 v5, s15, v3
	v_mov_b32_e32 v4, s5
	v_add_co_u32_e32 v1, vcc, s4, v1
	v_ashrrev_i32_e32 v6, 31, v5
	v_addc_co_u32_e32 v2, vcc, v4, v2, vcc
	v_lshlrev_b64 v[3:4], 3, v[5:6]
	v_add_u32_e32 v7, s15, v5
	v_mov_b32_e32 v6, s5
	v_add_co_u32_e32 v3, vcc, s4, v3
	v_ashrrev_i32_e32 v8, 31, v7
	v_addc_co_u32_e32 v4, vcc, v6, v4, vcc
	;; [unrolled: 6-line block ×8, first 2 shown]
	v_lshlrev_b64 v[17:18], 3, v[19:20]
	v_mov_b32_e32 v21, s5
	v_add_co_u32_e32 v17, vcc, s4, v17
	v_addc_co_u32_e32 v18, vcc, v21, v18, vcc
	v_add_u32_e32 v21, s15, v19
	v_ashrrev_i32_e32 v22, 31, v21
	v_lshlrev_b64 v[19:20], 3, v[21:22]
	v_mov_b32_e32 v23, s5
	v_add_co_u32_e32 v19, vcc, s4, v19
	v_addc_co_u32_e32 v20, vcc, v23, v20, vcc
	v_add_u32_e32 v23, s15, v21
	v_ashrrev_i32_e32 v24, 31, v23
	;; [unrolled: 6-line block ×46, first 2 shown]
	v_lshlrev_b32_e32 v131, 3, v0
	v_lshlrev_b64 v[109:110], 3, v[111:112]
	v_mov_b32_e32 v112, s5
	v_add_co_u32_e32 v127, vcc, s4, v131
	s_ashr_i32 s13, s15, 31
	s_mov_b32 s12, s15
	v_addc_co_u32_e32 v128, vcc, 0, v112, vcc
	s_lshl_b64 s[12:13], s[12:13], 3
	global_load_dwordx2 v[129:130], v131, s[4:5]
	global_load_dwordx2 v[134:135], v[1:2], off
	global_load_dwordx2 v[136:137], v[3:4], off
	global_load_dwordx2 v[138:139], v[5:6], off
	v_mov_b32_e32 v112, s13
	v_add_co_u32_e32 v115, vcc, s12, v127
	v_addc_co_u32_e32 v116, vcc, v128, v112, vcc
	global_load_dwordx2 v[132:133], v[115:116], off
	global_load_dwordx2 v[140:141], v[7:8], off
	;; [unrolled: 1-line block ×11, first 2 shown]
	v_mov_b32_e32 v113, s5
	v_add_co_u32_e32 v109, vcc, s4, v109
	v_addc_co_u32_e32 v110, vcc, v113, v110, vcc
	v_add_u32_e32 v113, s15, v111
	v_ashrrev_i32_e32 v114, 31, v113
	v_lshlrev_b64 v[111:112], 3, v[113:114]
	v_mov_b32_e32 v117, s5
	v_add_co_u32_e32 v111, vcc, s4, v111
	v_addc_co_u32_e32 v112, vcc, v117, v112, vcc
	v_add_u32_e32 v117, s15, v113
	v_ashrrev_i32_e32 v118, 31, v117
	v_lshlrev_b64 v[113:114], 3, v[117:118]
	;; [unrolled: 6-line block ×3, first 2 shown]
	v_mov_b32_e32 v121, s5
	v_add_co_u32_e32 v117, vcc, s4, v117
	global_load_dwordx2 v[160:161], v[27:28], off
	global_load_dwordx2 v[162:163], v[29:30], off
	v_addc_co_u32_e32 v118, vcc, v121, v118, vcc
	v_add_u32_e32 v121, s15, v119
	v_ashrrev_i32_e32 v122, 31, v121
	v_lshlrev_b64 v[119:120], 3, v[121:122]
	v_mov_b32_e32 v123, s5
	v_add_co_u32_e32 v119, vcc, s4, v119
	v_addc_co_u32_e32 v120, vcc, v123, v120, vcc
	v_add_u32_e32 v123, s15, v121
	v_ashrrev_i32_e32 v124, 31, v123
	v_lshlrev_b64 v[121:122], 3, v[123:124]
	global_load_dwordx2 v[164:165], v[31:32], off
	global_load_dwordx2 v[166:167], v[33:34], off
	v_mov_b32_e32 v125, s5
	v_add_co_u32_e32 v121, vcc, s4, v121
	v_addc_co_u32_e32 v122, vcc, v125, v122, vcc
	v_add_u32_e32 v125, s15, v123
	v_ashrrev_i32_e32 v126, 31, v125
	v_lshlrev_b64 v[123:124], 3, v[125:126]
	v_mov_b32_e32 v168, s5
	v_add_co_u32_e32 v123, vcc, s4, v123
	v_addc_co_u32_e32 v124, vcc, v168, v124, vcc
	global_load_dwordx2 v[168:169], v[35:36], off
	global_load_dwordx2 v[170:171], v[37:38], off
	v_add_u32_e32 v125, s15, v125
	v_ashrrev_i32_e32 v126, 31, v125
	v_lshlrev_b64 v[125:126], 3, v[125:126]
	v_mov_b32_e32 v172, s5
	v_add_co_u32_e32 v125, vcc, s4, v125
	v_addc_co_u32_e32 v126, vcc, v172, v126, vcc
	global_load_dwordx2 v[172:173], v[39:40], off
	s_waitcnt vmcnt(21)
	buffer_store_dword v130, off, s[0:3], 0 offset:4
	buffer_store_dword v129, off, s[0:3], 0
	s_waitcnt vmcnt(19)
	buffer_store_dword v133, off, s[0:3], 0 offset:12
	global_load_dwordx2 v[129:130], v[41:42], off
	s_nop 0
	buffer_store_dword v132, off, s[0:3], 0 offset:8
	buffer_store_dword v135, off, s[0:3], 0 offset:20
	;; [unrolled: 1-line block ×3, first 2 shown]
	global_load_dwordx2 v[132:133], v[43:44], off
	s_nop 0
	buffer_store_dword v137, off, s[0:3], 0 offset:28
	buffer_store_dword v136, off, s[0:3], 0 offset:24
	global_load_dwordx2 v[134:135], v[45:46], off
	global_load_dwordx2 v[174:175], v[51:52], off
	;; [unrolled: 1-line block ×21, first 2 shown]
	s_bitcmp0_b32 s8, 0
	buffer_store_dword v139, off, s[0:3], 0 offset:36
	buffer_store_dword v138, off, s[0:3], 0 offset:32
	global_load_dwordx2 v[138:139], v[49:50], off
	s_mov_b64 s[8:9], -1
	s_waitcnt vmcnt(50)
	buffer_store_dword v141, off, s[0:3], 0 offset:44
	buffer_store_dword v140, off, s[0:3], 0 offset:40
	global_load_dwordx2 v[140:141], v[53:54], off
	s_waitcnt vmcnt(52)
	buffer_store_dword v143, off, s[0:3], 0 offset:52
	buffer_store_dword v142, off, s[0:3], 0 offset:48
	global_load_dwordx2 v[142:143], v[57:58], off
	;; [unrolled: 4-line block ×8, first 2 shown]
	s_nop 0
	buffer_store_dword v156, off, s[0:3], 0 offset:104
	buffer_store_dword v157, off, s[0:3], 0 offset:108
	global_load_dwordx2 v[156:157], v[85:86], off
	s_nop 0
	buffer_store_dword v159, off, s[0:3], 0 offset:116
	buffer_store_dword v158, off, s[0:3], 0 offset:112
	global_load_dwordx2 v[158:159], v[89:90], off
	s_waitcnt vmcnt(62)
	buffer_store_dword v160, off, s[0:3], 0 offset:120
	buffer_store_dword v161, off, s[0:3], 0 offset:124
	global_load_dwordx2 v[160:161], v[93:94], off
	s_nop 0
	buffer_store_dword v162, off, s[0:3], 0 offset:128
	buffer_store_dword v163, off, s[0:3], 0 offset:132
	global_load_dwordx2 v[162:163], v[97:98], off
	s_nop 0
	buffer_store_dword v164, off, s[0:3], 0 offset:136
	buffer_store_dword v165, off, s[0:3], 0 offset:140
	global_load_dwordx2 v[164:165], v[101:102], off
	s_nop 0
	buffer_store_dword v166, off, s[0:3], 0 offset:144
	buffer_store_dword v167, off, s[0:3], 0 offset:148
	global_load_dwordx2 v[166:167], v[105:106], off
	s_nop 0
	buffer_store_dword v169, off, s[0:3], 0 offset:156
	buffer_store_dword v168, off, s[0:3], 0 offset:152
	global_load_dwordx2 v[168:169], v[109:110], off
	s_nop 0
	buffer_store_dword v171, off, s[0:3], 0 offset:164
	buffer_store_dword v170, off, s[0:3], 0 offset:160
	global_load_dwordx2 v[170:171], v[113:114], off
	s_nop 0
	buffer_store_dword v172, off, s[0:3], 0 offset:168
	buffer_store_dword v173, off, s[0:3], 0 offset:172
	global_load_dwordx2 v[172:173], v[119:120], off
	s_waitcnt vmcnt(62)
	buffer_store_dword v129, off, s[0:3], 0 offset:176
	buffer_store_dword v130, off, s[0:3], 0 offset:180
	global_load_dwordx2 v[129:130], v[123:124], off
	s_nop 0
	buffer_store_dword v132, off, s[0:3], 0 offset:184
	buffer_store_dword v133, off, s[0:3], 0 offset:188
	;; [unrolled: 1-line block ×6, first 2 shown]
	s_waitcnt vmcnt(60)
	buffer_store_dword v139, off, s[0:3], 0 offset:212
	buffer_store_dword v138, off, s[0:3], 0 offset:208
	buffer_store_dword v174, off, s[0:3], 0 offset:216
	buffer_store_dword v175, off, s[0:3], 0 offset:220
	s_waitcnt vmcnt(61)
	buffer_store_dword v140, off, s[0:3], 0 offset:224
	buffer_store_dword v141, off, s[0:3], 0 offset:228
	buffer_store_dword v176, off, s[0:3], 0 offset:232
	buffer_store_dword v177, off, s[0:3], 0 offset:236
	;; [unrolled: 5-line block ×6, first 2 shown]
	buffer_store_dword v151, off, s[0:3], 0 offset:308
	buffer_store_dword v150, off, s[0:3], 0 offset:304
	;; [unrolled: 1-line block ×4, first 2 shown]
	s_waitcnt vmcnt(62)
	buffer_store_dword v152, off, s[0:3], 0 offset:320
	buffer_store_dword v153, off, s[0:3], 0 offset:324
	;; [unrolled: 1-line block ×8, first 2 shown]
	s_waitcnt vmcnt(62)
	buffer_store_dword v157, off, s[0:3], 0 offset:356
	buffer_store_dword v156, off, s[0:3], 0 offset:352
	;; [unrolled: 1-line block ×12, first 2 shown]
	s_waitcnt vmcnt(62)
	buffer_store_dword v163, off, s[0:3], 0 offset:404
	buffer_store_dword v162, off, s[0:3], 0 offset:400
	;; [unrolled: 1-line block ×16, first 2 shown]
	s_waitcnt vmcnt(62)
	buffer_store_dword v170, off, s[0:3], 0 offset:464
	buffer_store_dword v171, off, s[0:3], 0 offset:468
	;; [unrolled: 1-line block ×12, first 2 shown]
	s_cbranch_scc1 .LBB63_262
; %bb.4:
	v_cmp_eq_u32_e64 s[4:5], 0, v0
	s_and_saveexec_b64 s[8:9], s[4:5]
; %bb.5:
	v_mov_b32_e32 v129, 0
	ds_write_b32 v129, v129 offset:1024
; %bb.6:
	s_or_b64 exec, exec, s[8:9]
	v_mov_b32_e32 v129, 0
	v_lshl_add_u32 v129, v0, 3, v129
	s_waitcnt lgkmcnt(0)
	; wave barrier
	buffer_load_dword v132, v129, s[0:3], 0 offen
	buffer_load_dword v133, v129, s[0:3], 0 offen offset:4
	s_waitcnt vmcnt(0)
	v_cmp_eq_f64_e32 vcc, 0, v[132:133]
	s_and_saveexec_b64 s[12:13], vcc
	s_cbranch_execz .LBB63_10
; %bb.7:
	v_mov_b32_e32 v130, 0
	ds_read_b32 v133, v130 offset:1024
	v_add_u32_e32 v132, 1, v0
	s_waitcnt lgkmcnt(0)
	v_readfirstlane_b32 s8, v133
	s_cmp_eq_u32 s8, 0
	s_cselect_b64 s[14:15], -1, 0
	v_cmp_gt_i32_e32 vcc, s8, v132
	s_or_b64 s[14:15], s[14:15], vcc
	s_and_b64 exec, exec, s[14:15]
	s_cbranch_execz .LBB63_10
; %bb.8:
	s_mov_b64 s[14:15], 0
	v_mov_b32_e32 v133, s8
.LBB63_9:                               ; =>This Inner Loop Header: Depth=1
	ds_cmpst_rtn_b32 v133, v130, v133, v132 offset:1024
	s_waitcnt lgkmcnt(0)
	v_cmp_ne_u32_e32 vcc, 0, v133
	v_cmp_le_i32_e64 s[8:9], v133, v132
	s_and_b64 s[8:9], vcc, s[8:9]
	s_and_b64 s[8:9], exec, s[8:9]
	s_or_b64 s[14:15], s[8:9], s[14:15]
	s_andn2_b64 exec, exec, s[14:15]
	s_cbranch_execnz .LBB63_9
.LBB63_10:
	s_or_b64 exec, exec, s[12:13]
	v_mov_b32_e32 v132, 0
	; wave barrier
	ds_read_b32 v130, v132 offset:1024
	s_and_saveexec_b64 s[8:9], s[4:5]
	s_cbranch_execz .LBB63_12
; %bb.11:
	s_lshl_b64 s[12:13], s[6:7], 2
	s_add_u32 s12, s10, s12
	s_addc_u32 s13, s11, s13
	s_waitcnt lgkmcnt(0)
	global_store_dword v132, v130, s[12:13]
.LBB63_12:
	s_or_b64 exec, exec, s[8:9]
	s_waitcnt lgkmcnt(0)
	v_cmp_ne_u32_e32 vcc, 0, v130
	s_mov_b64 s[8:9], 0
	s_cbranch_vccnz .LBB63_262
; %bb.13:
	buffer_load_dword v132, v129, s[0:3], 0 offen
	buffer_load_dword v133, v129, s[0:3], 0 offen offset:4
	s_waitcnt vmcnt(0)
	v_div_scale_f64 v[134:135], s[8:9], v[132:133], v[132:133], 1.0
	v_rcp_f64_e32 v[136:137], v[134:135]
	v_fma_f64 v[138:139], -v[134:135], v[136:137], 1.0
	v_fma_f64 v[136:137], v[136:137], v[138:139], v[136:137]
	v_div_scale_f64 v[138:139], vcc, 1.0, v[132:133], 1.0
	v_fma_f64 v[140:141], -v[134:135], v[136:137], 1.0
	v_fma_f64 v[136:137], v[136:137], v[140:141], v[136:137]
	v_mul_f64 v[140:141], v[138:139], v[136:137]
	v_fma_f64 v[134:135], -v[134:135], v[140:141], v[138:139]
	v_div_fmas_f64 v[134:135], v[134:135], v[136:137], v[140:141]
	v_div_fixup_f64 v[133:134], v[134:135], v[132:133], 1.0
	v_or_b32_e32 v132, 0x200, v131
	buffer_store_dword v134, v129, s[0:3], 0 offen offset:4
	buffer_store_dword v133, v129, s[0:3], 0 offen
	buffer_load_dword v136, off, s[0:3], 0 offset:12
	buffer_load_dword v135, off, s[0:3], 0 offset:8
	v_xor_b32_e32 v134, 0x80000000, v134
	s_waitcnt vmcnt(0)
	ds_write2st64_b64 v131, v[133:134], v[135:136] offset1:1
	s_waitcnt lgkmcnt(0)
	; wave barrier
	s_and_saveexec_b64 s[8:9], s[4:5]
	s_cbranch_execz .LBB63_15
; %bb.14:
	buffer_load_dword v133, v129, s[0:3], 0 offen
	buffer_load_dword v134, v129, s[0:3], 0 offen offset:4
	ds_read_b64 v[135:136], v132
	v_mov_b32_e32 v130, 0
	ds_read_b64 v[137:138], v130 offset:8
	s_waitcnt vmcnt(0) lgkmcnt(1)
	v_fma_f64 v[133:134], v[133:134], v[135:136], 0
	s_waitcnt lgkmcnt(0)
	v_mul_f64 v[133:134], v[133:134], v[137:138]
	buffer_store_dword v133, off, s[0:3], 0 offset:8
	buffer_store_dword v134, off, s[0:3], 0 offset:12
.LBB63_15:
	s_or_b64 exec, exec, s[8:9]
	; wave barrier
	buffer_load_dword v133, off, s[0:3], 0 offset:16
	buffer_load_dword v134, off, s[0:3], 0 offset:20
	v_cmp_gt_u32_e32 vcc, 2, v0
	s_waitcnt vmcnt(0)
	ds_write_b64 v132, v[133:134]
	s_waitcnt lgkmcnt(0)
	; wave barrier
	s_and_saveexec_b64 s[8:9], vcc
	s_cbranch_execz .LBB63_17
; %bb.16:
	buffer_load_dword v133, v129, s[0:3], 0 offen
	buffer_load_dword v134, v129, s[0:3], 0 offen offset:4
	s_nop 0
	buffer_load_dword v129, off, s[0:3], 0 offset:8
	buffer_load_dword v130, off, s[0:3], 0 offset:12
	ds_read_b64 v[135:136], v132
	s_waitcnt vmcnt(2) lgkmcnt(0)
	v_fma_f64 v[137:138], v[133:134], v[135:136], 0
	v_mov_b32_e32 v133, 0
	ds_read2_b64 v[133:136], v133 offset0:2 offset1:65
	s_waitcnt vmcnt(0) lgkmcnt(0)
	v_fma_f64 v[129:130], v[129:130], v[135:136], v[137:138]
	v_cndmask_b32_e64 v130, v138, v130, s[4:5]
	v_cndmask_b32_e64 v129, v137, v129, s[4:5]
	v_mul_f64 v[129:130], v[129:130], v[133:134]
	buffer_store_dword v130, off, s[0:3], 0 offset:20
	buffer_store_dword v129, off, s[0:3], 0 offset:16
.LBB63_17:
	s_or_b64 exec, exec, s[8:9]
	; wave barrier
	buffer_load_dword v129, off, s[0:3], 0 offset:24
	buffer_load_dword v130, off, s[0:3], 0 offset:28
	v_cmp_gt_u32_e32 vcc, 3, v0
	v_add_u32_e32 v133, -1, v0
	s_waitcnt vmcnt(0)
	ds_write_b64 v132, v[129:130]
	s_waitcnt lgkmcnt(0)
	; wave barrier
	s_and_saveexec_b64 s[4:5], vcc
	s_cbranch_execz .LBB63_21
; %bb.18:
	v_mov_b32_e32 v129, 0
	v_add_u32_e32 v134, -1, v0
	v_or_b32_e32 v135, 0x200, v131
	v_mov_b32_e32 v136, v131
	v_mov_b32_e32 v130, 0
	s_mov_b64 s[8:9], 0
.LBB63_19:                              ; =>This Inner Loop Header: Depth=1
	buffer_load_dword v137, v136, s[0:3], 0 offen
	buffer_load_dword v138, v136, s[0:3], 0 offen offset:4
	ds_read_b64 v[139:140], v135
	v_add_u32_e32 v134, 1, v134
	v_cmp_lt_u32_e32 vcc, 1, v134
	v_add_u32_e32 v135, 8, v135
	s_or_b64 s[8:9], vcc, s[8:9]
	v_add_u32_e32 v136, 8, v136
	s_waitcnt vmcnt(0) lgkmcnt(0)
	v_fma_f64 v[129:130], v[137:138], v[139:140], v[129:130]
	s_andn2_b64 exec, exec, s[8:9]
	s_cbranch_execnz .LBB63_19
; %bb.20:
	s_or_b64 exec, exec, s[8:9]
	v_mov_b32_e32 v134, 0
	ds_read_b64 v[134:135], v134 offset:24
	s_waitcnt lgkmcnt(0)
	v_mul_f64 v[129:130], v[129:130], v[134:135]
	buffer_store_dword v130, off, s[0:3], 0 offset:28
	buffer_store_dword v129, off, s[0:3], 0 offset:24
.LBB63_21:
	s_or_b64 exec, exec, s[4:5]
	; wave barrier
	buffer_load_dword v129, off, s[0:3], 0 offset:32
	buffer_load_dword v130, off, s[0:3], 0 offset:36
	v_cmp_gt_u32_e32 vcc, 4, v0
	s_waitcnt vmcnt(0)
	ds_write_b64 v132, v[129:130]
	s_waitcnt lgkmcnt(0)
	; wave barrier
	s_and_saveexec_b64 s[4:5], vcc
	s_cbranch_execz .LBB63_25
; %bb.22:
	v_mov_b32_e32 v129, 0
	v_add_u32_e32 v134, -1, v0
	v_or_b32_e32 v135, 0x200, v131
	v_mov_b32_e32 v136, v131
	v_mov_b32_e32 v130, 0
	s_mov_b64 s[8:9], 0
.LBB63_23:                              ; =>This Inner Loop Header: Depth=1
	buffer_load_dword v137, v136, s[0:3], 0 offen
	buffer_load_dword v138, v136, s[0:3], 0 offen offset:4
	ds_read_b64 v[139:140], v135
	v_add_u32_e32 v134, 1, v134
	v_cmp_lt_u32_e32 vcc, 2, v134
	v_add_u32_e32 v135, 8, v135
	s_or_b64 s[8:9], vcc, s[8:9]
	v_add_u32_e32 v136, 8, v136
	s_waitcnt vmcnt(0) lgkmcnt(0)
	v_fma_f64 v[129:130], v[137:138], v[139:140], v[129:130]
	s_andn2_b64 exec, exec, s[8:9]
	s_cbranch_execnz .LBB63_23
; %bb.24:
	s_or_b64 exec, exec, s[8:9]
	v_mov_b32_e32 v134, 0
	ds_read_b64 v[134:135], v134 offset:32
	s_waitcnt lgkmcnt(0)
	v_mul_f64 v[129:130], v[129:130], v[134:135]
	buffer_store_dword v130, off, s[0:3], 0 offset:36
	buffer_store_dword v129, off, s[0:3], 0 offset:32
.LBB63_25:
	s_or_b64 exec, exec, s[4:5]
	; wave barrier
	buffer_load_dword v129, off, s[0:3], 0 offset:40
	buffer_load_dword v130, off, s[0:3], 0 offset:44
	v_cmp_gt_u32_e32 vcc, 5, v0
	;; [unrolled: 40-line block ×21, first 2 shown]
	s_waitcnt vmcnt(0)
	ds_write_b64 v132, v[129:130]
	s_waitcnt lgkmcnt(0)
	; wave barrier
	s_and_saveexec_b64 s[4:5], vcc
	s_cbranch_execz .LBB63_105
; %bb.102:
	v_mov_b32_e32 v129, 0
	v_add_u32_e32 v134, -1, v0
	v_or_b32_e32 v135, 0x200, v131
	v_mov_b32_e32 v136, v131
	v_mov_b32_e32 v130, 0
	s_mov_b64 s[8:9], 0
.LBB63_103:                             ; =>This Inner Loop Header: Depth=1
	buffer_load_dword v137, v136, s[0:3], 0 offen
	buffer_load_dword v138, v136, s[0:3], 0 offen offset:4
	ds_read_b64 v[139:140], v135
	v_add_u32_e32 v134, 1, v134
	v_cmp_lt_u32_e32 vcc, 22, v134
	v_add_u32_e32 v135, 8, v135
	s_or_b64 s[8:9], vcc, s[8:9]
	v_add_u32_e32 v136, 8, v136
	s_waitcnt vmcnt(0) lgkmcnt(0)
	v_fma_f64 v[129:130], v[137:138], v[139:140], v[129:130]
	s_andn2_b64 exec, exec, s[8:9]
	s_cbranch_execnz .LBB63_103
; %bb.104:
	s_or_b64 exec, exec, s[8:9]
	v_mov_b32_e32 v134, 0
	ds_read_b64 v[134:135], v134 offset:192
	s_waitcnt lgkmcnt(0)
	v_mul_f64 v[129:130], v[129:130], v[134:135]
	buffer_store_dword v130, off, s[0:3], 0 offset:196
	buffer_store_dword v129, off, s[0:3], 0 offset:192
.LBB63_105:
	s_or_b64 exec, exec, s[4:5]
	; wave barrier
	buffer_load_dword v129, off, s[0:3], 0 offset:200
	buffer_load_dword v130, off, s[0:3], 0 offset:204
	v_cmp_gt_u32_e32 vcc, 25, v0
	s_waitcnt vmcnt(0)
	ds_write_b64 v132, v[129:130]
	s_waitcnt lgkmcnt(0)
	; wave barrier
	s_and_saveexec_b64 s[4:5], vcc
	s_cbranch_execz .LBB63_109
; %bb.106:
	v_mov_b32_e32 v129, 0
	v_add_u32_e32 v134, -1, v0
	v_or_b32_e32 v135, 0x200, v131
	v_mov_b32_e32 v136, v131
	v_mov_b32_e32 v130, 0
	s_mov_b64 s[8:9], 0
.LBB63_107:                             ; =>This Inner Loop Header: Depth=1
	buffer_load_dword v137, v136, s[0:3], 0 offen
	buffer_load_dword v138, v136, s[0:3], 0 offen offset:4
	ds_read_b64 v[139:140], v135
	v_add_u32_e32 v134, 1, v134
	v_cmp_lt_u32_e32 vcc, 23, v134
	v_add_u32_e32 v135, 8, v135
	s_or_b64 s[8:9], vcc, s[8:9]
	v_add_u32_e32 v136, 8, v136
	s_waitcnt vmcnt(0) lgkmcnt(0)
	v_fma_f64 v[129:130], v[137:138], v[139:140], v[129:130]
	s_andn2_b64 exec, exec, s[8:9]
	s_cbranch_execnz .LBB63_107
; %bb.108:
	s_or_b64 exec, exec, s[8:9]
	v_mov_b32_e32 v134, 0
	ds_read_b64 v[134:135], v134 offset:200
	s_waitcnt lgkmcnt(0)
	v_mul_f64 v[129:130], v[129:130], v[134:135]
	buffer_store_dword v130, off, s[0:3], 0 offset:204
	buffer_store_dword v129, off, s[0:3], 0 offset:200
.LBB63_109:
	s_or_b64 exec, exec, s[4:5]
	; wave barrier
	buffer_load_dword v129, off, s[0:3], 0 offset:208
	buffer_load_dword v130, off, s[0:3], 0 offset:212
	v_cmp_gt_u32_e32 vcc, 26, v0
	;; [unrolled: 40-line block ×38, first 2 shown]
	s_waitcnt vmcnt(0)
	ds_write_b64 v132, v[129:130]
	s_waitcnt lgkmcnt(0)
	; wave barrier
	s_and_saveexec_b64 s[4:5], vcc
	s_cbranch_execz .LBB63_257
; %bb.254:
	v_mov_b32_e32 v129, 0
	v_add_u32_e32 v134, -1, v0
	v_or_b32_e32 v135, 0x200, v131
	v_mov_b32_e32 v136, v131
	v_mov_b32_e32 v130, 0
	s_mov_b64 s[8:9], 0
.LBB63_255:                             ; =>This Inner Loop Header: Depth=1
	buffer_load_dword v137, v136, s[0:3], 0 offen
	buffer_load_dword v138, v136, s[0:3], 0 offen offset:4
	ds_read_b64 v[139:140], v135
	v_add_u32_e32 v134, 1, v134
	v_cmp_lt_u32_e32 vcc, 60, v134
	v_add_u32_e32 v135, 8, v135
	s_or_b64 s[8:9], vcc, s[8:9]
	v_add_u32_e32 v136, 8, v136
	s_waitcnt vmcnt(0) lgkmcnt(0)
	v_fma_f64 v[129:130], v[137:138], v[139:140], v[129:130]
	s_andn2_b64 exec, exec, s[8:9]
	s_cbranch_execnz .LBB63_255
; %bb.256:
	s_or_b64 exec, exec, s[8:9]
	v_mov_b32_e32 v134, 0
	ds_read_b64 v[134:135], v134 offset:496
	s_waitcnt lgkmcnt(0)
	v_mul_f64 v[129:130], v[129:130], v[134:135]
	buffer_store_dword v130, off, s[0:3], 0 offset:500
	buffer_store_dword v129, off, s[0:3], 0 offset:496
.LBB63_257:
	s_or_b64 exec, exec, s[4:5]
	; wave barrier
	buffer_load_dword v129, off, s[0:3], 0 offset:504
	buffer_load_dword v130, off, s[0:3], 0 offset:508
	v_cmp_ne_u32_e32 vcc, 63, v0
	s_waitcnt vmcnt(0)
	ds_write_b64 v132, v[129:130]
	s_waitcnt lgkmcnt(0)
	; wave barrier
	s_and_saveexec_b64 s[4:5], vcc
	s_cbranch_execz .LBB63_261
; %bb.258:
	v_mov_b32_e32 v129, 0
	v_or_b32_e32 v132, 0x200, v131
	v_mov_b32_e32 v130, 0
	s_mov_b64 s[8:9], 0
.LBB63_259:                             ; =>This Inner Loop Header: Depth=1
	buffer_load_dword v134, v131, s[0:3], 0 offen
	buffer_load_dword v135, v131, s[0:3], 0 offen offset:4
	ds_read_b64 v[136:137], v132
	v_add_u32_e32 v133, 1, v133
	v_cmp_lt_u32_e32 vcc, 61, v133
	v_add_u32_e32 v132, 8, v132
	s_or_b64 s[8:9], vcc, s[8:9]
	v_add_u32_e32 v131, 8, v131
	s_waitcnt vmcnt(0) lgkmcnt(0)
	v_fma_f64 v[129:130], v[134:135], v[136:137], v[129:130]
	s_andn2_b64 exec, exec, s[8:9]
	s_cbranch_execnz .LBB63_259
; %bb.260:
	s_or_b64 exec, exec, s[8:9]
	v_mov_b32_e32 v131, 0
	ds_read_b64 v[131:132], v131 offset:504
	s_waitcnt lgkmcnt(0)
	v_mul_f64 v[129:130], v[129:130], v[131:132]
	buffer_store_dword v130, off, s[0:3], 0 offset:508
	buffer_store_dword v129, off, s[0:3], 0 offset:504
.LBB63_261:
	s_or_b64 exec, exec, s[4:5]
	s_mov_b64 s[8:9], -1
	; wave barrier
.LBB63_262:
	s_and_b64 vcc, exec, s[8:9]
	s_cbranch_vccz .LBB63_264
; %bb.263:
	s_lshl_b64 s[4:5], s[6:7], 2
	s_add_u32 s4, s10, s4
	s_addc_u32 s5, s11, s5
	v_mov_b32_e32 v129, 0
	global_load_dword v129, v129, s[4:5]
	s_waitcnt vmcnt(0)
	v_cmp_ne_u32_e32 vcc, 0, v129
	s_cbranch_vccz .LBB63_265
.LBB63_264:
	s_endpgm
.LBB63_265:
	v_mov_b32_e32 v129, 0x200
	v_lshl_or_b32 v129, v0, 3, v129
	v_cmp_eq_u32_e32 vcc, 63, v0
	s_and_saveexec_b64 s[4:5], vcc
	s_cbranch_execz .LBB63_267
; %bb.266:
	buffer_load_dword v130, off, s[0:3], 0 offset:496
	buffer_load_dword v131, off, s[0:3], 0 offset:500
	v_mov_b32_e32 v132, 0
	buffer_store_dword v132, off, s[0:3], 0 offset:496
	buffer_store_dword v132, off, s[0:3], 0 offset:500
	s_waitcnt vmcnt(2)
	ds_write_b64 v129, v[130:131]
.LBB63_267:
	s_or_b64 exec, exec, s[4:5]
	s_waitcnt lgkmcnt(0)
	; wave barrier
	buffer_load_dword v131, off, s[0:3], 0 offset:504
	buffer_load_dword v132, off, s[0:3], 0 offset:508
	;; [unrolled: 1-line block ×4, first 2 shown]
	v_mov_b32_e32 v130, 0
	ds_read_b64 v[135:136], v130 offset:1016
	v_cmp_lt_u32_e32 vcc, 61, v0
	s_waitcnt vmcnt(2) lgkmcnt(0)
	v_fma_f64 v[131:132], v[131:132], v[135:136], 0
	s_waitcnt vmcnt(0)
	v_add_f64 v[131:132], v[133:134], -v[131:132]
	buffer_store_dword v131, off, s[0:3], 0 offset:496
	buffer_store_dword v132, off, s[0:3], 0 offset:500
	s_and_saveexec_b64 s[4:5], vcc
	s_cbranch_execz .LBB63_269
; %bb.268:
	buffer_load_dword v131, off, s[0:3], 0 offset:488
	buffer_load_dword v132, off, s[0:3], 0 offset:492
	s_waitcnt vmcnt(0)
	ds_write_b64 v129, v[131:132]
	buffer_store_dword v130, off, s[0:3], 0 offset:488
	buffer_store_dword v130, off, s[0:3], 0 offset:492
.LBB63_269:
	s_or_b64 exec, exec, s[4:5]
	s_waitcnt lgkmcnt(0)
	; wave barrier
	buffer_load_dword v134, off, s[0:3], 0 offset:496
	buffer_load_dword v135, off, s[0:3], 0 offset:500
	;; [unrolled: 1-line block ×6, first 2 shown]
	ds_read_b128 v[130:133], v130 offset:1008
	v_cmp_lt_u32_e32 vcc, 60, v0
	s_waitcnt vmcnt(4) lgkmcnt(0)
	v_fma_f64 v[130:131], v[134:135], v[130:131], 0
	s_waitcnt vmcnt(2)
	v_fma_f64 v[130:131], v[136:137], v[132:133], v[130:131]
	s_waitcnt vmcnt(0)
	v_add_f64 v[130:131], v[138:139], -v[130:131]
	buffer_store_dword v130, off, s[0:3], 0 offset:488
	buffer_store_dword v131, off, s[0:3], 0 offset:492
	s_and_saveexec_b64 s[4:5], vcc
	s_cbranch_execz .LBB63_271
; %bb.270:
	buffer_load_dword v130, off, s[0:3], 0 offset:480
	buffer_load_dword v131, off, s[0:3], 0 offset:484
	v_mov_b32_e32 v132, 0
	buffer_store_dword v132, off, s[0:3], 0 offset:480
	buffer_store_dword v132, off, s[0:3], 0 offset:484
	s_waitcnt vmcnt(2)
	ds_write_b64 v129, v[130:131]
.LBB63_271:
	s_or_b64 exec, exec, s[4:5]
	s_waitcnt lgkmcnt(0)
	; wave barrier
	buffer_load_dword v135, off, s[0:3], 0 offset:488
	buffer_load_dword v136, off, s[0:3], 0 offset:492
	;; [unrolled: 1-line block ×8, first 2 shown]
	v_mov_b32_e32 v130, 0
	ds_read2_b64 v[131:134], v130 offset0:125 offset1:126
	ds_read_b64 v[143:144], v130 offset:1016
	v_cmp_lt_u32_e32 vcc, 59, v0
	s_waitcnt vmcnt(6) lgkmcnt(1)
	v_fma_f64 v[131:132], v[135:136], v[131:132], 0
	s_waitcnt vmcnt(4)
	v_fma_f64 v[131:132], v[137:138], v[133:134], v[131:132]
	s_waitcnt vmcnt(2) lgkmcnt(0)
	v_fma_f64 v[131:132], v[139:140], v[143:144], v[131:132]
	s_waitcnt vmcnt(0)
	v_add_f64 v[131:132], v[141:142], -v[131:132]
	buffer_store_dword v131, off, s[0:3], 0 offset:480
	buffer_store_dword v132, off, s[0:3], 0 offset:484
	s_and_saveexec_b64 s[4:5], vcc
	s_cbranch_execz .LBB63_273
; %bb.272:
	buffer_load_dword v131, off, s[0:3], 0 offset:472
	buffer_load_dword v132, off, s[0:3], 0 offset:476
	s_waitcnt vmcnt(0)
	ds_write_b64 v129, v[131:132]
	buffer_store_dword v130, off, s[0:3], 0 offset:472
	buffer_store_dword v130, off, s[0:3], 0 offset:476
.LBB63_273:
	s_or_b64 exec, exec, s[4:5]
	s_waitcnt lgkmcnt(0)
	; wave barrier
	buffer_load_dword v139, off, s[0:3], 0 offset:480
	buffer_load_dword v140, off, s[0:3], 0 offset:484
	;; [unrolled: 1-line block ×10, first 2 shown]
	ds_read_b128 v[131:134], v130 offset:992
	ds_read_b128 v[135:138], v130 offset:1008
	v_cmp_lt_u32_e32 vcc, 58, v0
	s_waitcnt vmcnt(8) lgkmcnt(1)
	v_fma_f64 v[130:131], v[139:140], v[131:132], 0
	s_waitcnt vmcnt(6)
	v_fma_f64 v[130:131], v[141:142], v[133:134], v[130:131]
	s_waitcnt vmcnt(4) lgkmcnt(0)
	v_fma_f64 v[130:131], v[143:144], v[135:136], v[130:131]
	s_waitcnt vmcnt(2)
	v_fma_f64 v[130:131], v[145:146], v[137:138], v[130:131]
	s_waitcnt vmcnt(0)
	v_add_f64 v[130:131], v[147:148], -v[130:131]
	buffer_store_dword v130, off, s[0:3], 0 offset:472
	buffer_store_dword v131, off, s[0:3], 0 offset:476
	s_and_saveexec_b64 s[4:5], vcc
	s_cbranch_execz .LBB63_275
; %bb.274:
	buffer_load_dword v130, off, s[0:3], 0 offset:464
	buffer_load_dword v131, off, s[0:3], 0 offset:468
	v_mov_b32_e32 v132, 0
	buffer_store_dword v132, off, s[0:3], 0 offset:464
	buffer_store_dword v132, off, s[0:3], 0 offset:468
	s_waitcnt vmcnt(2)
	ds_write_b64 v129, v[130:131]
.LBB63_275:
	s_or_b64 exec, exec, s[4:5]
	s_waitcnt lgkmcnt(0)
	; wave barrier
	buffer_load_dword v139, off, s[0:3], 0 offset:472
	buffer_load_dword v140, off, s[0:3], 0 offset:476
	;; [unrolled: 1-line block ×12, first 2 shown]
	v_mov_b32_e32 v130, 0
	ds_read2_b64 v[131:134], v130 offset0:123 offset1:124
	ds_read2_b64 v[135:138], v130 offset0:125 offset1:126
	v_cmp_lt_u32_e32 vcc, 57, v0
	s_waitcnt vmcnt(10) lgkmcnt(1)
	v_fma_f64 v[131:132], v[139:140], v[131:132], 0
	s_waitcnt vmcnt(8)
	v_fma_f64 v[131:132], v[141:142], v[133:134], v[131:132]
	ds_read_b64 v[133:134], v130 offset:1016
	s_waitcnt vmcnt(6) lgkmcnt(1)
	v_fma_f64 v[131:132], v[143:144], v[135:136], v[131:132]
	s_waitcnt vmcnt(4)
	v_fma_f64 v[131:132], v[145:146], v[137:138], v[131:132]
	s_waitcnt vmcnt(2) lgkmcnt(0)
	v_fma_f64 v[131:132], v[147:148], v[133:134], v[131:132]
	s_waitcnt vmcnt(0)
	v_add_f64 v[131:132], v[149:150], -v[131:132]
	buffer_store_dword v131, off, s[0:3], 0 offset:464
	buffer_store_dword v132, off, s[0:3], 0 offset:468
	s_and_saveexec_b64 s[4:5], vcc
	s_cbranch_execz .LBB63_277
; %bb.276:
	buffer_load_dword v131, off, s[0:3], 0 offset:456
	buffer_load_dword v132, off, s[0:3], 0 offset:460
	s_waitcnt vmcnt(0)
	ds_write_b64 v129, v[131:132]
	buffer_store_dword v130, off, s[0:3], 0 offset:456
	buffer_store_dword v130, off, s[0:3], 0 offset:460
.LBB63_277:
	s_or_b64 exec, exec, s[4:5]
	s_waitcnt lgkmcnt(0)
	; wave barrier
	buffer_load_dword v139, off, s[0:3], 0 offset:464
	buffer_load_dword v140, off, s[0:3], 0 offset:468
	;; [unrolled: 1-line block ×14, first 2 shown]
	ds_read_b128 v[131:134], v130 offset:976
	ds_read_b128 v[135:138], v130 offset:992
	v_cmp_lt_u32_e32 vcc, 56, v0
	s_waitcnt vmcnt(12) lgkmcnt(1)
	v_fma_f64 v[131:132], v[139:140], v[131:132], 0
	s_waitcnt vmcnt(10)
	v_fma_f64 v[131:132], v[141:142], v[133:134], v[131:132]
	s_waitcnt vmcnt(8) lgkmcnt(0)
	v_fma_f64 v[131:132], v[143:144], v[135:136], v[131:132]
	s_waitcnt vmcnt(6)
	v_fma_f64 v[134:135], v[145:146], v[137:138], v[131:132]
	ds_read_b128 v[130:133], v130 offset:1008
	s_waitcnt vmcnt(4) lgkmcnt(0)
	v_fma_f64 v[130:131], v[147:148], v[130:131], v[134:135]
	s_waitcnt vmcnt(2)
	v_fma_f64 v[130:131], v[149:150], v[132:133], v[130:131]
	s_waitcnt vmcnt(0)
	v_add_f64 v[130:131], v[151:152], -v[130:131]
	buffer_store_dword v130, off, s[0:3], 0 offset:456
	buffer_store_dword v131, off, s[0:3], 0 offset:460
	s_and_saveexec_b64 s[4:5], vcc
	s_cbranch_execz .LBB63_279
; %bb.278:
	buffer_load_dword v130, off, s[0:3], 0 offset:448
	buffer_load_dword v131, off, s[0:3], 0 offset:452
	v_mov_b32_e32 v132, 0
	buffer_store_dword v132, off, s[0:3], 0 offset:448
	buffer_store_dword v132, off, s[0:3], 0 offset:452
	s_waitcnt vmcnt(2)
	ds_write_b64 v129, v[130:131]
.LBB63_279:
	s_or_b64 exec, exec, s[4:5]
	s_waitcnt lgkmcnt(0)
	; wave barrier
	buffer_load_dword v139, off, s[0:3], 0 offset:456
	buffer_load_dword v140, off, s[0:3], 0 offset:460
	;; [unrolled: 1-line block ×16, first 2 shown]
	v_mov_b32_e32 v130, 0
	ds_read2_b64 v[131:134], v130 offset0:121 offset1:122
	ds_read2_b64 v[135:138], v130 offset0:123 offset1:124
	v_cmp_lt_u32_e32 vcc, 55, v0
	s_waitcnt vmcnt(14) lgkmcnt(1)
	v_fma_f64 v[131:132], v[139:140], v[131:132], 0
	s_waitcnt vmcnt(12)
	v_fma_f64 v[131:132], v[141:142], v[133:134], v[131:132]
	s_waitcnt vmcnt(10) lgkmcnt(0)
	v_fma_f64 v[131:132], v[143:144], v[135:136], v[131:132]
	s_waitcnt vmcnt(8)
	v_fma_f64 v[135:136], v[145:146], v[137:138], v[131:132]
	ds_read2_b64 v[131:134], v130 offset0:125 offset1:126
	ds_read_b64 v[137:138], v130 offset:1016
	s_waitcnt vmcnt(6) lgkmcnt(1)
	v_fma_f64 v[131:132], v[147:148], v[131:132], v[135:136]
	s_waitcnt vmcnt(4)
	v_fma_f64 v[131:132], v[149:150], v[133:134], v[131:132]
	s_waitcnt vmcnt(2) lgkmcnt(0)
	v_fma_f64 v[131:132], v[151:152], v[137:138], v[131:132]
	s_waitcnt vmcnt(0)
	v_add_f64 v[131:132], v[153:154], -v[131:132]
	buffer_store_dword v131, off, s[0:3], 0 offset:448
	buffer_store_dword v132, off, s[0:3], 0 offset:452
	s_and_saveexec_b64 s[4:5], vcc
	s_cbranch_execz .LBB63_281
; %bb.280:
	buffer_load_dword v131, off, s[0:3], 0 offset:440
	buffer_load_dword v132, off, s[0:3], 0 offset:444
	s_waitcnt vmcnt(0)
	ds_write_b64 v129, v[131:132]
	buffer_store_dword v130, off, s[0:3], 0 offset:440
	buffer_store_dword v130, off, s[0:3], 0 offset:444
.LBB63_281:
	s_or_b64 exec, exec, s[4:5]
	s_waitcnt lgkmcnt(0)
	; wave barrier
	buffer_load_dword v139, off, s[0:3], 0 offset:448
	buffer_load_dword v140, off, s[0:3], 0 offset:452
	;; [unrolled: 1-line block ×18, first 2 shown]
	ds_read_b128 v[131:134], v130 offset:960
	ds_read_b128 v[135:138], v130 offset:976
	v_cmp_lt_u32_e32 vcc, 54, v0
	s_waitcnt vmcnt(16) lgkmcnt(1)
	v_fma_f64 v[131:132], v[139:140], v[131:132], 0
	s_waitcnt vmcnt(14)
	v_fma_f64 v[131:132], v[141:142], v[133:134], v[131:132]
	s_waitcnt vmcnt(12) lgkmcnt(0)
	v_fma_f64 v[131:132], v[143:144], v[135:136], v[131:132]
	s_waitcnt vmcnt(10)
	v_fma_f64 v[139:140], v[145:146], v[137:138], v[131:132]
	ds_read_b128 v[131:134], v130 offset:992
	ds_read_b128 v[135:138], v130 offset:1008
	s_waitcnt vmcnt(8) lgkmcnt(1)
	v_fma_f64 v[130:131], v[147:148], v[131:132], v[139:140]
	s_waitcnt vmcnt(6)
	v_fma_f64 v[130:131], v[149:150], v[133:134], v[130:131]
	s_waitcnt vmcnt(4) lgkmcnt(0)
	v_fma_f64 v[130:131], v[151:152], v[135:136], v[130:131]
	s_waitcnt vmcnt(2)
	v_fma_f64 v[130:131], v[153:154], v[137:138], v[130:131]
	s_waitcnt vmcnt(0)
	v_add_f64 v[130:131], v[155:156], -v[130:131]
	buffer_store_dword v130, off, s[0:3], 0 offset:440
	buffer_store_dword v131, off, s[0:3], 0 offset:444
	s_and_saveexec_b64 s[4:5], vcc
	s_cbranch_execz .LBB63_283
; %bb.282:
	buffer_load_dword v130, off, s[0:3], 0 offset:432
	buffer_load_dword v131, off, s[0:3], 0 offset:436
	v_mov_b32_e32 v132, 0
	buffer_store_dword v132, off, s[0:3], 0 offset:432
	buffer_store_dword v132, off, s[0:3], 0 offset:436
	s_waitcnt vmcnt(2)
	ds_write_b64 v129, v[130:131]
.LBB63_283:
	s_or_b64 exec, exec, s[4:5]
	s_waitcnt lgkmcnt(0)
	; wave barrier
	buffer_load_dword v139, off, s[0:3], 0 offset:440
	buffer_load_dword v140, off, s[0:3], 0 offset:444
	;; [unrolled: 1-line block ×20, first 2 shown]
	v_mov_b32_e32 v130, 0
	ds_read2_b64 v[131:134], v130 offset0:119 offset1:120
	ds_read2_b64 v[135:138], v130 offset0:121 offset1:122
	v_cmp_lt_u32_e32 vcc, 53, v0
	s_waitcnt vmcnt(18) lgkmcnt(1)
	v_fma_f64 v[131:132], v[139:140], v[131:132], 0
	s_waitcnt vmcnt(16)
	v_fma_f64 v[131:132], v[141:142], v[133:134], v[131:132]
	s_waitcnt vmcnt(14) lgkmcnt(0)
	v_fma_f64 v[131:132], v[143:144], v[135:136], v[131:132]
	s_waitcnt vmcnt(12)
	v_fma_f64 v[139:140], v[145:146], v[137:138], v[131:132]
	ds_read2_b64 v[131:134], v130 offset0:123 offset1:124
	ds_read2_b64 v[135:138], v130 offset0:125 offset1:126
	s_waitcnt vmcnt(10) lgkmcnt(1)
	v_fma_f64 v[131:132], v[147:148], v[131:132], v[139:140]
	s_waitcnt vmcnt(8)
	v_fma_f64 v[131:132], v[149:150], v[133:134], v[131:132]
	ds_read_b64 v[133:134], v130 offset:1016
	s_waitcnt vmcnt(6) lgkmcnt(1)
	v_fma_f64 v[131:132], v[151:152], v[135:136], v[131:132]
	s_waitcnt vmcnt(3)
	v_fma_f64 v[131:132], v[153:154], v[137:138], v[131:132]
	s_waitcnt vmcnt(2) lgkmcnt(0)
	v_fma_f64 v[131:132], v[155:156], v[133:134], v[131:132]
	s_waitcnt vmcnt(0)
	v_add_f64 v[131:132], v[157:158], -v[131:132]
	buffer_store_dword v131, off, s[0:3], 0 offset:432
	buffer_store_dword v132, off, s[0:3], 0 offset:436
	s_and_saveexec_b64 s[4:5], vcc
	s_cbranch_execz .LBB63_285
; %bb.284:
	buffer_load_dword v131, off, s[0:3], 0 offset:424
	buffer_load_dword v132, off, s[0:3], 0 offset:428
	s_waitcnt vmcnt(0)
	ds_write_b64 v129, v[131:132]
	buffer_store_dword v130, off, s[0:3], 0 offset:424
	buffer_store_dword v130, off, s[0:3], 0 offset:428
.LBB63_285:
	s_or_b64 exec, exec, s[4:5]
	s_waitcnt lgkmcnt(0)
	; wave barrier
	buffer_load_dword v139, off, s[0:3], 0 offset:432
	buffer_load_dword v140, off, s[0:3], 0 offset:436
	buffer_load_dword v141, off, s[0:3], 0 offset:440
	buffer_load_dword v142, off, s[0:3], 0 offset:444
	buffer_load_dword v143, off, s[0:3], 0 offset:448
	buffer_load_dword v144, off, s[0:3], 0 offset:452
	buffer_load_dword v145, off, s[0:3], 0 offset:456
	buffer_load_dword v146, off, s[0:3], 0 offset:460
	buffer_load_dword v147, off, s[0:3], 0 offset:464
	buffer_load_dword v148, off, s[0:3], 0 offset:468
	buffer_load_dword v149, off, s[0:3], 0 offset:472
	buffer_load_dword v150, off, s[0:3], 0 offset:476
	buffer_load_dword v151, off, s[0:3], 0 offset:480
	buffer_load_dword v152, off, s[0:3], 0 offset:484
	buffer_load_dword v154, off, s[0:3], 0 offset:492
	buffer_load_dword v155, off, s[0:3], 0 offset:504
	buffer_load_dword v157, off, s[0:3], 0 offset:496
	buffer_load_dword v153, off, s[0:3], 0 offset:488
	buffer_load_dword v158, off, s[0:3], 0 offset:500
	buffer_load_dword v156, off, s[0:3], 0 offset:508
	ds_read_b128 v[131:134], v130 offset:944
	buffer_load_dword v159, off, s[0:3], 0 offset:424
	buffer_load_dword v160, off, s[0:3], 0 offset:428
	ds_read_b128 v[135:138], v130 offset:960
	v_cmp_lt_u32_e32 vcc, 52, v0
	s_waitcnt vmcnt(20) lgkmcnt(1)
	v_fma_f64 v[131:132], v[139:140], v[131:132], 0
	s_waitcnt vmcnt(18)
	v_fma_f64 v[131:132], v[141:142], v[133:134], v[131:132]
	s_waitcnt vmcnt(16) lgkmcnt(0)
	v_fma_f64 v[131:132], v[143:144], v[135:136], v[131:132]
	s_waitcnt vmcnt(14)
	v_fma_f64 v[139:140], v[145:146], v[137:138], v[131:132]
	ds_read_b128 v[131:134], v130 offset:976
	ds_read_b128 v[135:138], v130 offset:992
	s_waitcnt vmcnt(12) lgkmcnt(1)
	v_fma_f64 v[131:132], v[147:148], v[131:132], v[139:140]
	s_waitcnt vmcnt(10)
	v_fma_f64 v[131:132], v[149:150], v[133:134], v[131:132]
	s_waitcnt vmcnt(8) lgkmcnt(0)
	v_fma_f64 v[131:132], v[151:152], v[135:136], v[131:132]
	s_waitcnt vmcnt(4)
	v_fma_f64 v[134:135], v[153:154], v[137:138], v[131:132]
	ds_read_b128 v[130:133], v130 offset:1008
	s_waitcnt vmcnt(3) lgkmcnt(0)
	v_fma_f64 v[130:131], v[157:158], v[130:131], v[134:135]
	s_waitcnt vmcnt(2)
	v_fma_f64 v[130:131], v[155:156], v[132:133], v[130:131]
	s_waitcnt vmcnt(0)
	v_add_f64 v[130:131], v[159:160], -v[130:131]
	buffer_store_dword v130, off, s[0:3], 0 offset:424
	buffer_store_dword v131, off, s[0:3], 0 offset:428
	s_and_saveexec_b64 s[4:5], vcc
	s_cbranch_execz .LBB63_287
; %bb.286:
	buffer_load_dword v130, off, s[0:3], 0 offset:416
	buffer_load_dword v131, off, s[0:3], 0 offset:420
	v_mov_b32_e32 v132, 0
	buffer_store_dword v132, off, s[0:3], 0 offset:416
	buffer_store_dword v132, off, s[0:3], 0 offset:420
	s_waitcnt vmcnt(2)
	ds_write_b64 v129, v[130:131]
.LBB63_287:
	s_or_b64 exec, exec, s[4:5]
	s_waitcnt lgkmcnt(0)
	; wave barrier
	buffer_load_dword v139, off, s[0:3], 0 offset:424
	buffer_load_dword v140, off, s[0:3], 0 offset:428
	;; [unrolled: 1-line block ×21, first 2 shown]
	v_mov_b32_e32 v130, 0
	ds_read2_b64 v[131:134], v130 offset0:117 offset1:118
	ds_read2_b64 v[135:138], v130 offset0:119 offset1:120
	buffer_load_dword v156, off, s[0:3], 0 offset:508
	v_cmp_lt_u32_e32 vcc, 51, v0
	s_waitcnt vmcnt(20) lgkmcnt(1)
	v_fma_f64 v[131:132], v[139:140], v[131:132], 0
	buffer_load_dword v139, off, s[0:3], 0 offset:416
	buffer_load_dword v140, off, s[0:3], 0 offset:420
	s_waitcnt vmcnt(20)
	v_fma_f64 v[131:132], v[141:142], v[133:134], v[131:132]
	s_waitcnt vmcnt(18) lgkmcnt(0)
	v_fma_f64 v[131:132], v[143:144], v[135:136], v[131:132]
	s_waitcnt vmcnt(16)
	v_fma_f64 v[141:142], v[145:146], v[137:138], v[131:132]
	ds_read2_b64 v[131:134], v130 offset0:121 offset1:122
	ds_read2_b64 v[135:138], v130 offset0:123 offset1:124
	s_waitcnt vmcnt(14) lgkmcnt(1)
	v_fma_f64 v[131:132], v[147:148], v[131:132], v[141:142]
	s_waitcnt vmcnt(12)
	v_fma_f64 v[131:132], v[149:150], v[133:134], v[131:132]
	s_waitcnt vmcnt(10) lgkmcnt(0)
	v_fma_f64 v[131:132], v[151:152], v[135:136], v[131:132]
	s_waitcnt vmcnt(5)
	v_fma_f64 v[135:136], v[153:154], v[137:138], v[131:132]
	ds_read2_b64 v[131:134], v130 offset0:125 offset1:126
	ds_read_b64 v[137:138], v130 offset:1016
	s_waitcnt vmcnt(4) lgkmcnt(1)
	v_fma_f64 v[131:132], v[159:160], v[131:132], v[135:136]
	s_waitcnt vmcnt(3)
	v_fma_f64 v[131:132], v[157:158], v[133:134], v[131:132]
	s_waitcnt vmcnt(2) lgkmcnt(0)
	v_fma_f64 v[131:132], v[155:156], v[137:138], v[131:132]
	s_waitcnt vmcnt(0)
	v_add_f64 v[131:132], v[139:140], -v[131:132]
	buffer_store_dword v132, off, s[0:3], 0 offset:420
	buffer_store_dword v131, off, s[0:3], 0 offset:416
	s_and_saveexec_b64 s[4:5], vcc
	s_cbranch_execz .LBB63_289
; %bb.288:
	buffer_load_dword v131, off, s[0:3], 0 offset:408
	buffer_load_dword v132, off, s[0:3], 0 offset:412
	s_waitcnt vmcnt(0)
	ds_write_b64 v129, v[131:132]
	buffer_store_dword v130, off, s[0:3], 0 offset:408
	buffer_store_dword v130, off, s[0:3], 0 offset:412
.LBB63_289:
	s_or_b64 exec, exec, s[4:5]
	s_waitcnt lgkmcnt(0)
	; wave barrier
	buffer_load_dword v139, off, s[0:3], 0 offset:416
	buffer_load_dword v140, off, s[0:3], 0 offset:420
	;; [unrolled: 1-line block ×21, first 2 shown]
	ds_read_b128 v[131:134], v130 offset:928
	ds_read_b128 v[135:138], v130 offset:944
	buffer_load_dword v156, off, s[0:3], 0 offset:500
	v_cmp_lt_u32_e32 vcc, 50, v0
	s_waitcnt vmcnt(20) lgkmcnt(1)
	v_fma_f64 v[131:132], v[139:140], v[131:132], 0
	buffer_load_dword v140, off, s[0:3], 0 offset:508
	buffer_load_dword v139, off, s[0:3], 0 offset:504
	s_waitcnt vmcnt(20)
	v_fma_f64 v[131:132], v[141:142], v[133:134], v[131:132]
	buffer_load_dword v141, off, s[0:3], 0 offset:408
	buffer_load_dword v142, off, s[0:3], 0 offset:412
	s_waitcnt vmcnt(20) lgkmcnt(0)
	v_fma_f64 v[131:132], v[143:144], v[135:136], v[131:132]
	s_waitcnt vmcnt(18)
	v_fma_f64 v[143:144], v[145:146], v[137:138], v[131:132]
	ds_read_b128 v[131:134], v130 offset:960
	ds_read_b128 v[135:138], v130 offset:976
	s_waitcnt vmcnt(16) lgkmcnt(1)
	v_fma_f64 v[131:132], v[147:148], v[131:132], v[143:144]
	s_waitcnt vmcnt(14)
	v_fma_f64 v[131:132], v[149:150], v[133:134], v[131:132]
	s_waitcnt vmcnt(12) lgkmcnt(0)
	v_fma_f64 v[131:132], v[151:152], v[135:136], v[131:132]
	s_waitcnt vmcnt(7)
	v_fma_f64 v[143:144], v[153:154], v[137:138], v[131:132]
	ds_read_b128 v[131:134], v130 offset:992
	ds_read_b128 v[135:138], v130 offset:1008
	s_waitcnt vmcnt(6) lgkmcnt(1)
	v_fma_f64 v[130:131], v[159:160], v[131:132], v[143:144]
	s_waitcnt vmcnt(5)
	v_fma_f64 v[130:131], v[157:158], v[133:134], v[130:131]
	s_waitcnt vmcnt(4) lgkmcnt(0)
	v_fma_f64 v[130:131], v[155:156], v[135:136], v[130:131]
	s_waitcnt vmcnt(2)
	v_fma_f64 v[130:131], v[139:140], v[137:138], v[130:131]
	s_waitcnt vmcnt(0)
	v_add_f64 v[130:131], v[141:142], -v[130:131]
	buffer_store_dword v131, off, s[0:3], 0 offset:412
	buffer_store_dword v130, off, s[0:3], 0 offset:408
	s_and_saveexec_b64 s[4:5], vcc
	s_cbranch_execz .LBB63_291
; %bb.290:
	buffer_load_dword v130, off, s[0:3], 0 offset:400
	buffer_load_dword v131, off, s[0:3], 0 offset:404
	v_mov_b32_e32 v132, 0
	buffer_store_dword v132, off, s[0:3], 0 offset:400
	buffer_store_dword v132, off, s[0:3], 0 offset:404
	s_waitcnt vmcnt(2)
	ds_write_b64 v129, v[130:131]
.LBB63_291:
	s_or_b64 exec, exec, s[4:5]
	s_waitcnt lgkmcnt(0)
	; wave barrier
	buffer_load_dword v139, off, s[0:3], 0 offset:408
	buffer_load_dword v140, off, s[0:3], 0 offset:412
	;; [unrolled: 1-line block ×21, first 2 shown]
	v_mov_b32_e32 v130, 0
	ds_read2_b64 v[131:134], v130 offset0:115 offset1:116
	ds_read2_b64 v[135:138], v130 offset0:117 offset1:118
	buffer_load_dword v156, off, s[0:3], 0 offset:492
	v_cmp_lt_u32_e32 vcc, 49, v0
	s_waitcnt vmcnt(20) lgkmcnt(1)
	v_fma_f64 v[131:132], v[139:140], v[131:132], 0
	s_waitcnt vmcnt(18)
	v_fma_f64 v[131:132], v[141:142], v[133:134], v[131:132]
	buffer_load_dword v140, off, s[0:3], 0 offset:500
	buffer_load_dword v141, off, s[0:3], 0 offset:504
	;; [unrolled: 1-line block ×4, first 2 shown]
	s_waitcnt vmcnt(20) lgkmcnt(0)
	v_fma_f64 v[131:132], v[143:144], v[135:136], v[131:132]
	buffer_load_dword v143, off, s[0:3], 0 offset:400
	buffer_load_dword v144, off, s[0:3], 0 offset:404
	s_waitcnt vmcnt(20)
	v_fma_f64 v[145:146], v[145:146], v[137:138], v[131:132]
	ds_read2_b64 v[131:134], v130 offset0:119 offset1:120
	ds_read2_b64 v[135:138], v130 offset0:121 offset1:122
	s_waitcnt vmcnt(18) lgkmcnt(1)
	v_fma_f64 v[131:132], v[147:148], v[131:132], v[145:146]
	s_waitcnt vmcnt(16)
	v_fma_f64 v[131:132], v[149:150], v[133:134], v[131:132]
	s_waitcnt vmcnt(14) lgkmcnt(0)
	v_fma_f64 v[131:132], v[151:152], v[135:136], v[131:132]
	s_waitcnt vmcnt(9)
	v_fma_f64 v[145:146], v[153:154], v[137:138], v[131:132]
	ds_read2_b64 v[131:134], v130 offset0:123 offset1:124
	ds_read2_b64 v[135:138], v130 offset0:125 offset1:126
	s_waitcnt vmcnt(8) lgkmcnt(1)
	v_fma_f64 v[131:132], v[159:160], v[131:132], v[145:146]
	s_waitcnt vmcnt(7)
	v_fma_f64 v[131:132], v[157:158], v[133:134], v[131:132]
	ds_read_b64 v[133:134], v130 offset:1016
	s_waitcnt vmcnt(6) lgkmcnt(1)
	v_fma_f64 v[131:132], v[155:156], v[135:136], v[131:132]
	s_waitcnt vmcnt(3)
	v_fma_f64 v[131:132], v[139:140], v[137:138], v[131:132]
	s_waitcnt vmcnt(2) lgkmcnt(0)
	v_fma_f64 v[131:132], v[141:142], v[133:134], v[131:132]
	s_waitcnt vmcnt(0)
	v_add_f64 v[131:132], v[143:144], -v[131:132]
	buffer_store_dword v132, off, s[0:3], 0 offset:404
	buffer_store_dword v131, off, s[0:3], 0 offset:400
	s_and_saveexec_b64 s[4:5], vcc
	s_cbranch_execz .LBB63_293
; %bb.292:
	buffer_load_dword v131, off, s[0:3], 0 offset:392
	buffer_load_dword v132, off, s[0:3], 0 offset:396
	s_waitcnt vmcnt(0)
	ds_write_b64 v129, v[131:132]
	buffer_store_dword v130, off, s[0:3], 0 offset:392
	buffer_store_dword v130, off, s[0:3], 0 offset:396
.LBB63_293:
	s_or_b64 exec, exec, s[4:5]
	s_waitcnt lgkmcnt(0)
	; wave barrier
	buffer_load_dword v139, off, s[0:3], 0 offset:400
	buffer_load_dword v140, off, s[0:3], 0 offset:404
	;; [unrolled: 1-line block ×22, first 2 shown]
	ds_read_b128 v[131:134], v130 offset:912
	ds_read_b128 v[135:138], v130 offset:928
	v_cmp_lt_u32_e32 vcc, 48, v0
	s_waitcnt vmcnt(20) lgkmcnt(1)
	v_fma_f64 v[131:132], v[139:140], v[131:132], 0
	s_waitcnt vmcnt(18)
	v_fma_f64 v[131:132], v[141:142], v[133:134], v[131:132]
	buffer_load_dword v140, off, s[0:3], 0 offset:492
	buffer_load_dword v141, off, s[0:3], 0 offset:504
	;; [unrolled: 1-line block ×6, first 2 shown]
	s_waitcnt vmcnt(22) lgkmcnt(0)
	v_fma_f64 v[131:132], v[143:144], v[135:136], v[131:132]
	s_waitcnt vmcnt(20)
	v_fma_f64 v[143:144], v[145:146], v[137:138], v[131:132]
	ds_read_b128 v[131:134], v130 offset:944
	buffer_load_dword v145, off, s[0:3], 0 offset:392
	buffer_load_dword v146, off, s[0:3], 0 offset:396
	ds_read_b128 v[135:138], v130 offset:960
	s_waitcnt vmcnt(20) lgkmcnt(1)
	v_fma_f64 v[131:132], v[147:148], v[131:132], v[143:144]
	s_waitcnt vmcnt(18)
	v_fma_f64 v[131:132], v[149:150], v[133:134], v[131:132]
	s_waitcnt vmcnt(16) lgkmcnt(0)
	v_fma_f64 v[131:132], v[151:152], v[135:136], v[131:132]
	s_waitcnt vmcnt(11)
	v_fma_f64 v[143:144], v[153:154], v[137:138], v[131:132]
	ds_read_b128 v[131:134], v130 offset:976
	ds_read_b128 v[135:138], v130 offset:992
	s_waitcnt vmcnt(10) lgkmcnt(1)
	v_fma_f64 v[131:132], v[159:160], v[131:132], v[143:144]
	s_waitcnt vmcnt(9)
	v_fma_f64 v[131:132], v[157:158], v[133:134], v[131:132]
	s_waitcnt vmcnt(8) lgkmcnt(0)
	v_fma_f64 v[131:132], v[155:156], v[135:136], v[131:132]
	s_waitcnt vmcnt(4)
	v_fma_f64 v[134:135], v[139:140], v[137:138], v[131:132]
	ds_read_b128 v[130:133], v130 offset:1008
	s_waitcnt vmcnt(3) lgkmcnt(0)
	v_fma_f64 v[130:131], v[161:162], v[130:131], v[134:135]
	s_waitcnt vmcnt(2)
	v_fma_f64 v[130:131], v[141:142], v[132:133], v[130:131]
	s_waitcnt vmcnt(0)
	v_add_f64 v[130:131], v[145:146], -v[130:131]
	buffer_store_dword v131, off, s[0:3], 0 offset:396
	buffer_store_dword v130, off, s[0:3], 0 offset:392
	s_and_saveexec_b64 s[4:5], vcc
	s_cbranch_execz .LBB63_295
; %bb.294:
	buffer_load_dword v130, off, s[0:3], 0 offset:384
	buffer_load_dword v131, off, s[0:3], 0 offset:388
	v_mov_b32_e32 v132, 0
	buffer_store_dword v132, off, s[0:3], 0 offset:384
	buffer_store_dword v132, off, s[0:3], 0 offset:388
	s_waitcnt vmcnt(2)
	ds_write_b64 v129, v[130:131]
.LBB63_295:
	s_or_b64 exec, exec, s[4:5]
	s_waitcnt lgkmcnt(0)
	; wave barrier
	buffer_load_dword v139, off, s[0:3], 0 offset:392
	buffer_load_dword v140, off, s[0:3], 0 offset:396
	;; [unrolled: 1-line block ×22, first 2 shown]
	v_mov_b32_e32 v130, 0
	ds_read2_b64 v[131:134], v130 offset0:113 offset1:114
	ds_read2_b64 v[135:138], v130 offset0:115 offset1:116
	v_cmp_lt_u32_e32 vcc, 47, v0
	s_waitcnt vmcnt(20) lgkmcnt(1)
	v_fma_f64 v[131:132], v[139:140], v[131:132], 0
	s_waitcnt vmcnt(18)
	v_fma_f64 v[131:132], v[141:142], v[133:134], v[131:132]
	buffer_load_dword v140, off, s[0:3], 0 offset:484
	buffer_load_dword v141, off, s[0:3], 0 offset:504
	;; [unrolled: 1-line block ×8, first 2 shown]
	s_waitcnt vmcnt(24) lgkmcnt(0)
	v_fma_f64 v[131:132], v[143:144], v[135:136], v[131:132]
	s_waitcnt vmcnt(22)
	v_fma_f64 v[143:144], v[145:146], v[137:138], v[131:132]
	ds_read2_b64 v[131:134], v130 offset0:117 offset1:118
	ds_read2_b64 v[135:138], v130 offset0:119 offset1:120
	s_waitcnt vmcnt(20) lgkmcnt(1)
	v_fma_f64 v[131:132], v[147:148], v[131:132], v[143:144]
	buffer_load_dword v143, off, s[0:3], 0 offset:384
	buffer_load_dword v144, off, s[0:3], 0 offset:388
	s_waitcnt vmcnt(20)
	v_fma_f64 v[131:132], v[149:150], v[133:134], v[131:132]
	s_waitcnt vmcnt(18) lgkmcnt(0)
	v_fma_f64 v[131:132], v[151:152], v[135:136], v[131:132]
	s_waitcnt vmcnt(13)
	v_fma_f64 v[145:146], v[153:154], v[137:138], v[131:132]
	ds_read2_b64 v[131:134], v130 offset0:121 offset1:122
	ds_read2_b64 v[135:138], v130 offset0:123 offset1:124
	s_waitcnt vmcnt(12) lgkmcnt(1)
	v_fma_f64 v[131:132], v[159:160], v[131:132], v[145:146]
	s_waitcnt vmcnt(11)
	v_fma_f64 v[131:132], v[157:158], v[133:134], v[131:132]
	s_waitcnt vmcnt(10) lgkmcnt(0)
	v_fma_f64 v[131:132], v[155:156], v[135:136], v[131:132]
	s_waitcnt vmcnt(5)
	v_fma_f64 v[135:136], v[139:140], v[137:138], v[131:132]
	ds_read2_b64 v[131:134], v130 offset0:125 offset1:126
	ds_read_b64 v[137:138], v130 offset:1016
	s_waitcnt vmcnt(4) lgkmcnt(1)
	v_fma_f64 v[131:132], v[163:164], v[131:132], v[135:136]
	s_waitcnt vmcnt(3)
	v_fma_f64 v[131:132], v[161:162], v[133:134], v[131:132]
	s_waitcnt vmcnt(2) lgkmcnt(0)
	v_fma_f64 v[131:132], v[141:142], v[137:138], v[131:132]
	s_waitcnt vmcnt(0)
	v_add_f64 v[131:132], v[143:144], -v[131:132]
	buffer_store_dword v132, off, s[0:3], 0 offset:388
	buffer_store_dword v131, off, s[0:3], 0 offset:384
	s_and_saveexec_b64 s[4:5], vcc
	s_cbranch_execz .LBB63_297
; %bb.296:
	buffer_load_dword v131, off, s[0:3], 0 offset:376
	buffer_load_dword v132, off, s[0:3], 0 offset:380
	s_waitcnt vmcnt(0)
	ds_write_b64 v129, v[131:132]
	buffer_store_dword v130, off, s[0:3], 0 offset:376
	buffer_store_dword v130, off, s[0:3], 0 offset:380
.LBB63_297:
	s_or_b64 exec, exec, s[4:5]
	s_waitcnt lgkmcnt(0)
	; wave barrier
	buffer_load_dword v139, off, s[0:3], 0 offset:384
	buffer_load_dword v140, off, s[0:3], 0 offset:388
	;; [unrolled: 1-line block ×22, first 2 shown]
	ds_read_b128 v[131:134], v130 offset:896
	ds_read_b128 v[135:138], v130 offset:912
	v_cmp_lt_u32_e32 vcc, 46, v0
	s_waitcnt vmcnt(20) lgkmcnt(1)
	v_fma_f64 v[131:132], v[139:140], v[131:132], 0
	s_waitcnt vmcnt(18)
	v_fma_f64 v[131:132], v[141:142], v[133:134], v[131:132]
	buffer_load_dword v140, off, s[0:3], 0 offset:476
	buffer_load_dword v141, off, s[0:3], 0 offset:496
	;; [unrolled: 1-line block ×8, first 2 shown]
	s_waitcnt vmcnt(24) lgkmcnt(0)
	v_fma_f64 v[131:132], v[143:144], v[135:136], v[131:132]
	s_waitcnt vmcnt(22)
	v_fma_f64 v[143:144], v[145:146], v[137:138], v[131:132]
	ds_read_b128 v[131:134], v130 offset:928
	ds_read_b128 v[135:138], v130 offset:944
	s_waitcnt vmcnt(20) lgkmcnt(1)
	v_fma_f64 v[131:132], v[147:148], v[131:132], v[143:144]
	buffer_load_dword v144, off, s[0:3], 0 offset:508
	buffer_load_dword v143, off, s[0:3], 0 offset:504
	;; [unrolled: 1-line block ×4, first 2 shown]
	s_waitcnt vmcnt(22)
	v_fma_f64 v[131:132], v[149:150], v[133:134], v[131:132]
	s_waitcnt vmcnt(20) lgkmcnt(0)
	v_fma_f64 v[131:132], v[151:152], v[135:136], v[131:132]
	s_waitcnt vmcnt(15)
	v_fma_f64 v[147:148], v[153:154], v[137:138], v[131:132]
	ds_read_b128 v[131:134], v130 offset:960
	ds_read_b128 v[135:138], v130 offset:976
	s_waitcnt vmcnt(14) lgkmcnt(1)
	v_fma_f64 v[131:132], v[159:160], v[131:132], v[147:148]
	s_waitcnt vmcnt(13)
	v_fma_f64 v[131:132], v[157:158], v[133:134], v[131:132]
	s_waitcnt vmcnt(12) lgkmcnt(0)
	v_fma_f64 v[131:132], v[155:156], v[135:136], v[131:132]
	s_waitcnt vmcnt(7)
	v_fma_f64 v[139:140], v[139:140], v[137:138], v[131:132]
	ds_read_b128 v[131:134], v130 offset:992
	ds_read_b128 v[135:138], v130 offset:1008
	s_waitcnt vmcnt(6) lgkmcnt(1)
	v_fma_f64 v[130:131], v[163:164], v[131:132], v[139:140]
	s_waitcnt vmcnt(5)
	v_fma_f64 v[130:131], v[161:162], v[133:134], v[130:131]
	s_waitcnt vmcnt(4) lgkmcnt(0)
	v_fma_f64 v[130:131], v[141:142], v[135:136], v[130:131]
	s_waitcnt vmcnt(2)
	v_fma_f64 v[130:131], v[143:144], v[137:138], v[130:131]
	s_waitcnt vmcnt(0)
	v_add_f64 v[130:131], v[145:146], -v[130:131]
	buffer_store_dword v131, off, s[0:3], 0 offset:380
	buffer_store_dword v130, off, s[0:3], 0 offset:376
	s_and_saveexec_b64 s[4:5], vcc
	s_cbranch_execz .LBB63_299
; %bb.298:
	buffer_load_dword v130, off, s[0:3], 0 offset:368
	buffer_load_dword v131, off, s[0:3], 0 offset:372
	v_mov_b32_e32 v132, 0
	buffer_store_dword v132, off, s[0:3], 0 offset:368
	buffer_store_dword v132, off, s[0:3], 0 offset:372
	s_waitcnt vmcnt(2)
	ds_write_b64 v129, v[130:131]
.LBB63_299:
	s_or_b64 exec, exec, s[4:5]
	s_waitcnt lgkmcnt(0)
	; wave barrier
	buffer_load_dword v139, off, s[0:3], 0 offset:376
	buffer_load_dword v140, off, s[0:3], 0 offset:380
	buffer_load_dword v141, off, s[0:3], 0 offset:384
	buffer_load_dword v142, off, s[0:3], 0 offset:388
	buffer_load_dword v143, off, s[0:3], 0 offset:392
	buffer_load_dword v144, off, s[0:3], 0 offset:396
	buffer_load_dword v145, off, s[0:3], 0 offset:400
	buffer_load_dword v146, off, s[0:3], 0 offset:404
	buffer_load_dword v147, off, s[0:3], 0 offset:408
	buffer_load_dword v148, off, s[0:3], 0 offset:412
	buffer_load_dword v149, off, s[0:3], 0 offset:416
	buffer_load_dword v150, off, s[0:3], 0 offset:420
	buffer_load_dword v151, off, s[0:3], 0 offset:424
	buffer_load_dword v152, off, s[0:3], 0 offset:428
	buffer_load_dword v154, off, s[0:3], 0 offset:436
	buffer_load_dword v155, off, s[0:3], 0 offset:456
	buffer_load_dword v157, off, s[0:3], 0 offset:448
	buffer_load_dword v159, off, s[0:3], 0 offset:440
	buffer_load_dword v153, off, s[0:3], 0 offset:432
	buffer_load_dword v160, off, s[0:3], 0 offset:444
	buffer_load_dword v158, off, s[0:3], 0 offset:452
	buffer_load_dword v156, off, s[0:3], 0 offset:460
	v_mov_b32_e32 v130, 0
	ds_read2_b64 v[131:134], v130 offset0:111 offset1:112
	ds_read2_b64 v[135:138], v130 offset0:113 offset1:114
	v_cmp_lt_u32_e32 vcc, 45, v0
	s_waitcnt vmcnt(20) lgkmcnt(1)
	v_fma_f64 v[131:132], v[139:140], v[131:132], 0
	s_waitcnt vmcnt(18)
	v_fma_f64 v[131:132], v[141:142], v[133:134], v[131:132]
	buffer_load_dword v140, off, s[0:3], 0 offset:468
	buffer_load_dword v141, off, s[0:3], 0 offset:488
	;; [unrolled: 1-line block ×7, first 2 shown]
	s_waitcnt vmcnt(23) lgkmcnt(0)
	v_fma_f64 v[131:132], v[143:144], v[135:136], v[131:132]
	s_waitcnt vmcnt(21)
	v_fma_f64 v[142:143], v[145:146], v[137:138], v[131:132]
	ds_read2_b64 v[131:134], v130 offset0:115 offset1:116
	ds_read2_b64 v[135:138], v130 offset0:117 offset1:118
	s_waitcnt vmcnt(19) lgkmcnt(1)
	v_fma_f64 v[131:132], v[147:148], v[131:132], v[142:143]
	buffer_load_dword v142, off, s[0:3], 0 offset:492
	buffer_load_dword v144, off, s[0:3], 0 offset:500
	;; [unrolled: 1-line block ×7, first 2 shown]
	s_waitcnt vmcnt(24)
	v_fma_f64 v[131:132], v[149:150], v[133:134], v[131:132]
	s_waitcnt vmcnt(22) lgkmcnt(0)
	v_fma_f64 v[131:132], v[151:152], v[135:136], v[131:132]
	s_waitcnt vmcnt(17)
	v_fma_f64 v[149:150], v[153:154], v[137:138], v[131:132]
	ds_read2_b64 v[131:134], v130 offset0:119 offset1:120
	ds_read2_b64 v[135:138], v130 offset0:121 offset1:122
	s_waitcnt vmcnt(16) lgkmcnt(1)
	v_fma_f64 v[131:132], v[159:160], v[131:132], v[149:150]
	s_waitcnt vmcnt(15)
	v_fma_f64 v[131:132], v[157:158], v[133:134], v[131:132]
	s_waitcnt vmcnt(14) lgkmcnt(0)
	v_fma_f64 v[131:132], v[155:156], v[135:136], v[131:132]
	s_waitcnt vmcnt(9)
	v_fma_f64 v[139:140], v[139:140], v[137:138], v[131:132]
	ds_read2_b64 v[131:134], v130 offset0:123 offset1:124
	ds_read2_b64 v[135:138], v130 offset0:125 offset1:126
	s_waitcnt vmcnt(8) lgkmcnt(1)
	v_fma_f64 v[131:132], v[163:164], v[131:132], v[139:140]
	s_waitcnt vmcnt(7)
	v_fma_f64 v[131:132], v[161:162], v[133:134], v[131:132]
	ds_read_b64 v[133:134], v130 offset:1016
	s_waitcnt vmcnt(6) lgkmcnt(1)
	v_fma_f64 v[131:132], v[141:142], v[135:136], v[131:132]
	s_waitcnt vmcnt(3)
	v_fma_f64 v[131:132], v[143:144], v[137:138], v[131:132]
	s_waitcnt vmcnt(2) lgkmcnt(0)
	v_fma_f64 v[131:132], v[145:146], v[133:134], v[131:132]
	s_waitcnt vmcnt(0)
	v_add_f64 v[131:132], v[147:148], -v[131:132]
	buffer_store_dword v132, off, s[0:3], 0 offset:372
	buffer_store_dword v131, off, s[0:3], 0 offset:368
	s_and_saveexec_b64 s[4:5], vcc
	s_cbranch_execz .LBB63_301
; %bb.300:
	buffer_load_dword v131, off, s[0:3], 0 offset:360
	buffer_load_dword v132, off, s[0:3], 0 offset:364
	s_waitcnt vmcnt(0)
	ds_write_b64 v129, v[131:132]
	buffer_store_dword v130, off, s[0:3], 0 offset:360
	buffer_store_dword v130, off, s[0:3], 0 offset:364
.LBB63_301:
	s_or_b64 exec, exec, s[4:5]
	s_waitcnt lgkmcnt(0)
	; wave barrier
	buffer_load_dword v139, off, s[0:3], 0 offset:368
	buffer_load_dword v140, off, s[0:3], 0 offset:372
	;; [unrolled: 1-line block ×22, first 2 shown]
	ds_read_b128 v[131:134], v130 offset:880
	ds_read_b128 v[135:138], v130 offset:896
	v_cmp_lt_u32_e32 vcc, 44, v0
	s_waitcnt vmcnt(20) lgkmcnt(1)
	v_fma_f64 v[131:132], v[139:140], v[131:132], 0
	s_waitcnt vmcnt(18)
	v_fma_f64 v[131:132], v[141:142], v[133:134], v[131:132]
	buffer_load_dword v140, off, s[0:3], 0 offset:460
	buffer_load_dword v141, off, s[0:3], 0 offset:480
	;; [unrolled: 1-line block ×7, first 2 shown]
	s_waitcnt vmcnt(23) lgkmcnt(0)
	v_fma_f64 v[131:132], v[143:144], v[135:136], v[131:132]
	s_waitcnt vmcnt(21)
	v_fma_f64 v[142:143], v[145:146], v[137:138], v[131:132]
	ds_read_b128 v[131:134], v130 offset:912
	ds_read_b128 v[135:138], v130 offset:928
	s_waitcnt vmcnt(19) lgkmcnt(1)
	v_fma_f64 v[131:132], v[147:148], v[131:132], v[142:143]
	buffer_load_dword v142, off, s[0:3], 0 offset:484
	buffer_load_dword v144, off, s[0:3], 0 offset:492
	;; [unrolled: 1-line block ×7, first 2 shown]
	s_waitcnt vmcnt(24)
	v_fma_f64 v[131:132], v[149:150], v[133:134], v[131:132]
	s_waitcnt vmcnt(22) lgkmcnt(0)
	v_fma_f64 v[131:132], v[151:152], v[135:136], v[131:132]
	s_waitcnt vmcnt(17)
	v_fma_f64 v[149:150], v[153:154], v[137:138], v[131:132]
	ds_read_b128 v[131:134], v130 offset:944
	buffer_load_dword v151, off, s[0:3], 0 offset:360
	buffer_load_dword v152, off, s[0:3], 0 offset:364
	ds_read_b128 v[135:138], v130 offset:960
	s_waitcnt vmcnt(18) lgkmcnt(1)
	v_fma_f64 v[131:132], v[159:160], v[131:132], v[149:150]
	s_waitcnt vmcnt(17)
	v_fma_f64 v[131:132], v[157:158], v[133:134], v[131:132]
	s_waitcnt vmcnt(16) lgkmcnt(0)
	v_fma_f64 v[131:132], v[155:156], v[135:136], v[131:132]
	s_waitcnt vmcnt(11)
	v_fma_f64 v[139:140], v[139:140], v[137:138], v[131:132]
	ds_read_b128 v[131:134], v130 offset:976
	ds_read_b128 v[135:138], v130 offset:992
	s_waitcnt vmcnt(10) lgkmcnt(1)
	v_fma_f64 v[131:132], v[163:164], v[131:132], v[139:140]
	s_waitcnt vmcnt(9)
	v_fma_f64 v[131:132], v[161:162], v[133:134], v[131:132]
	s_waitcnt vmcnt(8) lgkmcnt(0)
	v_fma_f64 v[131:132], v[141:142], v[135:136], v[131:132]
	s_waitcnt vmcnt(4)
	v_fma_f64 v[134:135], v[143:144], v[137:138], v[131:132]
	ds_read_b128 v[130:133], v130 offset:1008
	s_waitcnt vmcnt(3) lgkmcnt(0)
	v_fma_f64 v[130:131], v[147:148], v[130:131], v[134:135]
	s_waitcnt vmcnt(2)
	v_fma_f64 v[130:131], v[145:146], v[132:133], v[130:131]
	s_waitcnt vmcnt(0)
	v_add_f64 v[130:131], v[151:152], -v[130:131]
	buffer_store_dword v131, off, s[0:3], 0 offset:364
	buffer_store_dword v130, off, s[0:3], 0 offset:360
	s_and_saveexec_b64 s[4:5], vcc
	s_cbranch_execz .LBB63_303
; %bb.302:
	buffer_load_dword v130, off, s[0:3], 0 offset:352
	buffer_load_dword v131, off, s[0:3], 0 offset:356
	v_mov_b32_e32 v132, 0
	buffer_store_dword v132, off, s[0:3], 0 offset:352
	buffer_store_dword v132, off, s[0:3], 0 offset:356
	s_waitcnt vmcnt(2)
	ds_write_b64 v129, v[130:131]
.LBB63_303:
	s_or_b64 exec, exec, s[4:5]
	s_waitcnt lgkmcnt(0)
	; wave barrier
	buffer_load_dword v139, off, s[0:3], 0 offset:360
	buffer_load_dword v140, off, s[0:3], 0 offset:364
	;; [unrolled: 1-line block ×22, first 2 shown]
	v_mov_b32_e32 v130, 0
	ds_read2_b64 v[131:134], v130 offset0:109 offset1:110
	ds_read2_b64 v[135:138], v130 offset0:111 offset1:112
	v_cmp_lt_u32_e32 vcc, 43, v0
	s_waitcnt vmcnt(20) lgkmcnt(1)
	v_fma_f64 v[131:132], v[139:140], v[131:132], 0
	s_waitcnt vmcnt(18)
	v_fma_f64 v[131:132], v[141:142], v[133:134], v[131:132]
	buffer_load_dword v140, off, s[0:3], 0 offset:452
	buffer_load_dword v141, off, s[0:3], 0 offset:472
	;; [unrolled: 1-line block ×7, first 2 shown]
	s_waitcnt vmcnt(23) lgkmcnt(0)
	v_fma_f64 v[131:132], v[143:144], v[135:136], v[131:132]
	s_waitcnt vmcnt(21)
	v_fma_f64 v[142:143], v[145:146], v[137:138], v[131:132]
	ds_read2_b64 v[131:134], v130 offset0:113 offset1:114
	ds_read2_b64 v[135:138], v130 offset0:115 offset1:116
	s_waitcnt vmcnt(19) lgkmcnt(1)
	v_fma_f64 v[131:132], v[147:148], v[131:132], v[142:143]
	buffer_load_dword v142, off, s[0:3], 0 offset:476
	s_waitcnt vmcnt(18)
	v_fma_f64 v[131:132], v[149:150], v[133:134], v[131:132]
	buffer_load_dword v144, off, s[0:3], 0 offset:484
	buffer_load_dword v145, off, s[0:3], 0 offset:504
	;; [unrolled: 1-line block ×8, first 2 shown]
	s_waitcnt vmcnt(24) lgkmcnt(0)
	v_fma_f64 v[131:132], v[151:152], v[135:136], v[131:132]
	s_waitcnt vmcnt(19)
	v_fma_f64 v[151:152], v[153:154], v[137:138], v[131:132]
	ds_read2_b64 v[131:134], v130 offset0:117 offset1:118
	ds_read2_b64 v[135:138], v130 offset0:119 offset1:120
	s_waitcnt vmcnt(18) lgkmcnt(1)
	v_fma_f64 v[131:132], v[159:160], v[131:132], v[151:152]
	buffer_load_dword v151, off, s[0:3], 0 offset:352
	buffer_load_dword v152, off, s[0:3], 0 offset:356
	s_waitcnt vmcnt(19)
	v_fma_f64 v[131:132], v[157:158], v[133:134], v[131:132]
	s_waitcnt vmcnt(18) lgkmcnt(0)
	v_fma_f64 v[131:132], v[155:156], v[135:136], v[131:132]
	s_waitcnt vmcnt(13)
	v_fma_f64 v[139:140], v[139:140], v[137:138], v[131:132]
	ds_read2_b64 v[131:134], v130 offset0:121 offset1:122
	ds_read2_b64 v[135:138], v130 offset0:123 offset1:124
	s_waitcnt vmcnt(12) lgkmcnt(1)
	v_fma_f64 v[131:132], v[163:164], v[131:132], v[139:140]
	s_waitcnt vmcnt(11)
	v_fma_f64 v[131:132], v[161:162], v[133:134], v[131:132]
	s_waitcnt vmcnt(10) lgkmcnt(0)
	v_fma_f64 v[131:132], v[141:142], v[135:136], v[131:132]
	s_waitcnt vmcnt(5)
	v_fma_f64 v[135:136], v[143:144], v[137:138], v[131:132]
	ds_read2_b64 v[131:134], v130 offset0:125 offset1:126
	ds_read_b64 v[137:138], v130 offset:1016
	s_waitcnt vmcnt(4) lgkmcnt(1)
	v_fma_f64 v[131:132], v[149:150], v[131:132], v[135:136]
	s_waitcnt vmcnt(3)
	v_fma_f64 v[131:132], v[147:148], v[133:134], v[131:132]
	s_waitcnt vmcnt(2) lgkmcnt(0)
	v_fma_f64 v[131:132], v[145:146], v[137:138], v[131:132]
	s_waitcnt vmcnt(0)
	v_add_f64 v[131:132], v[151:152], -v[131:132]
	buffer_store_dword v132, off, s[0:3], 0 offset:356
	buffer_store_dword v131, off, s[0:3], 0 offset:352
	s_and_saveexec_b64 s[4:5], vcc
	s_cbranch_execz .LBB63_305
; %bb.304:
	buffer_load_dword v131, off, s[0:3], 0 offset:344
	buffer_load_dword v132, off, s[0:3], 0 offset:348
	s_waitcnt vmcnt(0)
	ds_write_b64 v129, v[131:132]
	buffer_store_dword v130, off, s[0:3], 0 offset:344
	buffer_store_dword v130, off, s[0:3], 0 offset:348
.LBB63_305:
	s_or_b64 exec, exec, s[4:5]
	s_waitcnt lgkmcnt(0)
	; wave barrier
	buffer_load_dword v139, off, s[0:3], 0 offset:352
	buffer_load_dword v140, off, s[0:3], 0 offset:356
	;; [unrolled: 1-line block ×22, first 2 shown]
	ds_read_b128 v[131:134], v130 offset:864
	ds_read_b128 v[135:138], v130 offset:880
	v_cmp_lt_u32_e32 vcc, 42, v0
	s_waitcnt vmcnt(20) lgkmcnt(1)
	v_fma_f64 v[131:132], v[139:140], v[131:132], 0
	s_waitcnt vmcnt(18)
	v_fma_f64 v[131:132], v[141:142], v[133:134], v[131:132]
	buffer_load_dword v140, off, s[0:3], 0 offset:444
	buffer_load_dword v141, off, s[0:3], 0 offset:464
	;; [unrolled: 1-line block ×7, first 2 shown]
	s_waitcnt vmcnt(23) lgkmcnt(0)
	v_fma_f64 v[131:132], v[143:144], v[135:136], v[131:132]
	s_waitcnt vmcnt(21)
	v_fma_f64 v[142:143], v[145:146], v[137:138], v[131:132]
	ds_read_b128 v[131:134], v130 offset:896
	ds_read_b128 v[135:138], v130 offset:912
	s_waitcnt vmcnt(19) lgkmcnt(1)
	v_fma_f64 v[131:132], v[147:148], v[131:132], v[142:143]
	buffer_load_dword v142, off, s[0:3], 0 offset:468
	s_waitcnt vmcnt(18)
	v_fma_f64 v[131:132], v[149:150], v[133:134], v[131:132]
	buffer_load_dword v144, off, s[0:3], 0 offset:476
	buffer_load_dword v145, off, s[0:3], 0 offset:496
	buffer_load_dword v147, off, s[0:3], 0 offset:488
	buffer_load_dword v149, off, s[0:3], 0 offset:480
	buffer_load_dword v143, off, s[0:3], 0 offset:472
	buffer_load_dword v150, off, s[0:3], 0 offset:484
	buffer_load_dword v148, off, s[0:3], 0 offset:492
	buffer_load_dword v146, off, s[0:3], 0 offset:500
	s_waitcnt vmcnt(24) lgkmcnt(0)
	v_fma_f64 v[131:132], v[151:152], v[135:136], v[131:132]
	s_waitcnt vmcnt(19)
	v_fma_f64 v[151:152], v[153:154], v[137:138], v[131:132]
	ds_read_b128 v[131:134], v130 offset:928
	ds_read_b128 v[135:138], v130 offset:944
	s_waitcnt vmcnt(18) lgkmcnt(1)
	v_fma_f64 v[131:132], v[159:160], v[131:132], v[151:152]
	buffer_load_dword v152, off, s[0:3], 0 offset:508
	buffer_load_dword v151, off, s[0:3], 0 offset:504
	;; [unrolled: 1-line block ×4, first 2 shown]
	s_waitcnt vmcnt(21)
	v_fma_f64 v[131:132], v[157:158], v[133:134], v[131:132]
	s_waitcnt vmcnt(20) lgkmcnt(0)
	v_fma_f64 v[131:132], v[155:156], v[135:136], v[131:132]
	s_waitcnt vmcnt(15)
	v_fma_f64 v[139:140], v[139:140], v[137:138], v[131:132]
	ds_read_b128 v[131:134], v130 offset:960
	ds_read_b128 v[135:138], v130 offset:976
	s_waitcnt vmcnt(14) lgkmcnt(1)
	v_fma_f64 v[131:132], v[163:164], v[131:132], v[139:140]
	s_waitcnt vmcnt(13)
	v_fma_f64 v[131:132], v[161:162], v[133:134], v[131:132]
	s_waitcnt vmcnt(12) lgkmcnt(0)
	v_fma_f64 v[131:132], v[141:142], v[135:136], v[131:132]
	s_waitcnt vmcnt(7)
	v_fma_f64 v[139:140], v[143:144], v[137:138], v[131:132]
	ds_read_b128 v[131:134], v130 offset:992
	ds_read_b128 v[135:138], v130 offset:1008
	s_waitcnt vmcnt(6) lgkmcnt(1)
	v_fma_f64 v[130:131], v[149:150], v[131:132], v[139:140]
	s_waitcnt vmcnt(5)
	v_fma_f64 v[130:131], v[147:148], v[133:134], v[130:131]
	s_waitcnt vmcnt(4) lgkmcnt(0)
	v_fma_f64 v[130:131], v[145:146], v[135:136], v[130:131]
	s_waitcnt vmcnt(2)
	v_fma_f64 v[130:131], v[151:152], v[137:138], v[130:131]
	s_waitcnt vmcnt(0)
	v_add_f64 v[130:131], v[153:154], -v[130:131]
	buffer_store_dword v131, off, s[0:3], 0 offset:348
	buffer_store_dword v130, off, s[0:3], 0 offset:344
	s_and_saveexec_b64 s[4:5], vcc
	s_cbranch_execz .LBB63_307
; %bb.306:
	buffer_load_dword v130, off, s[0:3], 0 offset:336
	buffer_load_dword v131, off, s[0:3], 0 offset:340
	v_mov_b32_e32 v132, 0
	buffer_store_dword v132, off, s[0:3], 0 offset:336
	buffer_store_dword v132, off, s[0:3], 0 offset:340
	s_waitcnt vmcnt(2)
	ds_write_b64 v129, v[130:131]
.LBB63_307:
	s_or_b64 exec, exec, s[4:5]
	s_waitcnt lgkmcnt(0)
	; wave barrier
	buffer_load_dword v139, off, s[0:3], 0 offset:344
	buffer_load_dword v140, off, s[0:3], 0 offset:348
	;; [unrolled: 1-line block ×21, first 2 shown]
	v_mov_b32_e32 v130, 0
	ds_read2_b64 v[131:134], v130 offset0:107 offset1:108
	ds_read2_b64 v[135:138], v130 offset0:109 offset1:110
	buffer_load_dword v156, off, s[0:3], 0 offset:428
	v_cmp_lt_u32_e32 vcc, 41, v0
	s_waitcnt vmcnt(20) lgkmcnt(1)
	v_fma_f64 v[131:132], v[139:140], v[131:132], 0
	s_waitcnt vmcnt(18)
	v_fma_f64 v[131:132], v[141:142], v[133:134], v[131:132]
	buffer_load_dword v140, off, s[0:3], 0 offset:436
	buffer_load_dword v141, off, s[0:3], 0 offset:456
	;; [unrolled: 1-line block ×7, first 2 shown]
	s_waitcnt vmcnt(23) lgkmcnt(0)
	v_fma_f64 v[131:132], v[143:144], v[135:136], v[131:132]
	s_waitcnt vmcnt(21)
	v_fma_f64 v[142:143], v[145:146], v[137:138], v[131:132]
	ds_read2_b64 v[131:134], v130 offset0:111 offset1:112
	ds_read2_b64 v[135:138], v130 offset0:113 offset1:114
	s_waitcnt vmcnt(19) lgkmcnt(1)
	v_fma_f64 v[131:132], v[147:148], v[131:132], v[142:143]
	buffer_load_dword v142, off, s[0:3], 0 offset:460
	s_waitcnt vmcnt(18)
	v_fma_f64 v[131:132], v[149:150], v[133:134], v[131:132]
	buffer_load_dword v144, off, s[0:3], 0 offset:468
	buffer_load_dword v145, off, s[0:3], 0 offset:488
	;; [unrolled: 1-line block ×7, first 2 shown]
	s_waitcnt vmcnt(23) lgkmcnt(0)
	v_fma_f64 v[131:132], v[151:152], v[135:136], v[131:132]
	s_waitcnt vmcnt(18)
	v_fma_f64 v[151:152], v[153:154], v[137:138], v[131:132]
	ds_read2_b64 v[131:134], v130 offset0:115 offset1:116
	ds_read2_b64 v[135:138], v130 offset0:117 offset1:118
	buffer_load_dword v146, off, s[0:3], 0 offset:492
	s_waitcnt vmcnt(18) lgkmcnt(1)
	v_fma_f64 v[131:132], v[159:160], v[131:132], v[151:152]
	buffer_load_dword v152, off, s[0:3], 0 offset:500
	buffer_load_dword v153, off, s[0:3], 0 offset:504
	;; [unrolled: 1-line block ×4, first 2 shown]
	s_waitcnt vmcnt(21)
	v_fma_f64 v[131:132], v[157:158], v[133:134], v[131:132]
	s_waitcnt vmcnt(20) lgkmcnt(0)
	v_fma_f64 v[131:132], v[155:156], v[135:136], v[131:132]
	buffer_load_dword v155, off, s[0:3], 0 offset:336
	buffer_load_dword v156, off, s[0:3], 0 offset:340
	s_waitcnt vmcnt(17)
	v_fma_f64 v[139:140], v[139:140], v[137:138], v[131:132]
	ds_read2_b64 v[131:134], v130 offset0:119 offset1:120
	ds_read2_b64 v[135:138], v130 offset0:121 offset1:122
	s_waitcnt vmcnt(16) lgkmcnt(1)
	v_fma_f64 v[131:132], v[163:164], v[131:132], v[139:140]
	s_waitcnt vmcnt(15)
	v_fma_f64 v[131:132], v[161:162], v[133:134], v[131:132]
	s_waitcnt vmcnt(14) lgkmcnt(0)
	v_fma_f64 v[131:132], v[141:142], v[135:136], v[131:132]
	s_waitcnt vmcnt(9)
	v_fma_f64 v[139:140], v[143:144], v[137:138], v[131:132]
	ds_read2_b64 v[131:134], v130 offset0:123 offset1:124
	ds_read2_b64 v[135:138], v130 offset0:125 offset1:126
	s_waitcnt vmcnt(8) lgkmcnt(1)
	v_fma_f64 v[131:132], v[149:150], v[131:132], v[139:140]
	s_waitcnt vmcnt(7)
	v_fma_f64 v[131:132], v[147:148], v[133:134], v[131:132]
	ds_read_b64 v[133:134], v130 offset:1016
	s_waitcnt vmcnt(6) lgkmcnt(1)
	v_fma_f64 v[131:132], v[145:146], v[135:136], v[131:132]
	s_waitcnt vmcnt(3)
	v_fma_f64 v[131:132], v[151:152], v[137:138], v[131:132]
	s_waitcnt vmcnt(2) lgkmcnt(0)
	v_fma_f64 v[131:132], v[153:154], v[133:134], v[131:132]
	s_waitcnt vmcnt(0)
	v_add_f64 v[131:132], v[155:156], -v[131:132]
	buffer_store_dword v132, off, s[0:3], 0 offset:340
	buffer_store_dword v131, off, s[0:3], 0 offset:336
	s_and_saveexec_b64 s[4:5], vcc
	s_cbranch_execz .LBB63_309
; %bb.308:
	buffer_load_dword v131, off, s[0:3], 0 offset:328
	buffer_load_dword v132, off, s[0:3], 0 offset:332
	s_waitcnt vmcnt(0)
	ds_write_b64 v129, v[131:132]
	buffer_store_dword v130, off, s[0:3], 0 offset:328
	buffer_store_dword v130, off, s[0:3], 0 offset:332
.LBB63_309:
	s_or_b64 exec, exec, s[4:5]
	s_waitcnt lgkmcnt(0)
	; wave barrier
	buffer_load_dword v139, off, s[0:3], 0 offset:336
	buffer_load_dword v140, off, s[0:3], 0 offset:340
	;; [unrolled: 1-line block ×21, first 2 shown]
	ds_read_b128 v[131:134], v130 offset:848
	ds_read_b128 v[135:138], v130 offset:864
	buffer_load_dword v156, off, s[0:3], 0 offset:420
	v_cmp_lt_u32_e32 vcc, 40, v0
	s_waitcnt vmcnt(20) lgkmcnt(1)
	v_fma_f64 v[131:132], v[139:140], v[131:132], 0
	s_waitcnt vmcnt(18)
	v_fma_f64 v[131:132], v[141:142], v[133:134], v[131:132]
	buffer_load_dword v140, off, s[0:3], 0 offset:428
	buffer_load_dword v141, off, s[0:3], 0 offset:448
	;; [unrolled: 1-line block ×7, first 2 shown]
	s_waitcnt vmcnt(23) lgkmcnt(0)
	v_fma_f64 v[131:132], v[143:144], v[135:136], v[131:132]
	s_waitcnt vmcnt(21)
	v_fma_f64 v[142:143], v[145:146], v[137:138], v[131:132]
	ds_read_b128 v[131:134], v130 offset:880
	ds_read_b128 v[135:138], v130 offset:896
	s_waitcnt vmcnt(19) lgkmcnt(1)
	v_fma_f64 v[131:132], v[147:148], v[131:132], v[142:143]
	buffer_load_dword v142, off, s[0:3], 0 offset:452
	s_waitcnt vmcnt(18)
	v_fma_f64 v[131:132], v[149:150], v[133:134], v[131:132]
	buffer_load_dword v144, off, s[0:3], 0 offset:460
	buffer_load_dword v145, off, s[0:3], 0 offset:480
	;; [unrolled: 1-line block ×8, first 2 shown]
	s_waitcnt vmcnt(24) lgkmcnt(0)
	v_fma_f64 v[131:132], v[151:152], v[135:136], v[131:132]
	s_waitcnt vmcnt(19)
	v_fma_f64 v[151:152], v[153:154], v[137:138], v[131:132]
	ds_read_b128 v[131:134], v130 offset:912
	ds_read_b128 v[135:138], v130 offset:928
	s_waitcnt vmcnt(18) lgkmcnt(1)
	v_fma_f64 v[131:132], v[159:160], v[131:132], v[151:152]
	s_waitcnt vmcnt(17)
	v_fma_f64 v[131:132], v[157:158], v[133:134], v[131:132]
	buffer_load_dword v152, off, s[0:3], 0 offset:492
	buffer_load_dword v153, off, s[0:3], 0 offset:504
	;; [unrolled: 1-line block ×6, first 2 shown]
	s_waitcnt vmcnt(22) lgkmcnt(0)
	v_fma_f64 v[131:132], v[155:156], v[135:136], v[131:132]
	s_waitcnt vmcnt(17)
	v_fma_f64 v[139:140], v[139:140], v[137:138], v[131:132]
	ds_read_b128 v[131:134], v130 offset:944
	buffer_load_dword v155, off, s[0:3], 0 offset:328
	buffer_load_dword v156, off, s[0:3], 0 offset:332
	ds_read_b128 v[135:138], v130 offset:960
	s_waitcnt vmcnt(18) lgkmcnt(1)
	v_fma_f64 v[131:132], v[163:164], v[131:132], v[139:140]
	s_waitcnt vmcnt(17)
	v_fma_f64 v[131:132], v[161:162], v[133:134], v[131:132]
	s_waitcnt vmcnt(16) lgkmcnt(0)
	v_fma_f64 v[131:132], v[141:142], v[135:136], v[131:132]
	s_waitcnt vmcnt(11)
	v_fma_f64 v[139:140], v[143:144], v[137:138], v[131:132]
	ds_read_b128 v[131:134], v130 offset:976
	ds_read_b128 v[135:138], v130 offset:992
	s_waitcnt vmcnt(10) lgkmcnt(1)
	v_fma_f64 v[131:132], v[149:150], v[131:132], v[139:140]
	s_waitcnt vmcnt(9)
	v_fma_f64 v[131:132], v[147:148], v[133:134], v[131:132]
	s_waitcnt vmcnt(8) lgkmcnt(0)
	v_fma_f64 v[131:132], v[145:146], v[135:136], v[131:132]
	s_waitcnt vmcnt(4)
	v_fma_f64 v[134:135], v[151:152], v[137:138], v[131:132]
	ds_read_b128 v[130:133], v130 offset:1008
	s_waitcnt vmcnt(3) lgkmcnt(0)
	v_fma_f64 v[130:131], v[157:158], v[130:131], v[134:135]
	s_waitcnt vmcnt(2)
	v_fma_f64 v[130:131], v[153:154], v[132:133], v[130:131]
	s_waitcnt vmcnt(0)
	v_add_f64 v[130:131], v[155:156], -v[130:131]
	buffer_store_dword v131, off, s[0:3], 0 offset:332
	buffer_store_dword v130, off, s[0:3], 0 offset:328
	s_and_saveexec_b64 s[4:5], vcc
	s_cbranch_execz .LBB63_311
; %bb.310:
	buffer_load_dword v130, off, s[0:3], 0 offset:320
	buffer_load_dword v131, off, s[0:3], 0 offset:324
	v_mov_b32_e32 v132, 0
	buffer_store_dword v132, off, s[0:3], 0 offset:320
	buffer_store_dword v132, off, s[0:3], 0 offset:324
	s_waitcnt vmcnt(2)
	ds_write_b64 v129, v[130:131]
.LBB63_311:
	s_or_b64 exec, exec, s[4:5]
	s_waitcnt lgkmcnt(0)
	; wave barrier
	buffer_load_dword v139, off, s[0:3], 0 offset:328
	buffer_load_dword v140, off, s[0:3], 0 offset:332
	buffer_load_dword v141, off, s[0:3], 0 offset:336
	buffer_load_dword v142, off, s[0:3], 0 offset:340
	buffer_load_dword v143, off, s[0:3], 0 offset:344
	buffer_load_dword v144, off, s[0:3], 0 offset:348
	buffer_load_dword v145, off, s[0:3], 0 offset:352
	buffer_load_dword v146, off, s[0:3], 0 offset:356
	buffer_load_dword v147, off, s[0:3], 0 offset:360
	buffer_load_dword v148, off, s[0:3], 0 offset:364
	buffer_load_dword v149, off, s[0:3], 0 offset:368
	buffer_load_dword v150, off, s[0:3], 0 offset:372
	buffer_load_dword v151, off, s[0:3], 0 offset:376
	buffer_load_dword v152, off, s[0:3], 0 offset:380
	buffer_load_dword v154, off, s[0:3], 0 offset:388
	buffer_load_dword v155, off, s[0:3], 0 offset:408
	buffer_load_dword v157, off, s[0:3], 0 offset:400
	buffer_load_dword v159, off, s[0:3], 0 offset:392
	buffer_load_dword v153, off, s[0:3], 0 offset:384
	buffer_load_dword v160, off, s[0:3], 0 offset:396
	buffer_load_dword v158, off, s[0:3], 0 offset:404
	v_mov_b32_e32 v130, 0
	ds_read2_b64 v[131:134], v130 offset0:105 offset1:106
	ds_read2_b64 v[135:138], v130 offset0:107 offset1:108
	buffer_load_dword v156, off, s[0:3], 0 offset:412
	v_cmp_lt_u32_e32 vcc, 39, v0
	s_waitcnt vmcnt(20) lgkmcnt(1)
	v_fma_f64 v[131:132], v[139:140], v[131:132], 0
	s_waitcnt vmcnt(18)
	v_fma_f64 v[131:132], v[141:142], v[133:134], v[131:132]
	buffer_load_dword v140, off, s[0:3], 0 offset:420
	buffer_load_dword v141, off, s[0:3], 0 offset:440
	buffer_load_dword v161, off, s[0:3], 0 offset:432
	buffer_load_dword v163, off, s[0:3], 0 offset:424
	buffer_load_dword v139, off, s[0:3], 0 offset:416
	buffer_load_dword v164, off, s[0:3], 0 offset:428
	buffer_load_dword v162, off, s[0:3], 0 offset:436
	s_waitcnt vmcnt(23) lgkmcnt(0)
	v_fma_f64 v[131:132], v[143:144], v[135:136], v[131:132]
	s_waitcnt vmcnt(21)
	v_fma_f64 v[142:143], v[145:146], v[137:138], v[131:132]
	ds_read2_b64 v[131:134], v130 offset0:109 offset1:110
	ds_read2_b64 v[135:138], v130 offset0:111 offset1:112
	s_waitcnt vmcnt(19) lgkmcnt(1)
	v_fma_f64 v[131:132], v[147:148], v[131:132], v[142:143]
	buffer_load_dword v142, off, s[0:3], 0 offset:444
	s_waitcnt vmcnt(18)
	v_fma_f64 v[131:132], v[149:150], v[133:134], v[131:132]
	buffer_load_dword v144, off, s[0:3], 0 offset:452
	buffer_load_dword v145, off, s[0:3], 0 offset:472
	;; [unrolled: 1-line block ×8, first 2 shown]
	s_waitcnt vmcnt(24) lgkmcnt(0)
	v_fma_f64 v[131:132], v[151:152], v[135:136], v[131:132]
	s_waitcnt vmcnt(19)
	v_fma_f64 v[151:152], v[153:154], v[137:138], v[131:132]
	ds_read2_b64 v[131:134], v130 offset0:113 offset1:114
	ds_read2_b64 v[135:138], v130 offset0:115 offset1:116
	s_waitcnt vmcnt(18) lgkmcnt(1)
	v_fma_f64 v[131:132], v[159:160], v[131:132], v[151:152]
	s_waitcnt vmcnt(17)
	v_fma_f64 v[131:132], v[157:158], v[133:134], v[131:132]
	buffer_load_dword v152, off, s[0:3], 0 offset:484
	buffer_load_dword v153, off, s[0:3], 0 offset:504
	;; [unrolled: 1-line block ×8, first 2 shown]
	s_waitcnt vmcnt(24) lgkmcnt(0)
	v_fma_f64 v[131:132], v[155:156], v[135:136], v[131:132]
	s_waitcnt vmcnt(19)
	v_fma_f64 v[139:140], v[139:140], v[137:138], v[131:132]
	ds_read2_b64 v[131:134], v130 offset0:117 offset1:118
	ds_read2_b64 v[135:138], v130 offset0:119 offset1:120
	s_waitcnt vmcnt(18) lgkmcnt(1)
	v_fma_f64 v[131:132], v[163:164], v[131:132], v[139:140]
	buffer_load_dword v139, off, s[0:3], 0 offset:320
	buffer_load_dword v140, off, s[0:3], 0 offset:324
	s_waitcnt vmcnt(19)
	v_fma_f64 v[131:132], v[161:162], v[133:134], v[131:132]
	s_waitcnt vmcnt(18) lgkmcnt(0)
	v_fma_f64 v[131:132], v[141:142], v[135:136], v[131:132]
	s_waitcnt vmcnt(13)
	v_fma_f64 v[141:142], v[143:144], v[137:138], v[131:132]
	ds_read2_b64 v[131:134], v130 offset0:121 offset1:122
	ds_read2_b64 v[135:138], v130 offset0:123 offset1:124
	s_waitcnt vmcnt(12) lgkmcnt(1)
	v_fma_f64 v[131:132], v[149:150], v[131:132], v[141:142]
	s_waitcnt vmcnt(11)
	v_fma_f64 v[131:132], v[147:148], v[133:134], v[131:132]
	s_waitcnt vmcnt(10) lgkmcnt(0)
	v_fma_f64 v[131:132], v[145:146], v[135:136], v[131:132]
	s_waitcnt vmcnt(5)
	v_fma_f64 v[135:136], v[151:152], v[137:138], v[131:132]
	ds_read2_b64 v[131:134], v130 offset0:125 offset1:126
	ds_read_b64 v[137:138], v130 offset:1016
	s_waitcnt vmcnt(4) lgkmcnt(1)
	v_fma_f64 v[131:132], v[159:160], v[131:132], v[135:136]
	s_waitcnt vmcnt(3)
	v_fma_f64 v[131:132], v[157:158], v[133:134], v[131:132]
	s_waitcnt vmcnt(2) lgkmcnt(0)
	v_fma_f64 v[131:132], v[153:154], v[137:138], v[131:132]
	s_waitcnt vmcnt(0)
	v_add_f64 v[131:132], v[139:140], -v[131:132]
	buffer_store_dword v132, off, s[0:3], 0 offset:324
	buffer_store_dword v131, off, s[0:3], 0 offset:320
	s_and_saveexec_b64 s[4:5], vcc
	s_cbranch_execz .LBB63_313
; %bb.312:
	buffer_load_dword v131, off, s[0:3], 0 offset:312
	buffer_load_dword v132, off, s[0:3], 0 offset:316
	s_waitcnt vmcnt(0)
	ds_write_b64 v129, v[131:132]
	buffer_store_dword v130, off, s[0:3], 0 offset:312
	buffer_store_dword v130, off, s[0:3], 0 offset:316
.LBB63_313:
	s_or_b64 exec, exec, s[4:5]
	s_waitcnt lgkmcnt(0)
	; wave barrier
	buffer_load_dword v139, off, s[0:3], 0 offset:320
	buffer_load_dword v140, off, s[0:3], 0 offset:324
	;; [unrolled: 1-line block ×21, first 2 shown]
	ds_read_b128 v[131:134], v130 offset:832
	ds_read_b128 v[135:138], v130 offset:848
	buffer_load_dword v156, off, s[0:3], 0 offset:404
	v_cmp_lt_u32_e32 vcc, 38, v0
	s_waitcnt vmcnt(20) lgkmcnt(1)
	v_fma_f64 v[131:132], v[139:140], v[131:132], 0
	s_waitcnt vmcnt(18)
	v_fma_f64 v[131:132], v[141:142], v[133:134], v[131:132]
	buffer_load_dword v140, off, s[0:3], 0 offset:412
	buffer_load_dword v141, off, s[0:3], 0 offset:432
	buffer_load_dword v161, off, s[0:3], 0 offset:424
	buffer_load_dword v163, off, s[0:3], 0 offset:416
	buffer_load_dword v139, off, s[0:3], 0 offset:408
	buffer_load_dword v164, off, s[0:3], 0 offset:420
	buffer_load_dword v162, off, s[0:3], 0 offset:428
	s_waitcnt vmcnt(23) lgkmcnt(0)
	v_fma_f64 v[131:132], v[143:144], v[135:136], v[131:132]
	s_waitcnt vmcnt(21)
	v_fma_f64 v[142:143], v[145:146], v[137:138], v[131:132]
	ds_read_b128 v[131:134], v130 offset:864
	ds_read_b128 v[135:138], v130 offset:880
	s_waitcnt vmcnt(19) lgkmcnt(1)
	v_fma_f64 v[131:132], v[147:148], v[131:132], v[142:143]
	buffer_load_dword v142, off, s[0:3], 0 offset:436
	s_waitcnt vmcnt(18)
	v_fma_f64 v[131:132], v[149:150], v[133:134], v[131:132]
	buffer_load_dword v144, off, s[0:3], 0 offset:444
	buffer_load_dword v145, off, s[0:3], 0 offset:464
	;; [unrolled: 1-line block ×8, first 2 shown]
	s_waitcnt vmcnt(24) lgkmcnt(0)
	v_fma_f64 v[131:132], v[151:152], v[135:136], v[131:132]
	s_waitcnt vmcnt(19)
	v_fma_f64 v[151:152], v[153:154], v[137:138], v[131:132]
	ds_read_b128 v[131:134], v130 offset:896
	ds_read_b128 v[135:138], v130 offset:912
	s_waitcnt vmcnt(18) lgkmcnt(1)
	v_fma_f64 v[131:132], v[159:160], v[131:132], v[151:152]
	s_waitcnt vmcnt(17)
	v_fma_f64 v[131:132], v[157:158], v[133:134], v[131:132]
	buffer_load_dword v152, off, s[0:3], 0 offset:476
	buffer_load_dword v153, off, s[0:3], 0 offset:496
	;; [unrolled: 1-line block ×8, first 2 shown]
	s_waitcnt vmcnt(24) lgkmcnt(0)
	v_fma_f64 v[131:132], v[155:156], v[135:136], v[131:132]
	s_waitcnt vmcnt(19)
	v_fma_f64 v[139:140], v[139:140], v[137:138], v[131:132]
	ds_read_b128 v[131:134], v130 offset:928
	ds_read_b128 v[135:138], v130 offset:944
	s_waitcnt vmcnt(18) lgkmcnt(1)
	v_fma_f64 v[131:132], v[163:164], v[131:132], v[139:140]
	buffer_load_dword v140, off, s[0:3], 0 offset:508
	buffer_load_dword v139, off, s[0:3], 0 offset:504
	;; [unrolled: 1-line block ×4, first 2 shown]
	s_waitcnt vmcnt(21)
	v_fma_f64 v[131:132], v[161:162], v[133:134], v[131:132]
	s_waitcnt vmcnt(20) lgkmcnt(0)
	v_fma_f64 v[131:132], v[141:142], v[135:136], v[131:132]
	s_waitcnt vmcnt(15)
	v_fma_f64 v[141:142], v[143:144], v[137:138], v[131:132]
	ds_read_b128 v[131:134], v130 offset:960
	ds_read_b128 v[135:138], v130 offset:976
	s_waitcnt vmcnt(14) lgkmcnt(1)
	v_fma_f64 v[131:132], v[149:150], v[131:132], v[141:142]
	s_waitcnt vmcnt(13)
	v_fma_f64 v[131:132], v[147:148], v[133:134], v[131:132]
	s_waitcnt vmcnt(12) lgkmcnt(0)
	v_fma_f64 v[131:132], v[145:146], v[135:136], v[131:132]
	s_waitcnt vmcnt(7)
	v_fma_f64 v[141:142], v[151:152], v[137:138], v[131:132]
	ds_read_b128 v[131:134], v130 offset:992
	ds_read_b128 v[135:138], v130 offset:1008
	s_waitcnt vmcnt(6) lgkmcnt(1)
	v_fma_f64 v[130:131], v[159:160], v[131:132], v[141:142]
	s_waitcnt vmcnt(5)
	v_fma_f64 v[130:131], v[157:158], v[133:134], v[130:131]
	s_waitcnt vmcnt(4) lgkmcnt(0)
	v_fma_f64 v[130:131], v[153:154], v[135:136], v[130:131]
	s_waitcnt vmcnt(2)
	v_fma_f64 v[130:131], v[139:140], v[137:138], v[130:131]
	s_waitcnt vmcnt(0)
	v_add_f64 v[130:131], v[155:156], -v[130:131]
	buffer_store_dword v131, off, s[0:3], 0 offset:316
	buffer_store_dword v130, off, s[0:3], 0 offset:312
	s_and_saveexec_b64 s[4:5], vcc
	s_cbranch_execz .LBB63_315
; %bb.314:
	buffer_load_dword v130, off, s[0:3], 0 offset:304
	buffer_load_dword v131, off, s[0:3], 0 offset:308
	v_mov_b32_e32 v132, 0
	buffer_store_dword v132, off, s[0:3], 0 offset:304
	buffer_store_dword v132, off, s[0:3], 0 offset:308
	s_waitcnt vmcnt(2)
	ds_write_b64 v129, v[130:131]
.LBB63_315:
	s_or_b64 exec, exec, s[4:5]
	s_waitcnt lgkmcnt(0)
	; wave barrier
	buffer_load_dword v139, off, s[0:3], 0 offset:312
	buffer_load_dword v140, off, s[0:3], 0 offset:316
	;; [unrolled: 1-line block ×21, first 2 shown]
	v_mov_b32_e32 v130, 0
	ds_read2_b64 v[131:134], v130 offset0:103 offset1:104
	ds_read2_b64 v[135:138], v130 offset0:105 offset1:106
	buffer_load_dword v156, off, s[0:3], 0 offset:396
	v_cmp_lt_u32_e32 vcc, 37, v0
	s_waitcnt vmcnt(20) lgkmcnt(1)
	v_fma_f64 v[131:132], v[139:140], v[131:132], 0
	s_waitcnt vmcnt(18)
	v_fma_f64 v[131:132], v[141:142], v[133:134], v[131:132]
	buffer_load_dword v140, off, s[0:3], 0 offset:404
	buffer_load_dword v141, off, s[0:3], 0 offset:424
	;; [unrolled: 1-line block ×7, first 2 shown]
	s_waitcnt vmcnt(23) lgkmcnt(0)
	v_fma_f64 v[131:132], v[143:144], v[135:136], v[131:132]
	s_waitcnt vmcnt(21)
	v_fma_f64 v[142:143], v[145:146], v[137:138], v[131:132]
	ds_read2_b64 v[131:134], v130 offset0:107 offset1:108
	ds_read2_b64 v[135:138], v130 offset0:109 offset1:110
	s_waitcnt vmcnt(19) lgkmcnt(1)
	v_fma_f64 v[131:132], v[147:148], v[131:132], v[142:143]
	buffer_load_dword v142, off, s[0:3], 0 offset:428
	s_waitcnt vmcnt(18)
	v_fma_f64 v[131:132], v[149:150], v[133:134], v[131:132]
	buffer_load_dword v144, off, s[0:3], 0 offset:436
	buffer_load_dword v145, off, s[0:3], 0 offset:456
	;; [unrolled: 1-line block ×8, first 2 shown]
	s_waitcnt vmcnt(24) lgkmcnt(0)
	v_fma_f64 v[131:132], v[151:152], v[135:136], v[131:132]
	s_waitcnt vmcnt(19)
	v_fma_f64 v[151:152], v[153:154], v[137:138], v[131:132]
	ds_read2_b64 v[131:134], v130 offset0:111 offset1:112
	ds_read2_b64 v[135:138], v130 offset0:113 offset1:114
	s_waitcnt vmcnt(18) lgkmcnt(1)
	v_fma_f64 v[131:132], v[159:160], v[131:132], v[151:152]
	s_waitcnt vmcnt(17)
	v_fma_f64 v[131:132], v[157:158], v[133:134], v[131:132]
	buffer_load_dword v152, off, s[0:3], 0 offset:468
	buffer_load_dword v153, off, s[0:3], 0 offset:488
	;; [unrolled: 1-line block ×7, first 2 shown]
	s_waitcnt vmcnt(23) lgkmcnt(0)
	v_fma_f64 v[131:132], v[155:156], v[135:136], v[131:132]
	s_waitcnt vmcnt(18)
	v_fma_f64 v[139:140], v[139:140], v[137:138], v[131:132]
	ds_read2_b64 v[131:134], v130 offset0:115 offset1:116
	ds_read2_b64 v[135:138], v130 offset0:117 offset1:118
	buffer_load_dword v154, off, s[0:3], 0 offset:492
	s_waitcnt vmcnt(18) lgkmcnt(1)
	v_fma_f64 v[131:132], v[163:164], v[131:132], v[139:140]
	buffer_load_dword v140, off, s[0:3], 0 offset:500
	buffer_load_dword v155, off, s[0:3], 0 offset:504
	;; [unrolled: 1-line block ×4, first 2 shown]
	s_waitcnt vmcnt(21)
	v_fma_f64 v[131:132], v[161:162], v[133:134], v[131:132]
	s_waitcnt vmcnt(20) lgkmcnt(0)
	v_fma_f64 v[131:132], v[141:142], v[135:136], v[131:132]
	buffer_load_dword v141, off, s[0:3], 0 offset:304
	buffer_load_dword v142, off, s[0:3], 0 offset:308
	s_waitcnt vmcnt(17)
	v_fma_f64 v[143:144], v[143:144], v[137:138], v[131:132]
	ds_read2_b64 v[131:134], v130 offset0:119 offset1:120
	ds_read2_b64 v[135:138], v130 offset0:121 offset1:122
	s_waitcnt vmcnt(16) lgkmcnt(1)
	v_fma_f64 v[131:132], v[149:150], v[131:132], v[143:144]
	s_waitcnt vmcnt(15)
	v_fma_f64 v[131:132], v[147:148], v[133:134], v[131:132]
	s_waitcnt vmcnt(14) lgkmcnt(0)
	v_fma_f64 v[131:132], v[145:146], v[135:136], v[131:132]
	s_waitcnt vmcnt(9)
	v_fma_f64 v[143:144], v[151:152], v[137:138], v[131:132]
	ds_read2_b64 v[131:134], v130 offset0:123 offset1:124
	ds_read2_b64 v[135:138], v130 offset0:125 offset1:126
	s_waitcnt vmcnt(8) lgkmcnt(1)
	v_fma_f64 v[131:132], v[159:160], v[131:132], v[143:144]
	s_waitcnt vmcnt(7)
	v_fma_f64 v[131:132], v[157:158], v[133:134], v[131:132]
	ds_read_b64 v[133:134], v130 offset:1016
	s_waitcnt vmcnt(6) lgkmcnt(1)
	v_fma_f64 v[131:132], v[153:154], v[135:136], v[131:132]
	s_waitcnt vmcnt(3)
	v_fma_f64 v[131:132], v[139:140], v[137:138], v[131:132]
	s_waitcnt vmcnt(2) lgkmcnt(0)
	v_fma_f64 v[131:132], v[155:156], v[133:134], v[131:132]
	s_waitcnt vmcnt(0)
	v_add_f64 v[131:132], v[141:142], -v[131:132]
	buffer_store_dword v132, off, s[0:3], 0 offset:308
	buffer_store_dword v131, off, s[0:3], 0 offset:304
	s_and_saveexec_b64 s[4:5], vcc
	s_cbranch_execz .LBB63_317
; %bb.316:
	buffer_load_dword v131, off, s[0:3], 0 offset:296
	buffer_load_dword v132, off, s[0:3], 0 offset:300
	s_waitcnt vmcnt(0)
	ds_write_b64 v129, v[131:132]
	buffer_store_dword v130, off, s[0:3], 0 offset:296
	buffer_store_dword v130, off, s[0:3], 0 offset:300
.LBB63_317:
	s_or_b64 exec, exec, s[4:5]
	s_waitcnt lgkmcnt(0)
	; wave barrier
	buffer_load_dword v139, off, s[0:3], 0 offset:304
	buffer_load_dword v140, off, s[0:3], 0 offset:308
	;; [unrolled: 1-line block ×22, first 2 shown]
	ds_read_b128 v[131:134], v130 offset:816
	ds_read_b128 v[135:138], v130 offset:832
	v_cmp_lt_u32_e32 vcc, 36, v0
	s_waitcnt vmcnt(20) lgkmcnt(1)
	v_fma_f64 v[131:132], v[139:140], v[131:132], 0
	s_waitcnt vmcnt(18)
	v_fma_f64 v[131:132], v[141:142], v[133:134], v[131:132]
	buffer_load_dword v140, off, s[0:3], 0 offset:396
	buffer_load_dword v141, off, s[0:3], 0 offset:416
	buffer_load_dword v161, off, s[0:3], 0 offset:408
	buffer_load_dword v163, off, s[0:3], 0 offset:400
	buffer_load_dword v139, off, s[0:3], 0 offset:392
	buffer_load_dword v164, off, s[0:3], 0 offset:404
	buffer_load_dword v162, off, s[0:3], 0 offset:412
	s_waitcnt vmcnt(23) lgkmcnt(0)
	v_fma_f64 v[131:132], v[143:144], v[135:136], v[131:132]
	s_waitcnt vmcnt(21)
	v_fma_f64 v[142:143], v[145:146], v[137:138], v[131:132]
	ds_read_b128 v[131:134], v130 offset:848
	ds_read_b128 v[135:138], v130 offset:864
	s_waitcnt vmcnt(19) lgkmcnt(1)
	v_fma_f64 v[131:132], v[147:148], v[131:132], v[142:143]
	buffer_load_dword v142, off, s[0:3], 0 offset:420
	s_waitcnt vmcnt(18)
	v_fma_f64 v[131:132], v[149:150], v[133:134], v[131:132]
	buffer_load_dword v144, off, s[0:3], 0 offset:428
	buffer_load_dword v145, off, s[0:3], 0 offset:448
	;; [unrolled: 1-line block ×8, first 2 shown]
	s_waitcnt vmcnt(24) lgkmcnt(0)
	v_fma_f64 v[131:132], v[151:152], v[135:136], v[131:132]
	s_waitcnt vmcnt(19)
	v_fma_f64 v[151:152], v[153:154], v[137:138], v[131:132]
	ds_read_b128 v[131:134], v130 offset:880
	ds_read_b128 v[135:138], v130 offset:896
	s_waitcnt vmcnt(18) lgkmcnt(1)
	v_fma_f64 v[131:132], v[159:160], v[131:132], v[151:152]
	s_waitcnt vmcnt(17)
	v_fma_f64 v[131:132], v[157:158], v[133:134], v[131:132]
	buffer_load_dword v152, off, s[0:3], 0 offset:460
	buffer_load_dword v153, off, s[0:3], 0 offset:480
	;; [unrolled: 1-line block ×8, first 2 shown]
	s_waitcnt vmcnt(24) lgkmcnt(0)
	v_fma_f64 v[131:132], v[155:156], v[135:136], v[131:132]
	s_waitcnt vmcnt(19)
	v_fma_f64 v[139:140], v[139:140], v[137:138], v[131:132]
	ds_read_b128 v[131:134], v130 offset:912
	ds_read_b128 v[135:138], v130 offset:928
	s_waitcnt vmcnt(18) lgkmcnt(1)
	v_fma_f64 v[131:132], v[163:164], v[131:132], v[139:140]
	s_waitcnt vmcnt(17)
	v_fma_f64 v[131:132], v[161:162], v[133:134], v[131:132]
	buffer_load_dword v140, off, s[0:3], 0 offset:492
	buffer_load_dword v155, off, s[0:3], 0 offset:504
	;; [unrolled: 1-line block ×6, first 2 shown]
	s_waitcnt vmcnt(22) lgkmcnt(0)
	v_fma_f64 v[131:132], v[141:142], v[135:136], v[131:132]
	s_waitcnt vmcnt(17)
	v_fma_f64 v[141:142], v[143:144], v[137:138], v[131:132]
	ds_read_b128 v[131:134], v130 offset:944
	buffer_load_dword v143, off, s[0:3], 0 offset:296
	buffer_load_dword v144, off, s[0:3], 0 offset:300
	ds_read_b128 v[135:138], v130 offset:960
	s_waitcnt vmcnt(18) lgkmcnt(1)
	v_fma_f64 v[131:132], v[149:150], v[131:132], v[141:142]
	s_waitcnt vmcnt(17)
	v_fma_f64 v[131:132], v[147:148], v[133:134], v[131:132]
	s_waitcnt vmcnt(16) lgkmcnt(0)
	v_fma_f64 v[131:132], v[145:146], v[135:136], v[131:132]
	s_waitcnt vmcnt(11)
	v_fma_f64 v[141:142], v[151:152], v[137:138], v[131:132]
	ds_read_b128 v[131:134], v130 offset:976
	ds_read_b128 v[135:138], v130 offset:992
	s_waitcnt vmcnt(10) lgkmcnt(1)
	v_fma_f64 v[131:132], v[159:160], v[131:132], v[141:142]
	s_waitcnt vmcnt(9)
	v_fma_f64 v[131:132], v[157:158], v[133:134], v[131:132]
	s_waitcnt vmcnt(8) lgkmcnt(0)
	v_fma_f64 v[131:132], v[153:154], v[135:136], v[131:132]
	s_waitcnt vmcnt(4)
	v_fma_f64 v[134:135], v[139:140], v[137:138], v[131:132]
	ds_read_b128 v[130:133], v130 offset:1008
	s_waitcnt vmcnt(3) lgkmcnt(0)
	v_fma_f64 v[130:131], v[161:162], v[130:131], v[134:135]
	s_waitcnt vmcnt(2)
	v_fma_f64 v[130:131], v[155:156], v[132:133], v[130:131]
	s_waitcnt vmcnt(0)
	v_add_f64 v[130:131], v[143:144], -v[130:131]
	buffer_store_dword v131, off, s[0:3], 0 offset:300
	buffer_store_dword v130, off, s[0:3], 0 offset:296
	s_and_saveexec_b64 s[4:5], vcc
	s_cbranch_execz .LBB63_319
; %bb.318:
	buffer_load_dword v130, off, s[0:3], 0 offset:288
	buffer_load_dword v131, off, s[0:3], 0 offset:292
	v_mov_b32_e32 v132, 0
	buffer_store_dword v132, off, s[0:3], 0 offset:288
	buffer_store_dword v132, off, s[0:3], 0 offset:292
	s_waitcnt vmcnt(2)
	ds_write_b64 v129, v[130:131]
.LBB63_319:
	s_or_b64 exec, exec, s[4:5]
	s_waitcnt lgkmcnt(0)
	; wave barrier
	buffer_load_dword v139, off, s[0:3], 0 offset:296
	buffer_load_dword v140, off, s[0:3], 0 offset:300
	;; [unrolled: 1-line block ×22, first 2 shown]
	v_mov_b32_e32 v130, 0
	ds_read2_b64 v[131:134], v130 offset0:101 offset1:102
	ds_read2_b64 v[135:138], v130 offset0:103 offset1:104
	v_cmp_lt_u32_e32 vcc, 35, v0
	s_waitcnt vmcnt(20) lgkmcnt(1)
	v_fma_f64 v[131:132], v[139:140], v[131:132], 0
	s_waitcnt vmcnt(18)
	v_fma_f64 v[131:132], v[141:142], v[133:134], v[131:132]
	buffer_load_dword v140, off, s[0:3], 0 offset:388
	buffer_load_dword v141, off, s[0:3], 0 offset:408
	;; [unrolled: 1-line block ×7, first 2 shown]
	s_waitcnt vmcnt(23) lgkmcnt(0)
	v_fma_f64 v[131:132], v[143:144], v[135:136], v[131:132]
	s_waitcnt vmcnt(21)
	v_fma_f64 v[142:143], v[145:146], v[137:138], v[131:132]
	ds_read2_b64 v[131:134], v130 offset0:105 offset1:106
	ds_read2_b64 v[135:138], v130 offset0:107 offset1:108
	s_waitcnt vmcnt(19) lgkmcnt(1)
	v_fma_f64 v[131:132], v[147:148], v[131:132], v[142:143]
	buffer_load_dword v142, off, s[0:3], 0 offset:412
	s_waitcnt vmcnt(18)
	v_fma_f64 v[131:132], v[149:150], v[133:134], v[131:132]
	buffer_load_dword v144, off, s[0:3], 0 offset:420
	buffer_load_dword v145, off, s[0:3], 0 offset:440
	buffer_load_dword v147, off, s[0:3], 0 offset:432
	buffer_load_dword v149, off, s[0:3], 0 offset:424
	buffer_load_dword v143, off, s[0:3], 0 offset:416
	buffer_load_dword v150, off, s[0:3], 0 offset:428
	buffer_load_dword v148, off, s[0:3], 0 offset:436
	buffer_load_dword v146, off, s[0:3], 0 offset:444
	s_waitcnt vmcnt(24) lgkmcnt(0)
	v_fma_f64 v[131:132], v[151:152], v[135:136], v[131:132]
	s_waitcnt vmcnt(19)
	v_fma_f64 v[151:152], v[153:154], v[137:138], v[131:132]
	ds_read2_b64 v[131:134], v130 offset0:109 offset1:110
	ds_read2_b64 v[135:138], v130 offset0:111 offset1:112
	s_waitcnt vmcnt(18) lgkmcnt(1)
	v_fma_f64 v[131:132], v[159:160], v[131:132], v[151:152]
	s_waitcnt vmcnt(17)
	v_fma_f64 v[131:132], v[157:158], v[133:134], v[131:132]
	buffer_load_dword v152, off, s[0:3], 0 offset:452
	buffer_load_dword v153, off, s[0:3], 0 offset:472
	buffer_load_dword v157, off, s[0:3], 0 offset:464
	buffer_load_dword v159, off, s[0:3], 0 offset:456
	buffer_load_dword v151, off, s[0:3], 0 offset:448
	buffer_load_dword v160, off, s[0:3], 0 offset:460
	buffer_load_dword v158, off, s[0:3], 0 offset:468
	buffer_load_dword v154, off, s[0:3], 0 offset:476
	s_waitcnt vmcnt(24) lgkmcnt(0)
	v_fma_f64 v[131:132], v[155:156], v[135:136], v[131:132]
	s_waitcnt vmcnt(19)
	v_fma_f64 v[139:140], v[139:140], v[137:138], v[131:132]
	ds_read2_b64 v[131:134], v130 offset0:113 offset1:114
	ds_read2_b64 v[135:138], v130 offset0:115 offset1:116
	s_waitcnt vmcnt(18) lgkmcnt(1)
	v_fma_f64 v[131:132], v[163:164], v[131:132], v[139:140]
	;; [unrolled: 18-line block ×3, first 2 shown]
	buffer_load_dword v141, off, s[0:3], 0 offset:288
	buffer_load_dword v142, off, s[0:3], 0 offset:292
	s_waitcnt vmcnt(19)
	v_fma_f64 v[131:132], v[147:148], v[133:134], v[131:132]
	s_waitcnt vmcnt(18) lgkmcnt(0)
	v_fma_f64 v[131:132], v[145:146], v[135:136], v[131:132]
	s_waitcnt vmcnt(13)
	v_fma_f64 v[143:144], v[151:152], v[137:138], v[131:132]
	ds_read2_b64 v[131:134], v130 offset0:121 offset1:122
	ds_read2_b64 v[135:138], v130 offset0:123 offset1:124
	s_waitcnt vmcnt(12) lgkmcnt(1)
	v_fma_f64 v[131:132], v[159:160], v[131:132], v[143:144]
	s_waitcnt vmcnt(11)
	v_fma_f64 v[131:132], v[157:158], v[133:134], v[131:132]
	s_waitcnt vmcnt(10) lgkmcnt(0)
	v_fma_f64 v[131:132], v[153:154], v[135:136], v[131:132]
	s_waitcnt vmcnt(5)
	v_fma_f64 v[135:136], v[139:140], v[137:138], v[131:132]
	ds_read2_b64 v[131:134], v130 offset0:125 offset1:126
	ds_read_b64 v[137:138], v130 offset:1016
	s_waitcnt vmcnt(4) lgkmcnt(1)
	v_fma_f64 v[131:132], v[163:164], v[131:132], v[135:136]
	s_waitcnt vmcnt(3)
	v_fma_f64 v[131:132], v[161:162], v[133:134], v[131:132]
	s_waitcnt vmcnt(2) lgkmcnt(0)
	v_fma_f64 v[131:132], v[155:156], v[137:138], v[131:132]
	s_waitcnt vmcnt(0)
	v_add_f64 v[131:132], v[141:142], -v[131:132]
	buffer_store_dword v132, off, s[0:3], 0 offset:292
	buffer_store_dword v131, off, s[0:3], 0 offset:288
	s_and_saveexec_b64 s[4:5], vcc
	s_cbranch_execz .LBB63_321
; %bb.320:
	buffer_load_dword v131, off, s[0:3], 0 offset:280
	buffer_load_dword v132, off, s[0:3], 0 offset:284
	s_waitcnt vmcnt(0)
	ds_write_b64 v129, v[131:132]
	buffer_store_dword v130, off, s[0:3], 0 offset:280
	buffer_store_dword v130, off, s[0:3], 0 offset:284
.LBB63_321:
	s_or_b64 exec, exec, s[4:5]
	s_waitcnt lgkmcnt(0)
	; wave barrier
	buffer_load_dword v139, off, s[0:3], 0 offset:288
	buffer_load_dword v140, off, s[0:3], 0 offset:292
	;; [unrolled: 1-line block ×22, first 2 shown]
	ds_read_b128 v[131:134], v130 offset:800
	ds_read_b128 v[135:138], v130 offset:816
	v_cmp_lt_u32_e32 vcc, 34, v0
	s_waitcnt vmcnt(20) lgkmcnt(1)
	v_fma_f64 v[131:132], v[139:140], v[131:132], 0
	s_waitcnt vmcnt(18)
	v_fma_f64 v[131:132], v[141:142], v[133:134], v[131:132]
	buffer_load_dword v140, off, s[0:3], 0 offset:380
	buffer_load_dword v141, off, s[0:3], 0 offset:400
	buffer_load_dword v161, off, s[0:3], 0 offset:392
	buffer_load_dword v163, off, s[0:3], 0 offset:384
	buffer_load_dword v139, off, s[0:3], 0 offset:376
	buffer_load_dword v164, off, s[0:3], 0 offset:388
	buffer_load_dword v162, off, s[0:3], 0 offset:396
	s_waitcnt vmcnt(23) lgkmcnt(0)
	v_fma_f64 v[131:132], v[143:144], v[135:136], v[131:132]
	s_waitcnt vmcnt(21)
	v_fma_f64 v[142:143], v[145:146], v[137:138], v[131:132]
	ds_read_b128 v[131:134], v130 offset:832
	ds_read_b128 v[135:138], v130 offset:848
	s_waitcnt vmcnt(19) lgkmcnt(1)
	v_fma_f64 v[131:132], v[147:148], v[131:132], v[142:143]
	buffer_load_dword v142, off, s[0:3], 0 offset:404
	s_waitcnt vmcnt(18)
	v_fma_f64 v[131:132], v[149:150], v[133:134], v[131:132]
	buffer_load_dword v144, off, s[0:3], 0 offset:412
	buffer_load_dword v145, off, s[0:3], 0 offset:432
	buffer_load_dword v147, off, s[0:3], 0 offset:424
	buffer_load_dword v149, off, s[0:3], 0 offset:416
	buffer_load_dword v143, off, s[0:3], 0 offset:408
	buffer_load_dword v150, off, s[0:3], 0 offset:420
	buffer_load_dword v148, off, s[0:3], 0 offset:428
	buffer_load_dword v146, off, s[0:3], 0 offset:436
	s_waitcnt vmcnt(24) lgkmcnt(0)
	v_fma_f64 v[131:132], v[151:152], v[135:136], v[131:132]
	s_waitcnt vmcnt(19)
	v_fma_f64 v[151:152], v[153:154], v[137:138], v[131:132]
	ds_read_b128 v[131:134], v130 offset:864
	ds_read_b128 v[135:138], v130 offset:880
	s_waitcnt vmcnt(18) lgkmcnt(1)
	v_fma_f64 v[131:132], v[159:160], v[131:132], v[151:152]
	s_waitcnt vmcnt(17)
	v_fma_f64 v[131:132], v[157:158], v[133:134], v[131:132]
	buffer_load_dword v152, off, s[0:3], 0 offset:444
	buffer_load_dword v153, off, s[0:3], 0 offset:464
	buffer_load_dword v157, off, s[0:3], 0 offset:456
	buffer_load_dword v159, off, s[0:3], 0 offset:448
	buffer_load_dword v151, off, s[0:3], 0 offset:440
	buffer_load_dword v160, off, s[0:3], 0 offset:452
	buffer_load_dword v158, off, s[0:3], 0 offset:460
	buffer_load_dword v154, off, s[0:3], 0 offset:468
	s_waitcnt vmcnt(24) lgkmcnt(0)
	v_fma_f64 v[131:132], v[155:156], v[135:136], v[131:132]
	s_waitcnt vmcnt(19)
	v_fma_f64 v[139:140], v[139:140], v[137:138], v[131:132]
	ds_read_b128 v[131:134], v130 offset:896
	ds_read_b128 v[135:138], v130 offset:912
	s_waitcnt vmcnt(18) lgkmcnt(1)
	v_fma_f64 v[131:132], v[163:164], v[131:132], v[139:140]
	;; [unrolled: 18-line block ×3, first 2 shown]
	buffer_load_dword v142, off, s[0:3], 0 offset:508
	buffer_load_dword v141, off, s[0:3], 0 offset:504
	;; [unrolled: 1-line block ×4, first 2 shown]
	s_waitcnt vmcnt(21)
	v_fma_f64 v[131:132], v[147:148], v[133:134], v[131:132]
	s_waitcnt vmcnt(20) lgkmcnt(0)
	v_fma_f64 v[131:132], v[145:146], v[135:136], v[131:132]
	s_waitcnt vmcnt(15)
	v_fma_f64 v[145:146], v[151:152], v[137:138], v[131:132]
	ds_read_b128 v[131:134], v130 offset:960
	ds_read_b128 v[135:138], v130 offset:976
	s_waitcnt vmcnt(14) lgkmcnt(1)
	v_fma_f64 v[131:132], v[159:160], v[131:132], v[145:146]
	s_waitcnt vmcnt(13)
	v_fma_f64 v[131:132], v[157:158], v[133:134], v[131:132]
	s_waitcnt vmcnt(12) lgkmcnt(0)
	v_fma_f64 v[131:132], v[153:154], v[135:136], v[131:132]
	s_waitcnt vmcnt(7)
	v_fma_f64 v[139:140], v[139:140], v[137:138], v[131:132]
	ds_read_b128 v[131:134], v130 offset:992
	ds_read_b128 v[135:138], v130 offset:1008
	s_waitcnt vmcnt(6) lgkmcnt(1)
	v_fma_f64 v[130:131], v[163:164], v[131:132], v[139:140]
	s_waitcnt vmcnt(5)
	v_fma_f64 v[130:131], v[161:162], v[133:134], v[130:131]
	s_waitcnt vmcnt(4) lgkmcnt(0)
	v_fma_f64 v[130:131], v[155:156], v[135:136], v[130:131]
	s_waitcnt vmcnt(2)
	v_fma_f64 v[130:131], v[141:142], v[137:138], v[130:131]
	s_waitcnt vmcnt(0)
	v_add_f64 v[130:131], v[143:144], -v[130:131]
	buffer_store_dword v131, off, s[0:3], 0 offset:284
	buffer_store_dword v130, off, s[0:3], 0 offset:280
	s_and_saveexec_b64 s[4:5], vcc
	s_cbranch_execz .LBB63_323
; %bb.322:
	buffer_load_dword v130, off, s[0:3], 0 offset:272
	buffer_load_dword v131, off, s[0:3], 0 offset:276
	v_mov_b32_e32 v132, 0
	buffer_store_dword v132, off, s[0:3], 0 offset:272
	buffer_store_dword v132, off, s[0:3], 0 offset:276
	s_waitcnt vmcnt(2)
	ds_write_b64 v129, v[130:131]
.LBB63_323:
	s_or_b64 exec, exec, s[4:5]
	s_waitcnt lgkmcnt(0)
	; wave barrier
	buffer_load_dword v139, off, s[0:3], 0 offset:280
	buffer_load_dword v140, off, s[0:3], 0 offset:284
	;; [unrolled: 1-line block ×22, first 2 shown]
	v_mov_b32_e32 v130, 0
	ds_read2_b64 v[131:134], v130 offset0:99 offset1:100
	ds_read2_b64 v[135:138], v130 offset0:101 offset1:102
	v_cmp_lt_u32_e32 vcc, 33, v0
	s_waitcnt vmcnt(20) lgkmcnt(1)
	v_fma_f64 v[131:132], v[139:140], v[131:132], 0
	s_waitcnt vmcnt(18)
	v_fma_f64 v[131:132], v[141:142], v[133:134], v[131:132]
	buffer_load_dword v140, off, s[0:3], 0 offset:372
	buffer_load_dword v141, off, s[0:3], 0 offset:392
	;; [unrolled: 1-line block ×7, first 2 shown]
	s_waitcnt vmcnt(23) lgkmcnt(0)
	v_fma_f64 v[131:132], v[143:144], v[135:136], v[131:132]
	s_waitcnt vmcnt(21)
	v_fma_f64 v[142:143], v[145:146], v[137:138], v[131:132]
	ds_read2_b64 v[131:134], v130 offset0:103 offset1:104
	ds_read2_b64 v[135:138], v130 offset0:105 offset1:106
	s_waitcnt vmcnt(19) lgkmcnt(1)
	v_fma_f64 v[131:132], v[147:148], v[131:132], v[142:143]
	buffer_load_dword v142, off, s[0:3], 0 offset:396
	s_waitcnt vmcnt(18)
	v_fma_f64 v[131:132], v[149:150], v[133:134], v[131:132]
	buffer_load_dword v144, off, s[0:3], 0 offset:404
	buffer_load_dword v145, off, s[0:3], 0 offset:424
	buffer_load_dword v147, off, s[0:3], 0 offset:416
	buffer_load_dword v149, off, s[0:3], 0 offset:408
	buffer_load_dword v143, off, s[0:3], 0 offset:400
	buffer_load_dword v150, off, s[0:3], 0 offset:412
	buffer_load_dword v148, off, s[0:3], 0 offset:420
	s_waitcnt vmcnt(23) lgkmcnt(0)
	v_fma_f64 v[131:132], v[151:152], v[135:136], v[131:132]
	s_waitcnt vmcnt(18)
	v_fma_f64 v[151:152], v[153:154], v[137:138], v[131:132]
	ds_read2_b64 v[131:134], v130 offset0:107 offset1:108
	ds_read2_b64 v[135:138], v130 offset0:109 offset1:110
	buffer_load_dword v146, off, s[0:3], 0 offset:428
	s_waitcnt vmcnt(18) lgkmcnt(1)
	v_fma_f64 v[131:132], v[159:160], v[131:132], v[151:152]
	s_waitcnt vmcnt(17)
	v_fma_f64 v[131:132], v[157:158], v[133:134], v[131:132]
	buffer_load_dword v152, off, s[0:3], 0 offset:436
	buffer_load_dword v153, off, s[0:3], 0 offset:456
	;; [unrolled: 1-line block ×8, first 2 shown]
	s_waitcnt vmcnt(24) lgkmcnt(0)
	v_fma_f64 v[131:132], v[155:156], v[135:136], v[131:132]
	s_waitcnt vmcnt(19)
	v_fma_f64 v[139:140], v[139:140], v[137:138], v[131:132]
	ds_read2_b64 v[131:134], v130 offset0:111 offset1:112
	ds_read2_b64 v[135:138], v130 offset0:113 offset1:114
	s_waitcnt vmcnt(18) lgkmcnt(1)
	v_fma_f64 v[131:132], v[163:164], v[131:132], v[139:140]
	s_waitcnt vmcnt(17)
	v_fma_f64 v[131:132], v[161:162], v[133:134], v[131:132]
	buffer_load_dword v140, off, s[0:3], 0 offset:468
	buffer_load_dword v155, off, s[0:3], 0 offset:488
	;; [unrolled: 1-line block ×7, first 2 shown]
	s_waitcnt vmcnt(23) lgkmcnt(0)
	v_fma_f64 v[131:132], v[141:142], v[135:136], v[131:132]
	s_waitcnt vmcnt(18)
	v_fma_f64 v[141:142], v[143:144], v[137:138], v[131:132]
	ds_read2_b64 v[131:134], v130 offset0:115 offset1:116
	ds_read2_b64 v[135:138], v130 offset0:117 offset1:118
	buffer_load_dword v156, off, s[0:3], 0 offset:492
	s_waitcnt vmcnt(18) lgkmcnt(1)
	v_fma_f64 v[131:132], v[149:150], v[131:132], v[141:142]
	buffer_load_dword v142, off, s[0:3], 0 offset:500
	buffer_load_dword v143, off, s[0:3], 0 offset:504
	;; [unrolled: 1-line block ×4, first 2 shown]
	s_waitcnt vmcnt(21)
	v_fma_f64 v[131:132], v[147:148], v[133:134], v[131:132]
	s_waitcnt vmcnt(20) lgkmcnt(0)
	v_fma_f64 v[131:132], v[145:146], v[135:136], v[131:132]
	buffer_load_dword v145, off, s[0:3], 0 offset:272
	buffer_load_dword v146, off, s[0:3], 0 offset:276
	s_waitcnt vmcnt(17)
	v_fma_f64 v[147:148], v[151:152], v[137:138], v[131:132]
	ds_read2_b64 v[131:134], v130 offset0:119 offset1:120
	ds_read2_b64 v[135:138], v130 offset0:121 offset1:122
	s_waitcnt vmcnt(16) lgkmcnt(1)
	v_fma_f64 v[131:132], v[159:160], v[131:132], v[147:148]
	s_waitcnt vmcnt(15)
	v_fma_f64 v[131:132], v[157:158], v[133:134], v[131:132]
	s_waitcnt vmcnt(14) lgkmcnt(0)
	v_fma_f64 v[131:132], v[153:154], v[135:136], v[131:132]
	s_waitcnt vmcnt(9)
	v_fma_f64 v[139:140], v[139:140], v[137:138], v[131:132]
	ds_read2_b64 v[131:134], v130 offset0:123 offset1:124
	ds_read2_b64 v[135:138], v130 offset0:125 offset1:126
	s_waitcnt vmcnt(8) lgkmcnt(1)
	v_fma_f64 v[131:132], v[163:164], v[131:132], v[139:140]
	s_waitcnt vmcnt(7)
	v_fma_f64 v[131:132], v[161:162], v[133:134], v[131:132]
	ds_read_b64 v[133:134], v130 offset:1016
	s_waitcnt vmcnt(6) lgkmcnt(1)
	v_fma_f64 v[131:132], v[155:156], v[135:136], v[131:132]
	s_waitcnt vmcnt(3)
	v_fma_f64 v[131:132], v[141:142], v[137:138], v[131:132]
	s_waitcnt vmcnt(2) lgkmcnt(0)
	v_fma_f64 v[131:132], v[143:144], v[133:134], v[131:132]
	s_waitcnt vmcnt(0)
	v_add_f64 v[131:132], v[145:146], -v[131:132]
	buffer_store_dword v132, off, s[0:3], 0 offset:276
	buffer_store_dword v131, off, s[0:3], 0 offset:272
	s_and_saveexec_b64 s[4:5], vcc
	s_cbranch_execz .LBB63_325
; %bb.324:
	buffer_load_dword v131, off, s[0:3], 0 offset:264
	buffer_load_dword v132, off, s[0:3], 0 offset:268
	s_waitcnt vmcnt(0)
	ds_write_b64 v129, v[131:132]
	buffer_store_dword v130, off, s[0:3], 0 offset:264
	buffer_store_dword v130, off, s[0:3], 0 offset:268
.LBB63_325:
	s_or_b64 exec, exec, s[4:5]
	s_waitcnt lgkmcnt(0)
	; wave barrier
	buffer_load_dword v139, off, s[0:3], 0 offset:272
	buffer_load_dword v140, off, s[0:3], 0 offset:276
	;; [unrolled: 1-line block ×22, first 2 shown]
	ds_read_b128 v[131:134], v130 offset:784
	ds_read_b128 v[135:138], v130 offset:800
	v_cmp_lt_u32_e32 vcc, 32, v0
	s_waitcnt vmcnt(20) lgkmcnt(1)
	v_fma_f64 v[131:132], v[139:140], v[131:132], 0
	s_waitcnt vmcnt(18)
	v_fma_f64 v[131:132], v[141:142], v[133:134], v[131:132]
	buffer_load_dword v140, off, s[0:3], 0 offset:364
	buffer_load_dword v141, off, s[0:3], 0 offset:384
	;; [unrolled: 1-line block ×7, first 2 shown]
	s_waitcnt vmcnt(23) lgkmcnt(0)
	v_fma_f64 v[131:132], v[143:144], v[135:136], v[131:132]
	s_waitcnt vmcnt(21)
	v_fma_f64 v[142:143], v[145:146], v[137:138], v[131:132]
	ds_read_b128 v[131:134], v130 offset:816
	ds_read_b128 v[135:138], v130 offset:832
	s_waitcnt vmcnt(19) lgkmcnt(1)
	v_fma_f64 v[131:132], v[147:148], v[131:132], v[142:143]
	buffer_load_dword v142, off, s[0:3], 0 offset:388
	s_waitcnt vmcnt(18)
	v_fma_f64 v[131:132], v[149:150], v[133:134], v[131:132]
	buffer_load_dword v144, off, s[0:3], 0 offset:396
	buffer_load_dword v145, off, s[0:3], 0 offset:416
	;; [unrolled: 1-line block ×7, first 2 shown]
	s_waitcnt vmcnt(23) lgkmcnt(0)
	v_fma_f64 v[131:132], v[151:152], v[135:136], v[131:132]
	s_waitcnt vmcnt(18)
	v_fma_f64 v[151:152], v[153:154], v[137:138], v[131:132]
	ds_read_b128 v[131:134], v130 offset:848
	ds_read_b128 v[135:138], v130 offset:864
	buffer_load_dword v146, off, s[0:3], 0 offset:420
	s_waitcnt vmcnt(18) lgkmcnt(1)
	v_fma_f64 v[131:132], v[159:160], v[131:132], v[151:152]
	s_waitcnt vmcnt(17)
	v_fma_f64 v[131:132], v[157:158], v[133:134], v[131:132]
	buffer_load_dword v152, off, s[0:3], 0 offset:428
	buffer_load_dword v153, off, s[0:3], 0 offset:448
	;; [unrolled: 1-line block ×8, first 2 shown]
	s_waitcnt vmcnt(24) lgkmcnt(0)
	v_fma_f64 v[131:132], v[155:156], v[135:136], v[131:132]
	s_waitcnt vmcnt(19)
	v_fma_f64 v[139:140], v[139:140], v[137:138], v[131:132]
	ds_read_b128 v[131:134], v130 offset:880
	ds_read_b128 v[135:138], v130 offset:896
	s_waitcnt vmcnt(18) lgkmcnt(1)
	v_fma_f64 v[131:132], v[163:164], v[131:132], v[139:140]
	s_waitcnt vmcnt(17)
	v_fma_f64 v[131:132], v[161:162], v[133:134], v[131:132]
	buffer_load_dword v140, off, s[0:3], 0 offset:460
	buffer_load_dword v155, off, s[0:3], 0 offset:480
	;; [unrolled: 1-line block ×8, first 2 shown]
	s_waitcnt vmcnt(24) lgkmcnt(0)
	v_fma_f64 v[131:132], v[141:142], v[135:136], v[131:132]
	s_waitcnt vmcnt(19)
	v_fma_f64 v[141:142], v[143:144], v[137:138], v[131:132]
	ds_read_b128 v[131:134], v130 offset:912
	ds_read_b128 v[135:138], v130 offset:928
	s_waitcnt vmcnt(18) lgkmcnt(1)
	v_fma_f64 v[131:132], v[149:150], v[131:132], v[141:142]
	s_waitcnt vmcnt(17)
	v_fma_f64 v[131:132], v[147:148], v[133:134], v[131:132]
	buffer_load_dword v142, off, s[0:3], 0 offset:492
	buffer_load_dword v143, off, s[0:3], 0 offset:504
	;; [unrolled: 1-line block ×6, first 2 shown]
	s_waitcnt vmcnt(22) lgkmcnt(0)
	v_fma_f64 v[131:132], v[145:146], v[135:136], v[131:132]
	s_waitcnt vmcnt(17)
	v_fma_f64 v[145:146], v[151:152], v[137:138], v[131:132]
	ds_read_b128 v[131:134], v130 offset:944
	buffer_load_dword v149, off, s[0:3], 0 offset:264
	buffer_load_dword v150, off, s[0:3], 0 offset:268
	ds_read_b128 v[135:138], v130 offset:960
	s_waitcnt vmcnt(18) lgkmcnt(1)
	v_fma_f64 v[131:132], v[159:160], v[131:132], v[145:146]
	s_waitcnt vmcnt(17)
	v_fma_f64 v[131:132], v[157:158], v[133:134], v[131:132]
	s_waitcnt vmcnt(16) lgkmcnt(0)
	v_fma_f64 v[131:132], v[153:154], v[135:136], v[131:132]
	s_waitcnt vmcnt(11)
	v_fma_f64 v[139:140], v[139:140], v[137:138], v[131:132]
	ds_read_b128 v[131:134], v130 offset:976
	ds_read_b128 v[135:138], v130 offset:992
	s_waitcnt vmcnt(10) lgkmcnt(1)
	v_fma_f64 v[131:132], v[163:164], v[131:132], v[139:140]
	s_waitcnt vmcnt(9)
	v_fma_f64 v[131:132], v[161:162], v[133:134], v[131:132]
	s_waitcnt vmcnt(8) lgkmcnt(0)
	v_fma_f64 v[131:132], v[155:156], v[135:136], v[131:132]
	s_waitcnt vmcnt(4)
	v_fma_f64 v[134:135], v[141:142], v[137:138], v[131:132]
	ds_read_b128 v[130:133], v130 offset:1008
	s_waitcnt vmcnt(3) lgkmcnt(0)
	v_fma_f64 v[130:131], v[147:148], v[130:131], v[134:135]
	s_waitcnt vmcnt(2)
	v_fma_f64 v[130:131], v[143:144], v[132:133], v[130:131]
	s_waitcnt vmcnt(0)
	v_add_f64 v[130:131], v[149:150], -v[130:131]
	buffer_store_dword v131, off, s[0:3], 0 offset:268
	buffer_store_dword v130, off, s[0:3], 0 offset:264
	s_and_saveexec_b64 s[4:5], vcc
	s_cbranch_execz .LBB63_327
; %bb.326:
	buffer_load_dword v130, off, s[0:3], 0 offset:256
	buffer_load_dword v131, off, s[0:3], 0 offset:260
	v_mov_b32_e32 v132, 0
	buffer_store_dword v132, off, s[0:3], 0 offset:256
	buffer_store_dword v132, off, s[0:3], 0 offset:260
	s_waitcnt vmcnt(2)
	ds_write_b64 v129, v[130:131]
.LBB63_327:
	s_or_b64 exec, exec, s[4:5]
	s_waitcnt lgkmcnt(0)
	; wave barrier
	buffer_load_dword v139, off, s[0:3], 0 offset:264
	buffer_load_dword v140, off, s[0:3], 0 offset:268
	;; [unrolled: 1-line block ×22, first 2 shown]
	v_mov_b32_e32 v130, 0
	ds_read2_b64 v[131:134], v130 offset0:97 offset1:98
	ds_read2_b64 v[135:138], v130 offset0:99 offset1:100
	v_cmp_lt_u32_e32 vcc, 31, v0
	s_waitcnt vmcnt(20) lgkmcnt(1)
	v_fma_f64 v[131:132], v[139:140], v[131:132], 0
	s_waitcnt vmcnt(18)
	v_fma_f64 v[131:132], v[141:142], v[133:134], v[131:132]
	buffer_load_dword v140, off, s[0:3], 0 offset:356
	buffer_load_dword v141, off, s[0:3], 0 offset:376
	;; [unrolled: 1-line block ×7, first 2 shown]
	s_waitcnt vmcnt(23) lgkmcnt(0)
	v_fma_f64 v[131:132], v[143:144], v[135:136], v[131:132]
	s_waitcnt vmcnt(21)
	v_fma_f64 v[142:143], v[145:146], v[137:138], v[131:132]
	ds_read2_b64 v[131:134], v130 offset0:101 offset1:102
	ds_read2_b64 v[135:138], v130 offset0:103 offset1:104
	s_waitcnt vmcnt(19) lgkmcnt(1)
	v_fma_f64 v[131:132], v[147:148], v[131:132], v[142:143]
	buffer_load_dword v142, off, s[0:3], 0 offset:380
	s_waitcnt vmcnt(18)
	v_fma_f64 v[131:132], v[149:150], v[133:134], v[131:132]
	buffer_load_dword v144, off, s[0:3], 0 offset:388
	buffer_load_dword v145, off, s[0:3], 0 offset:408
	;; [unrolled: 1-line block ×7, first 2 shown]
	s_waitcnt vmcnt(23) lgkmcnt(0)
	v_fma_f64 v[131:132], v[151:152], v[135:136], v[131:132]
	s_waitcnt vmcnt(18)
	v_fma_f64 v[151:152], v[153:154], v[137:138], v[131:132]
	ds_read2_b64 v[131:134], v130 offset0:105 offset1:106
	ds_read2_b64 v[135:138], v130 offset0:107 offset1:108
	buffer_load_dword v146, off, s[0:3], 0 offset:412
	s_waitcnt vmcnt(18) lgkmcnt(1)
	v_fma_f64 v[131:132], v[159:160], v[131:132], v[151:152]
	s_waitcnt vmcnt(17)
	v_fma_f64 v[131:132], v[157:158], v[133:134], v[131:132]
	buffer_load_dword v152, off, s[0:3], 0 offset:420
	buffer_load_dword v153, off, s[0:3], 0 offset:440
	buffer_load_dword v157, off, s[0:3], 0 offset:432
	buffer_load_dword v159, off, s[0:3], 0 offset:424
	buffer_load_dword v151, off, s[0:3], 0 offset:416
	buffer_load_dword v160, off, s[0:3], 0 offset:428
	buffer_load_dword v158, off, s[0:3], 0 offset:436
	buffer_load_dword v154, off, s[0:3], 0 offset:444
	s_waitcnt vmcnt(24) lgkmcnt(0)
	v_fma_f64 v[131:132], v[155:156], v[135:136], v[131:132]
	s_waitcnt vmcnt(19)
	v_fma_f64 v[139:140], v[139:140], v[137:138], v[131:132]
	ds_read2_b64 v[131:134], v130 offset0:109 offset1:110
	ds_read2_b64 v[135:138], v130 offset0:111 offset1:112
	s_waitcnt vmcnt(18) lgkmcnt(1)
	v_fma_f64 v[131:132], v[163:164], v[131:132], v[139:140]
	s_waitcnt vmcnt(17)
	v_fma_f64 v[131:132], v[161:162], v[133:134], v[131:132]
	buffer_load_dword v140, off, s[0:3], 0 offset:452
	buffer_load_dword v155, off, s[0:3], 0 offset:472
	buffer_load_dword v161, off, s[0:3], 0 offset:464
	buffer_load_dword v163, off, s[0:3], 0 offset:456
	buffer_load_dword v139, off, s[0:3], 0 offset:448
	buffer_load_dword v164, off, s[0:3], 0 offset:460
	buffer_load_dword v162, off, s[0:3], 0 offset:468
	buffer_load_dword v156, off, s[0:3], 0 offset:476
	s_waitcnt vmcnt(24) lgkmcnt(0)
	v_fma_f64 v[131:132], v[141:142], v[135:136], v[131:132]
	s_waitcnt vmcnt(19)
	v_fma_f64 v[141:142], v[143:144], v[137:138], v[131:132]
	ds_read2_b64 v[131:134], v130 offset0:113 offset1:114
	ds_read2_b64 v[135:138], v130 offset0:115 offset1:116
	;; [unrolled: 18-line block ×3, first 2 shown]
	s_waitcnt vmcnt(18) lgkmcnt(1)
	v_fma_f64 v[131:132], v[159:160], v[131:132], v[145:146]
	buffer_load_dword v145, off, s[0:3], 0 offset:256
	buffer_load_dword v146, off, s[0:3], 0 offset:260
	s_waitcnt vmcnt(19)
	v_fma_f64 v[131:132], v[157:158], v[133:134], v[131:132]
	s_waitcnt vmcnt(18) lgkmcnt(0)
	v_fma_f64 v[131:132], v[153:154], v[135:136], v[131:132]
	s_waitcnt vmcnt(13)
	v_fma_f64 v[139:140], v[139:140], v[137:138], v[131:132]
	ds_read2_b64 v[131:134], v130 offset0:121 offset1:122
	ds_read2_b64 v[135:138], v130 offset0:123 offset1:124
	s_waitcnt vmcnt(12) lgkmcnt(1)
	v_fma_f64 v[131:132], v[163:164], v[131:132], v[139:140]
	s_waitcnt vmcnt(11)
	v_fma_f64 v[131:132], v[161:162], v[133:134], v[131:132]
	s_waitcnt vmcnt(10) lgkmcnt(0)
	v_fma_f64 v[131:132], v[155:156], v[135:136], v[131:132]
	s_waitcnt vmcnt(5)
	v_fma_f64 v[135:136], v[141:142], v[137:138], v[131:132]
	ds_read2_b64 v[131:134], v130 offset0:125 offset1:126
	ds_read_b64 v[137:138], v130 offset:1016
	s_waitcnt vmcnt(4) lgkmcnt(1)
	v_fma_f64 v[131:132], v[149:150], v[131:132], v[135:136]
	s_waitcnt vmcnt(3)
	v_fma_f64 v[131:132], v[147:148], v[133:134], v[131:132]
	s_waitcnt vmcnt(2) lgkmcnt(0)
	v_fma_f64 v[131:132], v[143:144], v[137:138], v[131:132]
	s_waitcnt vmcnt(0)
	v_add_f64 v[131:132], v[145:146], -v[131:132]
	buffer_store_dword v132, off, s[0:3], 0 offset:260
	buffer_store_dword v131, off, s[0:3], 0 offset:256
	s_and_saveexec_b64 s[4:5], vcc
	s_cbranch_execz .LBB63_329
; %bb.328:
	buffer_load_dword v131, off, s[0:3], 0 offset:248
	buffer_load_dword v132, off, s[0:3], 0 offset:252
	s_waitcnt vmcnt(0)
	ds_write_b64 v129, v[131:132]
	buffer_store_dword v130, off, s[0:3], 0 offset:248
	buffer_store_dword v130, off, s[0:3], 0 offset:252
.LBB63_329:
	s_or_b64 exec, exec, s[4:5]
	s_waitcnt lgkmcnt(0)
	; wave barrier
	buffer_load_dword v139, off, s[0:3], 0 offset:256
	buffer_load_dword v140, off, s[0:3], 0 offset:260
	;; [unrolled: 1-line block ×22, first 2 shown]
	ds_read_b128 v[131:134], v130 offset:768
	ds_read_b128 v[135:138], v130 offset:784
	v_cmp_lt_u32_e32 vcc, 30, v0
	s_waitcnt vmcnt(20) lgkmcnt(1)
	v_fma_f64 v[131:132], v[139:140], v[131:132], 0
	s_waitcnt vmcnt(18)
	v_fma_f64 v[131:132], v[141:142], v[133:134], v[131:132]
	buffer_load_dword v140, off, s[0:3], 0 offset:348
	buffer_load_dword v141, off, s[0:3], 0 offset:368
	;; [unrolled: 1-line block ×7, first 2 shown]
	s_waitcnt vmcnt(23) lgkmcnt(0)
	v_fma_f64 v[131:132], v[143:144], v[135:136], v[131:132]
	s_waitcnt vmcnt(21)
	v_fma_f64 v[142:143], v[145:146], v[137:138], v[131:132]
	ds_read_b128 v[131:134], v130 offset:800
	ds_read_b128 v[135:138], v130 offset:816
	s_waitcnt vmcnt(19) lgkmcnt(1)
	v_fma_f64 v[131:132], v[147:148], v[131:132], v[142:143]
	buffer_load_dword v142, off, s[0:3], 0 offset:372
	s_waitcnt vmcnt(18)
	v_fma_f64 v[131:132], v[149:150], v[133:134], v[131:132]
	buffer_load_dword v144, off, s[0:3], 0 offset:380
	buffer_load_dword v145, off, s[0:3], 0 offset:400
	;; [unrolled: 1-line block ×7, first 2 shown]
	s_waitcnt vmcnt(23) lgkmcnt(0)
	v_fma_f64 v[131:132], v[151:152], v[135:136], v[131:132]
	s_waitcnt vmcnt(18)
	v_fma_f64 v[151:152], v[153:154], v[137:138], v[131:132]
	ds_read_b128 v[131:134], v130 offset:832
	ds_read_b128 v[135:138], v130 offset:848
	buffer_load_dword v146, off, s[0:3], 0 offset:404
	s_waitcnt vmcnt(18) lgkmcnt(1)
	v_fma_f64 v[131:132], v[159:160], v[131:132], v[151:152]
	s_waitcnt vmcnt(17)
	v_fma_f64 v[131:132], v[157:158], v[133:134], v[131:132]
	buffer_load_dword v152, off, s[0:3], 0 offset:412
	buffer_load_dword v153, off, s[0:3], 0 offset:432
	buffer_load_dword v157, off, s[0:3], 0 offset:424
	buffer_load_dword v159, off, s[0:3], 0 offset:416
	buffer_load_dword v151, off, s[0:3], 0 offset:408
	buffer_load_dword v160, off, s[0:3], 0 offset:420
	buffer_load_dword v158, off, s[0:3], 0 offset:428
	buffer_load_dword v154, off, s[0:3], 0 offset:436
	s_waitcnt vmcnt(24) lgkmcnt(0)
	v_fma_f64 v[131:132], v[155:156], v[135:136], v[131:132]
	s_waitcnt vmcnt(19)
	v_fma_f64 v[139:140], v[139:140], v[137:138], v[131:132]
	ds_read_b128 v[131:134], v130 offset:864
	ds_read_b128 v[135:138], v130 offset:880
	s_waitcnt vmcnt(18) lgkmcnt(1)
	v_fma_f64 v[131:132], v[163:164], v[131:132], v[139:140]
	s_waitcnt vmcnt(17)
	v_fma_f64 v[131:132], v[161:162], v[133:134], v[131:132]
	buffer_load_dword v140, off, s[0:3], 0 offset:444
	buffer_load_dword v155, off, s[0:3], 0 offset:464
	buffer_load_dword v161, off, s[0:3], 0 offset:456
	buffer_load_dword v163, off, s[0:3], 0 offset:448
	buffer_load_dword v139, off, s[0:3], 0 offset:440
	buffer_load_dword v164, off, s[0:3], 0 offset:452
	buffer_load_dword v162, off, s[0:3], 0 offset:460
	buffer_load_dword v156, off, s[0:3], 0 offset:468
	s_waitcnt vmcnt(24) lgkmcnt(0)
	v_fma_f64 v[131:132], v[141:142], v[135:136], v[131:132]
	s_waitcnt vmcnt(19)
	v_fma_f64 v[141:142], v[143:144], v[137:138], v[131:132]
	ds_read_b128 v[131:134], v130 offset:896
	ds_read_b128 v[135:138], v130 offset:912
	;; [unrolled: 18-line block ×3, first 2 shown]
	s_waitcnt vmcnt(18) lgkmcnt(1)
	v_fma_f64 v[131:132], v[159:160], v[131:132], v[145:146]
	buffer_load_dword v146, off, s[0:3], 0 offset:508
	buffer_load_dword v145, off, s[0:3], 0 offset:504
	;; [unrolled: 1-line block ×4, first 2 shown]
	s_waitcnt vmcnt(21)
	v_fma_f64 v[131:132], v[157:158], v[133:134], v[131:132]
	s_waitcnt vmcnt(20) lgkmcnt(0)
	v_fma_f64 v[131:132], v[153:154], v[135:136], v[131:132]
	s_waitcnt vmcnt(15)
	v_fma_f64 v[139:140], v[139:140], v[137:138], v[131:132]
	ds_read_b128 v[131:134], v130 offset:960
	ds_read_b128 v[135:138], v130 offset:976
	s_waitcnt vmcnt(14) lgkmcnt(1)
	v_fma_f64 v[131:132], v[163:164], v[131:132], v[139:140]
	s_waitcnt vmcnt(13)
	v_fma_f64 v[131:132], v[161:162], v[133:134], v[131:132]
	s_waitcnt vmcnt(12) lgkmcnt(0)
	v_fma_f64 v[131:132], v[155:156], v[135:136], v[131:132]
	s_waitcnt vmcnt(7)
	v_fma_f64 v[139:140], v[141:142], v[137:138], v[131:132]
	ds_read_b128 v[131:134], v130 offset:992
	ds_read_b128 v[135:138], v130 offset:1008
	s_waitcnt vmcnt(6) lgkmcnt(1)
	v_fma_f64 v[130:131], v[149:150], v[131:132], v[139:140]
	s_waitcnt vmcnt(5)
	v_fma_f64 v[130:131], v[147:148], v[133:134], v[130:131]
	s_waitcnt vmcnt(4) lgkmcnt(0)
	v_fma_f64 v[130:131], v[143:144], v[135:136], v[130:131]
	s_waitcnt vmcnt(2)
	v_fma_f64 v[130:131], v[145:146], v[137:138], v[130:131]
	s_waitcnt vmcnt(0)
	v_add_f64 v[130:131], v[151:152], -v[130:131]
	buffer_store_dword v131, off, s[0:3], 0 offset:252
	buffer_store_dword v130, off, s[0:3], 0 offset:248
	s_and_saveexec_b64 s[4:5], vcc
	s_cbranch_execz .LBB63_331
; %bb.330:
	buffer_load_dword v130, off, s[0:3], 0 offset:240
	buffer_load_dword v131, off, s[0:3], 0 offset:244
	v_mov_b32_e32 v132, 0
	buffer_store_dword v132, off, s[0:3], 0 offset:240
	buffer_store_dword v132, off, s[0:3], 0 offset:244
	s_waitcnt vmcnt(2)
	ds_write_b64 v129, v[130:131]
.LBB63_331:
	s_or_b64 exec, exec, s[4:5]
	s_waitcnt lgkmcnt(0)
	; wave barrier
	buffer_load_dword v139, off, s[0:3], 0 offset:248
	buffer_load_dword v140, off, s[0:3], 0 offset:252
	;; [unrolled: 1-line block ×21, first 2 shown]
	v_mov_b32_e32 v130, 0
	ds_read2_b64 v[131:134], v130 offset0:95 offset1:96
	ds_read2_b64 v[135:138], v130 offset0:97 offset1:98
	buffer_load_dword v156, off, s[0:3], 0 offset:332
	v_cmp_lt_u32_e32 vcc, 29, v0
	s_waitcnt vmcnt(20) lgkmcnt(1)
	v_fma_f64 v[131:132], v[139:140], v[131:132], 0
	s_waitcnt vmcnt(18)
	v_fma_f64 v[131:132], v[141:142], v[133:134], v[131:132]
	buffer_load_dword v140, off, s[0:3], 0 offset:340
	buffer_load_dword v141, off, s[0:3], 0 offset:360
	;; [unrolled: 1-line block ×7, first 2 shown]
	s_waitcnt vmcnt(23) lgkmcnt(0)
	v_fma_f64 v[131:132], v[143:144], v[135:136], v[131:132]
	s_waitcnt vmcnt(21)
	v_fma_f64 v[142:143], v[145:146], v[137:138], v[131:132]
	ds_read2_b64 v[131:134], v130 offset0:99 offset1:100
	ds_read2_b64 v[135:138], v130 offset0:101 offset1:102
	s_waitcnt vmcnt(19) lgkmcnt(1)
	v_fma_f64 v[131:132], v[147:148], v[131:132], v[142:143]
	buffer_load_dword v142, off, s[0:3], 0 offset:364
	s_waitcnt vmcnt(18)
	v_fma_f64 v[131:132], v[149:150], v[133:134], v[131:132]
	buffer_load_dword v144, off, s[0:3], 0 offset:372
	buffer_load_dword v145, off, s[0:3], 0 offset:392
	;; [unrolled: 1-line block ×7, first 2 shown]
	s_waitcnt vmcnt(23) lgkmcnt(0)
	v_fma_f64 v[131:132], v[151:152], v[135:136], v[131:132]
	s_waitcnt vmcnt(18)
	v_fma_f64 v[151:152], v[153:154], v[137:138], v[131:132]
	ds_read2_b64 v[131:134], v130 offset0:103 offset1:104
	ds_read2_b64 v[135:138], v130 offset0:105 offset1:106
	buffer_load_dword v146, off, s[0:3], 0 offset:396
	s_waitcnt vmcnt(18) lgkmcnt(1)
	v_fma_f64 v[131:132], v[159:160], v[131:132], v[151:152]
	s_waitcnt vmcnt(17)
	v_fma_f64 v[131:132], v[157:158], v[133:134], v[131:132]
	buffer_load_dword v152, off, s[0:3], 0 offset:404
	buffer_load_dword v153, off, s[0:3], 0 offset:424
	;; [unrolled: 1-line block ×7, first 2 shown]
	s_waitcnt vmcnt(23) lgkmcnt(0)
	v_fma_f64 v[131:132], v[155:156], v[135:136], v[131:132]
	s_waitcnt vmcnt(18)
	v_fma_f64 v[139:140], v[139:140], v[137:138], v[131:132]
	ds_read2_b64 v[131:134], v130 offset0:107 offset1:108
	ds_read2_b64 v[135:138], v130 offset0:109 offset1:110
	buffer_load_dword v154, off, s[0:3], 0 offset:428
	s_waitcnt vmcnt(18) lgkmcnt(1)
	v_fma_f64 v[131:132], v[163:164], v[131:132], v[139:140]
	s_waitcnt vmcnt(17)
	v_fma_f64 v[131:132], v[161:162], v[133:134], v[131:132]
	buffer_load_dword v140, off, s[0:3], 0 offset:436
	buffer_load_dword v155, off, s[0:3], 0 offset:456
	;; [unrolled: 1-line block ×8, first 2 shown]
	s_waitcnt vmcnt(24) lgkmcnt(0)
	v_fma_f64 v[131:132], v[141:142], v[135:136], v[131:132]
	s_waitcnt vmcnt(19)
	v_fma_f64 v[141:142], v[143:144], v[137:138], v[131:132]
	ds_read2_b64 v[131:134], v130 offset0:111 offset1:112
	ds_read2_b64 v[135:138], v130 offset0:113 offset1:114
	s_waitcnt vmcnt(18) lgkmcnt(1)
	v_fma_f64 v[131:132], v[149:150], v[131:132], v[141:142]
	s_waitcnt vmcnt(17)
	v_fma_f64 v[131:132], v[147:148], v[133:134], v[131:132]
	buffer_load_dword v142, off, s[0:3], 0 offset:468
	buffer_load_dword v143, off, s[0:3], 0 offset:488
	;; [unrolled: 1-line block ×7, first 2 shown]
	s_waitcnt vmcnt(23) lgkmcnt(0)
	v_fma_f64 v[131:132], v[145:146], v[135:136], v[131:132]
	s_waitcnt vmcnt(18)
	v_fma_f64 v[144:145], v[151:152], v[137:138], v[131:132]
	ds_read2_b64 v[131:134], v130 offset0:115 offset1:116
	ds_read2_b64 v[135:138], v130 offset0:117 offset1:118
	s_waitcnt vmcnt(17) lgkmcnt(1)
	v_fma_f64 v[131:132], v[159:160], v[131:132], v[144:145]
	buffer_load_dword v144, off, s[0:3], 0 offset:492
	buffer_load_dword v146, off, s[0:3], 0 offset:500
	;; [unrolled: 1-line block ×5, first 2 shown]
	s_waitcnt vmcnt(21)
	v_fma_f64 v[131:132], v[157:158], v[133:134], v[131:132]
	s_waitcnt vmcnt(20) lgkmcnt(0)
	v_fma_f64 v[131:132], v[153:154], v[135:136], v[131:132]
	buffer_load_dword v153, off, s[0:3], 0 offset:240
	buffer_load_dword v154, off, s[0:3], 0 offset:244
	s_waitcnt vmcnt(17)
	v_fma_f64 v[139:140], v[139:140], v[137:138], v[131:132]
	ds_read2_b64 v[131:134], v130 offset0:119 offset1:120
	ds_read2_b64 v[135:138], v130 offset0:121 offset1:122
	s_waitcnt vmcnt(16) lgkmcnt(1)
	v_fma_f64 v[131:132], v[163:164], v[131:132], v[139:140]
	s_waitcnt vmcnt(15)
	v_fma_f64 v[131:132], v[161:162], v[133:134], v[131:132]
	s_waitcnt vmcnt(14) lgkmcnt(0)
	v_fma_f64 v[131:132], v[155:156], v[135:136], v[131:132]
	s_waitcnt vmcnt(9)
	v_fma_f64 v[139:140], v[141:142], v[137:138], v[131:132]
	ds_read2_b64 v[131:134], v130 offset0:123 offset1:124
	ds_read2_b64 v[135:138], v130 offset0:125 offset1:126
	s_waitcnt vmcnt(8) lgkmcnt(1)
	v_fma_f64 v[131:132], v[149:150], v[131:132], v[139:140]
	s_waitcnt vmcnt(7)
	v_fma_f64 v[131:132], v[147:148], v[133:134], v[131:132]
	ds_read_b64 v[133:134], v130 offset:1016
	s_waitcnt vmcnt(6) lgkmcnt(1)
	v_fma_f64 v[131:132], v[143:144], v[135:136], v[131:132]
	s_waitcnt vmcnt(3)
	v_fma_f64 v[131:132], v[145:146], v[137:138], v[131:132]
	s_waitcnt vmcnt(2) lgkmcnt(0)
	v_fma_f64 v[131:132], v[151:152], v[133:134], v[131:132]
	s_waitcnt vmcnt(0)
	v_add_f64 v[131:132], v[153:154], -v[131:132]
	buffer_store_dword v132, off, s[0:3], 0 offset:244
	buffer_store_dword v131, off, s[0:3], 0 offset:240
	s_and_saveexec_b64 s[4:5], vcc
	s_cbranch_execz .LBB63_333
; %bb.332:
	buffer_load_dword v131, off, s[0:3], 0 offset:232
	buffer_load_dword v132, off, s[0:3], 0 offset:236
	s_waitcnt vmcnt(0)
	ds_write_b64 v129, v[131:132]
	buffer_store_dword v130, off, s[0:3], 0 offset:232
	buffer_store_dword v130, off, s[0:3], 0 offset:236
.LBB63_333:
	s_or_b64 exec, exec, s[4:5]
	s_waitcnt lgkmcnt(0)
	; wave barrier
	buffer_load_dword v139, off, s[0:3], 0 offset:240
	buffer_load_dword v140, off, s[0:3], 0 offset:244
	;; [unrolled: 1-line block ×21, first 2 shown]
	ds_read_b128 v[131:134], v130 offset:752
	ds_read_b128 v[135:138], v130 offset:768
	buffer_load_dword v156, off, s[0:3], 0 offset:324
	v_cmp_lt_u32_e32 vcc, 28, v0
	s_waitcnt vmcnt(20) lgkmcnt(1)
	v_fma_f64 v[131:132], v[139:140], v[131:132], 0
	s_waitcnt vmcnt(18)
	v_fma_f64 v[131:132], v[141:142], v[133:134], v[131:132]
	buffer_load_dword v140, off, s[0:3], 0 offset:332
	buffer_load_dword v141, off, s[0:3], 0 offset:352
	;; [unrolled: 1-line block ×7, first 2 shown]
	s_waitcnt vmcnt(23) lgkmcnt(0)
	v_fma_f64 v[131:132], v[143:144], v[135:136], v[131:132]
	s_waitcnt vmcnt(21)
	v_fma_f64 v[142:143], v[145:146], v[137:138], v[131:132]
	ds_read_b128 v[131:134], v130 offset:784
	ds_read_b128 v[135:138], v130 offset:800
	s_waitcnt vmcnt(19) lgkmcnt(1)
	v_fma_f64 v[131:132], v[147:148], v[131:132], v[142:143]
	buffer_load_dword v142, off, s[0:3], 0 offset:356
	s_waitcnt vmcnt(18)
	v_fma_f64 v[131:132], v[149:150], v[133:134], v[131:132]
	buffer_load_dword v144, off, s[0:3], 0 offset:364
	buffer_load_dword v145, off, s[0:3], 0 offset:384
	;; [unrolled: 1-line block ×8, first 2 shown]
	s_waitcnt vmcnt(24) lgkmcnt(0)
	v_fma_f64 v[131:132], v[151:152], v[135:136], v[131:132]
	s_waitcnt vmcnt(19)
	v_fma_f64 v[151:152], v[153:154], v[137:138], v[131:132]
	ds_read_b128 v[131:134], v130 offset:816
	ds_read_b128 v[135:138], v130 offset:832
	s_waitcnt vmcnt(18) lgkmcnt(1)
	v_fma_f64 v[131:132], v[159:160], v[131:132], v[151:152]
	s_waitcnt vmcnt(17)
	v_fma_f64 v[131:132], v[157:158], v[133:134], v[131:132]
	buffer_load_dword v152, off, s[0:3], 0 offset:396
	buffer_load_dword v153, off, s[0:3], 0 offset:416
	;; [unrolled: 1-line block ×7, first 2 shown]
	s_waitcnt vmcnt(23) lgkmcnt(0)
	v_fma_f64 v[131:132], v[155:156], v[135:136], v[131:132]
	s_waitcnt vmcnt(18)
	v_fma_f64 v[139:140], v[139:140], v[137:138], v[131:132]
	ds_read_b128 v[131:134], v130 offset:848
	ds_read_b128 v[135:138], v130 offset:864
	buffer_load_dword v154, off, s[0:3], 0 offset:420
	s_waitcnt vmcnt(18) lgkmcnt(1)
	v_fma_f64 v[131:132], v[163:164], v[131:132], v[139:140]
	s_waitcnt vmcnt(17)
	v_fma_f64 v[131:132], v[161:162], v[133:134], v[131:132]
	buffer_load_dword v140, off, s[0:3], 0 offset:428
	buffer_load_dword v155, off, s[0:3], 0 offset:448
	;; [unrolled: 1-line block ×8, first 2 shown]
	s_waitcnt vmcnt(24) lgkmcnt(0)
	v_fma_f64 v[131:132], v[141:142], v[135:136], v[131:132]
	s_waitcnt vmcnt(19)
	v_fma_f64 v[141:142], v[143:144], v[137:138], v[131:132]
	ds_read_b128 v[131:134], v130 offset:880
	ds_read_b128 v[135:138], v130 offset:896
	s_waitcnt vmcnt(18) lgkmcnt(1)
	v_fma_f64 v[131:132], v[149:150], v[131:132], v[141:142]
	s_waitcnt vmcnt(17)
	v_fma_f64 v[131:132], v[147:148], v[133:134], v[131:132]
	buffer_load_dword v142, off, s[0:3], 0 offset:460
	buffer_load_dword v143, off, s[0:3], 0 offset:480
	;; [unrolled: 1-line block ×7, first 2 shown]
	s_waitcnt vmcnt(23) lgkmcnt(0)
	v_fma_f64 v[131:132], v[145:146], v[135:136], v[131:132]
	s_waitcnt vmcnt(18)
	v_fma_f64 v[144:145], v[151:152], v[137:138], v[131:132]
	ds_read_b128 v[131:134], v130 offset:912
	ds_read_b128 v[135:138], v130 offset:928
	s_waitcnt vmcnt(17) lgkmcnt(1)
	v_fma_f64 v[131:132], v[159:160], v[131:132], v[144:145]
	buffer_load_dword v144, off, s[0:3], 0 offset:484
	s_waitcnt vmcnt(17)
	v_fma_f64 v[131:132], v[157:158], v[133:134], v[131:132]
	buffer_load_dword v146, off, s[0:3], 0 offset:492
	buffer_load_dword v151, off, s[0:3], 0 offset:504
	;; [unrolled: 1-line block ×6, first 2 shown]
	s_waitcnt vmcnt(22) lgkmcnt(0)
	v_fma_f64 v[131:132], v[153:154], v[135:136], v[131:132]
	s_waitcnt vmcnt(17)
	v_fma_f64 v[139:140], v[139:140], v[137:138], v[131:132]
	ds_read_b128 v[131:134], v130 offset:944
	buffer_load_dword v153, off, s[0:3], 0 offset:232
	buffer_load_dword v154, off, s[0:3], 0 offset:236
	ds_read_b128 v[135:138], v130 offset:960
	s_waitcnt vmcnt(18) lgkmcnt(1)
	v_fma_f64 v[131:132], v[163:164], v[131:132], v[139:140]
	s_waitcnt vmcnt(17)
	v_fma_f64 v[131:132], v[161:162], v[133:134], v[131:132]
	s_waitcnt vmcnt(16) lgkmcnt(0)
	v_fma_f64 v[131:132], v[155:156], v[135:136], v[131:132]
	s_waitcnt vmcnt(11)
	v_fma_f64 v[139:140], v[141:142], v[137:138], v[131:132]
	ds_read_b128 v[131:134], v130 offset:976
	ds_read_b128 v[135:138], v130 offset:992
	s_waitcnt vmcnt(10) lgkmcnt(1)
	v_fma_f64 v[131:132], v[149:150], v[131:132], v[139:140]
	s_waitcnt vmcnt(9)
	v_fma_f64 v[131:132], v[147:148], v[133:134], v[131:132]
	s_waitcnt vmcnt(8) lgkmcnt(0)
	v_fma_f64 v[131:132], v[143:144], v[135:136], v[131:132]
	s_waitcnt vmcnt(4)
	v_fma_f64 v[134:135], v[145:146], v[137:138], v[131:132]
	ds_read_b128 v[130:133], v130 offset:1008
	s_waitcnt vmcnt(3) lgkmcnt(0)
	v_fma_f64 v[130:131], v[157:158], v[130:131], v[134:135]
	s_waitcnt vmcnt(2)
	v_fma_f64 v[130:131], v[151:152], v[132:133], v[130:131]
	s_waitcnt vmcnt(0)
	v_add_f64 v[130:131], v[153:154], -v[130:131]
	buffer_store_dword v131, off, s[0:3], 0 offset:236
	buffer_store_dword v130, off, s[0:3], 0 offset:232
	s_and_saveexec_b64 s[4:5], vcc
	s_cbranch_execz .LBB63_335
; %bb.334:
	buffer_load_dword v130, off, s[0:3], 0 offset:224
	buffer_load_dword v131, off, s[0:3], 0 offset:228
	v_mov_b32_e32 v132, 0
	buffer_store_dword v132, off, s[0:3], 0 offset:224
	buffer_store_dword v132, off, s[0:3], 0 offset:228
	s_waitcnt vmcnt(2)
	ds_write_b64 v129, v[130:131]
.LBB63_335:
	s_or_b64 exec, exec, s[4:5]
	s_waitcnt lgkmcnt(0)
	; wave barrier
	buffer_load_dword v139, off, s[0:3], 0 offset:232
	buffer_load_dword v140, off, s[0:3], 0 offset:236
	;; [unrolled: 1-line block ×21, first 2 shown]
	v_mov_b32_e32 v130, 0
	ds_read2_b64 v[131:134], v130 offset0:93 offset1:94
	ds_read2_b64 v[135:138], v130 offset0:95 offset1:96
	buffer_load_dword v156, off, s[0:3], 0 offset:316
	v_cmp_lt_u32_e32 vcc, 27, v0
	s_waitcnt vmcnt(20) lgkmcnt(1)
	v_fma_f64 v[131:132], v[139:140], v[131:132], 0
	s_waitcnt vmcnt(18)
	v_fma_f64 v[131:132], v[141:142], v[133:134], v[131:132]
	buffer_load_dword v140, off, s[0:3], 0 offset:324
	buffer_load_dword v141, off, s[0:3], 0 offset:344
	;; [unrolled: 1-line block ×7, first 2 shown]
	s_waitcnt vmcnt(23) lgkmcnt(0)
	v_fma_f64 v[131:132], v[143:144], v[135:136], v[131:132]
	s_waitcnt vmcnt(21)
	v_fma_f64 v[142:143], v[145:146], v[137:138], v[131:132]
	ds_read2_b64 v[131:134], v130 offset0:97 offset1:98
	ds_read2_b64 v[135:138], v130 offset0:99 offset1:100
	s_waitcnt vmcnt(19) lgkmcnt(1)
	v_fma_f64 v[131:132], v[147:148], v[131:132], v[142:143]
	buffer_load_dword v142, off, s[0:3], 0 offset:348
	s_waitcnt vmcnt(18)
	v_fma_f64 v[131:132], v[149:150], v[133:134], v[131:132]
	buffer_load_dword v144, off, s[0:3], 0 offset:356
	buffer_load_dword v145, off, s[0:3], 0 offset:376
	;; [unrolled: 1-line block ×8, first 2 shown]
	s_waitcnt vmcnt(24) lgkmcnt(0)
	v_fma_f64 v[131:132], v[151:152], v[135:136], v[131:132]
	s_waitcnt vmcnt(19)
	v_fma_f64 v[151:152], v[153:154], v[137:138], v[131:132]
	ds_read2_b64 v[131:134], v130 offset0:101 offset1:102
	ds_read2_b64 v[135:138], v130 offset0:103 offset1:104
	s_waitcnt vmcnt(18) lgkmcnt(1)
	v_fma_f64 v[131:132], v[159:160], v[131:132], v[151:152]
	s_waitcnt vmcnt(17)
	v_fma_f64 v[131:132], v[157:158], v[133:134], v[131:132]
	buffer_load_dword v152, off, s[0:3], 0 offset:388
	buffer_load_dword v153, off, s[0:3], 0 offset:408
	;; [unrolled: 1-line block ×7, first 2 shown]
	s_waitcnt vmcnt(23) lgkmcnt(0)
	v_fma_f64 v[131:132], v[155:156], v[135:136], v[131:132]
	s_waitcnt vmcnt(18)
	v_fma_f64 v[139:140], v[139:140], v[137:138], v[131:132]
	ds_read2_b64 v[131:134], v130 offset0:105 offset1:106
	ds_read2_b64 v[135:138], v130 offset0:107 offset1:108
	buffer_load_dword v154, off, s[0:3], 0 offset:412
	s_waitcnt vmcnt(18) lgkmcnt(1)
	v_fma_f64 v[131:132], v[163:164], v[131:132], v[139:140]
	s_waitcnt vmcnt(17)
	v_fma_f64 v[131:132], v[161:162], v[133:134], v[131:132]
	buffer_load_dword v140, off, s[0:3], 0 offset:420
	buffer_load_dword v155, off, s[0:3], 0 offset:440
	buffer_load_dword v161, off, s[0:3], 0 offset:432
	buffer_load_dword v163, off, s[0:3], 0 offset:424
	buffer_load_dword v139, off, s[0:3], 0 offset:416
	buffer_load_dword v164, off, s[0:3], 0 offset:428
	buffer_load_dword v162, off, s[0:3], 0 offset:436
	buffer_load_dword v156, off, s[0:3], 0 offset:444
	s_waitcnt vmcnt(24) lgkmcnt(0)
	v_fma_f64 v[131:132], v[141:142], v[135:136], v[131:132]
	s_waitcnt vmcnt(19)
	v_fma_f64 v[141:142], v[143:144], v[137:138], v[131:132]
	ds_read2_b64 v[131:134], v130 offset0:109 offset1:110
	ds_read2_b64 v[135:138], v130 offset0:111 offset1:112
	s_waitcnt vmcnt(18) lgkmcnt(1)
	v_fma_f64 v[131:132], v[149:150], v[131:132], v[141:142]
	s_waitcnt vmcnt(17)
	v_fma_f64 v[131:132], v[147:148], v[133:134], v[131:132]
	buffer_load_dword v142, off, s[0:3], 0 offset:452
	buffer_load_dword v143, off, s[0:3], 0 offset:472
	;; [unrolled: 1-line block ×7, first 2 shown]
	s_waitcnt vmcnt(23) lgkmcnt(0)
	v_fma_f64 v[131:132], v[145:146], v[135:136], v[131:132]
	s_waitcnt vmcnt(18)
	v_fma_f64 v[144:145], v[151:152], v[137:138], v[131:132]
	ds_read2_b64 v[131:134], v130 offset0:113 offset1:114
	ds_read2_b64 v[135:138], v130 offset0:115 offset1:116
	s_waitcnt vmcnt(17) lgkmcnt(1)
	v_fma_f64 v[131:132], v[159:160], v[131:132], v[144:145]
	buffer_load_dword v144, off, s[0:3], 0 offset:476
	s_waitcnt vmcnt(17)
	v_fma_f64 v[131:132], v[157:158], v[133:134], v[131:132]
	buffer_load_dword v146, off, s[0:3], 0 offset:484
	buffer_load_dword v151, off, s[0:3], 0 offset:504
	;; [unrolled: 1-line block ×8, first 2 shown]
	s_waitcnt vmcnt(24) lgkmcnt(0)
	v_fma_f64 v[131:132], v[153:154], v[135:136], v[131:132]
	s_waitcnt vmcnt(19)
	v_fma_f64 v[139:140], v[139:140], v[137:138], v[131:132]
	ds_read2_b64 v[131:134], v130 offset0:117 offset1:118
	ds_read2_b64 v[135:138], v130 offset0:119 offset1:120
	s_waitcnt vmcnt(18) lgkmcnt(1)
	v_fma_f64 v[131:132], v[163:164], v[131:132], v[139:140]
	buffer_load_dword v139, off, s[0:3], 0 offset:224
	buffer_load_dword v140, off, s[0:3], 0 offset:228
	s_waitcnt vmcnt(19)
	v_fma_f64 v[131:132], v[161:162], v[133:134], v[131:132]
	s_waitcnt vmcnt(18) lgkmcnt(0)
	v_fma_f64 v[131:132], v[155:156], v[135:136], v[131:132]
	s_waitcnt vmcnt(13)
	v_fma_f64 v[141:142], v[141:142], v[137:138], v[131:132]
	ds_read2_b64 v[131:134], v130 offset0:121 offset1:122
	ds_read2_b64 v[135:138], v130 offset0:123 offset1:124
	s_waitcnt vmcnt(12) lgkmcnt(1)
	v_fma_f64 v[131:132], v[149:150], v[131:132], v[141:142]
	s_waitcnt vmcnt(11)
	v_fma_f64 v[131:132], v[147:148], v[133:134], v[131:132]
	s_waitcnt vmcnt(10) lgkmcnt(0)
	v_fma_f64 v[131:132], v[143:144], v[135:136], v[131:132]
	s_waitcnt vmcnt(5)
	v_fma_f64 v[135:136], v[145:146], v[137:138], v[131:132]
	ds_read2_b64 v[131:134], v130 offset0:125 offset1:126
	ds_read_b64 v[137:138], v130 offset:1016
	s_waitcnt vmcnt(4) lgkmcnt(1)
	v_fma_f64 v[131:132], v[159:160], v[131:132], v[135:136]
	s_waitcnt vmcnt(3)
	v_fma_f64 v[131:132], v[157:158], v[133:134], v[131:132]
	s_waitcnt vmcnt(2) lgkmcnt(0)
	v_fma_f64 v[131:132], v[151:152], v[137:138], v[131:132]
	s_waitcnt vmcnt(0)
	v_add_f64 v[131:132], v[139:140], -v[131:132]
	buffer_store_dword v132, off, s[0:3], 0 offset:228
	buffer_store_dword v131, off, s[0:3], 0 offset:224
	s_and_saveexec_b64 s[4:5], vcc
	s_cbranch_execz .LBB63_337
; %bb.336:
	buffer_load_dword v131, off, s[0:3], 0 offset:216
	buffer_load_dword v132, off, s[0:3], 0 offset:220
	s_waitcnt vmcnt(0)
	ds_write_b64 v129, v[131:132]
	buffer_store_dword v130, off, s[0:3], 0 offset:216
	buffer_store_dword v130, off, s[0:3], 0 offset:220
.LBB63_337:
	s_or_b64 exec, exec, s[4:5]
	s_waitcnt lgkmcnt(0)
	; wave barrier
	buffer_load_dword v139, off, s[0:3], 0 offset:224
	buffer_load_dword v140, off, s[0:3], 0 offset:228
	;; [unrolled: 1-line block ×21, first 2 shown]
	ds_read_b128 v[131:134], v130 offset:736
	ds_read_b128 v[135:138], v130 offset:752
	buffer_load_dword v156, off, s[0:3], 0 offset:308
	v_cmp_lt_u32_e32 vcc, 26, v0
	s_waitcnt vmcnt(20) lgkmcnt(1)
	v_fma_f64 v[131:132], v[139:140], v[131:132], 0
	s_waitcnt vmcnt(18)
	v_fma_f64 v[131:132], v[141:142], v[133:134], v[131:132]
	buffer_load_dword v140, off, s[0:3], 0 offset:316
	buffer_load_dword v141, off, s[0:3], 0 offset:336
	;; [unrolled: 1-line block ×7, first 2 shown]
	s_waitcnt vmcnt(23) lgkmcnt(0)
	v_fma_f64 v[131:132], v[143:144], v[135:136], v[131:132]
	s_waitcnt vmcnt(21)
	v_fma_f64 v[142:143], v[145:146], v[137:138], v[131:132]
	ds_read_b128 v[131:134], v130 offset:768
	ds_read_b128 v[135:138], v130 offset:784
	s_waitcnt vmcnt(19) lgkmcnt(1)
	v_fma_f64 v[131:132], v[147:148], v[131:132], v[142:143]
	buffer_load_dword v142, off, s[0:3], 0 offset:340
	s_waitcnt vmcnt(18)
	v_fma_f64 v[131:132], v[149:150], v[133:134], v[131:132]
	buffer_load_dword v144, off, s[0:3], 0 offset:348
	buffer_load_dword v145, off, s[0:3], 0 offset:368
	;; [unrolled: 1-line block ×8, first 2 shown]
	s_waitcnt vmcnt(24) lgkmcnt(0)
	v_fma_f64 v[131:132], v[151:152], v[135:136], v[131:132]
	s_waitcnt vmcnt(19)
	v_fma_f64 v[151:152], v[153:154], v[137:138], v[131:132]
	ds_read_b128 v[131:134], v130 offset:800
	ds_read_b128 v[135:138], v130 offset:816
	s_waitcnt vmcnt(18) lgkmcnt(1)
	v_fma_f64 v[131:132], v[159:160], v[131:132], v[151:152]
	s_waitcnt vmcnt(17)
	v_fma_f64 v[131:132], v[157:158], v[133:134], v[131:132]
	buffer_load_dword v152, off, s[0:3], 0 offset:380
	buffer_load_dword v153, off, s[0:3], 0 offset:400
	;; [unrolled: 1-line block ×7, first 2 shown]
	s_waitcnt vmcnt(23) lgkmcnt(0)
	v_fma_f64 v[131:132], v[155:156], v[135:136], v[131:132]
	s_waitcnt vmcnt(18)
	v_fma_f64 v[139:140], v[139:140], v[137:138], v[131:132]
	ds_read_b128 v[131:134], v130 offset:832
	ds_read_b128 v[135:138], v130 offset:848
	buffer_load_dword v154, off, s[0:3], 0 offset:404
	s_waitcnt vmcnt(18) lgkmcnt(1)
	v_fma_f64 v[131:132], v[163:164], v[131:132], v[139:140]
	s_waitcnt vmcnt(17)
	v_fma_f64 v[131:132], v[161:162], v[133:134], v[131:132]
	buffer_load_dword v140, off, s[0:3], 0 offset:412
	buffer_load_dword v155, off, s[0:3], 0 offset:432
	;; [unrolled: 1-line block ×8, first 2 shown]
	s_waitcnt vmcnt(24) lgkmcnt(0)
	v_fma_f64 v[131:132], v[141:142], v[135:136], v[131:132]
	s_waitcnt vmcnt(19)
	v_fma_f64 v[141:142], v[143:144], v[137:138], v[131:132]
	ds_read_b128 v[131:134], v130 offset:864
	ds_read_b128 v[135:138], v130 offset:880
	s_waitcnt vmcnt(18) lgkmcnt(1)
	v_fma_f64 v[131:132], v[149:150], v[131:132], v[141:142]
	s_waitcnt vmcnt(17)
	v_fma_f64 v[131:132], v[147:148], v[133:134], v[131:132]
	buffer_load_dword v142, off, s[0:3], 0 offset:444
	buffer_load_dword v143, off, s[0:3], 0 offset:464
	buffer_load_dword v147, off, s[0:3], 0 offset:456
	buffer_load_dword v149, off, s[0:3], 0 offset:448
	buffer_load_dword v141, off, s[0:3], 0 offset:440
	buffer_load_dword v150, off, s[0:3], 0 offset:452
	buffer_load_dword v148, off, s[0:3], 0 offset:460
	s_waitcnt vmcnt(23) lgkmcnt(0)
	v_fma_f64 v[131:132], v[145:146], v[135:136], v[131:132]
	s_waitcnt vmcnt(18)
	v_fma_f64 v[144:145], v[151:152], v[137:138], v[131:132]
	ds_read_b128 v[131:134], v130 offset:896
	ds_read_b128 v[135:138], v130 offset:912
	s_waitcnt vmcnt(17) lgkmcnt(1)
	v_fma_f64 v[131:132], v[159:160], v[131:132], v[144:145]
	buffer_load_dword v144, off, s[0:3], 0 offset:468
	s_waitcnt vmcnt(17)
	v_fma_f64 v[131:132], v[157:158], v[133:134], v[131:132]
	buffer_load_dword v146, off, s[0:3], 0 offset:476
	buffer_load_dword v151, off, s[0:3], 0 offset:496
	;; [unrolled: 1-line block ×8, first 2 shown]
	s_waitcnt vmcnt(24) lgkmcnt(0)
	v_fma_f64 v[131:132], v[153:154], v[135:136], v[131:132]
	s_waitcnt vmcnt(19)
	v_fma_f64 v[139:140], v[139:140], v[137:138], v[131:132]
	ds_read_b128 v[131:134], v130 offset:928
	ds_read_b128 v[135:138], v130 offset:944
	s_waitcnt vmcnt(18) lgkmcnt(1)
	v_fma_f64 v[131:132], v[163:164], v[131:132], v[139:140]
	buffer_load_dword v140, off, s[0:3], 0 offset:508
	buffer_load_dword v139, off, s[0:3], 0 offset:504
	;; [unrolled: 1-line block ×4, first 2 shown]
	s_waitcnt vmcnt(21)
	v_fma_f64 v[131:132], v[161:162], v[133:134], v[131:132]
	s_waitcnt vmcnt(20) lgkmcnt(0)
	v_fma_f64 v[131:132], v[155:156], v[135:136], v[131:132]
	s_waitcnt vmcnt(15)
	v_fma_f64 v[141:142], v[141:142], v[137:138], v[131:132]
	ds_read_b128 v[131:134], v130 offset:960
	ds_read_b128 v[135:138], v130 offset:976
	s_waitcnt vmcnt(14) lgkmcnt(1)
	v_fma_f64 v[131:132], v[149:150], v[131:132], v[141:142]
	s_waitcnt vmcnt(13)
	v_fma_f64 v[131:132], v[147:148], v[133:134], v[131:132]
	s_waitcnt vmcnt(12) lgkmcnt(0)
	v_fma_f64 v[131:132], v[143:144], v[135:136], v[131:132]
	s_waitcnt vmcnt(7)
	v_fma_f64 v[141:142], v[145:146], v[137:138], v[131:132]
	ds_read_b128 v[131:134], v130 offset:992
	ds_read_b128 v[135:138], v130 offset:1008
	s_waitcnt vmcnt(6) lgkmcnt(1)
	v_fma_f64 v[130:131], v[159:160], v[131:132], v[141:142]
	s_waitcnt vmcnt(5)
	v_fma_f64 v[130:131], v[157:158], v[133:134], v[130:131]
	s_waitcnt vmcnt(4) lgkmcnt(0)
	v_fma_f64 v[130:131], v[151:152], v[135:136], v[130:131]
	s_waitcnt vmcnt(2)
	v_fma_f64 v[130:131], v[139:140], v[137:138], v[130:131]
	s_waitcnt vmcnt(0)
	v_add_f64 v[130:131], v[153:154], -v[130:131]
	buffer_store_dword v131, off, s[0:3], 0 offset:220
	buffer_store_dword v130, off, s[0:3], 0 offset:216
	s_and_saveexec_b64 s[4:5], vcc
	s_cbranch_execz .LBB63_339
; %bb.338:
	buffer_load_dword v130, off, s[0:3], 0 offset:208
	buffer_load_dword v131, off, s[0:3], 0 offset:212
	v_mov_b32_e32 v132, 0
	buffer_store_dword v132, off, s[0:3], 0 offset:208
	buffer_store_dword v132, off, s[0:3], 0 offset:212
	s_waitcnt vmcnt(2)
	ds_write_b64 v129, v[130:131]
.LBB63_339:
	s_or_b64 exec, exec, s[4:5]
	s_waitcnt lgkmcnt(0)
	; wave barrier
	buffer_load_dword v139, off, s[0:3], 0 offset:216
	buffer_load_dword v140, off, s[0:3], 0 offset:220
	;; [unrolled: 1-line block ×21, first 2 shown]
	v_mov_b32_e32 v130, 0
	ds_read2_b64 v[131:134], v130 offset0:91 offset1:92
	ds_read2_b64 v[135:138], v130 offset0:93 offset1:94
	buffer_load_dword v156, off, s[0:3], 0 offset:300
	v_cmp_lt_u32_e32 vcc, 25, v0
	s_waitcnt vmcnt(20) lgkmcnt(1)
	v_fma_f64 v[131:132], v[139:140], v[131:132], 0
	s_waitcnt vmcnt(18)
	v_fma_f64 v[131:132], v[141:142], v[133:134], v[131:132]
	buffer_load_dword v140, off, s[0:3], 0 offset:308
	buffer_load_dword v141, off, s[0:3], 0 offset:328
	;; [unrolled: 1-line block ×7, first 2 shown]
	s_waitcnt vmcnt(23) lgkmcnt(0)
	v_fma_f64 v[131:132], v[143:144], v[135:136], v[131:132]
	s_waitcnt vmcnt(21)
	v_fma_f64 v[142:143], v[145:146], v[137:138], v[131:132]
	ds_read2_b64 v[131:134], v130 offset0:95 offset1:96
	ds_read2_b64 v[135:138], v130 offset0:97 offset1:98
	s_waitcnt vmcnt(19) lgkmcnt(1)
	v_fma_f64 v[131:132], v[147:148], v[131:132], v[142:143]
	buffer_load_dword v142, off, s[0:3], 0 offset:332
	s_waitcnt vmcnt(18)
	v_fma_f64 v[131:132], v[149:150], v[133:134], v[131:132]
	buffer_load_dword v144, off, s[0:3], 0 offset:340
	buffer_load_dword v145, off, s[0:3], 0 offset:360
	;; [unrolled: 1-line block ×8, first 2 shown]
	s_waitcnt vmcnt(24) lgkmcnt(0)
	v_fma_f64 v[131:132], v[151:152], v[135:136], v[131:132]
	s_waitcnt vmcnt(19)
	v_fma_f64 v[151:152], v[153:154], v[137:138], v[131:132]
	ds_read2_b64 v[131:134], v130 offset0:99 offset1:100
	ds_read2_b64 v[135:138], v130 offset0:101 offset1:102
	s_waitcnt vmcnt(18) lgkmcnt(1)
	v_fma_f64 v[131:132], v[159:160], v[131:132], v[151:152]
	s_waitcnt vmcnt(17)
	v_fma_f64 v[131:132], v[157:158], v[133:134], v[131:132]
	buffer_load_dword v152, off, s[0:3], 0 offset:372
	buffer_load_dword v153, off, s[0:3], 0 offset:392
	;; [unrolled: 1-line block ×7, first 2 shown]
	s_waitcnt vmcnt(23) lgkmcnt(0)
	v_fma_f64 v[131:132], v[155:156], v[135:136], v[131:132]
	s_waitcnt vmcnt(18)
	v_fma_f64 v[139:140], v[139:140], v[137:138], v[131:132]
	ds_read2_b64 v[131:134], v130 offset0:103 offset1:104
	ds_read2_b64 v[135:138], v130 offset0:105 offset1:106
	buffer_load_dword v154, off, s[0:3], 0 offset:396
	s_waitcnt vmcnt(18) lgkmcnt(1)
	v_fma_f64 v[131:132], v[163:164], v[131:132], v[139:140]
	s_waitcnt vmcnt(17)
	v_fma_f64 v[131:132], v[161:162], v[133:134], v[131:132]
	buffer_load_dword v140, off, s[0:3], 0 offset:404
	buffer_load_dword v155, off, s[0:3], 0 offset:424
	;; [unrolled: 1-line block ×7, first 2 shown]
	s_waitcnt vmcnt(23) lgkmcnt(0)
	v_fma_f64 v[131:132], v[141:142], v[135:136], v[131:132]
	s_waitcnt vmcnt(18)
	v_fma_f64 v[141:142], v[143:144], v[137:138], v[131:132]
	ds_read2_b64 v[131:134], v130 offset0:107 offset1:108
	ds_read2_b64 v[135:138], v130 offset0:109 offset1:110
	buffer_load_dword v156, off, s[0:3], 0 offset:428
	s_waitcnt vmcnt(18) lgkmcnt(1)
	v_fma_f64 v[131:132], v[149:150], v[131:132], v[141:142]
	s_waitcnt vmcnt(17)
	v_fma_f64 v[131:132], v[147:148], v[133:134], v[131:132]
	buffer_load_dword v142, off, s[0:3], 0 offset:436
	buffer_load_dword v143, off, s[0:3], 0 offset:456
	;; [unrolled: 1-line block ×7, first 2 shown]
	s_waitcnt vmcnt(23) lgkmcnt(0)
	v_fma_f64 v[131:132], v[145:146], v[135:136], v[131:132]
	s_waitcnt vmcnt(18)
	v_fma_f64 v[144:145], v[151:152], v[137:138], v[131:132]
	ds_read2_b64 v[131:134], v130 offset0:111 offset1:112
	ds_read2_b64 v[135:138], v130 offset0:113 offset1:114
	s_waitcnt vmcnt(17) lgkmcnt(1)
	v_fma_f64 v[131:132], v[159:160], v[131:132], v[144:145]
	buffer_load_dword v144, off, s[0:3], 0 offset:460
	s_waitcnt vmcnt(17)
	v_fma_f64 v[131:132], v[157:158], v[133:134], v[131:132]
	buffer_load_dword v146, off, s[0:3], 0 offset:468
	buffer_load_dword v151, off, s[0:3], 0 offset:488
	;; [unrolled: 1-line block ×7, first 2 shown]
	s_waitcnt vmcnt(23) lgkmcnt(0)
	v_fma_f64 v[131:132], v[153:154], v[135:136], v[131:132]
	s_waitcnt vmcnt(18)
	v_fma_f64 v[139:140], v[139:140], v[137:138], v[131:132]
	ds_read2_b64 v[131:134], v130 offset0:115 offset1:116
	ds_read2_b64 v[135:138], v130 offset0:117 offset1:118
	buffer_load_dword v152, off, s[0:3], 0 offset:492
	s_waitcnt vmcnt(18) lgkmcnt(1)
	v_fma_f64 v[131:132], v[163:164], v[131:132], v[139:140]
	buffer_load_dword v140, off, s[0:3], 0 offset:500
	buffer_load_dword v153, off, s[0:3], 0 offset:504
	;; [unrolled: 1-line block ×4, first 2 shown]
	s_waitcnt vmcnt(21)
	v_fma_f64 v[131:132], v[161:162], v[133:134], v[131:132]
	s_waitcnt vmcnt(20) lgkmcnt(0)
	v_fma_f64 v[131:132], v[155:156], v[135:136], v[131:132]
	buffer_load_dword v155, off, s[0:3], 0 offset:208
	buffer_load_dword v156, off, s[0:3], 0 offset:212
	s_waitcnt vmcnt(17)
	v_fma_f64 v[141:142], v[141:142], v[137:138], v[131:132]
	ds_read2_b64 v[131:134], v130 offset0:119 offset1:120
	ds_read2_b64 v[135:138], v130 offset0:121 offset1:122
	s_waitcnt vmcnt(16) lgkmcnt(1)
	v_fma_f64 v[131:132], v[149:150], v[131:132], v[141:142]
	s_waitcnt vmcnt(15)
	v_fma_f64 v[131:132], v[147:148], v[133:134], v[131:132]
	s_waitcnt vmcnt(14) lgkmcnt(0)
	v_fma_f64 v[131:132], v[143:144], v[135:136], v[131:132]
	s_waitcnt vmcnt(9)
	v_fma_f64 v[141:142], v[145:146], v[137:138], v[131:132]
	ds_read2_b64 v[131:134], v130 offset0:123 offset1:124
	ds_read2_b64 v[135:138], v130 offset0:125 offset1:126
	s_waitcnt vmcnt(8) lgkmcnt(1)
	v_fma_f64 v[131:132], v[159:160], v[131:132], v[141:142]
	s_waitcnt vmcnt(7)
	v_fma_f64 v[131:132], v[157:158], v[133:134], v[131:132]
	ds_read_b64 v[133:134], v130 offset:1016
	s_waitcnt vmcnt(6) lgkmcnt(1)
	v_fma_f64 v[131:132], v[151:152], v[135:136], v[131:132]
	s_waitcnt vmcnt(3)
	v_fma_f64 v[131:132], v[139:140], v[137:138], v[131:132]
	s_waitcnt vmcnt(2) lgkmcnt(0)
	v_fma_f64 v[131:132], v[153:154], v[133:134], v[131:132]
	s_waitcnt vmcnt(0)
	v_add_f64 v[131:132], v[155:156], -v[131:132]
	buffer_store_dword v132, off, s[0:3], 0 offset:212
	buffer_store_dword v131, off, s[0:3], 0 offset:208
	s_and_saveexec_b64 s[4:5], vcc
	s_cbranch_execz .LBB63_341
; %bb.340:
	buffer_load_dword v131, off, s[0:3], 0 offset:200
	buffer_load_dword v132, off, s[0:3], 0 offset:204
	s_waitcnt vmcnt(0)
	ds_write_b64 v129, v[131:132]
	buffer_store_dword v130, off, s[0:3], 0 offset:200
	buffer_store_dword v130, off, s[0:3], 0 offset:204
.LBB63_341:
	s_or_b64 exec, exec, s[4:5]
	s_waitcnt lgkmcnt(0)
	; wave barrier
	buffer_load_dword v139, off, s[0:3], 0 offset:208
	buffer_load_dword v140, off, s[0:3], 0 offset:212
	buffer_load_dword v141, off, s[0:3], 0 offset:216
	buffer_load_dword v142, off, s[0:3], 0 offset:220
	buffer_load_dword v143, off, s[0:3], 0 offset:224
	buffer_load_dword v144, off, s[0:3], 0 offset:228
	buffer_load_dword v145, off, s[0:3], 0 offset:232
	buffer_load_dword v146, off, s[0:3], 0 offset:236
	buffer_load_dword v147, off, s[0:3], 0 offset:240
	buffer_load_dword v148, off, s[0:3], 0 offset:244
	buffer_load_dword v149, off, s[0:3], 0 offset:248
	buffer_load_dword v150, off, s[0:3], 0 offset:252
	buffer_load_dword v151, off, s[0:3], 0 offset:256
	buffer_load_dword v152, off, s[0:3], 0 offset:260
	buffer_load_dword v154, off, s[0:3], 0 offset:268
	buffer_load_dword v155, off, s[0:3], 0 offset:288
	buffer_load_dword v157, off, s[0:3], 0 offset:280
	buffer_load_dword v159, off, s[0:3], 0 offset:272
	buffer_load_dword v153, off, s[0:3], 0 offset:264
	buffer_load_dword v160, off, s[0:3], 0 offset:276
	buffer_load_dword v158, off, s[0:3], 0 offset:284
	buffer_load_dword v156, off, s[0:3], 0 offset:292
	ds_read_b128 v[131:134], v130 offset:720
	ds_read_b128 v[135:138], v130 offset:736
	v_cmp_lt_u32_e32 vcc, 24, v0
	s_waitcnt vmcnt(20) lgkmcnt(1)
	v_fma_f64 v[131:132], v[139:140], v[131:132], 0
	s_waitcnt vmcnt(18)
	v_fma_f64 v[131:132], v[141:142], v[133:134], v[131:132]
	buffer_load_dword v140, off, s[0:3], 0 offset:300
	buffer_load_dword v141, off, s[0:3], 0 offset:320
	buffer_load_dword v161, off, s[0:3], 0 offset:312
	buffer_load_dword v163, off, s[0:3], 0 offset:304
	buffer_load_dword v139, off, s[0:3], 0 offset:296
	buffer_load_dword v164, off, s[0:3], 0 offset:308
	buffer_load_dword v162, off, s[0:3], 0 offset:316
	s_waitcnt vmcnt(23) lgkmcnt(0)
	v_fma_f64 v[131:132], v[143:144], v[135:136], v[131:132]
	s_waitcnt vmcnt(21)
	v_fma_f64 v[142:143], v[145:146], v[137:138], v[131:132]
	ds_read_b128 v[131:134], v130 offset:752
	ds_read_b128 v[135:138], v130 offset:768
	s_waitcnt vmcnt(19) lgkmcnt(1)
	v_fma_f64 v[131:132], v[147:148], v[131:132], v[142:143]
	buffer_load_dword v142, off, s[0:3], 0 offset:324
	s_waitcnt vmcnt(18)
	v_fma_f64 v[131:132], v[149:150], v[133:134], v[131:132]
	buffer_load_dword v144, off, s[0:3], 0 offset:332
	buffer_load_dword v145, off, s[0:3], 0 offset:352
	;; [unrolled: 1-line block ×8, first 2 shown]
	s_waitcnt vmcnt(24) lgkmcnt(0)
	v_fma_f64 v[131:132], v[151:152], v[135:136], v[131:132]
	s_waitcnt vmcnt(19)
	v_fma_f64 v[151:152], v[153:154], v[137:138], v[131:132]
	ds_read_b128 v[131:134], v130 offset:784
	ds_read_b128 v[135:138], v130 offset:800
	s_waitcnt vmcnt(18) lgkmcnt(1)
	v_fma_f64 v[131:132], v[159:160], v[131:132], v[151:152]
	s_waitcnt vmcnt(17)
	v_fma_f64 v[131:132], v[157:158], v[133:134], v[131:132]
	buffer_load_dword v152, off, s[0:3], 0 offset:364
	buffer_load_dword v153, off, s[0:3], 0 offset:384
	;; [unrolled: 1-line block ×8, first 2 shown]
	s_waitcnt vmcnt(24) lgkmcnt(0)
	v_fma_f64 v[131:132], v[155:156], v[135:136], v[131:132]
	s_waitcnt vmcnt(19)
	v_fma_f64 v[139:140], v[139:140], v[137:138], v[131:132]
	ds_read_b128 v[131:134], v130 offset:816
	ds_read_b128 v[135:138], v130 offset:832
	s_waitcnt vmcnt(18) lgkmcnt(1)
	v_fma_f64 v[131:132], v[163:164], v[131:132], v[139:140]
	s_waitcnt vmcnt(17)
	v_fma_f64 v[131:132], v[161:162], v[133:134], v[131:132]
	buffer_load_dword v140, off, s[0:3], 0 offset:396
	buffer_load_dword v155, off, s[0:3], 0 offset:416
	buffer_load_dword v161, off, s[0:3], 0 offset:408
	buffer_load_dword v163, off, s[0:3], 0 offset:400
	buffer_load_dword v139, off, s[0:3], 0 offset:392
	buffer_load_dword v164, off, s[0:3], 0 offset:404
	buffer_load_dword v162, off, s[0:3], 0 offset:412
	s_waitcnt vmcnt(23) lgkmcnt(0)
	v_fma_f64 v[131:132], v[141:142], v[135:136], v[131:132]
	s_waitcnt vmcnt(18)
	v_fma_f64 v[141:142], v[143:144], v[137:138], v[131:132]
	ds_read_b128 v[131:134], v130 offset:848
	ds_read_b128 v[135:138], v130 offset:864
	buffer_load_dword v156, off, s[0:3], 0 offset:420
	s_waitcnt vmcnt(18) lgkmcnt(1)
	v_fma_f64 v[131:132], v[149:150], v[131:132], v[141:142]
	s_waitcnt vmcnt(17)
	v_fma_f64 v[131:132], v[147:148], v[133:134], v[131:132]
	buffer_load_dword v142, off, s[0:3], 0 offset:428
	buffer_load_dword v143, off, s[0:3], 0 offset:448
	;; [unrolled: 1-line block ×7, first 2 shown]
	s_waitcnt vmcnt(23) lgkmcnt(0)
	v_fma_f64 v[131:132], v[145:146], v[135:136], v[131:132]
	s_waitcnt vmcnt(18)
	v_fma_f64 v[144:145], v[151:152], v[137:138], v[131:132]
	ds_read_b128 v[131:134], v130 offset:880
	ds_read_b128 v[135:138], v130 offset:896
	s_waitcnt vmcnt(17) lgkmcnt(1)
	v_fma_f64 v[131:132], v[159:160], v[131:132], v[144:145]
	buffer_load_dword v144, off, s[0:3], 0 offset:452
	s_waitcnt vmcnt(17)
	v_fma_f64 v[131:132], v[157:158], v[133:134], v[131:132]
	buffer_load_dword v146, off, s[0:3], 0 offset:460
	buffer_load_dword v151, off, s[0:3], 0 offset:480
	;; [unrolled: 1-line block ×8, first 2 shown]
	s_waitcnt vmcnt(24) lgkmcnt(0)
	v_fma_f64 v[131:132], v[153:154], v[135:136], v[131:132]
	s_waitcnt vmcnt(19)
	v_fma_f64 v[139:140], v[139:140], v[137:138], v[131:132]
	ds_read_b128 v[131:134], v130 offset:912
	ds_read_b128 v[135:138], v130 offset:928
	s_waitcnt vmcnt(18) lgkmcnt(1)
	v_fma_f64 v[131:132], v[163:164], v[131:132], v[139:140]
	s_waitcnt vmcnt(17)
	v_fma_f64 v[131:132], v[161:162], v[133:134], v[131:132]
	buffer_load_dword v140, off, s[0:3], 0 offset:492
	buffer_load_dword v153, off, s[0:3], 0 offset:504
	;; [unrolled: 1-line block ×6, first 2 shown]
	s_waitcnt vmcnt(22) lgkmcnt(0)
	v_fma_f64 v[131:132], v[155:156], v[135:136], v[131:132]
	s_waitcnt vmcnt(17)
	v_fma_f64 v[141:142], v[141:142], v[137:138], v[131:132]
	ds_read_b128 v[131:134], v130 offset:944
	buffer_load_dword v155, off, s[0:3], 0 offset:200
	buffer_load_dword v156, off, s[0:3], 0 offset:204
	ds_read_b128 v[135:138], v130 offset:960
	s_waitcnt vmcnt(18) lgkmcnt(1)
	v_fma_f64 v[131:132], v[149:150], v[131:132], v[141:142]
	s_waitcnt vmcnt(17)
	v_fma_f64 v[131:132], v[147:148], v[133:134], v[131:132]
	s_waitcnt vmcnt(16) lgkmcnt(0)
	v_fma_f64 v[131:132], v[143:144], v[135:136], v[131:132]
	s_waitcnt vmcnt(11)
	v_fma_f64 v[141:142], v[145:146], v[137:138], v[131:132]
	ds_read_b128 v[131:134], v130 offset:976
	ds_read_b128 v[135:138], v130 offset:992
	s_waitcnt vmcnt(10) lgkmcnt(1)
	v_fma_f64 v[131:132], v[159:160], v[131:132], v[141:142]
	s_waitcnt vmcnt(9)
	v_fma_f64 v[131:132], v[157:158], v[133:134], v[131:132]
	s_waitcnt vmcnt(8) lgkmcnt(0)
	v_fma_f64 v[131:132], v[151:152], v[135:136], v[131:132]
	s_waitcnt vmcnt(4)
	v_fma_f64 v[134:135], v[139:140], v[137:138], v[131:132]
	ds_read_b128 v[130:133], v130 offset:1008
	s_waitcnt vmcnt(3) lgkmcnt(0)
	v_fma_f64 v[130:131], v[161:162], v[130:131], v[134:135]
	s_waitcnt vmcnt(2)
	v_fma_f64 v[130:131], v[153:154], v[132:133], v[130:131]
	s_waitcnt vmcnt(0)
	v_add_f64 v[130:131], v[155:156], -v[130:131]
	buffer_store_dword v131, off, s[0:3], 0 offset:204
	buffer_store_dword v130, off, s[0:3], 0 offset:200
	s_and_saveexec_b64 s[4:5], vcc
	s_cbranch_execz .LBB63_343
; %bb.342:
	buffer_load_dword v130, off, s[0:3], 0 offset:192
	buffer_load_dword v131, off, s[0:3], 0 offset:196
	v_mov_b32_e32 v132, 0
	buffer_store_dword v132, off, s[0:3], 0 offset:192
	buffer_store_dword v132, off, s[0:3], 0 offset:196
	s_waitcnt vmcnt(2)
	ds_write_b64 v129, v[130:131]
.LBB63_343:
	s_or_b64 exec, exec, s[4:5]
	s_waitcnt lgkmcnt(0)
	; wave barrier
	buffer_load_dword v139, off, s[0:3], 0 offset:200
	buffer_load_dword v140, off, s[0:3], 0 offset:204
	;; [unrolled: 1-line block ×22, first 2 shown]
	v_mov_b32_e32 v130, 0
	ds_read2_b64 v[131:134], v130 offset0:89 offset1:90
	ds_read2_b64 v[135:138], v130 offset0:91 offset1:92
	v_cmp_lt_u32_e32 vcc, 23, v0
	s_waitcnt vmcnt(20) lgkmcnt(1)
	v_fma_f64 v[131:132], v[139:140], v[131:132], 0
	s_waitcnt vmcnt(18)
	v_fma_f64 v[131:132], v[141:142], v[133:134], v[131:132]
	buffer_load_dword v140, off, s[0:3], 0 offset:292
	buffer_load_dword v141, off, s[0:3], 0 offset:312
	;; [unrolled: 1-line block ×7, first 2 shown]
	s_waitcnt vmcnt(23) lgkmcnt(0)
	v_fma_f64 v[131:132], v[143:144], v[135:136], v[131:132]
	s_waitcnt vmcnt(21)
	v_fma_f64 v[142:143], v[145:146], v[137:138], v[131:132]
	ds_read2_b64 v[131:134], v130 offset0:93 offset1:94
	ds_read2_b64 v[135:138], v130 offset0:95 offset1:96
	s_waitcnt vmcnt(19) lgkmcnt(1)
	v_fma_f64 v[131:132], v[147:148], v[131:132], v[142:143]
	buffer_load_dword v142, off, s[0:3], 0 offset:316
	s_waitcnt vmcnt(18)
	v_fma_f64 v[131:132], v[149:150], v[133:134], v[131:132]
	buffer_load_dword v144, off, s[0:3], 0 offset:324
	buffer_load_dword v145, off, s[0:3], 0 offset:344
	;; [unrolled: 1-line block ×8, first 2 shown]
	s_waitcnt vmcnt(24) lgkmcnt(0)
	v_fma_f64 v[131:132], v[151:152], v[135:136], v[131:132]
	s_waitcnt vmcnt(19)
	v_fma_f64 v[151:152], v[153:154], v[137:138], v[131:132]
	ds_read2_b64 v[131:134], v130 offset0:97 offset1:98
	ds_read2_b64 v[135:138], v130 offset0:99 offset1:100
	s_waitcnt vmcnt(18) lgkmcnt(1)
	v_fma_f64 v[131:132], v[159:160], v[131:132], v[151:152]
	s_waitcnt vmcnt(17)
	v_fma_f64 v[131:132], v[157:158], v[133:134], v[131:132]
	buffer_load_dword v152, off, s[0:3], 0 offset:356
	buffer_load_dword v153, off, s[0:3], 0 offset:376
	;; [unrolled: 1-line block ×8, first 2 shown]
	s_waitcnt vmcnt(24) lgkmcnt(0)
	v_fma_f64 v[131:132], v[155:156], v[135:136], v[131:132]
	s_waitcnt vmcnt(19)
	v_fma_f64 v[139:140], v[139:140], v[137:138], v[131:132]
	ds_read2_b64 v[131:134], v130 offset0:101 offset1:102
	ds_read2_b64 v[135:138], v130 offset0:103 offset1:104
	s_waitcnt vmcnt(18) lgkmcnt(1)
	v_fma_f64 v[131:132], v[163:164], v[131:132], v[139:140]
	s_waitcnt vmcnt(17)
	v_fma_f64 v[131:132], v[161:162], v[133:134], v[131:132]
	buffer_load_dword v140, off, s[0:3], 0 offset:388
	buffer_load_dword v155, off, s[0:3], 0 offset:408
	buffer_load_dword v161, off, s[0:3], 0 offset:400
	buffer_load_dword v163, off, s[0:3], 0 offset:392
	buffer_load_dword v139, off, s[0:3], 0 offset:384
	buffer_load_dword v164, off, s[0:3], 0 offset:396
	buffer_load_dword v162, off, s[0:3], 0 offset:404
	s_waitcnt vmcnt(23) lgkmcnt(0)
	v_fma_f64 v[131:132], v[141:142], v[135:136], v[131:132]
	s_waitcnt vmcnt(18)
	v_fma_f64 v[141:142], v[143:144], v[137:138], v[131:132]
	ds_read2_b64 v[131:134], v130 offset0:105 offset1:106
	ds_read2_b64 v[135:138], v130 offset0:107 offset1:108
	buffer_load_dword v156, off, s[0:3], 0 offset:412
	s_waitcnt vmcnt(18) lgkmcnt(1)
	v_fma_f64 v[131:132], v[149:150], v[131:132], v[141:142]
	s_waitcnt vmcnt(17)
	v_fma_f64 v[131:132], v[147:148], v[133:134], v[131:132]
	buffer_load_dword v142, off, s[0:3], 0 offset:420
	buffer_load_dword v143, off, s[0:3], 0 offset:440
	;; [unrolled: 1-line block ×7, first 2 shown]
	s_waitcnt vmcnt(23) lgkmcnt(0)
	v_fma_f64 v[131:132], v[145:146], v[135:136], v[131:132]
	s_waitcnt vmcnt(18)
	v_fma_f64 v[144:145], v[151:152], v[137:138], v[131:132]
	ds_read2_b64 v[131:134], v130 offset0:109 offset1:110
	ds_read2_b64 v[135:138], v130 offset0:111 offset1:112
	s_waitcnt vmcnt(17) lgkmcnt(1)
	v_fma_f64 v[131:132], v[159:160], v[131:132], v[144:145]
	buffer_load_dword v144, off, s[0:3], 0 offset:444
	s_waitcnt vmcnt(17)
	v_fma_f64 v[131:132], v[157:158], v[133:134], v[131:132]
	buffer_load_dword v146, off, s[0:3], 0 offset:452
	buffer_load_dword v151, off, s[0:3], 0 offset:472
	;; [unrolled: 1-line block ×8, first 2 shown]
	s_waitcnt vmcnt(24) lgkmcnt(0)
	v_fma_f64 v[131:132], v[153:154], v[135:136], v[131:132]
	s_waitcnt vmcnt(19)
	v_fma_f64 v[139:140], v[139:140], v[137:138], v[131:132]
	ds_read2_b64 v[131:134], v130 offset0:113 offset1:114
	ds_read2_b64 v[135:138], v130 offset0:115 offset1:116
	s_waitcnt vmcnt(18) lgkmcnt(1)
	v_fma_f64 v[131:132], v[163:164], v[131:132], v[139:140]
	s_waitcnt vmcnt(17)
	v_fma_f64 v[131:132], v[161:162], v[133:134], v[131:132]
	buffer_load_dword v140, off, s[0:3], 0 offset:484
	buffer_load_dword v153, off, s[0:3], 0 offset:504
	;; [unrolled: 1-line block ×8, first 2 shown]
	s_waitcnt vmcnt(24) lgkmcnt(0)
	v_fma_f64 v[131:132], v[155:156], v[135:136], v[131:132]
	s_waitcnt vmcnt(19)
	v_fma_f64 v[141:142], v[141:142], v[137:138], v[131:132]
	ds_read2_b64 v[131:134], v130 offset0:117 offset1:118
	ds_read2_b64 v[135:138], v130 offset0:119 offset1:120
	s_waitcnt vmcnt(18) lgkmcnt(1)
	v_fma_f64 v[131:132], v[149:150], v[131:132], v[141:142]
	buffer_load_dword v141, off, s[0:3], 0 offset:192
	buffer_load_dword v142, off, s[0:3], 0 offset:196
	s_waitcnt vmcnt(19)
	v_fma_f64 v[131:132], v[147:148], v[133:134], v[131:132]
	s_waitcnt vmcnt(18) lgkmcnt(0)
	v_fma_f64 v[131:132], v[143:144], v[135:136], v[131:132]
	s_waitcnt vmcnt(13)
	v_fma_f64 v[143:144], v[145:146], v[137:138], v[131:132]
	ds_read2_b64 v[131:134], v130 offset0:121 offset1:122
	ds_read2_b64 v[135:138], v130 offset0:123 offset1:124
	s_waitcnt vmcnt(12) lgkmcnt(1)
	v_fma_f64 v[131:132], v[159:160], v[131:132], v[143:144]
	s_waitcnt vmcnt(11)
	v_fma_f64 v[131:132], v[157:158], v[133:134], v[131:132]
	s_waitcnt vmcnt(10) lgkmcnt(0)
	v_fma_f64 v[131:132], v[151:152], v[135:136], v[131:132]
	s_waitcnt vmcnt(5)
	v_fma_f64 v[135:136], v[139:140], v[137:138], v[131:132]
	ds_read2_b64 v[131:134], v130 offset0:125 offset1:126
	ds_read_b64 v[137:138], v130 offset:1016
	s_waitcnt vmcnt(4) lgkmcnt(1)
	v_fma_f64 v[131:132], v[163:164], v[131:132], v[135:136]
	s_waitcnt vmcnt(3)
	v_fma_f64 v[131:132], v[161:162], v[133:134], v[131:132]
	s_waitcnt vmcnt(2) lgkmcnt(0)
	v_fma_f64 v[131:132], v[153:154], v[137:138], v[131:132]
	s_waitcnt vmcnt(0)
	v_add_f64 v[131:132], v[141:142], -v[131:132]
	buffer_store_dword v132, off, s[0:3], 0 offset:196
	buffer_store_dword v131, off, s[0:3], 0 offset:192
	s_and_saveexec_b64 s[4:5], vcc
	s_cbranch_execz .LBB63_345
; %bb.344:
	buffer_load_dword v131, off, s[0:3], 0 offset:184
	buffer_load_dword v132, off, s[0:3], 0 offset:188
	s_waitcnt vmcnt(0)
	ds_write_b64 v129, v[131:132]
	buffer_store_dword v130, off, s[0:3], 0 offset:184
	buffer_store_dword v130, off, s[0:3], 0 offset:188
.LBB63_345:
	s_or_b64 exec, exec, s[4:5]
	s_waitcnt lgkmcnt(0)
	; wave barrier
	buffer_load_dword v139, off, s[0:3], 0 offset:192
	buffer_load_dword v140, off, s[0:3], 0 offset:196
	;; [unrolled: 1-line block ×22, first 2 shown]
	ds_read_b128 v[131:134], v130 offset:704
	ds_read_b128 v[135:138], v130 offset:720
	v_cmp_lt_u32_e32 vcc, 22, v0
	s_waitcnt vmcnt(20) lgkmcnt(1)
	v_fma_f64 v[131:132], v[139:140], v[131:132], 0
	s_waitcnt vmcnt(18)
	v_fma_f64 v[131:132], v[141:142], v[133:134], v[131:132]
	buffer_load_dword v140, off, s[0:3], 0 offset:284
	buffer_load_dword v141, off, s[0:3], 0 offset:304
	;; [unrolled: 1-line block ×7, first 2 shown]
	s_waitcnt vmcnt(23) lgkmcnt(0)
	v_fma_f64 v[131:132], v[143:144], v[135:136], v[131:132]
	s_waitcnt vmcnt(21)
	v_fma_f64 v[142:143], v[145:146], v[137:138], v[131:132]
	ds_read_b128 v[131:134], v130 offset:736
	ds_read_b128 v[135:138], v130 offset:752
	s_waitcnt vmcnt(19) lgkmcnt(1)
	v_fma_f64 v[131:132], v[147:148], v[131:132], v[142:143]
	buffer_load_dword v142, off, s[0:3], 0 offset:308
	s_waitcnt vmcnt(18)
	v_fma_f64 v[131:132], v[149:150], v[133:134], v[131:132]
	buffer_load_dword v144, off, s[0:3], 0 offset:316
	buffer_load_dword v145, off, s[0:3], 0 offset:336
	;; [unrolled: 1-line block ×8, first 2 shown]
	s_waitcnt vmcnt(24) lgkmcnt(0)
	v_fma_f64 v[131:132], v[151:152], v[135:136], v[131:132]
	s_waitcnt vmcnt(19)
	v_fma_f64 v[151:152], v[153:154], v[137:138], v[131:132]
	ds_read_b128 v[131:134], v130 offset:768
	ds_read_b128 v[135:138], v130 offset:784
	s_waitcnt vmcnt(18) lgkmcnt(1)
	v_fma_f64 v[131:132], v[159:160], v[131:132], v[151:152]
	s_waitcnt vmcnt(17)
	v_fma_f64 v[131:132], v[157:158], v[133:134], v[131:132]
	buffer_load_dword v152, off, s[0:3], 0 offset:348
	buffer_load_dword v153, off, s[0:3], 0 offset:368
	;; [unrolled: 1-line block ×8, first 2 shown]
	s_waitcnt vmcnt(24) lgkmcnt(0)
	v_fma_f64 v[131:132], v[155:156], v[135:136], v[131:132]
	s_waitcnt vmcnt(19)
	v_fma_f64 v[139:140], v[139:140], v[137:138], v[131:132]
	ds_read_b128 v[131:134], v130 offset:800
	ds_read_b128 v[135:138], v130 offset:816
	s_waitcnt vmcnt(18) lgkmcnt(1)
	v_fma_f64 v[131:132], v[163:164], v[131:132], v[139:140]
	s_waitcnt vmcnt(17)
	v_fma_f64 v[131:132], v[161:162], v[133:134], v[131:132]
	buffer_load_dword v140, off, s[0:3], 0 offset:380
	buffer_load_dword v155, off, s[0:3], 0 offset:400
	buffer_load_dword v161, off, s[0:3], 0 offset:392
	buffer_load_dword v163, off, s[0:3], 0 offset:384
	buffer_load_dword v139, off, s[0:3], 0 offset:376
	buffer_load_dword v164, off, s[0:3], 0 offset:388
	buffer_load_dword v162, off, s[0:3], 0 offset:396
	s_waitcnt vmcnt(23) lgkmcnt(0)
	v_fma_f64 v[131:132], v[141:142], v[135:136], v[131:132]
	s_waitcnt vmcnt(18)
	v_fma_f64 v[141:142], v[143:144], v[137:138], v[131:132]
	ds_read_b128 v[131:134], v130 offset:832
	ds_read_b128 v[135:138], v130 offset:848
	buffer_load_dword v156, off, s[0:3], 0 offset:404
	s_waitcnt vmcnt(18) lgkmcnt(1)
	v_fma_f64 v[131:132], v[149:150], v[131:132], v[141:142]
	s_waitcnt vmcnt(17)
	v_fma_f64 v[131:132], v[147:148], v[133:134], v[131:132]
	buffer_load_dword v142, off, s[0:3], 0 offset:412
	buffer_load_dword v143, off, s[0:3], 0 offset:432
	;; [unrolled: 1-line block ×7, first 2 shown]
	s_waitcnt vmcnt(23) lgkmcnt(0)
	v_fma_f64 v[131:132], v[145:146], v[135:136], v[131:132]
	s_waitcnt vmcnt(18)
	v_fma_f64 v[144:145], v[151:152], v[137:138], v[131:132]
	ds_read_b128 v[131:134], v130 offset:864
	ds_read_b128 v[135:138], v130 offset:880
	s_waitcnt vmcnt(17) lgkmcnt(1)
	v_fma_f64 v[131:132], v[159:160], v[131:132], v[144:145]
	buffer_load_dword v144, off, s[0:3], 0 offset:436
	s_waitcnt vmcnt(17)
	v_fma_f64 v[131:132], v[157:158], v[133:134], v[131:132]
	buffer_load_dword v146, off, s[0:3], 0 offset:444
	buffer_load_dword v151, off, s[0:3], 0 offset:464
	;; [unrolled: 1-line block ×8, first 2 shown]
	s_waitcnt vmcnt(24) lgkmcnt(0)
	v_fma_f64 v[131:132], v[153:154], v[135:136], v[131:132]
	s_waitcnt vmcnt(19)
	v_fma_f64 v[139:140], v[139:140], v[137:138], v[131:132]
	ds_read_b128 v[131:134], v130 offset:896
	ds_read_b128 v[135:138], v130 offset:912
	s_waitcnt vmcnt(18) lgkmcnt(1)
	v_fma_f64 v[131:132], v[163:164], v[131:132], v[139:140]
	s_waitcnt vmcnt(17)
	v_fma_f64 v[131:132], v[161:162], v[133:134], v[131:132]
	buffer_load_dword v140, off, s[0:3], 0 offset:476
	buffer_load_dword v153, off, s[0:3], 0 offset:496
	;; [unrolled: 1-line block ×8, first 2 shown]
	s_waitcnt vmcnt(24) lgkmcnt(0)
	v_fma_f64 v[131:132], v[155:156], v[135:136], v[131:132]
	s_waitcnt vmcnt(19)
	v_fma_f64 v[141:142], v[141:142], v[137:138], v[131:132]
	ds_read_b128 v[131:134], v130 offset:928
	ds_read_b128 v[135:138], v130 offset:944
	s_waitcnt vmcnt(18) lgkmcnt(1)
	v_fma_f64 v[131:132], v[149:150], v[131:132], v[141:142]
	buffer_load_dword v142, off, s[0:3], 0 offset:508
	buffer_load_dword v141, off, s[0:3], 0 offset:504
	s_waitcnt vmcnt(19)
	v_fma_f64 v[131:132], v[147:148], v[133:134], v[131:132]
	buffer_load_dword v147, off, s[0:3], 0 offset:184
	buffer_load_dword v148, off, s[0:3], 0 offset:188
	s_waitcnt vmcnt(20) lgkmcnt(0)
	v_fma_f64 v[131:132], v[143:144], v[135:136], v[131:132]
	s_waitcnt vmcnt(15)
	v_fma_f64 v[143:144], v[145:146], v[137:138], v[131:132]
	ds_read_b128 v[131:134], v130 offset:960
	ds_read_b128 v[135:138], v130 offset:976
	s_waitcnt vmcnt(14) lgkmcnt(1)
	v_fma_f64 v[131:132], v[159:160], v[131:132], v[143:144]
	s_waitcnt vmcnt(13)
	v_fma_f64 v[131:132], v[157:158], v[133:134], v[131:132]
	s_waitcnt vmcnt(12) lgkmcnt(0)
	v_fma_f64 v[131:132], v[151:152], v[135:136], v[131:132]
	s_waitcnt vmcnt(7)
	v_fma_f64 v[139:140], v[139:140], v[137:138], v[131:132]
	ds_read_b128 v[131:134], v130 offset:992
	ds_read_b128 v[135:138], v130 offset:1008
	s_waitcnt vmcnt(6) lgkmcnt(1)
	v_fma_f64 v[130:131], v[163:164], v[131:132], v[139:140]
	s_waitcnt vmcnt(5)
	v_fma_f64 v[130:131], v[161:162], v[133:134], v[130:131]
	s_waitcnt vmcnt(4) lgkmcnt(0)
	v_fma_f64 v[130:131], v[153:154], v[135:136], v[130:131]
	s_waitcnt vmcnt(2)
	v_fma_f64 v[130:131], v[141:142], v[137:138], v[130:131]
	s_waitcnt vmcnt(0)
	v_add_f64 v[130:131], v[147:148], -v[130:131]
	buffer_store_dword v131, off, s[0:3], 0 offset:188
	buffer_store_dword v130, off, s[0:3], 0 offset:184
	s_and_saveexec_b64 s[4:5], vcc
	s_cbranch_execz .LBB63_347
; %bb.346:
	buffer_load_dword v130, off, s[0:3], 0 offset:176
	buffer_load_dword v131, off, s[0:3], 0 offset:180
	v_mov_b32_e32 v132, 0
	buffer_store_dword v132, off, s[0:3], 0 offset:176
	buffer_store_dword v132, off, s[0:3], 0 offset:180
	s_waitcnt vmcnt(2)
	ds_write_b64 v129, v[130:131]
.LBB63_347:
	s_or_b64 exec, exec, s[4:5]
	s_waitcnt lgkmcnt(0)
	; wave barrier
	buffer_load_dword v139, off, s[0:3], 0 offset:184
	buffer_load_dword v140, off, s[0:3], 0 offset:188
	;; [unrolled: 1-line block ×22, first 2 shown]
	v_mov_b32_e32 v130, 0
	ds_read2_b64 v[131:134], v130 offset0:87 offset1:88
	ds_read2_b64 v[135:138], v130 offset0:89 offset1:90
	v_cmp_lt_u32_e32 vcc, 21, v0
	s_waitcnt vmcnt(20) lgkmcnt(1)
	v_fma_f64 v[131:132], v[139:140], v[131:132], 0
	s_waitcnt vmcnt(18)
	v_fma_f64 v[131:132], v[141:142], v[133:134], v[131:132]
	buffer_load_dword v140, off, s[0:3], 0 offset:276
	buffer_load_dword v141, off, s[0:3], 0 offset:296
	;; [unrolled: 1-line block ×7, first 2 shown]
	s_waitcnt vmcnt(23) lgkmcnt(0)
	v_fma_f64 v[131:132], v[143:144], v[135:136], v[131:132]
	s_waitcnt vmcnt(21)
	v_fma_f64 v[142:143], v[145:146], v[137:138], v[131:132]
	ds_read2_b64 v[131:134], v130 offset0:91 offset1:92
	ds_read2_b64 v[135:138], v130 offset0:93 offset1:94
	s_waitcnt vmcnt(19) lgkmcnt(1)
	v_fma_f64 v[131:132], v[147:148], v[131:132], v[142:143]
	buffer_load_dword v142, off, s[0:3], 0 offset:300
	s_waitcnt vmcnt(18)
	v_fma_f64 v[131:132], v[149:150], v[133:134], v[131:132]
	buffer_load_dword v144, off, s[0:3], 0 offset:308
	buffer_load_dword v145, off, s[0:3], 0 offset:328
	buffer_load_dword v147, off, s[0:3], 0 offset:320
	buffer_load_dword v149, off, s[0:3], 0 offset:312
	buffer_load_dword v143, off, s[0:3], 0 offset:304
	buffer_load_dword v150, off, s[0:3], 0 offset:316
	buffer_load_dword v148, off, s[0:3], 0 offset:324
	s_waitcnt vmcnt(23) lgkmcnt(0)
	v_fma_f64 v[131:132], v[151:152], v[135:136], v[131:132]
	s_waitcnt vmcnt(18)
	v_fma_f64 v[151:152], v[153:154], v[137:138], v[131:132]
	ds_read2_b64 v[131:134], v130 offset0:95 offset1:96
	ds_read2_b64 v[135:138], v130 offset0:97 offset1:98
	buffer_load_dword v146, off, s[0:3], 0 offset:332
	s_waitcnt vmcnt(18) lgkmcnt(1)
	v_fma_f64 v[131:132], v[159:160], v[131:132], v[151:152]
	s_waitcnt vmcnt(17)
	v_fma_f64 v[131:132], v[157:158], v[133:134], v[131:132]
	buffer_load_dword v152, off, s[0:3], 0 offset:340
	buffer_load_dword v153, off, s[0:3], 0 offset:360
	;; [unrolled: 1-line block ×8, first 2 shown]
	s_waitcnt vmcnt(24) lgkmcnt(0)
	v_fma_f64 v[131:132], v[155:156], v[135:136], v[131:132]
	s_waitcnt vmcnt(19)
	v_fma_f64 v[139:140], v[139:140], v[137:138], v[131:132]
	ds_read2_b64 v[131:134], v130 offset0:99 offset1:100
	ds_read2_b64 v[135:138], v130 offset0:101 offset1:102
	s_waitcnt vmcnt(18) lgkmcnt(1)
	v_fma_f64 v[131:132], v[163:164], v[131:132], v[139:140]
	s_waitcnt vmcnt(17)
	v_fma_f64 v[131:132], v[161:162], v[133:134], v[131:132]
	buffer_load_dword v140, off, s[0:3], 0 offset:372
	buffer_load_dword v155, off, s[0:3], 0 offset:392
	;; [unrolled: 1-line block ×7, first 2 shown]
	s_waitcnt vmcnt(23) lgkmcnt(0)
	v_fma_f64 v[131:132], v[141:142], v[135:136], v[131:132]
	s_waitcnt vmcnt(18)
	v_fma_f64 v[141:142], v[143:144], v[137:138], v[131:132]
	ds_read2_b64 v[131:134], v130 offset0:103 offset1:104
	ds_read2_b64 v[135:138], v130 offset0:105 offset1:106
	buffer_load_dword v156, off, s[0:3], 0 offset:396
	s_waitcnt vmcnt(18) lgkmcnt(1)
	v_fma_f64 v[131:132], v[149:150], v[131:132], v[141:142]
	s_waitcnt vmcnt(17)
	v_fma_f64 v[131:132], v[147:148], v[133:134], v[131:132]
	buffer_load_dword v142, off, s[0:3], 0 offset:404
	buffer_load_dword v143, off, s[0:3], 0 offset:424
	;; [unrolled: 1-line block ×7, first 2 shown]
	s_waitcnt vmcnt(23) lgkmcnt(0)
	v_fma_f64 v[131:132], v[145:146], v[135:136], v[131:132]
	s_waitcnt vmcnt(18)
	v_fma_f64 v[144:145], v[151:152], v[137:138], v[131:132]
	ds_read2_b64 v[131:134], v130 offset0:107 offset1:108
	ds_read2_b64 v[135:138], v130 offset0:109 offset1:110
	s_waitcnt vmcnt(17) lgkmcnt(1)
	v_fma_f64 v[131:132], v[159:160], v[131:132], v[144:145]
	buffer_load_dword v144, off, s[0:3], 0 offset:428
	s_waitcnt vmcnt(17)
	v_fma_f64 v[131:132], v[157:158], v[133:134], v[131:132]
	buffer_load_dword v146, off, s[0:3], 0 offset:436
	buffer_load_dword v151, off, s[0:3], 0 offset:456
	;; [unrolled: 1-line block ×8, first 2 shown]
	s_waitcnt vmcnt(24) lgkmcnt(0)
	v_fma_f64 v[131:132], v[153:154], v[135:136], v[131:132]
	s_waitcnt vmcnt(19)
	v_fma_f64 v[139:140], v[139:140], v[137:138], v[131:132]
	ds_read2_b64 v[131:134], v130 offset0:111 offset1:112
	ds_read2_b64 v[135:138], v130 offset0:113 offset1:114
	s_waitcnt vmcnt(18) lgkmcnt(1)
	v_fma_f64 v[131:132], v[163:164], v[131:132], v[139:140]
	s_waitcnt vmcnt(17)
	v_fma_f64 v[131:132], v[161:162], v[133:134], v[131:132]
	buffer_load_dword v140, off, s[0:3], 0 offset:468
	buffer_load_dword v153, off, s[0:3], 0 offset:488
	;; [unrolled: 1-line block ×7, first 2 shown]
	s_waitcnt vmcnt(23) lgkmcnt(0)
	v_fma_f64 v[131:132], v[155:156], v[135:136], v[131:132]
	s_waitcnt vmcnt(18)
	v_fma_f64 v[141:142], v[141:142], v[137:138], v[131:132]
	ds_read2_b64 v[131:134], v130 offset0:115 offset1:116
	ds_read2_b64 v[135:138], v130 offset0:117 offset1:118
	buffer_load_dword v154, off, s[0:3], 0 offset:492
	s_waitcnt vmcnt(18) lgkmcnt(1)
	v_fma_f64 v[131:132], v[149:150], v[131:132], v[141:142]
	s_waitcnt vmcnt(17)
	v_fma_f64 v[131:132], v[147:148], v[133:134], v[131:132]
	buffer_load_dword v142, off, s[0:3], 0 offset:500
	buffer_load_dword v147, off, s[0:3], 0 offset:504
	buffer_load_dword v141, off, s[0:3], 0 offset:496
	buffer_load_dword v148, off, s[0:3], 0 offset:508
	s_waitcnt vmcnt(20) lgkmcnt(0)
	v_fma_f64 v[131:132], v[143:144], v[135:136], v[131:132]
	buffer_load_dword v143, off, s[0:3], 0 offset:176
	buffer_load_dword v144, off, s[0:3], 0 offset:180
	s_waitcnt vmcnt(17)
	v_fma_f64 v[145:146], v[145:146], v[137:138], v[131:132]
	ds_read2_b64 v[131:134], v130 offset0:119 offset1:120
	ds_read2_b64 v[135:138], v130 offset0:121 offset1:122
	s_waitcnt vmcnt(16) lgkmcnt(1)
	v_fma_f64 v[131:132], v[159:160], v[131:132], v[145:146]
	s_waitcnt vmcnt(15)
	v_fma_f64 v[131:132], v[157:158], v[133:134], v[131:132]
	s_waitcnt vmcnt(14) lgkmcnt(0)
	v_fma_f64 v[131:132], v[151:152], v[135:136], v[131:132]
	s_waitcnt vmcnt(9)
	v_fma_f64 v[139:140], v[139:140], v[137:138], v[131:132]
	ds_read2_b64 v[131:134], v130 offset0:123 offset1:124
	ds_read2_b64 v[135:138], v130 offset0:125 offset1:126
	s_waitcnt vmcnt(8) lgkmcnt(1)
	v_fma_f64 v[131:132], v[163:164], v[131:132], v[139:140]
	s_waitcnt vmcnt(7)
	v_fma_f64 v[131:132], v[161:162], v[133:134], v[131:132]
	ds_read_b64 v[133:134], v130 offset:1016
	s_waitcnt vmcnt(6) lgkmcnt(1)
	v_fma_f64 v[131:132], v[153:154], v[135:136], v[131:132]
	s_waitcnt vmcnt(3)
	v_fma_f64 v[131:132], v[141:142], v[137:138], v[131:132]
	s_waitcnt vmcnt(2) lgkmcnt(0)
	v_fma_f64 v[131:132], v[147:148], v[133:134], v[131:132]
	s_waitcnt vmcnt(0)
	v_add_f64 v[131:132], v[143:144], -v[131:132]
	buffer_store_dword v132, off, s[0:3], 0 offset:180
	buffer_store_dword v131, off, s[0:3], 0 offset:176
	s_and_saveexec_b64 s[4:5], vcc
	s_cbranch_execz .LBB63_349
; %bb.348:
	buffer_load_dword v131, off, s[0:3], 0 offset:168
	buffer_load_dword v132, off, s[0:3], 0 offset:172
	s_waitcnt vmcnt(0)
	ds_write_b64 v129, v[131:132]
	buffer_store_dword v130, off, s[0:3], 0 offset:168
	buffer_store_dword v130, off, s[0:3], 0 offset:172
.LBB63_349:
	s_or_b64 exec, exec, s[4:5]
	s_waitcnt lgkmcnt(0)
	; wave barrier
	buffer_load_dword v139, off, s[0:3], 0 offset:176
	buffer_load_dword v140, off, s[0:3], 0 offset:180
	;; [unrolled: 1-line block ×22, first 2 shown]
	ds_read_b128 v[131:134], v130 offset:688
	ds_read_b128 v[135:138], v130 offset:704
	v_cmp_lt_u32_e32 vcc, 20, v0
	s_waitcnt vmcnt(20) lgkmcnt(1)
	v_fma_f64 v[131:132], v[139:140], v[131:132], 0
	s_waitcnt vmcnt(18)
	v_fma_f64 v[131:132], v[141:142], v[133:134], v[131:132]
	buffer_load_dword v140, off, s[0:3], 0 offset:268
	buffer_load_dword v141, off, s[0:3], 0 offset:288
	;; [unrolled: 1-line block ×7, first 2 shown]
	s_waitcnt vmcnt(23) lgkmcnt(0)
	v_fma_f64 v[131:132], v[143:144], v[135:136], v[131:132]
	s_waitcnt vmcnt(21)
	v_fma_f64 v[142:143], v[145:146], v[137:138], v[131:132]
	ds_read_b128 v[131:134], v130 offset:720
	ds_read_b128 v[135:138], v130 offset:736
	s_waitcnt vmcnt(19) lgkmcnt(1)
	v_fma_f64 v[131:132], v[147:148], v[131:132], v[142:143]
	buffer_load_dword v142, off, s[0:3], 0 offset:292
	s_waitcnt vmcnt(18)
	v_fma_f64 v[131:132], v[149:150], v[133:134], v[131:132]
	buffer_load_dword v144, off, s[0:3], 0 offset:300
	buffer_load_dword v145, off, s[0:3], 0 offset:320
	;; [unrolled: 1-line block ×7, first 2 shown]
	s_waitcnt vmcnt(23) lgkmcnt(0)
	v_fma_f64 v[131:132], v[151:152], v[135:136], v[131:132]
	s_waitcnt vmcnt(18)
	v_fma_f64 v[151:152], v[153:154], v[137:138], v[131:132]
	ds_read_b128 v[131:134], v130 offset:752
	ds_read_b128 v[135:138], v130 offset:768
	buffer_load_dword v146, off, s[0:3], 0 offset:324
	s_waitcnt vmcnt(18) lgkmcnt(1)
	v_fma_f64 v[131:132], v[159:160], v[131:132], v[151:152]
	s_waitcnt vmcnt(17)
	v_fma_f64 v[131:132], v[157:158], v[133:134], v[131:132]
	buffer_load_dword v152, off, s[0:3], 0 offset:332
	buffer_load_dword v153, off, s[0:3], 0 offset:352
	;; [unrolled: 1-line block ×8, first 2 shown]
	s_waitcnt vmcnt(24) lgkmcnt(0)
	v_fma_f64 v[131:132], v[155:156], v[135:136], v[131:132]
	s_waitcnt vmcnt(19)
	v_fma_f64 v[139:140], v[139:140], v[137:138], v[131:132]
	ds_read_b128 v[131:134], v130 offset:784
	ds_read_b128 v[135:138], v130 offset:800
	s_waitcnt vmcnt(18) lgkmcnt(1)
	v_fma_f64 v[131:132], v[163:164], v[131:132], v[139:140]
	s_waitcnt vmcnt(17)
	v_fma_f64 v[131:132], v[161:162], v[133:134], v[131:132]
	buffer_load_dword v140, off, s[0:3], 0 offset:364
	buffer_load_dword v155, off, s[0:3], 0 offset:384
	;; [unrolled: 1-line block ×8, first 2 shown]
	s_waitcnt vmcnt(24) lgkmcnt(0)
	v_fma_f64 v[131:132], v[141:142], v[135:136], v[131:132]
	s_waitcnt vmcnt(19)
	v_fma_f64 v[141:142], v[143:144], v[137:138], v[131:132]
	ds_read_b128 v[131:134], v130 offset:816
	ds_read_b128 v[135:138], v130 offset:832
	s_waitcnt vmcnt(18) lgkmcnt(1)
	v_fma_f64 v[131:132], v[149:150], v[131:132], v[141:142]
	s_waitcnt vmcnt(17)
	v_fma_f64 v[131:132], v[147:148], v[133:134], v[131:132]
	buffer_load_dword v142, off, s[0:3], 0 offset:396
	buffer_load_dword v143, off, s[0:3], 0 offset:416
	;; [unrolled: 1-line block ×7, first 2 shown]
	s_waitcnt vmcnt(23) lgkmcnt(0)
	v_fma_f64 v[131:132], v[145:146], v[135:136], v[131:132]
	s_waitcnt vmcnt(18)
	v_fma_f64 v[144:145], v[151:152], v[137:138], v[131:132]
	ds_read_b128 v[131:134], v130 offset:848
	ds_read_b128 v[135:138], v130 offset:864
	s_waitcnt vmcnt(17) lgkmcnt(1)
	v_fma_f64 v[131:132], v[159:160], v[131:132], v[144:145]
	buffer_load_dword v144, off, s[0:3], 0 offset:420
	s_waitcnt vmcnt(17)
	v_fma_f64 v[131:132], v[157:158], v[133:134], v[131:132]
	buffer_load_dword v146, off, s[0:3], 0 offset:428
	buffer_load_dword v151, off, s[0:3], 0 offset:448
	;; [unrolled: 1-line block ×8, first 2 shown]
	s_waitcnt vmcnt(24) lgkmcnt(0)
	v_fma_f64 v[131:132], v[153:154], v[135:136], v[131:132]
	s_waitcnt vmcnt(19)
	v_fma_f64 v[139:140], v[139:140], v[137:138], v[131:132]
	ds_read_b128 v[131:134], v130 offset:880
	ds_read_b128 v[135:138], v130 offset:896
	s_waitcnt vmcnt(18) lgkmcnt(1)
	v_fma_f64 v[131:132], v[163:164], v[131:132], v[139:140]
	s_waitcnt vmcnt(17)
	v_fma_f64 v[131:132], v[161:162], v[133:134], v[131:132]
	buffer_load_dword v140, off, s[0:3], 0 offset:460
	buffer_load_dword v153, off, s[0:3], 0 offset:480
	;; [unrolled: 1-line block ×8, first 2 shown]
	s_waitcnt vmcnt(24) lgkmcnt(0)
	v_fma_f64 v[131:132], v[155:156], v[135:136], v[131:132]
	s_waitcnt vmcnt(19)
	v_fma_f64 v[141:142], v[141:142], v[137:138], v[131:132]
	ds_read_b128 v[131:134], v130 offset:912
	ds_read_b128 v[135:138], v130 offset:928
	s_waitcnt vmcnt(18) lgkmcnt(1)
	v_fma_f64 v[131:132], v[149:150], v[131:132], v[141:142]
	s_waitcnt vmcnt(17)
	v_fma_f64 v[131:132], v[147:148], v[133:134], v[131:132]
	buffer_load_dword v142, off, s[0:3], 0 offset:492
	buffer_load_dword v147, off, s[0:3], 0 offset:504
	;; [unrolled: 1-line block ×6, first 2 shown]
	s_waitcnt vmcnt(22) lgkmcnt(0)
	v_fma_f64 v[131:132], v[143:144], v[135:136], v[131:132]
	s_waitcnt vmcnt(17)
	v_fma_f64 v[143:144], v[145:146], v[137:138], v[131:132]
	ds_read_b128 v[131:134], v130 offset:944
	buffer_load_dword v145, off, s[0:3], 0 offset:168
	buffer_load_dword v146, off, s[0:3], 0 offset:172
	ds_read_b128 v[135:138], v130 offset:960
	s_waitcnt vmcnt(18) lgkmcnt(1)
	v_fma_f64 v[131:132], v[159:160], v[131:132], v[143:144]
	s_waitcnt vmcnt(17)
	v_fma_f64 v[131:132], v[157:158], v[133:134], v[131:132]
	s_waitcnt vmcnt(16) lgkmcnt(0)
	v_fma_f64 v[131:132], v[151:152], v[135:136], v[131:132]
	s_waitcnt vmcnt(11)
	v_fma_f64 v[139:140], v[139:140], v[137:138], v[131:132]
	ds_read_b128 v[131:134], v130 offset:976
	ds_read_b128 v[135:138], v130 offset:992
	s_waitcnt vmcnt(10) lgkmcnt(1)
	v_fma_f64 v[131:132], v[163:164], v[131:132], v[139:140]
	s_waitcnt vmcnt(9)
	v_fma_f64 v[131:132], v[161:162], v[133:134], v[131:132]
	s_waitcnt vmcnt(8) lgkmcnt(0)
	v_fma_f64 v[131:132], v[153:154], v[135:136], v[131:132]
	s_waitcnt vmcnt(4)
	v_fma_f64 v[134:135], v[141:142], v[137:138], v[131:132]
	ds_read_b128 v[130:133], v130 offset:1008
	s_waitcnt vmcnt(3) lgkmcnt(0)
	v_fma_f64 v[130:131], v[149:150], v[130:131], v[134:135]
	s_waitcnt vmcnt(2)
	v_fma_f64 v[130:131], v[147:148], v[132:133], v[130:131]
	s_waitcnt vmcnt(0)
	v_add_f64 v[130:131], v[145:146], -v[130:131]
	buffer_store_dword v131, off, s[0:3], 0 offset:172
	buffer_store_dword v130, off, s[0:3], 0 offset:168
	s_and_saveexec_b64 s[4:5], vcc
	s_cbranch_execz .LBB63_351
; %bb.350:
	buffer_load_dword v130, off, s[0:3], 0 offset:160
	buffer_load_dword v131, off, s[0:3], 0 offset:164
	v_mov_b32_e32 v132, 0
	buffer_store_dword v132, off, s[0:3], 0 offset:160
	buffer_store_dword v132, off, s[0:3], 0 offset:164
	s_waitcnt vmcnt(2)
	ds_write_b64 v129, v[130:131]
.LBB63_351:
	s_or_b64 exec, exec, s[4:5]
	s_waitcnt lgkmcnt(0)
	; wave barrier
	buffer_load_dword v139, off, s[0:3], 0 offset:168
	buffer_load_dword v140, off, s[0:3], 0 offset:172
	;; [unrolled: 1-line block ×22, first 2 shown]
	v_mov_b32_e32 v130, 0
	ds_read2_b64 v[131:134], v130 offset0:85 offset1:86
	ds_read2_b64 v[135:138], v130 offset0:87 offset1:88
	v_cmp_lt_u32_e32 vcc, 19, v0
	s_waitcnt vmcnt(20) lgkmcnt(1)
	v_fma_f64 v[131:132], v[139:140], v[131:132], 0
	s_waitcnt vmcnt(18)
	v_fma_f64 v[131:132], v[141:142], v[133:134], v[131:132]
	buffer_load_dword v140, off, s[0:3], 0 offset:260
	buffer_load_dword v141, off, s[0:3], 0 offset:280
	;; [unrolled: 1-line block ×7, first 2 shown]
	s_waitcnt vmcnt(23) lgkmcnt(0)
	v_fma_f64 v[131:132], v[143:144], v[135:136], v[131:132]
	s_waitcnt vmcnt(21)
	v_fma_f64 v[142:143], v[145:146], v[137:138], v[131:132]
	ds_read2_b64 v[131:134], v130 offset0:89 offset1:90
	ds_read2_b64 v[135:138], v130 offset0:91 offset1:92
	s_waitcnt vmcnt(19) lgkmcnt(1)
	v_fma_f64 v[131:132], v[147:148], v[131:132], v[142:143]
	buffer_load_dword v142, off, s[0:3], 0 offset:284
	s_waitcnt vmcnt(18)
	v_fma_f64 v[131:132], v[149:150], v[133:134], v[131:132]
	buffer_load_dword v144, off, s[0:3], 0 offset:292
	buffer_load_dword v145, off, s[0:3], 0 offset:312
	;; [unrolled: 1-line block ×7, first 2 shown]
	s_waitcnt vmcnt(23) lgkmcnt(0)
	v_fma_f64 v[131:132], v[151:152], v[135:136], v[131:132]
	s_waitcnt vmcnt(18)
	v_fma_f64 v[151:152], v[153:154], v[137:138], v[131:132]
	ds_read2_b64 v[131:134], v130 offset0:93 offset1:94
	ds_read2_b64 v[135:138], v130 offset0:95 offset1:96
	buffer_load_dword v146, off, s[0:3], 0 offset:316
	s_waitcnt vmcnt(18) lgkmcnt(1)
	v_fma_f64 v[131:132], v[159:160], v[131:132], v[151:152]
	s_waitcnt vmcnt(17)
	v_fma_f64 v[131:132], v[157:158], v[133:134], v[131:132]
	buffer_load_dword v152, off, s[0:3], 0 offset:324
	buffer_load_dword v153, off, s[0:3], 0 offset:344
	;; [unrolled: 1-line block ×8, first 2 shown]
	s_waitcnt vmcnt(24) lgkmcnt(0)
	v_fma_f64 v[131:132], v[155:156], v[135:136], v[131:132]
	s_waitcnt vmcnt(19)
	v_fma_f64 v[139:140], v[139:140], v[137:138], v[131:132]
	ds_read2_b64 v[131:134], v130 offset0:97 offset1:98
	ds_read2_b64 v[135:138], v130 offset0:99 offset1:100
	s_waitcnt vmcnt(18) lgkmcnt(1)
	v_fma_f64 v[131:132], v[163:164], v[131:132], v[139:140]
	s_waitcnt vmcnt(17)
	v_fma_f64 v[131:132], v[161:162], v[133:134], v[131:132]
	buffer_load_dword v140, off, s[0:3], 0 offset:356
	buffer_load_dword v155, off, s[0:3], 0 offset:376
	;; [unrolled: 1-line block ×8, first 2 shown]
	s_waitcnt vmcnt(24) lgkmcnt(0)
	v_fma_f64 v[131:132], v[141:142], v[135:136], v[131:132]
	s_waitcnt vmcnt(19)
	v_fma_f64 v[141:142], v[143:144], v[137:138], v[131:132]
	ds_read2_b64 v[131:134], v130 offset0:101 offset1:102
	ds_read2_b64 v[135:138], v130 offset0:103 offset1:104
	s_waitcnt vmcnt(18) lgkmcnt(1)
	v_fma_f64 v[131:132], v[149:150], v[131:132], v[141:142]
	s_waitcnt vmcnt(17)
	v_fma_f64 v[131:132], v[147:148], v[133:134], v[131:132]
	buffer_load_dword v142, off, s[0:3], 0 offset:388
	buffer_load_dword v143, off, s[0:3], 0 offset:408
	;; [unrolled: 1-line block ×7, first 2 shown]
	s_waitcnt vmcnt(23) lgkmcnt(0)
	v_fma_f64 v[131:132], v[145:146], v[135:136], v[131:132]
	s_waitcnt vmcnt(18)
	v_fma_f64 v[144:145], v[151:152], v[137:138], v[131:132]
	ds_read2_b64 v[131:134], v130 offset0:105 offset1:106
	ds_read2_b64 v[135:138], v130 offset0:107 offset1:108
	s_waitcnt vmcnt(17) lgkmcnt(1)
	v_fma_f64 v[131:132], v[159:160], v[131:132], v[144:145]
	buffer_load_dword v144, off, s[0:3], 0 offset:412
	s_waitcnt vmcnt(17)
	v_fma_f64 v[131:132], v[157:158], v[133:134], v[131:132]
	buffer_load_dword v146, off, s[0:3], 0 offset:420
	buffer_load_dword v151, off, s[0:3], 0 offset:440
	buffer_load_dword v157, off, s[0:3], 0 offset:432
	buffer_load_dword v159, off, s[0:3], 0 offset:424
	buffer_load_dword v145, off, s[0:3], 0 offset:416
	buffer_load_dword v160, off, s[0:3], 0 offset:428
	buffer_load_dword v158, off, s[0:3], 0 offset:436
	buffer_load_dword v152, off, s[0:3], 0 offset:444
	s_waitcnt vmcnt(24) lgkmcnt(0)
	v_fma_f64 v[131:132], v[153:154], v[135:136], v[131:132]
	s_waitcnt vmcnt(19)
	v_fma_f64 v[139:140], v[139:140], v[137:138], v[131:132]
	ds_read2_b64 v[131:134], v130 offset0:109 offset1:110
	ds_read2_b64 v[135:138], v130 offset0:111 offset1:112
	s_waitcnt vmcnt(18) lgkmcnt(1)
	v_fma_f64 v[131:132], v[163:164], v[131:132], v[139:140]
	s_waitcnt vmcnt(17)
	v_fma_f64 v[131:132], v[161:162], v[133:134], v[131:132]
	buffer_load_dword v140, off, s[0:3], 0 offset:452
	buffer_load_dword v153, off, s[0:3], 0 offset:472
	buffer_load_dword v161, off, s[0:3], 0 offset:464
	buffer_load_dword v163, off, s[0:3], 0 offset:456
	buffer_load_dword v139, off, s[0:3], 0 offset:448
	buffer_load_dword v164, off, s[0:3], 0 offset:460
	buffer_load_dword v162, off, s[0:3], 0 offset:468
	buffer_load_dword v154, off, s[0:3], 0 offset:476
	s_waitcnt vmcnt(24) lgkmcnt(0)
	v_fma_f64 v[131:132], v[155:156], v[135:136], v[131:132]
	s_waitcnt vmcnt(19)
	v_fma_f64 v[141:142], v[141:142], v[137:138], v[131:132]
	ds_read2_b64 v[131:134], v130 offset0:113 offset1:114
	ds_read2_b64 v[135:138], v130 offset0:115 offset1:116
	s_waitcnt vmcnt(18) lgkmcnt(1)
	v_fma_f64 v[131:132], v[149:150], v[131:132], v[141:142]
	;; [unrolled: 18-line block ×3, first 2 shown]
	buffer_load_dword v143, off, s[0:3], 0 offset:160
	buffer_load_dword v144, off, s[0:3], 0 offset:164
	s_waitcnt vmcnt(19)
	v_fma_f64 v[131:132], v[157:158], v[133:134], v[131:132]
	s_waitcnt vmcnt(18) lgkmcnt(0)
	v_fma_f64 v[131:132], v[151:152], v[135:136], v[131:132]
	s_waitcnt vmcnt(13)
	v_fma_f64 v[139:140], v[139:140], v[137:138], v[131:132]
	ds_read2_b64 v[131:134], v130 offset0:121 offset1:122
	ds_read2_b64 v[135:138], v130 offset0:123 offset1:124
	s_waitcnt vmcnt(12) lgkmcnt(1)
	v_fma_f64 v[131:132], v[163:164], v[131:132], v[139:140]
	s_waitcnt vmcnt(11)
	v_fma_f64 v[131:132], v[161:162], v[133:134], v[131:132]
	s_waitcnt vmcnt(10) lgkmcnt(0)
	v_fma_f64 v[131:132], v[153:154], v[135:136], v[131:132]
	s_waitcnt vmcnt(5)
	v_fma_f64 v[135:136], v[141:142], v[137:138], v[131:132]
	ds_read2_b64 v[131:134], v130 offset0:125 offset1:126
	ds_read_b64 v[137:138], v130 offset:1016
	s_waitcnt vmcnt(4) lgkmcnt(1)
	v_fma_f64 v[131:132], v[155:156], v[131:132], v[135:136]
	s_waitcnt vmcnt(3)
	v_fma_f64 v[131:132], v[149:150], v[133:134], v[131:132]
	s_waitcnt vmcnt(2) lgkmcnt(0)
	v_fma_f64 v[131:132], v[147:148], v[137:138], v[131:132]
	s_waitcnt vmcnt(0)
	v_add_f64 v[131:132], v[143:144], -v[131:132]
	buffer_store_dword v132, off, s[0:3], 0 offset:164
	buffer_store_dword v131, off, s[0:3], 0 offset:160
	s_and_saveexec_b64 s[4:5], vcc
	s_cbranch_execz .LBB63_353
; %bb.352:
	buffer_load_dword v131, off, s[0:3], 0 offset:152
	buffer_load_dword v132, off, s[0:3], 0 offset:156
	s_waitcnt vmcnt(0)
	ds_write_b64 v129, v[131:132]
	buffer_store_dword v130, off, s[0:3], 0 offset:152
	buffer_store_dword v130, off, s[0:3], 0 offset:156
.LBB63_353:
	s_or_b64 exec, exec, s[4:5]
	s_waitcnt lgkmcnt(0)
	; wave barrier
	buffer_load_dword v139, off, s[0:3], 0 offset:160
	buffer_load_dword v140, off, s[0:3], 0 offset:164
	;; [unrolled: 1-line block ×22, first 2 shown]
	ds_read_b128 v[131:134], v130 offset:672
	ds_read_b128 v[135:138], v130 offset:688
	v_cmp_lt_u32_e32 vcc, 18, v0
	s_waitcnt vmcnt(20) lgkmcnt(1)
	v_fma_f64 v[131:132], v[139:140], v[131:132], 0
	s_waitcnt vmcnt(18)
	v_fma_f64 v[131:132], v[141:142], v[133:134], v[131:132]
	buffer_load_dword v140, off, s[0:3], 0 offset:252
	buffer_load_dword v141, off, s[0:3], 0 offset:272
	buffer_load_dword v161, off, s[0:3], 0 offset:264
	buffer_load_dword v163, off, s[0:3], 0 offset:256
	buffer_load_dword v139, off, s[0:3], 0 offset:248
	buffer_load_dword v164, off, s[0:3], 0 offset:260
	buffer_load_dword v162, off, s[0:3], 0 offset:268
	s_waitcnt vmcnt(23) lgkmcnt(0)
	v_fma_f64 v[131:132], v[143:144], v[135:136], v[131:132]
	s_waitcnt vmcnt(21)
	v_fma_f64 v[142:143], v[145:146], v[137:138], v[131:132]
	ds_read_b128 v[131:134], v130 offset:704
	ds_read_b128 v[135:138], v130 offset:720
	s_waitcnt vmcnt(19) lgkmcnt(1)
	v_fma_f64 v[131:132], v[147:148], v[131:132], v[142:143]
	buffer_load_dword v142, off, s[0:3], 0 offset:276
	s_waitcnt vmcnt(18)
	v_fma_f64 v[131:132], v[149:150], v[133:134], v[131:132]
	buffer_load_dword v144, off, s[0:3], 0 offset:284
	buffer_load_dword v145, off, s[0:3], 0 offset:304
	;; [unrolled: 1-line block ×7, first 2 shown]
	s_waitcnt vmcnt(23) lgkmcnt(0)
	v_fma_f64 v[131:132], v[151:152], v[135:136], v[131:132]
	s_waitcnt vmcnt(18)
	v_fma_f64 v[151:152], v[153:154], v[137:138], v[131:132]
	ds_read_b128 v[131:134], v130 offset:736
	ds_read_b128 v[135:138], v130 offset:752
	buffer_load_dword v146, off, s[0:3], 0 offset:308
	s_waitcnt vmcnt(18) lgkmcnt(1)
	v_fma_f64 v[131:132], v[159:160], v[131:132], v[151:152]
	s_waitcnt vmcnt(17)
	v_fma_f64 v[131:132], v[157:158], v[133:134], v[131:132]
	buffer_load_dword v152, off, s[0:3], 0 offset:316
	buffer_load_dword v153, off, s[0:3], 0 offset:336
	;; [unrolled: 1-line block ×8, first 2 shown]
	s_waitcnt vmcnt(24) lgkmcnt(0)
	v_fma_f64 v[131:132], v[155:156], v[135:136], v[131:132]
	s_waitcnt vmcnt(19)
	v_fma_f64 v[139:140], v[139:140], v[137:138], v[131:132]
	ds_read_b128 v[131:134], v130 offset:768
	ds_read_b128 v[135:138], v130 offset:784
	s_waitcnt vmcnt(18) lgkmcnt(1)
	v_fma_f64 v[131:132], v[163:164], v[131:132], v[139:140]
	s_waitcnt vmcnt(17)
	v_fma_f64 v[131:132], v[161:162], v[133:134], v[131:132]
	buffer_load_dword v140, off, s[0:3], 0 offset:348
	buffer_load_dword v155, off, s[0:3], 0 offset:368
	;; [unrolled: 1-line block ×8, first 2 shown]
	s_waitcnt vmcnt(24) lgkmcnt(0)
	v_fma_f64 v[131:132], v[141:142], v[135:136], v[131:132]
	s_waitcnt vmcnt(19)
	v_fma_f64 v[141:142], v[143:144], v[137:138], v[131:132]
	ds_read_b128 v[131:134], v130 offset:800
	ds_read_b128 v[135:138], v130 offset:816
	s_waitcnt vmcnt(18) lgkmcnt(1)
	v_fma_f64 v[131:132], v[149:150], v[131:132], v[141:142]
	s_waitcnt vmcnt(17)
	v_fma_f64 v[131:132], v[147:148], v[133:134], v[131:132]
	buffer_load_dword v142, off, s[0:3], 0 offset:380
	buffer_load_dword v143, off, s[0:3], 0 offset:400
	;; [unrolled: 1-line block ×7, first 2 shown]
	s_waitcnt vmcnt(23) lgkmcnt(0)
	v_fma_f64 v[131:132], v[145:146], v[135:136], v[131:132]
	s_waitcnt vmcnt(18)
	v_fma_f64 v[144:145], v[151:152], v[137:138], v[131:132]
	ds_read_b128 v[131:134], v130 offset:832
	ds_read_b128 v[135:138], v130 offset:848
	s_waitcnt vmcnt(17) lgkmcnt(1)
	v_fma_f64 v[131:132], v[159:160], v[131:132], v[144:145]
	buffer_load_dword v144, off, s[0:3], 0 offset:404
	s_waitcnt vmcnt(17)
	v_fma_f64 v[131:132], v[157:158], v[133:134], v[131:132]
	buffer_load_dword v146, off, s[0:3], 0 offset:412
	buffer_load_dword v151, off, s[0:3], 0 offset:432
	buffer_load_dword v157, off, s[0:3], 0 offset:424
	buffer_load_dword v159, off, s[0:3], 0 offset:416
	buffer_load_dword v145, off, s[0:3], 0 offset:408
	buffer_load_dword v160, off, s[0:3], 0 offset:420
	buffer_load_dword v158, off, s[0:3], 0 offset:428
	buffer_load_dword v152, off, s[0:3], 0 offset:436
	s_waitcnt vmcnt(24) lgkmcnt(0)
	v_fma_f64 v[131:132], v[153:154], v[135:136], v[131:132]
	s_waitcnt vmcnt(19)
	v_fma_f64 v[139:140], v[139:140], v[137:138], v[131:132]
	ds_read_b128 v[131:134], v130 offset:864
	ds_read_b128 v[135:138], v130 offset:880
	s_waitcnt vmcnt(18) lgkmcnt(1)
	v_fma_f64 v[131:132], v[163:164], v[131:132], v[139:140]
	s_waitcnt vmcnt(17)
	v_fma_f64 v[131:132], v[161:162], v[133:134], v[131:132]
	buffer_load_dword v140, off, s[0:3], 0 offset:444
	buffer_load_dword v153, off, s[0:3], 0 offset:464
	buffer_load_dword v161, off, s[0:3], 0 offset:456
	buffer_load_dword v163, off, s[0:3], 0 offset:448
	buffer_load_dword v139, off, s[0:3], 0 offset:440
	buffer_load_dword v164, off, s[0:3], 0 offset:452
	buffer_load_dword v162, off, s[0:3], 0 offset:460
	buffer_load_dword v154, off, s[0:3], 0 offset:468
	s_waitcnt vmcnt(24) lgkmcnt(0)
	v_fma_f64 v[131:132], v[155:156], v[135:136], v[131:132]
	s_waitcnt vmcnt(19)
	v_fma_f64 v[141:142], v[141:142], v[137:138], v[131:132]
	ds_read_b128 v[131:134], v130 offset:896
	ds_read_b128 v[135:138], v130 offset:912
	s_waitcnt vmcnt(18) lgkmcnt(1)
	v_fma_f64 v[131:132], v[149:150], v[131:132], v[141:142]
	;; [unrolled: 18-line block ×3, first 2 shown]
	buffer_load_dword v144, off, s[0:3], 0 offset:508
	buffer_load_dword v143, off, s[0:3], 0 offset:504
	;; [unrolled: 1-line block ×4, first 2 shown]
	s_waitcnt vmcnt(21)
	v_fma_f64 v[131:132], v[157:158], v[133:134], v[131:132]
	s_waitcnt vmcnt(20) lgkmcnt(0)
	v_fma_f64 v[131:132], v[151:152], v[135:136], v[131:132]
	s_waitcnt vmcnt(15)
	v_fma_f64 v[139:140], v[139:140], v[137:138], v[131:132]
	ds_read_b128 v[131:134], v130 offset:960
	ds_read_b128 v[135:138], v130 offset:976
	s_waitcnt vmcnt(14) lgkmcnt(1)
	v_fma_f64 v[131:132], v[163:164], v[131:132], v[139:140]
	s_waitcnt vmcnt(13)
	v_fma_f64 v[131:132], v[161:162], v[133:134], v[131:132]
	s_waitcnt vmcnt(12) lgkmcnt(0)
	v_fma_f64 v[131:132], v[153:154], v[135:136], v[131:132]
	s_waitcnt vmcnt(7)
	v_fma_f64 v[139:140], v[141:142], v[137:138], v[131:132]
	ds_read_b128 v[131:134], v130 offset:992
	ds_read_b128 v[135:138], v130 offset:1008
	s_waitcnt vmcnt(6) lgkmcnt(1)
	v_fma_f64 v[130:131], v[155:156], v[131:132], v[139:140]
	s_waitcnt vmcnt(5)
	v_fma_f64 v[130:131], v[149:150], v[133:134], v[130:131]
	s_waitcnt vmcnt(4) lgkmcnt(0)
	v_fma_f64 v[130:131], v[147:148], v[135:136], v[130:131]
	s_waitcnt vmcnt(2)
	v_fma_f64 v[130:131], v[143:144], v[137:138], v[130:131]
	s_waitcnt vmcnt(0)
	v_add_f64 v[130:131], v[145:146], -v[130:131]
	buffer_store_dword v131, off, s[0:3], 0 offset:156
	buffer_store_dword v130, off, s[0:3], 0 offset:152
	s_and_saveexec_b64 s[4:5], vcc
	s_cbranch_execz .LBB63_355
; %bb.354:
	buffer_load_dword v130, off, s[0:3], 0 offset:144
	buffer_load_dword v131, off, s[0:3], 0 offset:148
	v_mov_b32_e32 v132, 0
	buffer_store_dword v132, off, s[0:3], 0 offset:144
	buffer_store_dword v132, off, s[0:3], 0 offset:148
	s_waitcnt vmcnt(2)
	ds_write_b64 v129, v[130:131]
.LBB63_355:
	s_or_b64 exec, exec, s[4:5]
	s_waitcnt lgkmcnt(0)
	; wave barrier
	buffer_load_dword v139, off, s[0:3], 0 offset:152
	buffer_load_dword v140, off, s[0:3], 0 offset:156
	;; [unrolled: 1-line block ×21, first 2 shown]
	v_mov_b32_e32 v130, 0
	ds_read2_b64 v[131:134], v130 offset0:83 offset1:84
	ds_read2_b64 v[135:138], v130 offset0:85 offset1:86
	buffer_load_dword v156, off, s[0:3], 0 offset:236
	v_cmp_lt_u32_e32 vcc, 17, v0
	s_waitcnt vmcnt(20) lgkmcnt(1)
	v_fma_f64 v[131:132], v[139:140], v[131:132], 0
	s_waitcnt vmcnt(18)
	v_fma_f64 v[131:132], v[141:142], v[133:134], v[131:132]
	buffer_load_dword v140, off, s[0:3], 0 offset:244
	buffer_load_dword v141, off, s[0:3], 0 offset:264
	;; [unrolled: 1-line block ×7, first 2 shown]
	s_waitcnt vmcnt(23) lgkmcnt(0)
	v_fma_f64 v[131:132], v[143:144], v[135:136], v[131:132]
	s_waitcnt vmcnt(21)
	v_fma_f64 v[142:143], v[145:146], v[137:138], v[131:132]
	ds_read2_b64 v[131:134], v130 offset0:87 offset1:88
	ds_read2_b64 v[135:138], v130 offset0:89 offset1:90
	s_waitcnt vmcnt(19) lgkmcnt(1)
	v_fma_f64 v[131:132], v[147:148], v[131:132], v[142:143]
	buffer_load_dword v142, off, s[0:3], 0 offset:268
	s_waitcnt vmcnt(18)
	v_fma_f64 v[131:132], v[149:150], v[133:134], v[131:132]
	buffer_load_dword v144, off, s[0:3], 0 offset:276
	buffer_load_dword v145, off, s[0:3], 0 offset:296
	;; [unrolled: 1-line block ×7, first 2 shown]
	s_waitcnt vmcnt(23) lgkmcnt(0)
	v_fma_f64 v[131:132], v[151:152], v[135:136], v[131:132]
	s_waitcnt vmcnt(18)
	v_fma_f64 v[151:152], v[153:154], v[137:138], v[131:132]
	ds_read2_b64 v[131:134], v130 offset0:91 offset1:92
	ds_read2_b64 v[135:138], v130 offset0:93 offset1:94
	buffer_load_dword v146, off, s[0:3], 0 offset:300
	s_waitcnt vmcnt(18) lgkmcnt(1)
	v_fma_f64 v[131:132], v[159:160], v[131:132], v[151:152]
	s_waitcnt vmcnt(17)
	v_fma_f64 v[131:132], v[157:158], v[133:134], v[131:132]
	buffer_load_dword v152, off, s[0:3], 0 offset:308
	buffer_load_dword v153, off, s[0:3], 0 offset:328
	;; [unrolled: 1-line block ×7, first 2 shown]
	s_waitcnt vmcnt(23) lgkmcnt(0)
	v_fma_f64 v[131:132], v[155:156], v[135:136], v[131:132]
	s_waitcnt vmcnt(18)
	v_fma_f64 v[139:140], v[139:140], v[137:138], v[131:132]
	ds_read2_b64 v[131:134], v130 offset0:95 offset1:96
	ds_read2_b64 v[135:138], v130 offset0:97 offset1:98
	buffer_load_dword v154, off, s[0:3], 0 offset:332
	s_waitcnt vmcnt(18) lgkmcnt(1)
	v_fma_f64 v[131:132], v[163:164], v[131:132], v[139:140]
	s_waitcnt vmcnt(17)
	v_fma_f64 v[131:132], v[161:162], v[133:134], v[131:132]
	buffer_load_dword v140, off, s[0:3], 0 offset:340
	buffer_load_dword v155, off, s[0:3], 0 offset:360
	;; [unrolled: 1-line block ×8, first 2 shown]
	s_waitcnt vmcnt(24) lgkmcnt(0)
	v_fma_f64 v[131:132], v[141:142], v[135:136], v[131:132]
	s_waitcnt vmcnt(19)
	v_fma_f64 v[141:142], v[143:144], v[137:138], v[131:132]
	ds_read2_b64 v[131:134], v130 offset0:99 offset1:100
	ds_read2_b64 v[135:138], v130 offset0:101 offset1:102
	s_waitcnt vmcnt(18) lgkmcnt(1)
	v_fma_f64 v[131:132], v[149:150], v[131:132], v[141:142]
	s_waitcnt vmcnt(17)
	v_fma_f64 v[131:132], v[147:148], v[133:134], v[131:132]
	buffer_load_dword v142, off, s[0:3], 0 offset:372
	buffer_load_dword v143, off, s[0:3], 0 offset:392
	buffer_load_dword v147, off, s[0:3], 0 offset:384
	buffer_load_dword v149, off, s[0:3], 0 offset:376
	buffer_load_dword v141, off, s[0:3], 0 offset:368
	buffer_load_dword v150, off, s[0:3], 0 offset:380
	buffer_load_dword v148, off, s[0:3], 0 offset:388
	s_waitcnt vmcnt(23) lgkmcnt(0)
	v_fma_f64 v[131:132], v[145:146], v[135:136], v[131:132]
	s_waitcnt vmcnt(18)
	v_fma_f64 v[144:145], v[151:152], v[137:138], v[131:132]
	ds_read2_b64 v[131:134], v130 offset0:103 offset1:104
	ds_read2_b64 v[135:138], v130 offset0:105 offset1:106
	s_waitcnt vmcnt(17) lgkmcnt(1)
	v_fma_f64 v[131:132], v[159:160], v[131:132], v[144:145]
	buffer_load_dword v144, off, s[0:3], 0 offset:396
	s_waitcnt vmcnt(17)
	v_fma_f64 v[131:132], v[157:158], v[133:134], v[131:132]
	buffer_load_dword v146, off, s[0:3], 0 offset:404
	buffer_load_dword v151, off, s[0:3], 0 offset:424
	;; [unrolled: 1-line block ×7, first 2 shown]
	s_waitcnt vmcnt(23) lgkmcnt(0)
	v_fma_f64 v[131:132], v[153:154], v[135:136], v[131:132]
	s_waitcnt vmcnt(18)
	v_fma_f64 v[139:140], v[139:140], v[137:138], v[131:132]
	ds_read2_b64 v[131:134], v130 offset0:107 offset1:108
	ds_read2_b64 v[135:138], v130 offset0:109 offset1:110
	buffer_load_dword v152, off, s[0:3], 0 offset:428
	s_waitcnt vmcnt(18) lgkmcnt(1)
	v_fma_f64 v[131:132], v[163:164], v[131:132], v[139:140]
	s_waitcnt vmcnt(17)
	v_fma_f64 v[131:132], v[161:162], v[133:134], v[131:132]
	buffer_load_dword v140, off, s[0:3], 0 offset:436
	buffer_load_dword v153, off, s[0:3], 0 offset:456
	;; [unrolled: 1-line block ×8, first 2 shown]
	s_waitcnt vmcnt(24) lgkmcnt(0)
	v_fma_f64 v[131:132], v[155:156], v[135:136], v[131:132]
	s_waitcnt vmcnt(19)
	v_fma_f64 v[141:142], v[141:142], v[137:138], v[131:132]
	ds_read2_b64 v[131:134], v130 offset0:111 offset1:112
	ds_read2_b64 v[135:138], v130 offset0:113 offset1:114
	s_waitcnt vmcnt(18) lgkmcnt(1)
	v_fma_f64 v[131:132], v[149:150], v[131:132], v[141:142]
	s_waitcnt vmcnt(17)
	v_fma_f64 v[131:132], v[147:148], v[133:134], v[131:132]
	buffer_load_dword v142, off, s[0:3], 0 offset:468
	buffer_load_dword v147, off, s[0:3], 0 offset:488
	;; [unrolled: 1-line block ×7, first 2 shown]
	s_waitcnt vmcnt(23) lgkmcnt(0)
	v_fma_f64 v[131:132], v[143:144], v[135:136], v[131:132]
	s_waitcnt vmcnt(18)
	v_fma_f64 v[143:144], v[145:146], v[137:138], v[131:132]
	ds_read2_b64 v[131:134], v130 offset0:115 offset1:116
	ds_read2_b64 v[135:138], v130 offset0:117 offset1:118
	buffer_load_dword v148, off, s[0:3], 0 offset:492
	s_waitcnt vmcnt(18) lgkmcnt(1)
	v_fma_f64 v[131:132], v[159:160], v[131:132], v[143:144]
	buffer_load_dword v144, off, s[0:3], 0 offset:500
	buffer_load_dword v145, off, s[0:3], 0 offset:504
	buffer_load_dword v143, off, s[0:3], 0 offset:496
	buffer_load_dword v146, off, s[0:3], 0 offset:508
	s_waitcnt vmcnt(21)
	v_fma_f64 v[131:132], v[157:158], v[133:134], v[131:132]
	s_waitcnt vmcnt(20) lgkmcnt(0)
	v_fma_f64 v[131:132], v[151:152], v[135:136], v[131:132]
	buffer_load_dword v151, off, s[0:3], 0 offset:144
	buffer_load_dword v152, off, s[0:3], 0 offset:148
	s_waitcnt vmcnt(17)
	v_fma_f64 v[139:140], v[139:140], v[137:138], v[131:132]
	ds_read2_b64 v[131:134], v130 offset0:119 offset1:120
	ds_read2_b64 v[135:138], v130 offset0:121 offset1:122
	s_waitcnt vmcnt(16) lgkmcnt(1)
	v_fma_f64 v[131:132], v[163:164], v[131:132], v[139:140]
	s_waitcnt vmcnt(15)
	v_fma_f64 v[131:132], v[161:162], v[133:134], v[131:132]
	s_waitcnt vmcnt(14) lgkmcnt(0)
	v_fma_f64 v[131:132], v[153:154], v[135:136], v[131:132]
	s_waitcnt vmcnt(9)
	v_fma_f64 v[139:140], v[141:142], v[137:138], v[131:132]
	ds_read2_b64 v[131:134], v130 offset0:123 offset1:124
	ds_read2_b64 v[135:138], v130 offset0:125 offset1:126
	s_waitcnt vmcnt(8) lgkmcnt(1)
	v_fma_f64 v[131:132], v[155:156], v[131:132], v[139:140]
	s_waitcnt vmcnt(7)
	v_fma_f64 v[131:132], v[149:150], v[133:134], v[131:132]
	ds_read_b64 v[133:134], v130 offset:1016
	s_waitcnt vmcnt(6) lgkmcnt(1)
	v_fma_f64 v[131:132], v[147:148], v[135:136], v[131:132]
	s_waitcnt vmcnt(3)
	v_fma_f64 v[131:132], v[143:144], v[137:138], v[131:132]
	s_waitcnt vmcnt(2) lgkmcnt(0)
	v_fma_f64 v[131:132], v[145:146], v[133:134], v[131:132]
	s_waitcnt vmcnt(0)
	v_add_f64 v[131:132], v[151:152], -v[131:132]
	buffer_store_dword v132, off, s[0:3], 0 offset:148
	buffer_store_dword v131, off, s[0:3], 0 offset:144
	s_and_saveexec_b64 s[4:5], vcc
	s_cbranch_execz .LBB63_357
; %bb.356:
	buffer_load_dword v131, off, s[0:3], 0 offset:136
	buffer_load_dword v132, off, s[0:3], 0 offset:140
	s_waitcnt vmcnt(0)
	ds_write_b64 v129, v[131:132]
	buffer_store_dword v130, off, s[0:3], 0 offset:136
	buffer_store_dword v130, off, s[0:3], 0 offset:140
.LBB63_357:
	s_or_b64 exec, exec, s[4:5]
	s_waitcnt lgkmcnt(0)
	; wave barrier
	buffer_load_dword v139, off, s[0:3], 0 offset:144
	buffer_load_dword v140, off, s[0:3], 0 offset:148
	;; [unrolled: 1-line block ×21, first 2 shown]
	ds_read_b128 v[131:134], v130 offset:656
	ds_read_b128 v[135:138], v130 offset:672
	buffer_load_dword v156, off, s[0:3], 0 offset:228
	v_cmp_lt_u32_e32 vcc, 16, v0
	s_waitcnt vmcnt(20) lgkmcnt(1)
	v_fma_f64 v[131:132], v[139:140], v[131:132], 0
	s_waitcnt vmcnt(18)
	v_fma_f64 v[131:132], v[141:142], v[133:134], v[131:132]
	buffer_load_dword v140, off, s[0:3], 0 offset:236
	buffer_load_dword v141, off, s[0:3], 0 offset:256
	;; [unrolled: 1-line block ×7, first 2 shown]
	s_waitcnt vmcnt(23) lgkmcnt(0)
	v_fma_f64 v[131:132], v[143:144], v[135:136], v[131:132]
	s_waitcnt vmcnt(21)
	v_fma_f64 v[142:143], v[145:146], v[137:138], v[131:132]
	ds_read_b128 v[131:134], v130 offset:688
	ds_read_b128 v[135:138], v130 offset:704
	s_waitcnt vmcnt(19) lgkmcnt(1)
	v_fma_f64 v[131:132], v[147:148], v[131:132], v[142:143]
	buffer_load_dword v142, off, s[0:3], 0 offset:260
	s_waitcnt vmcnt(18)
	v_fma_f64 v[131:132], v[149:150], v[133:134], v[131:132]
	buffer_load_dword v144, off, s[0:3], 0 offset:268
	buffer_load_dword v145, off, s[0:3], 0 offset:288
	;; [unrolled: 1-line block ×8, first 2 shown]
	s_waitcnt vmcnt(24) lgkmcnt(0)
	v_fma_f64 v[131:132], v[151:152], v[135:136], v[131:132]
	s_waitcnt vmcnt(19)
	v_fma_f64 v[151:152], v[153:154], v[137:138], v[131:132]
	ds_read_b128 v[131:134], v130 offset:720
	ds_read_b128 v[135:138], v130 offset:736
	s_waitcnt vmcnt(18) lgkmcnt(1)
	v_fma_f64 v[131:132], v[159:160], v[131:132], v[151:152]
	s_waitcnt vmcnt(17)
	v_fma_f64 v[131:132], v[157:158], v[133:134], v[131:132]
	buffer_load_dword v152, off, s[0:3], 0 offset:300
	buffer_load_dword v153, off, s[0:3], 0 offset:320
	;; [unrolled: 1-line block ×7, first 2 shown]
	s_waitcnt vmcnt(23) lgkmcnt(0)
	v_fma_f64 v[131:132], v[155:156], v[135:136], v[131:132]
	s_waitcnt vmcnt(18)
	v_fma_f64 v[139:140], v[139:140], v[137:138], v[131:132]
	ds_read_b128 v[131:134], v130 offset:752
	ds_read_b128 v[135:138], v130 offset:768
	buffer_load_dword v154, off, s[0:3], 0 offset:324
	s_waitcnt vmcnt(18) lgkmcnt(1)
	v_fma_f64 v[131:132], v[163:164], v[131:132], v[139:140]
	s_waitcnt vmcnt(17)
	v_fma_f64 v[131:132], v[161:162], v[133:134], v[131:132]
	buffer_load_dword v140, off, s[0:3], 0 offset:332
	buffer_load_dword v155, off, s[0:3], 0 offset:352
	buffer_load_dword v161, off, s[0:3], 0 offset:344
	buffer_load_dword v163, off, s[0:3], 0 offset:336
	buffer_load_dword v139, off, s[0:3], 0 offset:328
	buffer_load_dword v164, off, s[0:3], 0 offset:340
	buffer_load_dword v162, off, s[0:3], 0 offset:348
	buffer_load_dword v156, off, s[0:3], 0 offset:356
	s_waitcnt vmcnt(24) lgkmcnt(0)
	v_fma_f64 v[131:132], v[141:142], v[135:136], v[131:132]
	s_waitcnt vmcnt(19)
	v_fma_f64 v[141:142], v[143:144], v[137:138], v[131:132]
	ds_read_b128 v[131:134], v130 offset:784
	ds_read_b128 v[135:138], v130 offset:800
	s_waitcnt vmcnt(18) lgkmcnt(1)
	v_fma_f64 v[131:132], v[149:150], v[131:132], v[141:142]
	s_waitcnt vmcnt(17)
	v_fma_f64 v[131:132], v[147:148], v[133:134], v[131:132]
	buffer_load_dword v142, off, s[0:3], 0 offset:364
	buffer_load_dword v143, off, s[0:3], 0 offset:384
	;; [unrolled: 1-line block ×7, first 2 shown]
	s_waitcnt vmcnt(23) lgkmcnt(0)
	v_fma_f64 v[131:132], v[145:146], v[135:136], v[131:132]
	s_waitcnt vmcnt(18)
	v_fma_f64 v[144:145], v[151:152], v[137:138], v[131:132]
	ds_read_b128 v[131:134], v130 offset:816
	ds_read_b128 v[135:138], v130 offset:832
	s_waitcnt vmcnt(17) lgkmcnt(1)
	v_fma_f64 v[131:132], v[159:160], v[131:132], v[144:145]
	buffer_load_dword v144, off, s[0:3], 0 offset:388
	s_waitcnt vmcnt(17)
	v_fma_f64 v[131:132], v[157:158], v[133:134], v[131:132]
	buffer_load_dword v146, off, s[0:3], 0 offset:396
	buffer_load_dword v151, off, s[0:3], 0 offset:416
	;; [unrolled: 1-line block ×7, first 2 shown]
	s_waitcnt vmcnt(23) lgkmcnt(0)
	v_fma_f64 v[131:132], v[153:154], v[135:136], v[131:132]
	s_waitcnt vmcnt(18)
	v_fma_f64 v[139:140], v[139:140], v[137:138], v[131:132]
	ds_read_b128 v[131:134], v130 offset:848
	ds_read_b128 v[135:138], v130 offset:864
	buffer_load_dword v152, off, s[0:3], 0 offset:420
	s_waitcnt vmcnt(18) lgkmcnt(1)
	v_fma_f64 v[131:132], v[163:164], v[131:132], v[139:140]
	s_waitcnt vmcnt(17)
	v_fma_f64 v[131:132], v[161:162], v[133:134], v[131:132]
	buffer_load_dword v140, off, s[0:3], 0 offset:428
	buffer_load_dword v153, off, s[0:3], 0 offset:448
	;; [unrolled: 1-line block ×8, first 2 shown]
	s_waitcnt vmcnt(24) lgkmcnt(0)
	v_fma_f64 v[131:132], v[155:156], v[135:136], v[131:132]
	s_waitcnt vmcnt(19)
	v_fma_f64 v[141:142], v[141:142], v[137:138], v[131:132]
	ds_read_b128 v[131:134], v130 offset:880
	ds_read_b128 v[135:138], v130 offset:896
	s_waitcnt vmcnt(18) lgkmcnt(1)
	v_fma_f64 v[131:132], v[149:150], v[131:132], v[141:142]
	s_waitcnt vmcnt(17)
	v_fma_f64 v[131:132], v[147:148], v[133:134], v[131:132]
	buffer_load_dword v142, off, s[0:3], 0 offset:460
	buffer_load_dword v147, off, s[0:3], 0 offset:480
	;; [unrolled: 1-line block ×8, first 2 shown]
	s_waitcnt vmcnt(24) lgkmcnt(0)
	v_fma_f64 v[131:132], v[143:144], v[135:136], v[131:132]
	s_waitcnt vmcnt(19)
	v_fma_f64 v[143:144], v[145:146], v[137:138], v[131:132]
	ds_read_b128 v[131:134], v130 offset:912
	ds_read_b128 v[135:138], v130 offset:928
	s_waitcnt vmcnt(18) lgkmcnt(1)
	v_fma_f64 v[131:132], v[159:160], v[131:132], v[143:144]
	s_waitcnt vmcnt(17)
	v_fma_f64 v[131:132], v[157:158], v[133:134], v[131:132]
	buffer_load_dword v144, off, s[0:3], 0 offset:492
	buffer_load_dword v145, off, s[0:3], 0 offset:504
	;; [unrolled: 1-line block ×6, first 2 shown]
	s_waitcnt vmcnt(22) lgkmcnt(0)
	v_fma_f64 v[131:132], v[151:152], v[135:136], v[131:132]
	s_waitcnt vmcnt(17)
	v_fma_f64 v[139:140], v[139:140], v[137:138], v[131:132]
	ds_read_b128 v[131:134], v130 offset:944
	buffer_load_dword v151, off, s[0:3], 0 offset:136
	buffer_load_dword v152, off, s[0:3], 0 offset:140
	ds_read_b128 v[135:138], v130 offset:960
	s_waitcnt vmcnt(18) lgkmcnt(1)
	v_fma_f64 v[131:132], v[163:164], v[131:132], v[139:140]
	s_waitcnt vmcnt(17)
	v_fma_f64 v[131:132], v[161:162], v[133:134], v[131:132]
	s_waitcnt vmcnt(16) lgkmcnt(0)
	v_fma_f64 v[131:132], v[153:154], v[135:136], v[131:132]
	s_waitcnt vmcnt(11)
	v_fma_f64 v[139:140], v[141:142], v[137:138], v[131:132]
	ds_read_b128 v[131:134], v130 offset:976
	ds_read_b128 v[135:138], v130 offset:992
	s_waitcnt vmcnt(10) lgkmcnt(1)
	v_fma_f64 v[131:132], v[155:156], v[131:132], v[139:140]
	s_waitcnt vmcnt(9)
	v_fma_f64 v[131:132], v[149:150], v[133:134], v[131:132]
	s_waitcnt vmcnt(8) lgkmcnt(0)
	v_fma_f64 v[131:132], v[147:148], v[135:136], v[131:132]
	s_waitcnt vmcnt(4)
	v_fma_f64 v[134:135], v[143:144], v[137:138], v[131:132]
	ds_read_b128 v[130:133], v130 offset:1008
	s_waitcnt vmcnt(3) lgkmcnt(0)
	v_fma_f64 v[130:131], v[157:158], v[130:131], v[134:135]
	s_waitcnt vmcnt(2)
	v_fma_f64 v[130:131], v[145:146], v[132:133], v[130:131]
	s_waitcnt vmcnt(0)
	v_add_f64 v[130:131], v[151:152], -v[130:131]
	buffer_store_dword v131, off, s[0:3], 0 offset:140
	buffer_store_dword v130, off, s[0:3], 0 offset:136
	s_and_saveexec_b64 s[4:5], vcc
	s_cbranch_execz .LBB63_359
; %bb.358:
	buffer_load_dword v130, off, s[0:3], 0 offset:128
	buffer_load_dword v131, off, s[0:3], 0 offset:132
	v_mov_b32_e32 v132, 0
	buffer_store_dword v132, off, s[0:3], 0 offset:128
	buffer_store_dword v132, off, s[0:3], 0 offset:132
	s_waitcnt vmcnt(2)
	ds_write_b64 v129, v[130:131]
.LBB63_359:
	s_or_b64 exec, exec, s[4:5]
	s_waitcnt lgkmcnt(0)
	; wave barrier
	buffer_load_dword v139, off, s[0:3], 0 offset:136
	buffer_load_dword v140, off, s[0:3], 0 offset:140
	;; [unrolled: 1-line block ×21, first 2 shown]
	v_mov_b32_e32 v130, 0
	ds_read2_b64 v[131:134], v130 offset0:81 offset1:82
	ds_read2_b64 v[135:138], v130 offset0:83 offset1:84
	buffer_load_dword v156, off, s[0:3], 0 offset:220
	v_cmp_lt_u32_e32 vcc, 15, v0
	s_waitcnt vmcnt(20) lgkmcnt(1)
	v_fma_f64 v[131:132], v[139:140], v[131:132], 0
	s_waitcnt vmcnt(18)
	v_fma_f64 v[131:132], v[141:142], v[133:134], v[131:132]
	buffer_load_dword v140, off, s[0:3], 0 offset:228
	buffer_load_dword v141, off, s[0:3], 0 offset:248
	;; [unrolled: 1-line block ×7, first 2 shown]
	s_waitcnt vmcnt(23) lgkmcnt(0)
	v_fma_f64 v[131:132], v[143:144], v[135:136], v[131:132]
	s_waitcnt vmcnt(21)
	v_fma_f64 v[142:143], v[145:146], v[137:138], v[131:132]
	ds_read2_b64 v[131:134], v130 offset0:85 offset1:86
	ds_read2_b64 v[135:138], v130 offset0:87 offset1:88
	s_waitcnt vmcnt(19) lgkmcnt(1)
	v_fma_f64 v[131:132], v[147:148], v[131:132], v[142:143]
	buffer_load_dword v142, off, s[0:3], 0 offset:252
	s_waitcnt vmcnt(18)
	v_fma_f64 v[131:132], v[149:150], v[133:134], v[131:132]
	buffer_load_dword v144, off, s[0:3], 0 offset:260
	buffer_load_dword v145, off, s[0:3], 0 offset:280
	;; [unrolled: 1-line block ×8, first 2 shown]
	s_waitcnt vmcnt(24) lgkmcnt(0)
	v_fma_f64 v[131:132], v[151:152], v[135:136], v[131:132]
	s_waitcnt vmcnt(19)
	v_fma_f64 v[151:152], v[153:154], v[137:138], v[131:132]
	ds_read2_b64 v[131:134], v130 offset0:89 offset1:90
	ds_read2_b64 v[135:138], v130 offset0:91 offset1:92
	s_waitcnt vmcnt(18) lgkmcnt(1)
	v_fma_f64 v[131:132], v[159:160], v[131:132], v[151:152]
	s_waitcnt vmcnt(17)
	v_fma_f64 v[131:132], v[157:158], v[133:134], v[131:132]
	buffer_load_dword v152, off, s[0:3], 0 offset:292
	buffer_load_dword v153, off, s[0:3], 0 offset:312
	;; [unrolled: 1-line block ×7, first 2 shown]
	s_waitcnt vmcnt(23) lgkmcnt(0)
	v_fma_f64 v[131:132], v[155:156], v[135:136], v[131:132]
	s_waitcnt vmcnt(18)
	v_fma_f64 v[139:140], v[139:140], v[137:138], v[131:132]
	ds_read2_b64 v[131:134], v130 offset0:93 offset1:94
	ds_read2_b64 v[135:138], v130 offset0:95 offset1:96
	buffer_load_dword v154, off, s[0:3], 0 offset:316
	s_waitcnt vmcnt(18) lgkmcnt(1)
	v_fma_f64 v[131:132], v[163:164], v[131:132], v[139:140]
	s_waitcnt vmcnt(17)
	v_fma_f64 v[131:132], v[161:162], v[133:134], v[131:132]
	buffer_load_dword v140, off, s[0:3], 0 offset:324
	buffer_load_dword v155, off, s[0:3], 0 offset:344
	;; [unrolled: 1-line block ×8, first 2 shown]
	s_waitcnt vmcnt(24) lgkmcnt(0)
	v_fma_f64 v[131:132], v[141:142], v[135:136], v[131:132]
	s_waitcnt vmcnt(19)
	v_fma_f64 v[141:142], v[143:144], v[137:138], v[131:132]
	ds_read2_b64 v[131:134], v130 offset0:97 offset1:98
	ds_read2_b64 v[135:138], v130 offset0:99 offset1:100
	s_waitcnt vmcnt(18) lgkmcnt(1)
	v_fma_f64 v[131:132], v[149:150], v[131:132], v[141:142]
	s_waitcnt vmcnt(17)
	v_fma_f64 v[131:132], v[147:148], v[133:134], v[131:132]
	buffer_load_dword v142, off, s[0:3], 0 offset:356
	buffer_load_dword v143, off, s[0:3], 0 offset:376
	;; [unrolled: 1-line block ×7, first 2 shown]
	s_waitcnt vmcnt(23) lgkmcnt(0)
	v_fma_f64 v[131:132], v[145:146], v[135:136], v[131:132]
	s_waitcnt vmcnt(18)
	v_fma_f64 v[144:145], v[151:152], v[137:138], v[131:132]
	ds_read2_b64 v[131:134], v130 offset0:101 offset1:102
	ds_read2_b64 v[135:138], v130 offset0:103 offset1:104
	s_waitcnt vmcnt(17) lgkmcnt(1)
	v_fma_f64 v[131:132], v[159:160], v[131:132], v[144:145]
	buffer_load_dword v144, off, s[0:3], 0 offset:380
	s_waitcnt vmcnt(17)
	v_fma_f64 v[131:132], v[157:158], v[133:134], v[131:132]
	buffer_load_dword v146, off, s[0:3], 0 offset:388
	buffer_load_dword v151, off, s[0:3], 0 offset:408
	;; [unrolled: 1-line block ×7, first 2 shown]
	s_waitcnt vmcnt(23) lgkmcnt(0)
	v_fma_f64 v[131:132], v[153:154], v[135:136], v[131:132]
	s_waitcnt vmcnt(18)
	v_fma_f64 v[139:140], v[139:140], v[137:138], v[131:132]
	ds_read2_b64 v[131:134], v130 offset0:105 offset1:106
	ds_read2_b64 v[135:138], v130 offset0:107 offset1:108
	buffer_load_dword v152, off, s[0:3], 0 offset:412
	s_waitcnt vmcnt(18) lgkmcnt(1)
	v_fma_f64 v[131:132], v[163:164], v[131:132], v[139:140]
	s_waitcnt vmcnt(17)
	v_fma_f64 v[131:132], v[161:162], v[133:134], v[131:132]
	buffer_load_dword v140, off, s[0:3], 0 offset:420
	buffer_load_dword v153, off, s[0:3], 0 offset:440
	buffer_load_dword v161, off, s[0:3], 0 offset:432
	buffer_load_dword v163, off, s[0:3], 0 offset:424
	buffer_load_dword v139, off, s[0:3], 0 offset:416
	buffer_load_dword v164, off, s[0:3], 0 offset:428
	buffer_load_dword v162, off, s[0:3], 0 offset:436
	buffer_load_dword v154, off, s[0:3], 0 offset:444
	s_waitcnt vmcnt(24) lgkmcnt(0)
	v_fma_f64 v[131:132], v[155:156], v[135:136], v[131:132]
	s_waitcnt vmcnt(19)
	v_fma_f64 v[141:142], v[141:142], v[137:138], v[131:132]
	ds_read2_b64 v[131:134], v130 offset0:109 offset1:110
	ds_read2_b64 v[135:138], v130 offset0:111 offset1:112
	s_waitcnt vmcnt(18) lgkmcnt(1)
	v_fma_f64 v[131:132], v[149:150], v[131:132], v[141:142]
	s_waitcnt vmcnt(17)
	v_fma_f64 v[131:132], v[147:148], v[133:134], v[131:132]
	buffer_load_dword v142, off, s[0:3], 0 offset:452
	buffer_load_dword v147, off, s[0:3], 0 offset:472
	buffer_load_dword v149, off, s[0:3], 0 offset:464
	buffer_load_dword v155, off, s[0:3], 0 offset:456
	buffer_load_dword v141, off, s[0:3], 0 offset:448
	buffer_load_dword v156, off, s[0:3], 0 offset:460
	buffer_load_dword v150, off, s[0:3], 0 offset:468
	buffer_load_dword v148, off, s[0:3], 0 offset:476
	s_waitcnt vmcnt(24) lgkmcnt(0)
	v_fma_f64 v[131:132], v[143:144], v[135:136], v[131:132]
	s_waitcnt vmcnt(19)
	v_fma_f64 v[143:144], v[145:146], v[137:138], v[131:132]
	ds_read2_b64 v[131:134], v130 offset0:113 offset1:114
	ds_read2_b64 v[135:138], v130 offset0:115 offset1:116
	s_waitcnt vmcnt(18) lgkmcnt(1)
	v_fma_f64 v[131:132], v[159:160], v[131:132], v[143:144]
	s_waitcnt vmcnt(17)
	v_fma_f64 v[131:132], v[157:158], v[133:134], v[131:132]
	buffer_load_dword v144, off, s[0:3], 0 offset:484
	buffer_load_dword v145, off, s[0:3], 0 offset:504
	buffer_load_dword v157, off, s[0:3], 0 offset:496
	buffer_load_dword v159, off, s[0:3], 0 offset:488
	buffer_load_dword v143, off, s[0:3], 0 offset:480
	buffer_load_dword v160, off, s[0:3], 0 offset:492
	buffer_load_dword v158, off, s[0:3], 0 offset:500
	buffer_load_dword v146, off, s[0:3], 0 offset:508
	s_waitcnt vmcnt(24) lgkmcnt(0)
	v_fma_f64 v[131:132], v[151:152], v[135:136], v[131:132]
	s_waitcnt vmcnt(19)
	v_fma_f64 v[139:140], v[139:140], v[137:138], v[131:132]
	ds_read2_b64 v[131:134], v130 offset0:117 offset1:118
	ds_read2_b64 v[135:138], v130 offset0:119 offset1:120
	s_waitcnt vmcnt(18) lgkmcnt(1)
	v_fma_f64 v[131:132], v[163:164], v[131:132], v[139:140]
	buffer_load_dword v139, off, s[0:3], 0 offset:128
	buffer_load_dword v140, off, s[0:3], 0 offset:132
	s_waitcnt vmcnt(19)
	v_fma_f64 v[131:132], v[161:162], v[133:134], v[131:132]
	s_waitcnt vmcnt(18) lgkmcnt(0)
	v_fma_f64 v[131:132], v[153:154], v[135:136], v[131:132]
	s_waitcnt vmcnt(13)
	v_fma_f64 v[141:142], v[141:142], v[137:138], v[131:132]
	ds_read2_b64 v[131:134], v130 offset0:121 offset1:122
	ds_read2_b64 v[135:138], v130 offset0:123 offset1:124
	s_waitcnt vmcnt(12) lgkmcnt(1)
	v_fma_f64 v[131:132], v[155:156], v[131:132], v[141:142]
	s_waitcnt vmcnt(11)
	v_fma_f64 v[131:132], v[149:150], v[133:134], v[131:132]
	s_waitcnt vmcnt(10) lgkmcnt(0)
	v_fma_f64 v[131:132], v[147:148], v[135:136], v[131:132]
	s_waitcnt vmcnt(5)
	v_fma_f64 v[135:136], v[143:144], v[137:138], v[131:132]
	ds_read2_b64 v[131:134], v130 offset0:125 offset1:126
	ds_read_b64 v[137:138], v130 offset:1016
	s_waitcnt vmcnt(4) lgkmcnt(1)
	v_fma_f64 v[131:132], v[159:160], v[131:132], v[135:136]
	s_waitcnt vmcnt(3)
	v_fma_f64 v[131:132], v[157:158], v[133:134], v[131:132]
	s_waitcnt vmcnt(2) lgkmcnt(0)
	v_fma_f64 v[131:132], v[145:146], v[137:138], v[131:132]
	s_waitcnt vmcnt(0)
	v_add_f64 v[131:132], v[139:140], -v[131:132]
	buffer_store_dword v132, off, s[0:3], 0 offset:132
	buffer_store_dword v131, off, s[0:3], 0 offset:128
	s_and_saveexec_b64 s[4:5], vcc
	s_cbranch_execz .LBB63_361
; %bb.360:
	buffer_load_dword v131, off, s[0:3], 0 offset:120
	buffer_load_dword v132, off, s[0:3], 0 offset:124
	s_waitcnt vmcnt(0)
	ds_write_b64 v129, v[131:132]
	buffer_store_dword v130, off, s[0:3], 0 offset:120
	buffer_store_dword v130, off, s[0:3], 0 offset:124
.LBB63_361:
	s_or_b64 exec, exec, s[4:5]
	s_waitcnt lgkmcnt(0)
	; wave barrier
	buffer_load_dword v139, off, s[0:3], 0 offset:128
	buffer_load_dword v140, off, s[0:3], 0 offset:132
	;; [unrolled: 1-line block ×21, first 2 shown]
	ds_read_b128 v[131:134], v130 offset:640
	ds_read_b128 v[135:138], v130 offset:656
	buffer_load_dword v156, off, s[0:3], 0 offset:212
	v_cmp_lt_u32_e32 vcc, 14, v0
	s_waitcnt vmcnt(20) lgkmcnt(1)
	v_fma_f64 v[131:132], v[139:140], v[131:132], 0
	s_waitcnt vmcnt(18)
	v_fma_f64 v[131:132], v[141:142], v[133:134], v[131:132]
	buffer_load_dword v140, off, s[0:3], 0 offset:220
	buffer_load_dword v141, off, s[0:3], 0 offset:240
	;; [unrolled: 1-line block ×7, first 2 shown]
	s_waitcnt vmcnt(23) lgkmcnt(0)
	v_fma_f64 v[131:132], v[143:144], v[135:136], v[131:132]
	s_waitcnt vmcnt(21)
	v_fma_f64 v[142:143], v[145:146], v[137:138], v[131:132]
	ds_read_b128 v[131:134], v130 offset:672
	ds_read_b128 v[135:138], v130 offset:688
	s_waitcnt vmcnt(19) lgkmcnt(1)
	v_fma_f64 v[131:132], v[147:148], v[131:132], v[142:143]
	buffer_load_dword v142, off, s[0:3], 0 offset:244
	s_waitcnt vmcnt(18)
	v_fma_f64 v[131:132], v[149:150], v[133:134], v[131:132]
	buffer_load_dword v144, off, s[0:3], 0 offset:252
	buffer_load_dword v145, off, s[0:3], 0 offset:272
	;; [unrolled: 1-line block ×8, first 2 shown]
	s_waitcnt vmcnt(24) lgkmcnt(0)
	v_fma_f64 v[131:132], v[151:152], v[135:136], v[131:132]
	s_waitcnt vmcnt(19)
	v_fma_f64 v[151:152], v[153:154], v[137:138], v[131:132]
	ds_read_b128 v[131:134], v130 offset:704
	ds_read_b128 v[135:138], v130 offset:720
	s_waitcnt vmcnt(18) lgkmcnt(1)
	v_fma_f64 v[131:132], v[159:160], v[131:132], v[151:152]
	s_waitcnt vmcnt(17)
	v_fma_f64 v[131:132], v[157:158], v[133:134], v[131:132]
	buffer_load_dword v152, off, s[0:3], 0 offset:284
	buffer_load_dword v153, off, s[0:3], 0 offset:304
	;; [unrolled: 1-line block ×7, first 2 shown]
	s_waitcnt vmcnt(23) lgkmcnt(0)
	v_fma_f64 v[131:132], v[155:156], v[135:136], v[131:132]
	s_waitcnt vmcnt(18)
	v_fma_f64 v[139:140], v[139:140], v[137:138], v[131:132]
	ds_read_b128 v[131:134], v130 offset:736
	ds_read_b128 v[135:138], v130 offset:752
	buffer_load_dword v154, off, s[0:3], 0 offset:308
	s_waitcnt vmcnt(18) lgkmcnt(1)
	v_fma_f64 v[131:132], v[163:164], v[131:132], v[139:140]
	s_waitcnt vmcnt(17)
	v_fma_f64 v[131:132], v[161:162], v[133:134], v[131:132]
	buffer_load_dword v140, off, s[0:3], 0 offset:316
	buffer_load_dword v155, off, s[0:3], 0 offset:336
	;; [unrolled: 1-line block ×8, first 2 shown]
	s_waitcnt vmcnt(24) lgkmcnt(0)
	v_fma_f64 v[131:132], v[141:142], v[135:136], v[131:132]
	s_waitcnt vmcnt(19)
	v_fma_f64 v[141:142], v[143:144], v[137:138], v[131:132]
	ds_read_b128 v[131:134], v130 offset:768
	ds_read_b128 v[135:138], v130 offset:784
	s_waitcnt vmcnt(18) lgkmcnt(1)
	v_fma_f64 v[131:132], v[149:150], v[131:132], v[141:142]
	s_waitcnt vmcnt(17)
	v_fma_f64 v[131:132], v[147:148], v[133:134], v[131:132]
	buffer_load_dword v142, off, s[0:3], 0 offset:348
	buffer_load_dword v143, off, s[0:3], 0 offset:368
	;; [unrolled: 1-line block ×7, first 2 shown]
	s_waitcnt vmcnt(23) lgkmcnt(0)
	v_fma_f64 v[131:132], v[145:146], v[135:136], v[131:132]
	s_waitcnt vmcnt(18)
	v_fma_f64 v[144:145], v[151:152], v[137:138], v[131:132]
	ds_read_b128 v[131:134], v130 offset:800
	ds_read_b128 v[135:138], v130 offset:816
	s_waitcnt vmcnt(17) lgkmcnt(1)
	v_fma_f64 v[131:132], v[159:160], v[131:132], v[144:145]
	buffer_load_dword v144, off, s[0:3], 0 offset:372
	s_waitcnt vmcnt(17)
	v_fma_f64 v[131:132], v[157:158], v[133:134], v[131:132]
	buffer_load_dword v146, off, s[0:3], 0 offset:380
	buffer_load_dword v151, off, s[0:3], 0 offset:400
	;; [unrolled: 1-line block ×7, first 2 shown]
	s_waitcnt vmcnt(23) lgkmcnt(0)
	v_fma_f64 v[131:132], v[153:154], v[135:136], v[131:132]
	s_waitcnt vmcnt(18)
	v_fma_f64 v[139:140], v[139:140], v[137:138], v[131:132]
	ds_read_b128 v[131:134], v130 offset:832
	ds_read_b128 v[135:138], v130 offset:848
	buffer_load_dword v152, off, s[0:3], 0 offset:404
	s_waitcnt vmcnt(18) lgkmcnt(1)
	v_fma_f64 v[131:132], v[163:164], v[131:132], v[139:140]
	s_waitcnt vmcnt(17)
	v_fma_f64 v[131:132], v[161:162], v[133:134], v[131:132]
	buffer_load_dword v140, off, s[0:3], 0 offset:412
	buffer_load_dword v153, off, s[0:3], 0 offset:432
	buffer_load_dword v161, off, s[0:3], 0 offset:424
	buffer_load_dword v163, off, s[0:3], 0 offset:416
	buffer_load_dword v139, off, s[0:3], 0 offset:408
	buffer_load_dword v164, off, s[0:3], 0 offset:420
	buffer_load_dword v162, off, s[0:3], 0 offset:428
	buffer_load_dword v154, off, s[0:3], 0 offset:436
	s_waitcnt vmcnt(24) lgkmcnt(0)
	v_fma_f64 v[131:132], v[155:156], v[135:136], v[131:132]
	s_waitcnt vmcnt(19)
	v_fma_f64 v[141:142], v[141:142], v[137:138], v[131:132]
	ds_read_b128 v[131:134], v130 offset:864
	ds_read_b128 v[135:138], v130 offset:880
	s_waitcnt vmcnt(18) lgkmcnt(1)
	v_fma_f64 v[131:132], v[149:150], v[131:132], v[141:142]
	s_waitcnt vmcnt(17)
	v_fma_f64 v[131:132], v[147:148], v[133:134], v[131:132]
	buffer_load_dword v142, off, s[0:3], 0 offset:444
	buffer_load_dword v147, off, s[0:3], 0 offset:464
	buffer_load_dword v149, off, s[0:3], 0 offset:456
	buffer_load_dword v155, off, s[0:3], 0 offset:448
	buffer_load_dword v141, off, s[0:3], 0 offset:440
	buffer_load_dword v156, off, s[0:3], 0 offset:452
	buffer_load_dword v150, off, s[0:3], 0 offset:460
	buffer_load_dword v148, off, s[0:3], 0 offset:468
	s_waitcnt vmcnt(24) lgkmcnt(0)
	v_fma_f64 v[131:132], v[143:144], v[135:136], v[131:132]
	s_waitcnt vmcnt(19)
	v_fma_f64 v[143:144], v[145:146], v[137:138], v[131:132]
	ds_read_b128 v[131:134], v130 offset:896
	ds_read_b128 v[135:138], v130 offset:912
	;; [unrolled: 18-line block ×3, first 2 shown]
	s_waitcnt vmcnt(18) lgkmcnt(1)
	v_fma_f64 v[131:132], v[163:164], v[131:132], v[139:140]
	buffer_load_dword v140, off, s[0:3], 0 offset:508
	buffer_load_dword v139, off, s[0:3], 0 offset:504
	;; [unrolled: 1-line block ×4, first 2 shown]
	s_waitcnt vmcnt(21)
	v_fma_f64 v[131:132], v[161:162], v[133:134], v[131:132]
	s_waitcnt vmcnt(20) lgkmcnt(0)
	v_fma_f64 v[131:132], v[153:154], v[135:136], v[131:132]
	s_waitcnt vmcnt(15)
	v_fma_f64 v[141:142], v[141:142], v[137:138], v[131:132]
	ds_read_b128 v[131:134], v130 offset:960
	ds_read_b128 v[135:138], v130 offset:976
	s_waitcnt vmcnt(14) lgkmcnt(1)
	v_fma_f64 v[131:132], v[155:156], v[131:132], v[141:142]
	s_waitcnt vmcnt(13)
	v_fma_f64 v[131:132], v[149:150], v[133:134], v[131:132]
	s_waitcnt vmcnt(12) lgkmcnt(0)
	v_fma_f64 v[131:132], v[147:148], v[135:136], v[131:132]
	s_waitcnt vmcnt(7)
	v_fma_f64 v[141:142], v[143:144], v[137:138], v[131:132]
	ds_read_b128 v[131:134], v130 offset:992
	ds_read_b128 v[135:138], v130 offset:1008
	s_waitcnt vmcnt(6) lgkmcnt(1)
	v_fma_f64 v[130:131], v[159:160], v[131:132], v[141:142]
	s_waitcnt vmcnt(5)
	v_fma_f64 v[130:131], v[157:158], v[133:134], v[130:131]
	s_waitcnt vmcnt(4) lgkmcnt(0)
	v_fma_f64 v[130:131], v[145:146], v[135:136], v[130:131]
	s_waitcnt vmcnt(2)
	v_fma_f64 v[130:131], v[139:140], v[137:138], v[130:131]
	s_waitcnt vmcnt(0)
	v_add_f64 v[130:131], v[151:152], -v[130:131]
	buffer_store_dword v131, off, s[0:3], 0 offset:124
	buffer_store_dword v130, off, s[0:3], 0 offset:120
	s_and_saveexec_b64 s[4:5], vcc
	s_cbranch_execz .LBB63_363
; %bb.362:
	buffer_load_dword v130, off, s[0:3], 0 offset:112
	buffer_load_dword v131, off, s[0:3], 0 offset:116
	v_mov_b32_e32 v132, 0
	buffer_store_dword v132, off, s[0:3], 0 offset:112
	buffer_store_dword v132, off, s[0:3], 0 offset:116
	s_waitcnt vmcnt(2)
	ds_write_b64 v129, v[130:131]
.LBB63_363:
	s_or_b64 exec, exec, s[4:5]
	s_waitcnt lgkmcnt(0)
	; wave barrier
	buffer_load_dword v139, off, s[0:3], 0 offset:120
	buffer_load_dword v140, off, s[0:3], 0 offset:124
	;; [unrolled: 1-line block ×21, first 2 shown]
	v_mov_b32_e32 v130, 0
	ds_read2_b64 v[131:134], v130 offset0:79 offset1:80
	ds_read2_b64 v[135:138], v130 offset0:81 offset1:82
	buffer_load_dword v156, off, s[0:3], 0 offset:204
	v_cmp_lt_u32_e32 vcc, 13, v0
	s_waitcnt vmcnt(20) lgkmcnt(1)
	v_fma_f64 v[131:132], v[139:140], v[131:132], 0
	s_waitcnt vmcnt(18)
	v_fma_f64 v[131:132], v[141:142], v[133:134], v[131:132]
	buffer_load_dword v140, off, s[0:3], 0 offset:212
	buffer_load_dword v141, off, s[0:3], 0 offset:232
	;; [unrolled: 1-line block ×7, first 2 shown]
	s_waitcnt vmcnt(23) lgkmcnt(0)
	v_fma_f64 v[131:132], v[143:144], v[135:136], v[131:132]
	s_waitcnt vmcnt(21)
	v_fma_f64 v[142:143], v[145:146], v[137:138], v[131:132]
	ds_read2_b64 v[131:134], v130 offset0:83 offset1:84
	ds_read2_b64 v[135:138], v130 offset0:85 offset1:86
	s_waitcnt vmcnt(19) lgkmcnt(1)
	v_fma_f64 v[131:132], v[147:148], v[131:132], v[142:143]
	buffer_load_dword v142, off, s[0:3], 0 offset:236
	s_waitcnt vmcnt(18)
	v_fma_f64 v[131:132], v[149:150], v[133:134], v[131:132]
	buffer_load_dword v144, off, s[0:3], 0 offset:244
	buffer_load_dword v145, off, s[0:3], 0 offset:264
	;; [unrolled: 1-line block ×8, first 2 shown]
	s_waitcnt vmcnt(24) lgkmcnt(0)
	v_fma_f64 v[131:132], v[151:152], v[135:136], v[131:132]
	s_waitcnt vmcnt(19)
	v_fma_f64 v[151:152], v[153:154], v[137:138], v[131:132]
	ds_read2_b64 v[131:134], v130 offset0:87 offset1:88
	ds_read2_b64 v[135:138], v130 offset0:89 offset1:90
	s_waitcnt vmcnt(18) lgkmcnt(1)
	v_fma_f64 v[131:132], v[159:160], v[131:132], v[151:152]
	s_waitcnt vmcnt(17)
	v_fma_f64 v[131:132], v[157:158], v[133:134], v[131:132]
	buffer_load_dword v152, off, s[0:3], 0 offset:276
	buffer_load_dword v153, off, s[0:3], 0 offset:296
	;; [unrolled: 1-line block ×7, first 2 shown]
	s_waitcnt vmcnt(23) lgkmcnt(0)
	v_fma_f64 v[131:132], v[155:156], v[135:136], v[131:132]
	s_waitcnt vmcnt(18)
	v_fma_f64 v[139:140], v[139:140], v[137:138], v[131:132]
	ds_read2_b64 v[131:134], v130 offset0:91 offset1:92
	ds_read2_b64 v[135:138], v130 offset0:93 offset1:94
	buffer_load_dword v154, off, s[0:3], 0 offset:300
	s_waitcnt vmcnt(18) lgkmcnt(1)
	v_fma_f64 v[131:132], v[163:164], v[131:132], v[139:140]
	s_waitcnt vmcnt(17)
	v_fma_f64 v[131:132], v[161:162], v[133:134], v[131:132]
	buffer_load_dword v140, off, s[0:3], 0 offset:308
	buffer_load_dword v155, off, s[0:3], 0 offset:328
	buffer_load_dword v161, off, s[0:3], 0 offset:320
	buffer_load_dword v163, off, s[0:3], 0 offset:312
	buffer_load_dword v139, off, s[0:3], 0 offset:304
	buffer_load_dword v164, off, s[0:3], 0 offset:316
	buffer_load_dword v162, off, s[0:3], 0 offset:324
	s_waitcnt vmcnt(23) lgkmcnt(0)
	v_fma_f64 v[131:132], v[141:142], v[135:136], v[131:132]
	s_waitcnt vmcnt(18)
	v_fma_f64 v[141:142], v[143:144], v[137:138], v[131:132]
	ds_read2_b64 v[131:134], v130 offset0:95 offset1:96
	ds_read2_b64 v[135:138], v130 offset0:97 offset1:98
	buffer_load_dword v156, off, s[0:3], 0 offset:332
	s_waitcnt vmcnt(18) lgkmcnt(1)
	v_fma_f64 v[131:132], v[149:150], v[131:132], v[141:142]
	s_waitcnt vmcnt(17)
	v_fma_f64 v[131:132], v[147:148], v[133:134], v[131:132]
	buffer_load_dword v142, off, s[0:3], 0 offset:340
	buffer_load_dword v143, off, s[0:3], 0 offset:360
	;; [unrolled: 1-line block ×7, first 2 shown]
	s_waitcnt vmcnt(23) lgkmcnt(0)
	v_fma_f64 v[131:132], v[145:146], v[135:136], v[131:132]
	s_waitcnt vmcnt(18)
	v_fma_f64 v[144:145], v[151:152], v[137:138], v[131:132]
	ds_read2_b64 v[131:134], v130 offset0:99 offset1:100
	ds_read2_b64 v[135:138], v130 offset0:101 offset1:102
	s_waitcnt vmcnt(17) lgkmcnt(1)
	v_fma_f64 v[131:132], v[159:160], v[131:132], v[144:145]
	buffer_load_dword v144, off, s[0:3], 0 offset:364
	s_waitcnt vmcnt(17)
	v_fma_f64 v[131:132], v[157:158], v[133:134], v[131:132]
	buffer_load_dword v146, off, s[0:3], 0 offset:372
	buffer_load_dword v151, off, s[0:3], 0 offset:392
	;; [unrolled: 1-line block ×7, first 2 shown]
	s_waitcnt vmcnt(23) lgkmcnt(0)
	v_fma_f64 v[131:132], v[153:154], v[135:136], v[131:132]
	s_waitcnt vmcnt(18)
	v_fma_f64 v[139:140], v[139:140], v[137:138], v[131:132]
	ds_read2_b64 v[131:134], v130 offset0:103 offset1:104
	ds_read2_b64 v[135:138], v130 offset0:105 offset1:106
	buffer_load_dword v152, off, s[0:3], 0 offset:396
	s_waitcnt vmcnt(18) lgkmcnt(1)
	v_fma_f64 v[131:132], v[163:164], v[131:132], v[139:140]
	s_waitcnt vmcnt(17)
	v_fma_f64 v[131:132], v[161:162], v[133:134], v[131:132]
	buffer_load_dword v140, off, s[0:3], 0 offset:404
	buffer_load_dword v153, off, s[0:3], 0 offset:424
	buffer_load_dword v161, off, s[0:3], 0 offset:416
	buffer_load_dword v163, off, s[0:3], 0 offset:408
	buffer_load_dword v139, off, s[0:3], 0 offset:400
	buffer_load_dword v164, off, s[0:3], 0 offset:412
	buffer_load_dword v162, off, s[0:3], 0 offset:420
	s_waitcnt vmcnt(23) lgkmcnt(0)
	v_fma_f64 v[131:132], v[155:156], v[135:136], v[131:132]
	s_waitcnt vmcnt(18)
	v_fma_f64 v[141:142], v[141:142], v[137:138], v[131:132]
	ds_read2_b64 v[131:134], v130 offset0:107 offset1:108
	ds_read2_b64 v[135:138], v130 offset0:109 offset1:110
	buffer_load_dword v154, off, s[0:3], 0 offset:428
	s_waitcnt vmcnt(18) lgkmcnt(1)
	v_fma_f64 v[131:132], v[149:150], v[131:132], v[141:142]
	s_waitcnt vmcnt(17)
	v_fma_f64 v[131:132], v[147:148], v[133:134], v[131:132]
	buffer_load_dword v142, off, s[0:3], 0 offset:436
	buffer_load_dword v147, off, s[0:3], 0 offset:456
	;; [unrolled: 1-line block ×8, first 2 shown]
	s_waitcnt vmcnt(24) lgkmcnt(0)
	v_fma_f64 v[131:132], v[143:144], v[135:136], v[131:132]
	s_waitcnt vmcnt(19)
	v_fma_f64 v[143:144], v[145:146], v[137:138], v[131:132]
	ds_read2_b64 v[131:134], v130 offset0:111 offset1:112
	ds_read2_b64 v[135:138], v130 offset0:113 offset1:114
	s_waitcnt vmcnt(18) lgkmcnt(1)
	v_fma_f64 v[131:132], v[159:160], v[131:132], v[143:144]
	s_waitcnt vmcnt(17)
	v_fma_f64 v[131:132], v[157:158], v[133:134], v[131:132]
	buffer_load_dword v144, off, s[0:3], 0 offset:468
	buffer_load_dword v145, off, s[0:3], 0 offset:488
	;; [unrolled: 1-line block ×7, first 2 shown]
	s_waitcnt vmcnt(23) lgkmcnt(0)
	v_fma_f64 v[131:132], v[151:152], v[135:136], v[131:132]
	s_waitcnt vmcnt(18)
	v_fma_f64 v[139:140], v[139:140], v[137:138], v[131:132]
	ds_read2_b64 v[131:134], v130 offset0:115 offset1:116
	ds_read2_b64 v[135:138], v130 offset0:117 offset1:118
	buffer_load_dword v146, off, s[0:3], 0 offset:492
	s_waitcnt vmcnt(18) lgkmcnt(1)
	v_fma_f64 v[131:132], v[163:164], v[131:132], v[139:140]
	buffer_load_dword v140, off, s[0:3], 0 offset:500
	buffer_load_dword v151, off, s[0:3], 0 offset:504
	;; [unrolled: 1-line block ×4, first 2 shown]
	s_waitcnt vmcnt(21)
	v_fma_f64 v[131:132], v[161:162], v[133:134], v[131:132]
	s_waitcnt vmcnt(20) lgkmcnt(0)
	v_fma_f64 v[131:132], v[153:154], v[135:136], v[131:132]
	buffer_load_dword v153, off, s[0:3], 0 offset:112
	buffer_load_dword v154, off, s[0:3], 0 offset:116
	s_waitcnt vmcnt(17)
	v_fma_f64 v[141:142], v[141:142], v[137:138], v[131:132]
	ds_read2_b64 v[131:134], v130 offset0:119 offset1:120
	ds_read2_b64 v[135:138], v130 offset0:121 offset1:122
	s_waitcnt vmcnt(16) lgkmcnt(1)
	v_fma_f64 v[131:132], v[155:156], v[131:132], v[141:142]
	s_waitcnt vmcnt(15)
	v_fma_f64 v[131:132], v[149:150], v[133:134], v[131:132]
	s_waitcnt vmcnt(14) lgkmcnt(0)
	v_fma_f64 v[131:132], v[147:148], v[135:136], v[131:132]
	s_waitcnt vmcnt(9)
	v_fma_f64 v[141:142], v[143:144], v[137:138], v[131:132]
	ds_read2_b64 v[131:134], v130 offset0:123 offset1:124
	ds_read2_b64 v[135:138], v130 offset0:125 offset1:126
	s_waitcnt vmcnt(8) lgkmcnt(1)
	v_fma_f64 v[131:132], v[159:160], v[131:132], v[141:142]
	s_waitcnt vmcnt(7)
	v_fma_f64 v[131:132], v[157:158], v[133:134], v[131:132]
	ds_read_b64 v[133:134], v130 offset:1016
	s_waitcnt vmcnt(6) lgkmcnt(1)
	v_fma_f64 v[131:132], v[145:146], v[135:136], v[131:132]
	s_waitcnt vmcnt(3)
	v_fma_f64 v[131:132], v[139:140], v[137:138], v[131:132]
	s_waitcnt vmcnt(2) lgkmcnt(0)
	v_fma_f64 v[131:132], v[151:152], v[133:134], v[131:132]
	s_waitcnt vmcnt(0)
	v_add_f64 v[131:132], v[153:154], -v[131:132]
	buffer_store_dword v132, off, s[0:3], 0 offset:116
	buffer_store_dword v131, off, s[0:3], 0 offset:112
	s_and_saveexec_b64 s[4:5], vcc
	s_cbranch_execz .LBB63_365
; %bb.364:
	buffer_load_dword v131, off, s[0:3], 0 offset:104
	buffer_load_dword v132, off, s[0:3], 0 offset:108
	s_waitcnt vmcnt(0)
	ds_write_b64 v129, v[131:132]
	buffer_store_dword v130, off, s[0:3], 0 offset:104
	buffer_store_dword v130, off, s[0:3], 0 offset:108
.LBB63_365:
	s_or_b64 exec, exec, s[4:5]
	s_waitcnt lgkmcnt(0)
	; wave barrier
	buffer_load_dword v139, off, s[0:3], 0 offset:112
	buffer_load_dword v140, off, s[0:3], 0 offset:116
	;; [unrolled: 1-line block ×22, first 2 shown]
	ds_read_b128 v[131:134], v130 offset:624
	ds_read_b128 v[135:138], v130 offset:640
	v_cmp_lt_u32_e32 vcc, 12, v0
	s_waitcnt vmcnt(20) lgkmcnt(1)
	v_fma_f64 v[131:132], v[139:140], v[131:132], 0
	s_waitcnt vmcnt(18)
	v_fma_f64 v[131:132], v[141:142], v[133:134], v[131:132]
	buffer_load_dword v140, off, s[0:3], 0 offset:204
	buffer_load_dword v141, off, s[0:3], 0 offset:224
	;; [unrolled: 1-line block ×7, first 2 shown]
	s_waitcnt vmcnt(23) lgkmcnt(0)
	v_fma_f64 v[131:132], v[143:144], v[135:136], v[131:132]
	s_waitcnt vmcnt(21)
	v_fma_f64 v[142:143], v[145:146], v[137:138], v[131:132]
	ds_read_b128 v[131:134], v130 offset:656
	ds_read_b128 v[135:138], v130 offset:672
	s_waitcnt vmcnt(19) lgkmcnt(1)
	v_fma_f64 v[131:132], v[147:148], v[131:132], v[142:143]
	buffer_load_dword v142, off, s[0:3], 0 offset:228
	s_waitcnt vmcnt(18)
	v_fma_f64 v[131:132], v[149:150], v[133:134], v[131:132]
	buffer_load_dword v144, off, s[0:3], 0 offset:236
	buffer_load_dword v145, off, s[0:3], 0 offset:256
	;; [unrolled: 1-line block ×8, first 2 shown]
	s_waitcnt vmcnt(24) lgkmcnt(0)
	v_fma_f64 v[131:132], v[151:152], v[135:136], v[131:132]
	s_waitcnt vmcnt(19)
	v_fma_f64 v[151:152], v[153:154], v[137:138], v[131:132]
	ds_read_b128 v[131:134], v130 offset:688
	ds_read_b128 v[135:138], v130 offset:704
	s_waitcnt vmcnt(18) lgkmcnt(1)
	v_fma_f64 v[131:132], v[159:160], v[131:132], v[151:152]
	s_waitcnt vmcnt(17)
	v_fma_f64 v[131:132], v[157:158], v[133:134], v[131:132]
	buffer_load_dword v152, off, s[0:3], 0 offset:268
	buffer_load_dword v153, off, s[0:3], 0 offset:288
	;; [unrolled: 1-line block ×8, first 2 shown]
	s_waitcnt vmcnt(24) lgkmcnt(0)
	v_fma_f64 v[131:132], v[155:156], v[135:136], v[131:132]
	s_waitcnt vmcnt(19)
	v_fma_f64 v[139:140], v[139:140], v[137:138], v[131:132]
	ds_read_b128 v[131:134], v130 offset:720
	ds_read_b128 v[135:138], v130 offset:736
	s_waitcnt vmcnt(18) lgkmcnt(1)
	v_fma_f64 v[131:132], v[163:164], v[131:132], v[139:140]
	s_waitcnt vmcnt(17)
	v_fma_f64 v[131:132], v[161:162], v[133:134], v[131:132]
	buffer_load_dword v140, off, s[0:3], 0 offset:300
	buffer_load_dword v155, off, s[0:3], 0 offset:320
	;; [unrolled: 1-line block ×7, first 2 shown]
	s_waitcnt vmcnt(23) lgkmcnt(0)
	v_fma_f64 v[131:132], v[141:142], v[135:136], v[131:132]
	s_waitcnt vmcnt(18)
	v_fma_f64 v[141:142], v[143:144], v[137:138], v[131:132]
	ds_read_b128 v[131:134], v130 offset:752
	ds_read_b128 v[135:138], v130 offset:768
	buffer_load_dword v156, off, s[0:3], 0 offset:324
	s_waitcnt vmcnt(18) lgkmcnt(1)
	v_fma_f64 v[131:132], v[149:150], v[131:132], v[141:142]
	s_waitcnt vmcnt(17)
	v_fma_f64 v[131:132], v[147:148], v[133:134], v[131:132]
	buffer_load_dword v142, off, s[0:3], 0 offset:332
	buffer_load_dword v143, off, s[0:3], 0 offset:352
	;; [unrolled: 1-line block ×7, first 2 shown]
	s_waitcnt vmcnt(23) lgkmcnt(0)
	v_fma_f64 v[131:132], v[145:146], v[135:136], v[131:132]
	s_waitcnt vmcnt(18)
	v_fma_f64 v[144:145], v[151:152], v[137:138], v[131:132]
	ds_read_b128 v[131:134], v130 offset:784
	ds_read_b128 v[135:138], v130 offset:800
	s_waitcnt vmcnt(17) lgkmcnt(1)
	v_fma_f64 v[131:132], v[159:160], v[131:132], v[144:145]
	buffer_load_dword v144, off, s[0:3], 0 offset:356
	s_waitcnt vmcnt(17)
	v_fma_f64 v[131:132], v[157:158], v[133:134], v[131:132]
	buffer_load_dword v146, off, s[0:3], 0 offset:364
	buffer_load_dword v151, off, s[0:3], 0 offset:384
	;; [unrolled: 1-line block ×8, first 2 shown]
	s_waitcnt vmcnt(24) lgkmcnt(0)
	v_fma_f64 v[131:132], v[153:154], v[135:136], v[131:132]
	s_waitcnt vmcnt(19)
	v_fma_f64 v[139:140], v[139:140], v[137:138], v[131:132]
	ds_read_b128 v[131:134], v130 offset:816
	ds_read_b128 v[135:138], v130 offset:832
	s_waitcnt vmcnt(18) lgkmcnt(1)
	v_fma_f64 v[131:132], v[163:164], v[131:132], v[139:140]
	s_waitcnt vmcnt(17)
	v_fma_f64 v[131:132], v[161:162], v[133:134], v[131:132]
	buffer_load_dword v140, off, s[0:3], 0 offset:396
	buffer_load_dword v153, off, s[0:3], 0 offset:416
	;; [unrolled: 1-line block ×7, first 2 shown]
	s_waitcnt vmcnt(23) lgkmcnt(0)
	v_fma_f64 v[131:132], v[155:156], v[135:136], v[131:132]
	s_waitcnt vmcnt(18)
	v_fma_f64 v[141:142], v[141:142], v[137:138], v[131:132]
	ds_read_b128 v[131:134], v130 offset:848
	ds_read_b128 v[135:138], v130 offset:864
	buffer_load_dword v154, off, s[0:3], 0 offset:420
	s_waitcnt vmcnt(18) lgkmcnt(1)
	v_fma_f64 v[131:132], v[149:150], v[131:132], v[141:142]
	s_waitcnt vmcnt(17)
	v_fma_f64 v[131:132], v[147:148], v[133:134], v[131:132]
	buffer_load_dword v142, off, s[0:3], 0 offset:428
	buffer_load_dword v147, off, s[0:3], 0 offset:448
	;; [unrolled: 1-line block ×8, first 2 shown]
	s_waitcnt vmcnt(24) lgkmcnt(0)
	v_fma_f64 v[131:132], v[143:144], v[135:136], v[131:132]
	s_waitcnt vmcnt(19)
	v_fma_f64 v[143:144], v[145:146], v[137:138], v[131:132]
	ds_read_b128 v[131:134], v130 offset:880
	ds_read_b128 v[135:138], v130 offset:896
	s_waitcnt vmcnt(18) lgkmcnt(1)
	v_fma_f64 v[131:132], v[159:160], v[131:132], v[143:144]
	s_waitcnt vmcnt(17)
	v_fma_f64 v[131:132], v[157:158], v[133:134], v[131:132]
	buffer_load_dword v144, off, s[0:3], 0 offset:460
	buffer_load_dword v145, off, s[0:3], 0 offset:480
	;; [unrolled: 1-line block ×8, first 2 shown]
	s_waitcnt vmcnt(24) lgkmcnt(0)
	v_fma_f64 v[131:132], v[151:152], v[135:136], v[131:132]
	s_waitcnt vmcnt(19)
	v_fma_f64 v[139:140], v[139:140], v[137:138], v[131:132]
	ds_read_b128 v[131:134], v130 offset:912
	ds_read_b128 v[135:138], v130 offset:928
	s_waitcnt vmcnt(18) lgkmcnt(1)
	v_fma_f64 v[131:132], v[163:164], v[131:132], v[139:140]
	s_waitcnt vmcnt(17)
	v_fma_f64 v[131:132], v[161:162], v[133:134], v[131:132]
	buffer_load_dword v140, off, s[0:3], 0 offset:492
	buffer_load_dword v151, off, s[0:3], 0 offset:504
	;; [unrolled: 1-line block ×6, first 2 shown]
	s_waitcnt vmcnt(22) lgkmcnt(0)
	v_fma_f64 v[131:132], v[153:154], v[135:136], v[131:132]
	s_waitcnt vmcnt(17)
	v_fma_f64 v[141:142], v[141:142], v[137:138], v[131:132]
	ds_read_b128 v[131:134], v130 offset:944
	buffer_load_dword v153, off, s[0:3], 0 offset:104
	buffer_load_dword v154, off, s[0:3], 0 offset:108
	ds_read_b128 v[135:138], v130 offset:960
	s_waitcnt vmcnt(18) lgkmcnt(1)
	v_fma_f64 v[131:132], v[155:156], v[131:132], v[141:142]
	s_waitcnt vmcnt(17)
	v_fma_f64 v[131:132], v[149:150], v[133:134], v[131:132]
	s_waitcnt vmcnt(16) lgkmcnt(0)
	v_fma_f64 v[131:132], v[147:148], v[135:136], v[131:132]
	s_waitcnt vmcnt(11)
	v_fma_f64 v[141:142], v[143:144], v[137:138], v[131:132]
	ds_read_b128 v[131:134], v130 offset:976
	ds_read_b128 v[135:138], v130 offset:992
	s_waitcnt vmcnt(10) lgkmcnt(1)
	v_fma_f64 v[131:132], v[159:160], v[131:132], v[141:142]
	s_waitcnt vmcnt(9)
	v_fma_f64 v[131:132], v[157:158], v[133:134], v[131:132]
	s_waitcnt vmcnt(8) lgkmcnt(0)
	v_fma_f64 v[131:132], v[145:146], v[135:136], v[131:132]
	s_waitcnt vmcnt(4)
	v_fma_f64 v[134:135], v[139:140], v[137:138], v[131:132]
	ds_read_b128 v[130:133], v130 offset:1008
	s_waitcnt vmcnt(3) lgkmcnt(0)
	v_fma_f64 v[130:131], v[161:162], v[130:131], v[134:135]
	s_waitcnt vmcnt(2)
	v_fma_f64 v[130:131], v[151:152], v[132:133], v[130:131]
	s_waitcnt vmcnt(0)
	v_add_f64 v[130:131], v[153:154], -v[130:131]
	buffer_store_dword v131, off, s[0:3], 0 offset:108
	buffer_store_dword v130, off, s[0:3], 0 offset:104
	s_and_saveexec_b64 s[4:5], vcc
	s_cbranch_execz .LBB63_367
; %bb.366:
	buffer_load_dword v130, off, s[0:3], 0 offset:96
	buffer_load_dword v131, off, s[0:3], 0 offset:100
	v_mov_b32_e32 v132, 0
	buffer_store_dword v132, off, s[0:3], 0 offset:96
	buffer_store_dword v132, off, s[0:3], 0 offset:100
	s_waitcnt vmcnt(2)
	ds_write_b64 v129, v[130:131]
.LBB63_367:
	s_or_b64 exec, exec, s[4:5]
	s_waitcnt lgkmcnt(0)
	; wave barrier
	buffer_load_dword v139, off, s[0:3], 0 offset:104
	buffer_load_dword v140, off, s[0:3], 0 offset:108
	;; [unrolled: 1-line block ×22, first 2 shown]
	v_mov_b32_e32 v130, 0
	ds_read2_b64 v[131:134], v130 offset0:77 offset1:78
	ds_read2_b64 v[135:138], v130 offset0:79 offset1:80
	v_cmp_lt_u32_e32 vcc, 11, v0
	s_waitcnt vmcnt(20) lgkmcnt(1)
	v_fma_f64 v[131:132], v[139:140], v[131:132], 0
	s_waitcnt vmcnt(18)
	v_fma_f64 v[131:132], v[141:142], v[133:134], v[131:132]
	buffer_load_dword v140, off, s[0:3], 0 offset:196
	buffer_load_dword v141, off, s[0:3], 0 offset:216
	;; [unrolled: 1-line block ×7, first 2 shown]
	s_waitcnt vmcnt(23) lgkmcnt(0)
	v_fma_f64 v[131:132], v[143:144], v[135:136], v[131:132]
	s_waitcnt vmcnt(21)
	v_fma_f64 v[142:143], v[145:146], v[137:138], v[131:132]
	ds_read2_b64 v[131:134], v130 offset0:81 offset1:82
	ds_read2_b64 v[135:138], v130 offset0:83 offset1:84
	s_waitcnt vmcnt(19) lgkmcnt(1)
	v_fma_f64 v[131:132], v[147:148], v[131:132], v[142:143]
	buffer_load_dword v142, off, s[0:3], 0 offset:220
	s_waitcnt vmcnt(18)
	v_fma_f64 v[131:132], v[149:150], v[133:134], v[131:132]
	buffer_load_dword v144, off, s[0:3], 0 offset:228
	buffer_load_dword v145, off, s[0:3], 0 offset:248
	;; [unrolled: 1-line block ×8, first 2 shown]
	s_waitcnt vmcnt(24) lgkmcnt(0)
	v_fma_f64 v[131:132], v[151:152], v[135:136], v[131:132]
	s_waitcnt vmcnt(19)
	v_fma_f64 v[151:152], v[153:154], v[137:138], v[131:132]
	ds_read2_b64 v[131:134], v130 offset0:85 offset1:86
	ds_read2_b64 v[135:138], v130 offset0:87 offset1:88
	s_waitcnt vmcnt(18) lgkmcnt(1)
	v_fma_f64 v[131:132], v[159:160], v[131:132], v[151:152]
	s_waitcnt vmcnt(17)
	v_fma_f64 v[131:132], v[157:158], v[133:134], v[131:132]
	buffer_load_dword v152, off, s[0:3], 0 offset:260
	buffer_load_dword v153, off, s[0:3], 0 offset:280
	;; [unrolled: 1-line block ×8, first 2 shown]
	s_waitcnt vmcnt(24) lgkmcnt(0)
	v_fma_f64 v[131:132], v[155:156], v[135:136], v[131:132]
	s_waitcnt vmcnt(19)
	v_fma_f64 v[139:140], v[139:140], v[137:138], v[131:132]
	ds_read2_b64 v[131:134], v130 offset0:89 offset1:90
	ds_read2_b64 v[135:138], v130 offset0:91 offset1:92
	s_waitcnt vmcnt(18) lgkmcnt(1)
	v_fma_f64 v[131:132], v[163:164], v[131:132], v[139:140]
	s_waitcnt vmcnt(17)
	v_fma_f64 v[131:132], v[161:162], v[133:134], v[131:132]
	buffer_load_dword v140, off, s[0:3], 0 offset:292
	buffer_load_dword v155, off, s[0:3], 0 offset:312
	;; [unrolled: 1-line block ×7, first 2 shown]
	s_waitcnt vmcnt(23) lgkmcnt(0)
	v_fma_f64 v[131:132], v[141:142], v[135:136], v[131:132]
	s_waitcnt vmcnt(18)
	v_fma_f64 v[141:142], v[143:144], v[137:138], v[131:132]
	ds_read2_b64 v[131:134], v130 offset0:93 offset1:94
	ds_read2_b64 v[135:138], v130 offset0:95 offset1:96
	buffer_load_dword v156, off, s[0:3], 0 offset:316
	s_waitcnt vmcnt(18) lgkmcnt(1)
	v_fma_f64 v[131:132], v[149:150], v[131:132], v[141:142]
	s_waitcnt vmcnt(17)
	v_fma_f64 v[131:132], v[147:148], v[133:134], v[131:132]
	buffer_load_dword v142, off, s[0:3], 0 offset:324
	buffer_load_dword v143, off, s[0:3], 0 offset:344
	;; [unrolled: 1-line block ×7, first 2 shown]
	s_waitcnt vmcnt(23) lgkmcnt(0)
	v_fma_f64 v[131:132], v[145:146], v[135:136], v[131:132]
	s_waitcnt vmcnt(18)
	v_fma_f64 v[144:145], v[151:152], v[137:138], v[131:132]
	ds_read2_b64 v[131:134], v130 offset0:97 offset1:98
	ds_read2_b64 v[135:138], v130 offset0:99 offset1:100
	s_waitcnt vmcnt(17) lgkmcnt(1)
	v_fma_f64 v[131:132], v[159:160], v[131:132], v[144:145]
	buffer_load_dword v144, off, s[0:3], 0 offset:348
	s_waitcnt vmcnt(17)
	v_fma_f64 v[131:132], v[157:158], v[133:134], v[131:132]
	buffer_load_dword v146, off, s[0:3], 0 offset:356
	buffer_load_dword v151, off, s[0:3], 0 offset:376
	;; [unrolled: 1-line block ×8, first 2 shown]
	s_waitcnt vmcnt(24) lgkmcnt(0)
	v_fma_f64 v[131:132], v[153:154], v[135:136], v[131:132]
	s_waitcnt vmcnt(19)
	v_fma_f64 v[139:140], v[139:140], v[137:138], v[131:132]
	ds_read2_b64 v[131:134], v130 offset0:101 offset1:102
	ds_read2_b64 v[135:138], v130 offset0:103 offset1:104
	s_waitcnt vmcnt(18) lgkmcnt(1)
	v_fma_f64 v[131:132], v[163:164], v[131:132], v[139:140]
	s_waitcnt vmcnt(17)
	v_fma_f64 v[131:132], v[161:162], v[133:134], v[131:132]
	buffer_load_dword v140, off, s[0:3], 0 offset:388
	buffer_load_dword v153, off, s[0:3], 0 offset:408
	;; [unrolled: 1-line block ×7, first 2 shown]
	s_waitcnt vmcnt(23) lgkmcnt(0)
	v_fma_f64 v[131:132], v[155:156], v[135:136], v[131:132]
	s_waitcnt vmcnt(18)
	v_fma_f64 v[141:142], v[141:142], v[137:138], v[131:132]
	ds_read2_b64 v[131:134], v130 offset0:105 offset1:106
	ds_read2_b64 v[135:138], v130 offset0:107 offset1:108
	buffer_load_dword v154, off, s[0:3], 0 offset:412
	s_waitcnt vmcnt(18) lgkmcnt(1)
	v_fma_f64 v[131:132], v[149:150], v[131:132], v[141:142]
	s_waitcnt vmcnt(17)
	v_fma_f64 v[131:132], v[147:148], v[133:134], v[131:132]
	buffer_load_dword v142, off, s[0:3], 0 offset:420
	buffer_load_dword v147, off, s[0:3], 0 offset:440
	buffer_load_dword v149, off, s[0:3], 0 offset:432
	buffer_load_dword v155, off, s[0:3], 0 offset:424
	buffer_load_dword v141, off, s[0:3], 0 offset:416
	buffer_load_dword v156, off, s[0:3], 0 offset:428
	buffer_load_dword v150, off, s[0:3], 0 offset:436
	buffer_load_dword v148, off, s[0:3], 0 offset:444
	s_waitcnt vmcnt(24) lgkmcnt(0)
	v_fma_f64 v[131:132], v[143:144], v[135:136], v[131:132]
	s_waitcnt vmcnt(19)
	v_fma_f64 v[143:144], v[145:146], v[137:138], v[131:132]
	ds_read2_b64 v[131:134], v130 offset0:109 offset1:110
	ds_read2_b64 v[135:138], v130 offset0:111 offset1:112
	s_waitcnt vmcnt(18) lgkmcnt(1)
	v_fma_f64 v[131:132], v[159:160], v[131:132], v[143:144]
	s_waitcnt vmcnt(17)
	v_fma_f64 v[131:132], v[157:158], v[133:134], v[131:132]
	buffer_load_dword v144, off, s[0:3], 0 offset:452
	buffer_load_dword v145, off, s[0:3], 0 offset:472
	buffer_load_dword v157, off, s[0:3], 0 offset:464
	buffer_load_dword v159, off, s[0:3], 0 offset:456
	buffer_load_dword v143, off, s[0:3], 0 offset:448
	buffer_load_dword v160, off, s[0:3], 0 offset:460
	buffer_load_dword v158, off, s[0:3], 0 offset:468
	buffer_load_dword v146, off, s[0:3], 0 offset:476
	s_waitcnt vmcnt(24) lgkmcnt(0)
	v_fma_f64 v[131:132], v[151:152], v[135:136], v[131:132]
	s_waitcnt vmcnt(19)
	v_fma_f64 v[139:140], v[139:140], v[137:138], v[131:132]
	ds_read2_b64 v[131:134], v130 offset0:113 offset1:114
	ds_read2_b64 v[135:138], v130 offset0:115 offset1:116
	;; [unrolled: 18-line block ×3, first 2 shown]
	s_waitcnt vmcnt(18) lgkmcnt(1)
	v_fma_f64 v[131:132], v[155:156], v[131:132], v[141:142]
	buffer_load_dword v141, off, s[0:3], 0 offset:96
	buffer_load_dword v142, off, s[0:3], 0 offset:100
	s_waitcnt vmcnt(19)
	v_fma_f64 v[131:132], v[149:150], v[133:134], v[131:132]
	s_waitcnt vmcnt(18) lgkmcnt(0)
	v_fma_f64 v[131:132], v[147:148], v[135:136], v[131:132]
	s_waitcnt vmcnt(13)
	v_fma_f64 v[143:144], v[143:144], v[137:138], v[131:132]
	ds_read2_b64 v[131:134], v130 offset0:121 offset1:122
	ds_read2_b64 v[135:138], v130 offset0:123 offset1:124
	s_waitcnt vmcnt(12) lgkmcnt(1)
	v_fma_f64 v[131:132], v[159:160], v[131:132], v[143:144]
	s_waitcnt vmcnt(11)
	v_fma_f64 v[131:132], v[157:158], v[133:134], v[131:132]
	s_waitcnt vmcnt(10) lgkmcnt(0)
	v_fma_f64 v[131:132], v[145:146], v[135:136], v[131:132]
	s_waitcnt vmcnt(5)
	v_fma_f64 v[135:136], v[139:140], v[137:138], v[131:132]
	ds_read2_b64 v[131:134], v130 offset0:125 offset1:126
	ds_read_b64 v[137:138], v130 offset:1016
	s_waitcnt vmcnt(4) lgkmcnt(1)
	v_fma_f64 v[131:132], v[163:164], v[131:132], v[135:136]
	s_waitcnt vmcnt(3)
	v_fma_f64 v[131:132], v[161:162], v[133:134], v[131:132]
	s_waitcnt vmcnt(2) lgkmcnt(0)
	v_fma_f64 v[131:132], v[151:152], v[137:138], v[131:132]
	s_waitcnt vmcnt(0)
	v_add_f64 v[131:132], v[141:142], -v[131:132]
	buffer_store_dword v132, off, s[0:3], 0 offset:100
	buffer_store_dword v131, off, s[0:3], 0 offset:96
	s_and_saveexec_b64 s[4:5], vcc
	s_cbranch_execz .LBB63_369
; %bb.368:
	buffer_load_dword v131, off, s[0:3], 0 offset:88
	buffer_load_dword v132, off, s[0:3], 0 offset:92
	s_waitcnt vmcnt(0)
	ds_write_b64 v129, v[131:132]
	buffer_store_dword v130, off, s[0:3], 0 offset:88
	buffer_store_dword v130, off, s[0:3], 0 offset:92
.LBB63_369:
	s_or_b64 exec, exec, s[4:5]
	s_waitcnt lgkmcnt(0)
	; wave barrier
	buffer_load_dword v139, off, s[0:3], 0 offset:96
	buffer_load_dword v140, off, s[0:3], 0 offset:100
	;; [unrolled: 1-line block ×22, first 2 shown]
	ds_read_b128 v[131:134], v130 offset:608
	ds_read_b128 v[135:138], v130 offset:624
	v_cmp_lt_u32_e32 vcc, 10, v0
	s_waitcnt vmcnt(20) lgkmcnt(1)
	v_fma_f64 v[131:132], v[139:140], v[131:132], 0
	s_waitcnt vmcnt(18)
	v_fma_f64 v[131:132], v[141:142], v[133:134], v[131:132]
	buffer_load_dword v140, off, s[0:3], 0 offset:188
	buffer_load_dword v141, off, s[0:3], 0 offset:208
	;; [unrolled: 1-line block ×7, first 2 shown]
	s_waitcnt vmcnt(23) lgkmcnt(0)
	v_fma_f64 v[131:132], v[143:144], v[135:136], v[131:132]
	s_waitcnt vmcnt(21)
	v_fma_f64 v[142:143], v[145:146], v[137:138], v[131:132]
	ds_read_b128 v[131:134], v130 offset:640
	ds_read_b128 v[135:138], v130 offset:656
	s_waitcnt vmcnt(19) lgkmcnt(1)
	v_fma_f64 v[131:132], v[147:148], v[131:132], v[142:143]
	buffer_load_dword v142, off, s[0:3], 0 offset:212
	s_waitcnt vmcnt(18)
	v_fma_f64 v[131:132], v[149:150], v[133:134], v[131:132]
	buffer_load_dword v144, off, s[0:3], 0 offset:220
	buffer_load_dword v145, off, s[0:3], 0 offset:240
	;; [unrolled: 1-line block ×8, first 2 shown]
	s_waitcnt vmcnt(24) lgkmcnt(0)
	v_fma_f64 v[131:132], v[151:152], v[135:136], v[131:132]
	s_waitcnt vmcnt(19)
	v_fma_f64 v[151:152], v[153:154], v[137:138], v[131:132]
	ds_read_b128 v[131:134], v130 offset:672
	ds_read_b128 v[135:138], v130 offset:688
	s_waitcnt vmcnt(18) lgkmcnt(1)
	v_fma_f64 v[131:132], v[159:160], v[131:132], v[151:152]
	s_waitcnt vmcnt(17)
	v_fma_f64 v[131:132], v[157:158], v[133:134], v[131:132]
	buffer_load_dword v152, off, s[0:3], 0 offset:252
	buffer_load_dword v153, off, s[0:3], 0 offset:272
	;; [unrolled: 1-line block ×8, first 2 shown]
	s_waitcnt vmcnt(24) lgkmcnt(0)
	v_fma_f64 v[131:132], v[155:156], v[135:136], v[131:132]
	s_waitcnt vmcnt(19)
	v_fma_f64 v[139:140], v[139:140], v[137:138], v[131:132]
	ds_read_b128 v[131:134], v130 offset:704
	ds_read_b128 v[135:138], v130 offset:720
	s_waitcnt vmcnt(18) lgkmcnt(1)
	v_fma_f64 v[131:132], v[163:164], v[131:132], v[139:140]
	s_waitcnt vmcnt(17)
	v_fma_f64 v[131:132], v[161:162], v[133:134], v[131:132]
	buffer_load_dword v140, off, s[0:3], 0 offset:284
	buffer_load_dword v155, off, s[0:3], 0 offset:304
	;; [unrolled: 1-line block ×7, first 2 shown]
	s_waitcnt vmcnt(23) lgkmcnt(0)
	v_fma_f64 v[131:132], v[141:142], v[135:136], v[131:132]
	s_waitcnt vmcnt(18)
	v_fma_f64 v[141:142], v[143:144], v[137:138], v[131:132]
	ds_read_b128 v[131:134], v130 offset:736
	ds_read_b128 v[135:138], v130 offset:752
	buffer_load_dword v156, off, s[0:3], 0 offset:308
	s_waitcnt vmcnt(18) lgkmcnt(1)
	v_fma_f64 v[131:132], v[149:150], v[131:132], v[141:142]
	s_waitcnt vmcnt(17)
	v_fma_f64 v[131:132], v[147:148], v[133:134], v[131:132]
	buffer_load_dword v142, off, s[0:3], 0 offset:316
	buffer_load_dword v143, off, s[0:3], 0 offset:336
	buffer_load_dword v147, off, s[0:3], 0 offset:328
	buffer_load_dword v149, off, s[0:3], 0 offset:320
	buffer_load_dword v141, off, s[0:3], 0 offset:312
	buffer_load_dword v150, off, s[0:3], 0 offset:324
	buffer_load_dword v148, off, s[0:3], 0 offset:332
	s_waitcnt vmcnt(23) lgkmcnt(0)
	v_fma_f64 v[131:132], v[145:146], v[135:136], v[131:132]
	s_waitcnt vmcnt(18)
	v_fma_f64 v[144:145], v[151:152], v[137:138], v[131:132]
	ds_read_b128 v[131:134], v130 offset:768
	ds_read_b128 v[135:138], v130 offset:784
	s_waitcnt vmcnt(17) lgkmcnt(1)
	v_fma_f64 v[131:132], v[159:160], v[131:132], v[144:145]
	buffer_load_dword v144, off, s[0:3], 0 offset:340
	s_waitcnt vmcnt(17)
	v_fma_f64 v[131:132], v[157:158], v[133:134], v[131:132]
	buffer_load_dword v146, off, s[0:3], 0 offset:348
	buffer_load_dword v151, off, s[0:3], 0 offset:368
	;; [unrolled: 1-line block ×8, first 2 shown]
	s_waitcnt vmcnt(24) lgkmcnt(0)
	v_fma_f64 v[131:132], v[153:154], v[135:136], v[131:132]
	s_waitcnt vmcnt(19)
	v_fma_f64 v[139:140], v[139:140], v[137:138], v[131:132]
	ds_read_b128 v[131:134], v130 offset:800
	ds_read_b128 v[135:138], v130 offset:816
	s_waitcnt vmcnt(18) lgkmcnt(1)
	v_fma_f64 v[131:132], v[163:164], v[131:132], v[139:140]
	s_waitcnt vmcnt(17)
	v_fma_f64 v[131:132], v[161:162], v[133:134], v[131:132]
	buffer_load_dword v140, off, s[0:3], 0 offset:380
	buffer_load_dword v153, off, s[0:3], 0 offset:400
	;; [unrolled: 1-line block ×7, first 2 shown]
	s_waitcnt vmcnt(23) lgkmcnt(0)
	v_fma_f64 v[131:132], v[155:156], v[135:136], v[131:132]
	s_waitcnt vmcnt(18)
	v_fma_f64 v[141:142], v[141:142], v[137:138], v[131:132]
	ds_read_b128 v[131:134], v130 offset:832
	ds_read_b128 v[135:138], v130 offset:848
	buffer_load_dword v154, off, s[0:3], 0 offset:404
	s_waitcnt vmcnt(18) lgkmcnt(1)
	v_fma_f64 v[131:132], v[149:150], v[131:132], v[141:142]
	s_waitcnt vmcnt(17)
	v_fma_f64 v[131:132], v[147:148], v[133:134], v[131:132]
	buffer_load_dword v142, off, s[0:3], 0 offset:412
	buffer_load_dword v147, off, s[0:3], 0 offset:432
	buffer_load_dword v149, off, s[0:3], 0 offset:424
	buffer_load_dword v155, off, s[0:3], 0 offset:416
	buffer_load_dword v141, off, s[0:3], 0 offset:408
	buffer_load_dword v156, off, s[0:3], 0 offset:420
	buffer_load_dword v150, off, s[0:3], 0 offset:428
	buffer_load_dword v148, off, s[0:3], 0 offset:436
	s_waitcnt vmcnt(24) lgkmcnt(0)
	v_fma_f64 v[131:132], v[143:144], v[135:136], v[131:132]
	s_waitcnt vmcnt(19)
	v_fma_f64 v[143:144], v[145:146], v[137:138], v[131:132]
	ds_read_b128 v[131:134], v130 offset:864
	ds_read_b128 v[135:138], v130 offset:880
	s_waitcnt vmcnt(18) lgkmcnt(1)
	v_fma_f64 v[131:132], v[159:160], v[131:132], v[143:144]
	s_waitcnt vmcnt(17)
	v_fma_f64 v[131:132], v[157:158], v[133:134], v[131:132]
	buffer_load_dword v144, off, s[0:3], 0 offset:444
	buffer_load_dword v145, off, s[0:3], 0 offset:464
	buffer_load_dword v157, off, s[0:3], 0 offset:456
	buffer_load_dword v159, off, s[0:3], 0 offset:448
	buffer_load_dword v143, off, s[0:3], 0 offset:440
	buffer_load_dword v160, off, s[0:3], 0 offset:452
	buffer_load_dword v158, off, s[0:3], 0 offset:460
	buffer_load_dword v146, off, s[0:3], 0 offset:468
	s_waitcnt vmcnt(24) lgkmcnt(0)
	v_fma_f64 v[131:132], v[151:152], v[135:136], v[131:132]
	s_waitcnt vmcnt(19)
	v_fma_f64 v[139:140], v[139:140], v[137:138], v[131:132]
	ds_read_b128 v[131:134], v130 offset:896
	ds_read_b128 v[135:138], v130 offset:912
	;; [unrolled: 18-line block ×3, first 2 shown]
	s_waitcnt vmcnt(18) lgkmcnt(1)
	v_fma_f64 v[131:132], v[155:156], v[131:132], v[141:142]
	buffer_load_dword v142, off, s[0:3], 0 offset:508
	buffer_load_dword v141, off, s[0:3], 0 offset:504
	s_waitcnt vmcnt(19)
	v_fma_f64 v[131:132], v[149:150], v[133:134], v[131:132]
	buffer_load_dword v149, off, s[0:3], 0 offset:88
	buffer_load_dword v150, off, s[0:3], 0 offset:92
	s_waitcnt vmcnt(20) lgkmcnt(0)
	v_fma_f64 v[131:132], v[147:148], v[135:136], v[131:132]
	s_waitcnt vmcnt(15)
	v_fma_f64 v[143:144], v[143:144], v[137:138], v[131:132]
	ds_read_b128 v[131:134], v130 offset:960
	ds_read_b128 v[135:138], v130 offset:976
	s_waitcnt vmcnt(14) lgkmcnt(1)
	v_fma_f64 v[131:132], v[159:160], v[131:132], v[143:144]
	s_waitcnt vmcnt(13)
	v_fma_f64 v[131:132], v[157:158], v[133:134], v[131:132]
	s_waitcnt vmcnt(12) lgkmcnt(0)
	v_fma_f64 v[131:132], v[145:146], v[135:136], v[131:132]
	s_waitcnt vmcnt(7)
	v_fma_f64 v[139:140], v[139:140], v[137:138], v[131:132]
	ds_read_b128 v[131:134], v130 offset:992
	ds_read_b128 v[135:138], v130 offset:1008
	s_waitcnt vmcnt(6) lgkmcnt(1)
	v_fma_f64 v[130:131], v[163:164], v[131:132], v[139:140]
	s_waitcnt vmcnt(5)
	v_fma_f64 v[130:131], v[161:162], v[133:134], v[130:131]
	s_waitcnt vmcnt(4) lgkmcnt(0)
	v_fma_f64 v[130:131], v[151:152], v[135:136], v[130:131]
	s_waitcnt vmcnt(2)
	v_fma_f64 v[130:131], v[141:142], v[137:138], v[130:131]
	s_waitcnt vmcnt(0)
	v_add_f64 v[130:131], v[149:150], -v[130:131]
	buffer_store_dword v131, off, s[0:3], 0 offset:92
	buffer_store_dword v130, off, s[0:3], 0 offset:88
	s_and_saveexec_b64 s[4:5], vcc
	s_cbranch_execz .LBB63_371
; %bb.370:
	buffer_load_dword v130, off, s[0:3], 0 offset:80
	buffer_load_dword v131, off, s[0:3], 0 offset:84
	v_mov_b32_e32 v132, 0
	buffer_store_dword v132, off, s[0:3], 0 offset:80
	buffer_store_dword v132, off, s[0:3], 0 offset:84
	s_waitcnt vmcnt(2)
	ds_write_b64 v129, v[130:131]
.LBB63_371:
	s_or_b64 exec, exec, s[4:5]
	s_waitcnt lgkmcnt(0)
	; wave barrier
	buffer_load_dword v139, off, s[0:3], 0 offset:88
	buffer_load_dword v140, off, s[0:3], 0 offset:92
	;; [unrolled: 1-line block ×22, first 2 shown]
	v_mov_b32_e32 v130, 0
	ds_read2_b64 v[131:134], v130 offset0:75 offset1:76
	ds_read2_b64 v[135:138], v130 offset0:77 offset1:78
	v_cmp_lt_u32_e32 vcc, 9, v0
	s_waitcnt vmcnt(20) lgkmcnt(1)
	v_fma_f64 v[131:132], v[139:140], v[131:132], 0
	s_waitcnt vmcnt(18)
	v_fma_f64 v[131:132], v[141:142], v[133:134], v[131:132]
	buffer_load_dword v140, off, s[0:3], 0 offset:180
	buffer_load_dword v141, off, s[0:3], 0 offset:200
	;; [unrolled: 1-line block ×7, first 2 shown]
	s_waitcnt vmcnt(23) lgkmcnt(0)
	v_fma_f64 v[131:132], v[143:144], v[135:136], v[131:132]
	s_waitcnt vmcnt(21)
	v_fma_f64 v[142:143], v[145:146], v[137:138], v[131:132]
	ds_read2_b64 v[131:134], v130 offset0:79 offset1:80
	ds_read2_b64 v[135:138], v130 offset0:81 offset1:82
	s_waitcnt vmcnt(19) lgkmcnt(1)
	v_fma_f64 v[131:132], v[147:148], v[131:132], v[142:143]
	buffer_load_dword v142, off, s[0:3], 0 offset:204
	s_waitcnt vmcnt(18)
	v_fma_f64 v[131:132], v[149:150], v[133:134], v[131:132]
	buffer_load_dword v144, off, s[0:3], 0 offset:212
	buffer_load_dword v145, off, s[0:3], 0 offset:232
	;; [unrolled: 1-line block ×7, first 2 shown]
	s_waitcnt vmcnt(23) lgkmcnt(0)
	v_fma_f64 v[131:132], v[151:152], v[135:136], v[131:132]
	s_waitcnt vmcnt(18)
	v_fma_f64 v[151:152], v[153:154], v[137:138], v[131:132]
	ds_read2_b64 v[131:134], v130 offset0:83 offset1:84
	ds_read2_b64 v[135:138], v130 offset0:85 offset1:86
	buffer_load_dword v146, off, s[0:3], 0 offset:236
	s_waitcnt vmcnt(18) lgkmcnt(1)
	v_fma_f64 v[131:132], v[159:160], v[131:132], v[151:152]
	s_waitcnt vmcnt(17)
	v_fma_f64 v[131:132], v[157:158], v[133:134], v[131:132]
	buffer_load_dword v152, off, s[0:3], 0 offset:244
	buffer_load_dword v153, off, s[0:3], 0 offset:264
	;; [unrolled: 1-line block ×8, first 2 shown]
	s_waitcnt vmcnt(24) lgkmcnt(0)
	v_fma_f64 v[131:132], v[155:156], v[135:136], v[131:132]
	s_waitcnt vmcnt(19)
	v_fma_f64 v[139:140], v[139:140], v[137:138], v[131:132]
	ds_read2_b64 v[131:134], v130 offset0:87 offset1:88
	ds_read2_b64 v[135:138], v130 offset0:89 offset1:90
	s_waitcnt vmcnt(18) lgkmcnt(1)
	v_fma_f64 v[131:132], v[163:164], v[131:132], v[139:140]
	s_waitcnt vmcnt(17)
	v_fma_f64 v[131:132], v[161:162], v[133:134], v[131:132]
	buffer_load_dword v140, off, s[0:3], 0 offset:276
	buffer_load_dword v155, off, s[0:3], 0 offset:296
	;; [unrolled: 1-line block ×7, first 2 shown]
	s_waitcnt vmcnt(23) lgkmcnt(0)
	v_fma_f64 v[131:132], v[141:142], v[135:136], v[131:132]
	s_waitcnt vmcnt(18)
	v_fma_f64 v[141:142], v[143:144], v[137:138], v[131:132]
	ds_read2_b64 v[131:134], v130 offset0:91 offset1:92
	ds_read2_b64 v[135:138], v130 offset0:93 offset1:94
	buffer_load_dword v156, off, s[0:3], 0 offset:300
	s_waitcnt vmcnt(18) lgkmcnt(1)
	v_fma_f64 v[131:132], v[149:150], v[131:132], v[141:142]
	s_waitcnt vmcnt(17)
	v_fma_f64 v[131:132], v[147:148], v[133:134], v[131:132]
	buffer_load_dword v142, off, s[0:3], 0 offset:308
	buffer_load_dword v143, off, s[0:3], 0 offset:328
	;; [unrolled: 1-line block ×7, first 2 shown]
	s_waitcnt vmcnt(23) lgkmcnt(0)
	v_fma_f64 v[131:132], v[145:146], v[135:136], v[131:132]
	s_waitcnt vmcnt(18)
	v_fma_f64 v[144:145], v[151:152], v[137:138], v[131:132]
	ds_read2_b64 v[131:134], v130 offset0:95 offset1:96
	ds_read2_b64 v[135:138], v130 offset0:97 offset1:98
	s_waitcnt vmcnt(17) lgkmcnt(1)
	v_fma_f64 v[131:132], v[159:160], v[131:132], v[144:145]
	buffer_load_dword v144, off, s[0:3], 0 offset:332
	s_waitcnt vmcnt(17)
	v_fma_f64 v[131:132], v[157:158], v[133:134], v[131:132]
	buffer_load_dword v146, off, s[0:3], 0 offset:340
	buffer_load_dword v151, off, s[0:3], 0 offset:360
	;; [unrolled: 1-line block ×8, first 2 shown]
	s_waitcnt vmcnt(24) lgkmcnt(0)
	v_fma_f64 v[131:132], v[153:154], v[135:136], v[131:132]
	s_waitcnt vmcnt(19)
	v_fma_f64 v[139:140], v[139:140], v[137:138], v[131:132]
	ds_read2_b64 v[131:134], v130 offset0:99 offset1:100
	ds_read2_b64 v[135:138], v130 offset0:101 offset1:102
	s_waitcnt vmcnt(18) lgkmcnt(1)
	v_fma_f64 v[131:132], v[163:164], v[131:132], v[139:140]
	s_waitcnt vmcnt(17)
	v_fma_f64 v[131:132], v[161:162], v[133:134], v[131:132]
	buffer_load_dword v140, off, s[0:3], 0 offset:372
	buffer_load_dword v153, off, s[0:3], 0 offset:392
	;; [unrolled: 1-line block ×7, first 2 shown]
	s_waitcnt vmcnt(23) lgkmcnt(0)
	v_fma_f64 v[131:132], v[155:156], v[135:136], v[131:132]
	s_waitcnt vmcnt(18)
	v_fma_f64 v[141:142], v[141:142], v[137:138], v[131:132]
	ds_read2_b64 v[131:134], v130 offset0:103 offset1:104
	ds_read2_b64 v[135:138], v130 offset0:105 offset1:106
	buffer_load_dword v154, off, s[0:3], 0 offset:396
	s_waitcnt vmcnt(18) lgkmcnt(1)
	v_fma_f64 v[131:132], v[149:150], v[131:132], v[141:142]
	s_waitcnt vmcnt(17)
	v_fma_f64 v[131:132], v[147:148], v[133:134], v[131:132]
	buffer_load_dword v142, off, s[0:3], 0 offset:404
	buffer_load_dword v147, off, s[0:3], 0 offset:424
	buffer_load_dword v149, off, s[0:3], 0 offset:416
	buffer_load_dword v155, off, s[0:3], 0 offset:408
	buffer_load_dword v141, off, s[0:3], 0 offset:400
	buffer_load_dword v156, off, s[0:3], 0 offset:412
	buffer_load_dword v150, off, s[0:3], 0 offset:420
	s_waitcnt vmcnt(23) lgkmcnt(0)
	v_fma_f64 v[131:132], v[143:144], v[135:136], v[131:132]
	s_waitcnt vmcnt(18)
	v_fma_f64 v[143:144], v[145:146], v[137:138], v[131:132]
	ds_read2_b64 v[131:134], v130 offset0:107 offset1:108
	ds_read2_b64 v[135:138], v130 offset0:109 offset1:110
	buffer_load_dword v148, off, s[0:3], 0 offset:428
	s_waitcnt vmcnt(18) lgkmcnt(1)
	v_fma_f64 v[131:132], v[159:160], v[131:132], v[143:144]
	s_waitcnt vmcnt(17)
	v_fma_f64 v[131:132], v[157:158], v[133:134], v[131:132]
	buffer_load_dword v144, off, s[0:3], 0 offset:436
	buffer_load_dword v145, off, s[0:3], 0 offset:456
	;; [unrolled: 1-line block ×8, first 2 shown]
	s_waitcnt vmcnt(24) lgkmcnt(0)
	v_fma_f64 v[131:132], v[151:152], v[135:136], v[131:132]
	s_waitcnt vmcnt(19)
	v_fma_f64 v[139:140], v[139:140], v[137:138], v[131:132]
	ds_read2_b64 v[131:134], v130 offset0:111 offset1:112
	ds_read2_b64 v[135:138], v130 offset0:113 offset1:114
	s_waitcnt vmcnt(18) lgkmcnt(1)
	v_fma_f64 v[131:132], v[163:164], v[131:132], v[139:140]
	s_waitcnt vmcnt(17)
	v_fma_f64 v[131:132], v[161:162], v[133:134], v[131:132]
	buffer_load_dword v140, off, s[0:3], 0 offset:468
	buffer_load_dword v151, off, s[0:3], 0 offset:488
	;; [unrolled: 1-line block ×7, first 2 shown]
	s_waitcnt vmcnt(23) lgkmcnt(0)
	v_fma_f64 v[131:132], v[153:154], v[135:136], v[131:132]
	s_waitcnt vmcnt(18)
	v_fma_f64 v[141:142], v[141:142], v[137:138], v[131:132]
	ds_read2_b64 v[131:134], v130 offset0:115 offset1:116
	ds_read2_b64 v[135:138], v130 offset0:117 offset1:118
	buffer_load_dword v152, off, s[0:3], 0 offset:492
	s_waitcnt vmcnt(18) lgkmcnt(1)
	v_fma_f64 v[131:132], v[155:156], v[131:132], v[141:142]
	s_waitcnt vmcnt(17)
	v_fma_f64 v[131:132], v[149:150], v[133:134], v[131:132]
	buffer_load_dword v142, off, s[0:3], 0 offset:500
	buffer_load_dword v149, off, s[0:3], 0 offset:504
	;; [unrolled: 1-line block ×4, first 2 shown]
	s_waitcnt vmcnt(20) lgkmcnt(0)
	v_fma_f64 v[131:132], v[147:148], v[135:136], v[131:132]
	buffer_load_dword v147, off, s[0:3], 0 offset:80
	buffer_load_dword v148, off, s[0:3], 0 offset:84
	s_waitcnt vmcnt(17)
	v_fma_f64 v[143:144], v[143:144], v[137:138], v[131:132]
	ds_read2_b64 v[131:134], v130 offset0:119 offset1:120
	ds_read2_b64 v[135:138], v130 offset0:121 offset1:122
	s_waitcnt vmcnt(16) lgkmcnt(1)
	v_fma_f64 v[131:132], v[159:160], v[131:132], v[143:144]
	s_waitcnt vmcnt(15)
	v_fma_f64 v[131:132], v[157:158], v[133:134], v[131:132]
	s_waitcnt vmcnt(14) lgkmcnt(0)
	v_fma_f64 v[131:132], v[145:146], v[135:136], v[131:132]
	s_waitcnt vmcnt(9)
	v_fma_f64 v[139:140], v[139:140], v[137:138], v[131:132]
	ds_read2_b64 v[131:134], v130 offset0:123 offset1:124
	ds_read2_b64 v[135:138], v130 offset0:125 offset1:126
	s_waitcnt vmcnt(8) lgkmcnt(1)
	v_fma_f64 v[131:132], v[163:164], v[131:132], v[139:140]
	s_waitcnt vmcnt(7)
	v_fma_f64 v[131:132], v[161:162], v[133:134], v[131:132]
	ds_read_b64 v[133:134], v130 offset:1016
	s_waitcnt vmcnt(6) lgkmcnt(1)
	v_fma_f64 v[131:132], v[151:152], v[135:136], v[131:132]
	s_waitcnt vmcnt(3)
	v_fma_f64 v[131:132], v[141:142], v[137:138], v[131:132]
	s_waitcnt vmcnt(2) lgkmcnt(0)
	v_fma_f64 v[131:132], v[149:150], v[133:134], v[131:132]
	s_waitcnt vmcnt(0)
	v_add_f64 v[131:132], v[147:148], -v[131:132]
	buffer_store_dword v132, off, s[0:3], 0 offset:84
	buffer_store_dword v131, off, s[0:3], 0 offset:80
	s_and_saveexec_b64 s[4:5], vcc
	s_cbranch_execz .LBB63_373
; %bb.372:
	buffer_load_dword v131, off, s[0:3], 0 offset:72
	buffer_load_dword v132, off, s[0:3], 0 offset:76
	s_waitcnt vmcnt(0)
	ds_write_b64 v129, v[131:132]
	buffer_store_dword v130, off, s[0:3], 0 offset:72
	buffer_store_dword v130, off, s[0:3], 0 offset:76
.LBB63_373:
	s_or_b64 exec, exec, s[4:5]
	s_waitcnt lgkmcnt(0)
	; wave barrier
	buffer_load_dword v139, off, s[0:3], 0 offset:80
	buffer_load_dword v140, off, s[0:3], 0 offset:84
	;; [unrolled: 1-line block ×22, first 2 shown]
	ds_read_b128 v[131:134], v130 offset:592
	ds_read_b128 v[135:138], v130 offset:608
	v_cmp_lt_u32_e32 vcc, 8, v0
	s_waitcnt vmcnt(20) lgkmcnt(1)
	v_fma_f64 v[131:132], v[139:140], v[131:132], 0
	s_waitcnt vmcnt(18)
	v_fma_f64 v[131:132], v[141:142], v[133:134], v[131:132]
	buffer_load_dword v140, off, s[0:3], 0 offset:172
	buffer_load_dword v141, off, s[0:3], 0 offset:192
	;; [unrolled: 1-line block ×7, first 2 shown]
	s_waitcnt vmcnt(23) lgkmcnt(0)
	v_fma_f64 v[131:132], v[143:144], v[135:136], v[131:132]
	s_waitcnt vmcnt(21)
	v_fma_f64 v[142:143], v[145:146], v[137:138], v[131:132]
	ds_read_b128 v[131:134], v130 offset:624
	ds_read_b128 v[135:138], v130 offset:640
	s_waitcnt vmcnt(19) lgkmcnt(1)
	v_fma_f64 v[131:132], v[147:148], v[131:132], v[142:143]
	buffer_load_dword v142, off, s[0:3], 0 offset:196
	s_waitcnt vmcnt(18)
	v_fma_f64 v[131:132], v[149:150], v[133:134], v[131:132]
	buffer_load_dword v144, off, s[0:3], 0 offset:204
	buffer_load_dword v145, off, s[0:3], 0 offset:224
	;; [unrolled: 1-line block ×7, first 2 shown]
	s_waitcnt vmcnt(23) lgkmcnt(0)
	v_fma_f64 v[131:132], v[151:152], v[135:136], v[131:132]
	s_waitcnt vmcnt(18)
	v_fma_f64 v[151:152], v[153:154], v[137:138], v[131:132]
	ds_read_b128 v[131:134], v130 offset:656
	ds_read_b128 v[135:138], v130 offset:672
	buffer_load_dword v146, off, s[0:3], 0 offset:228
	s_waitcnt vmcnt(18) lgkmcnt(1)
	v_fma_f64 v[131:132], v[159:160], v[131:132], v[151:152]
	s_waitcnt vmcnt(17)
	v_fma_f64 v[131:132], v[157:158], v[133:134], v[131:132]
	buffer_load_dword v152, off, s[0:3], 0 offset:236
	buffer_load_dword v153, off, s[0:3], 0 offset:256
	;; [unrolled: 1-line block ×8, first 2 shown]
	s_waitcnt vmcnt(24) lgkmcnt(0)
	v_fma_f64 v[131:132], v[155:156], v[135:136], v[131:132]
	s_waitcnt vmcnt(19)
	v_fma_f64 v[139:140], v[139:140], v[137:138], v[131:132]
	ds_read_b128 v[131:134], v130 offset:688
	ds_read_b128 v[135:138], v130 offset:704
	s_waitcnt vmcnt(18) lgkmcnt(1)
	v_fma_f64 v[131:132], v[163:164], v[131:132], v[139:140]
	s_waitcnt vmcnt(17)
	v_fma_f64 v[131:132], v[161:162], v[133:134], v[131:132]
	buffer_load_dword v140, off, s[0:3], 0 offset:268
	buffer_load_dword v155, off, s[0:3], 0 offset:288
	;; [unrolled: 1-line block ×8, first 2 shown]
	s_waitcnt vmcnt(24) lgkmcnt(0)
	v_fma_f64 v[131:132], v[141:142], v[135:136], v[131:132]
	s_waitcnt vmcnt(19)
	v_fma_f64 v[141:142], v[143:144], v[137:138], v[131:132]
	ds_read_b128 v[131:134], v130 offset:720
	ds_read_b128 v[135:138], v130 offset:736
	s_waitcnt vmcnt(18) lgkmcnt(1)
	v_fma_f64 v[131:132], v[149:150], v[131:132], v[141:142]
	s_waitcnt vmcnt(17)
	v_fma_f64 v[131:132], v[147:148], v[133:134], v[131:132]
	buffer_load_dword v142, off, s[0:3], 0 offset:300
	buffer_load_dword v143, off, s[0:3], 0 offset:320
	;; [unrolled: 1-line block ×7, first 2 shown]
	s_waitcnt vmcnt(23) lgkmcnt(0)
	v_fma_f64 v[131:132], v[145:146], v[135:136], v[131:132]
	s_waitcnt vmcnt(18)
	v_fma_f64 v[144:145], v[151:152], v[137:138], v[131:132]
	ds_read_b128 v[131:134], v130 offset:752
	ds_read_b128 v[135:138], v130 offset:768
	s_waitcnt vmcnt(17) lgkmcnt(1)
	v_fma_f64 v[131:132], v[159:160], v[131:132], v[144:145]
	buffer_load_dword v144, off, s[0:3], 0 offset:324
	s_waitcnt vmcnt(17)
	v_fma_f64 v[131:132], v[157:158], v[133:134], v[131:132]
	buffer_load_dword v146, off, s[0:3], 0 offset:332
	buffer_load_dword v151, off, s[0:3], 0 offset:352
	;; [unrolled: 1-line block ×8, first 2 shown]
	s_waitcnt vmcnt(24) lgkmcnt(0)
	v_fma_f64 v[131:132], v[153:154], v[135:136], v[131:132]
	s_waitcnt vmcnt(19)
	v_fma_f64 v[139:140], v[139:140], v[137:138], v[131:132]
	ds_read_b128 v[131:134], v130 offset:784
	ds_read_b128 v[135:138], v130 offset:800
	s_waitcnt vmcnt(18) lgkmcnt(1)
	v_fma_f64 v[131:132], v[163:164], v[131:132], v[139:140]
	s_waitcnt vmcnt(17)
	v_fma_f64 v[131:132], v[161:162], v[133:134], v[131:132]
	buffer_load_dword v140, off, s[0:3], 0 offset:364
	buffer_load_dword v153, off, s[0:3], 0 offset:384
	;; [unrolled: 1-line block ×8, first 2 shown]
	s_waitcnt vmcnt(24) lgkmcnt(0)
	v_fma_f64 v[131:132], v[155:156], v[135:136], v[131:132]
	s_waitcnt vmcnt(19)
	v_fma_f64 v[141:142], v[141:142], v[137:138], v[131:132]
	ds_read_b128 v[131:134], v130 offset:816
	ds_read_b128 v[135:138], v130 offset:832
	s_waitcnt vmcnt(18) lgkmcnt(1)
	v_fma_f64 v[131:132], v[149:150], v[131:132], v[141:142]
	s_waitcnt vmcnt(17)
	v_fma_f64 v[131:132], v[147:148], v[133:134], v[131:132]
	buffer_load_dword v142, off, s[0:3], 0 offset:396
	buffer_load_dword v147, off, s[0:3], 0 offset:416
	;; [unrolled: 1-line block ×7, first 2 shown]
	s_waitcnt vmcnt(23) lgkmcnt(0)
	v_fma_f64 v[131:132], v[143:144], v[135:136], v[131:132]
	s_waitcnt vmcnt(18)
	v_fma_f64 v[143:144], v[145:146], v[137:138], v[131:132]
	ds_read_b128 v[131:134], v130 offset:848
	ds_read_b128 v[135:138], v130 offset:864
	buffer_load_dword v148, off, s[0:3], 0 offset:420
	s_waitcnt vmcnt(18) lgkmcnt(1)
	v_fma_f64 v[131:132], v[159:160], v[131:132], v[143:144]
	s_waitcnt vmcnt(17)
	v_fma_f64 v[131:132], v[157:158], v[133:134], v[131:132]
	buffer_load_dword v144, off, s[0:3], 0 offset:428
	buffer_load_dword v145, off, s[0:3], 0 offset:448
	;; [unrolled: 1-line block ×8, first 2 shown]
	s_waitcnt vmcnt(24) lgkmcnt(0)
	v_fma_f64 v[131:132], v[151:152], v[135:136], v[131:132]
	s_waitcnt vmcnt(19)
	v_fma_f64 v[139:140], v[139:140], v[137:138], v[131:132]
	ds_read_b128 v[131:134], v130 offset:880
	ds_read_b128 v[135:138], v130 offset:896
	s_waitcnt vmcnt(18) lgkmcnt(1)
	v_fma_f64 v[131:132], v[163:164], v[131:132], v[139:140]
	s_waitcnt vmcnt(17)
	v_fma_f64 v[131:132], v[161:162], v[133:134], v[131:132]
	buffer_load_dword v140, off, s[0:3], 0 offset:460
	buffer_load_dword v151, off, s[0:3], 0 offset:480
	;; [unrolled: 1-line block ×8, first 2 shown]
	s_waitcnt vmcnt(24) lgkmcnt(0)
	v_fma_f64 v[131:132], v[153:154], v[135:136], v[131:132]
	s_waitcnt vmcnt(19)
	v_fma_f64 v[141:142], v[141:142], v[137:138], v[131:132]
	ds_read_b128 v[131:134], v130 offset:912
	ds_read_b128 v[135:138], v130 offset:928
	s_waitcnt vmcnt(18) lgkmcnt(1)
	v_fma_f64 v[131:132], v[155:156], v[131:132], v[141:142]
	s_waitcnt vmcnt(17)
	v_fma_f64 v[131:132], v[149:150], v[133:134], v[131:132]
	buffer_load_dword v142, off, s[0:3], 0 offset:492
	buffer_load_dword v149, off, s[0:3], 0 offset:504
	;; [unrolled: 1-line block ×6, first 2 shown]
	s_waitcnt vmcnt(22) lgkmcnt(0)
	v_fma_f64 v[131:132], v[147:148], v[135:136], v[131:132]
	s_waitcnt vmcnt(17)
	v_fma_f64 v[143:144], v[143:144], v[137:138], v[131:132]
	ds_read_b128 v[131:134], v130 offset:944
	buffer_load_dword v147, off, s[0:3], 0 offset:72
	buffer_load_dword v148, off, s[0:3], 0 offset:76
	ds_read_b128 v[135:138], v130 offset:960
	s_waitcnt vmcnt(18) lgkmcnt(1)
	v_fma_f64 v[131:132], v[159:160], v[131:132], v[143:144]
	s_waitcnt vmcnt(17)
	v_fma_f64 v[131:132], v[157:158], v[133:134], v[131:132]
	s_waitcnt vmcnt(16) lgkmcnt(0)
	v_fma_f64 v[131:132], v[145:146], v[135:136], v[131:132]
	s_waitcnt vmcnt(11)
	v_fma_f64 v[139:140], v[139:140], v[137:138], v[131:132]
	ds_read_b128 v[131:134], v130 offset:976
	ds_read_b128 v[135:138], v130 offset:992
	s_waitcnt vmcnt(10) lgkmcnt(1)
	v_fma_f64 v[131:132], v[163:164], v[131:132], v[139:140]
	s_waitcnt vmcnt(9)
	v_fma_f64 v[131:132], v[161:162], v[133:134], v[131:132]
	s_waitcnt vmcnt(8) lgkmcnt(0)
	v_fma_f64 v[131:132], v[151:152], v[135:136], v[131:132]
	s_waitcnt vmcnt(4)
	v_fma_f64 v[134:135], v[141:142], v[137:138], v[131:132]
	ds_read_b128 v[130:133], v130 offset:1008
	s_waitcnt vmcnt(3) lgkmcnt(0)
	v_fma_f64 v[130:131], v[153:154], v[130:131], v[134:135]
	s_waitcnt vmcnt(2)
	v_fma_f64 v[130:131], v[149:150], v[132:133], v[130:131]
	s_waitcnt vmcnt(0)
	v_add_f64 v[130:131], v[147:148], -v[130:131]
	buffer_store_dword v131, off, s[0:3], 0 offset:76
	buffer_store_dword v130, off, s[0:3], 0 offset:72
	s_and_saveexec_b64 s[4:5], vcc
	s_cbranch_execz .LBB63_375
; %bb.374:
	buffer_load_dword v130, off, s[0:3], 0 offset:64
	buffer_load_dword v131, off, s[0:3], 0 offset:68
	v_mov_b32_e32 v132, 0
	buffer_store_dword v132, off, s[0:3], 0 offset:64
	buffer_store_dword v132, off, s[0:3], 0 offset:68
	s_waitcnt vmcnt(2)
	ds_write_b64 v129, v[130:131]
.LBB63_375:
	s_or_b64 exec, exec, s[4:5]
	s_waitcnt lgkmcnt(0)
	; wave barrier
	buffer_load_dword v139, off, s[0:3], 0 offset:72
	buffer_load_dword v140, off, s[0:3], 0 offset:76
	;; [unrolled: 1-line block ×22, first 2 shown]
	v_mov_b32_e32 v130, 0
	ds_read2_b64 v[131:134], v130 offset0:73 offset1:74
	ds_read2_b64 v[135:138], v130 offset0:75 offset1:76
	v_cmp_lt_u32_e32 vcc, 7, v0
	s_waitcnt vmcnt(20) lgkmcnt(1)
	v_fma_f64 v[131:132], v[139:140], v[131:132], 0
	s_waitcnt vmcnt(18)
	v_fma_f64 v[131:132], v[141:142], v[133:134], v[131:132]
	buffer_load_dword v140, off, s[0:3], 0 offset:164
	buffer_load_dword v141, off, s[0:3], 0 offset:184
	;; [unrolled: 1-line block ×7, first 2 shown]
	s_waitcnt vmcnt(23) lgkmcnt(0)
	v_fma_f64 v[131:132], v[143:144], v[135:136], v[131:132]
	s_waitcnt vmcnt(21)
	v_fma_f64 v[142:143], v[145:146], v[137:138], v[131:132]
	ds_read2_b64 v[131:134], v130 offset0:77 offset1:78
	ds_read2_b64 v[135:138], v130 offset0:79 offset1:80
	s_waitcnt vmcnt(19) lgkmcnt(1)
	v_fma_f64 v[131:132], v[147:148], v[131:132], v[142:143]
	buffer_load_dword v142, off, s[0:3], 0 offset:188
	s_waitcnt vmcnt(18)
	v_fma_f64 v[131:132], v[149:150], v[133:134], v[131:132]
	buffer_load_dword v144, off, s[0:3], 0 offset:196
	buffer_load_dword v145, off, s[0:3], 0 offset:216
	;; [unrolled: 1-line block ×7, first 2 shown]
	s_waitcnt vmcnt(23) lgkmcnt(0)
	v_fma_f64 v[131:132], v[151:152], v[135:136], v[131:132]
	s_waitcnt vmcnt(18)
	v_fma_f64 v[151:152], v[153:154], v[137:138], v[131:132]
	ds_read2_b64 v[131:134], v130 offset0:81 offset1:82
	ds_read2_b64 v[135:138], v130 offset0:83 offset1:84
	buffer_load_dword v146, off, s[0:3], 0 offset:220
	s_waitcnt vmcnt(18) lgkmcnt(1)
	v_fma_f64 v[131:132], v[159:160], v[131:132], v[151:152]
	s_waitcnt vmcnt(17)
	v_fma_f64 v[131:132], v[157:158], v[133:134], v[131:132]
	buffer_load_dword v152, off, s[0:3], 0 offset:228
	buffer_load_dword v153, off, s[0:3], 0 offset:248
	;; [unrolled: 1-line block ×8, first 2 shown]
	s_waitcnt vmcnt(24) lgkmcnt(0)
	v_fma_f64 v[131:132], v[155:156], v[135:136], v[131:132]
	s_waitcnt vmcnt(19)
	v_fma_f64 v[139:140], v[139:140], v[137:138], v[131:132]
	ds_read2_b64 v[131:134], v130 offset0:85 offset1:86
	ds_read2_b64 v[135:138], v130 offset0:87 offset1:88
	s_waitcnt vmcnt(18) lgkmcnt(1)
	v_fma_f64 v[131:132], v[163:164], v[131:132], v[139:140]
	s_waitcnt vmcnt(17)
	v_fma_f64 v[131:132], v[161:162], v[133:134], v[131:132]
	buffer_load_dword v140, off, s[0:3], 0 offset:260
	buffer_load_dword v155, off, s[0:3], 0 offset:280
	;; [unrolled: 1-line block ×8, first 2 shown]
	s_waitcnt vmcnt(24) lgkmcnt(0)
	v_fma_f64 v[131:132], v[141:142], v[135:136], v[131:132]
	s_waitcnt vmcnt(19)
	v_fma_f64 v[141:142], v[143:144], v[137:138], v[131:132]
	ds_read2_b64 v[131:134], v130 offset0:89 offset1:90
	ds_read2_b64 v[135:138], v130 offset0:91 offset1:92
	s_waitcnt vmcnt(18) lgkmcnt(1)
	v_fma_f64 v[131:132], v[149:150], v[131:132], v[141:142]
	s_waitcnt vmcnt(17)
	v_fma_f64 v[131:132], v[147:148], v[133:134], v[131:132]
	buffer_load_dword v142, off, s[0:3], 0 offset:292
	buffer_load_dword v143, off, s[0:3], 0 offset:312
	;; [unrolled: 1-line block ×7, first 2 shown]
	s_waitcnt vmcnt(23) lgkmcnt(0)
	v_fma_f64 v[131:132], v[145:146], v[135:136], v[131:132]
	s_waitcnt vmcnt(18)
	v_fma_f64 v[144:145], v[151:152], v[137:138], v[131:132]
	ds_read2_b64 v[131:134], v130 offset0:93 offset1:94
	ds_read2_b64 v[135:138], v130 offset0:95 offset1:96
	s_waitcnt vmcnt(17) lgkmcnt(1)
	v_fma_f64 v[131:132], v[159:160], v[131:132], v[144:145]
	buffer_load_dword v144, off, s[0:3], 0 offset:316
	s_waitcnt vmcnt(17)
	v_fma_f64 v[131:132], v[157:158], v[133:134], v[131:132]
	buffer_load_dword v146, off, s[0:3], 0 offset:324
	buffer_load_dword v151, off, s[0:3], 0 offset:344
	;; [unrolled: 1-line block ×8, first 2 shown]
	s_waitcnt vmcnt(24) lgkmcnt(0)
	v_fma_f64 v[131:132], v[153:154], v[135:136], v[131:132]
	s_waitcnt vmcnt(19)
	v_fma_f64 v[139:140], v[139:140], v[137:138], v[131:132]
	ds_read2_b64 v[131:134], v130 offset0:97 offset1:98
	ds_read2_b64 v[135:138], v130 offset0:99 offset1:100
	s_waitcnt vmcnt(18) lgkmcnt(1)
	v_fma_f64 v[131:132], v[163:164], v[131:132], v[139:140]
	s_waitcnt vmcnt(17)
	v_fma_f64 v[131:132], v[161:162], v[133:134], v[131:132]
	buffer_load_dword v140, off, s[0:3], 0 offset:356
	buffer_load_dword v153, off, s[0:3], 0 offset:376
	;; [unrolled: 1-line block ×8, first 2 shown]
	s_waitcnt vmcnt(24) lgkmcnt(0)
	v_fma_f64 v[131:132], v[155:156], v[135:136], v[131:132]
	s_waitcnt vmcnt(19)
	v_fma_f64 v[141:142], v[141:142], v[137:138], v[131:132]
	ds_read2_b64 v[131:134], v130 offset0:101 offset1:102
	ds_read2_b64 v[135:138], v130 offset0:103 offset1:104
	s_waitcnt vmcnt(18) lgkmcnt(1)
	v_fma_f64 v[131:132], v[149:150], v[131:132], v[141:142]
	s_waitcnt vmcnt(17)
	v_fma_f64 v[131:132], v[147:148], v[133:134], v[131:132]
	buffer_load_dword v142, off, s[0:3], 0 offset:388
	buffer_load_dword v147, off, s[0:3], 0 offset:408
	;; [unrolled: 1-line block ×7, first 2 shown]
	s_waitcnt vmcnt(23) lgkmcnt(0)
	v_fma_f64 v[131:132], v[143:144], v[135:136], v[131:132]
	s_waitcnt vmcnt(18)
	v_fma_f64 v[143:144], v[145:146], v[137:138], v[131:132]
	ds_read2_b64 v[131:134], v130 offset0:105 offset1:106
	ds_read2_b64 v[135:138], v130 offset0:107 offset1:108
	buffer_load_dword v148, off, s[0:3], 0 offset:412
	s_waitcnt vmcnt(18) lgkmcnt(1)
	v_fma_f64 v[131:132], v[159:160], v[131:132], v[143:144]
	s_waitcnt vmcnt(17)
	v_fma_f64 v[131:132], v[157:158], v[133:134], v[131:132]
	buffer_load_dword v144, off, s[0:3], 0 offset:420
	buffer_load_dword v145, off, s[0:3], 0 offset:440
	buffer_load_dword v157, off, s[0:3], 0 offset:432
	buffer_load_dword v159, off, s[0:3], 0 offset:424
	buffer_load_dword v143, off, s[0:3], 0 offset:416
	buffer_load_dword v160, off, s[0:3], 0 offset:428
	buffer_load_dword v158, off, s[0:3], 0 offset:436
	buffer_load_dword v146, off, s[0:3], 0 offset:444
	s_waitcnt vmcnt(24) lgkmcnt(0)
	v_fma_f64 v[131:132], v[151:152], v[135:136], v[131:132]
	s_waitcnt vmcnt(19)
	v_fma_f64 v[139:140], v[139:140], v[137:138], v[131:132]
	ds_read2_b64 v[131:134], v130 offset0:109 offset1:110
	ds_read2_b64 v[135:138], v130 offset0:111 offset1:112
	s_waitcnt vmcnt(18) lgkmcnt(1)
	v_fma_f64 v[131:132], v[163:164], v[131:132], v[139:140]
	s_waitcnt vmcnt(17)
	v_fma_f64 v[131:132], v[161:162], v[133:134], v[131:132]
	buffer_load_dword v140, off, s[0:3], 0 offset:452
	buffer_load_dword v151, off, s[0:3], 0 offset:472
	buffer_load_dword v161, off, s[0:3], 0 offset:464
	buffer_load_dword v163, off, s[0:3], 0 offset:456
	buffer_load_dword v139, off, s[0:3], 0 offset:448
	buffer_load_dword v164, off, s[0:3], 0 offset:460
	buffer_load_dword v162, off, s[0:3], 0 offset:468
	buffer_load_dword v152, off, s[0:3], 0 offset:476
	s_waitcnt vmcnt(24) lgkmcnt(0)
	v_fma_f64 v[131:132], v[153:154], v[135:136], v[131:132]
	s_waitcnt vmcnt(19)
	v_fma_f64 v[141:142], v[141:142], v[137:138], v[131:132]
	ds_read2_b64 v[131:134], v130 offset0:113 offset1:114
	ds_read2_b64 v[135:138], v130 offset0:115 offset1:116
	;; [unrolled: 18-line block ×3, first 2 shown]
	s_waitcnt vmcnt(18) lgkmcnt(1)
	v_fma_f64 v[131:132], v[159:160], v[131:132], v[143:144]
	buffer_load_dword v143, off, s[0:3], 0 offset:64
	buffer_load_dword v144, off, s[0:3], 0 offset:68
	s_waitcnt vmcnt(19)
	v_fma_f64 v[131:132], v[157:158], v[133:134], v[131:132]
	s_waitcnt vmcnt(18) lgkmcnt(0)
	v_fma_f64 v[131:132], v[145:146], v[135:136], v[131:132]
	s_waitcnt vmcnt(13)
	v_fma_f64 v[139:140], v[139:140], v[137:138], v[131:132]
	ds_read2_b64 v[131:134], v130 offset0:121 offset1:122
	ds_read2_b64 v[135:138], v130 offset0:123 offset1:124
	s_waitcnt vmcnt(12) lgkmcnt(1)
	v_fma_f64 v[131:132], v[163:164], v[131:132], v[139:140]
	s_waitcnt vmcnt(11)
	v_fma_f64 v[131:132], v[161:162], v[133:134], v[131:132]
	s_waitcnt vmcnt(10) lgkmcnt(0)
	v_fma_f64 v[131:132], v[151:152], v[135:136], v[131:132]
	s_waitcnt vmcnt(5)
	v_fma_f64 v[135:136], v[141:142], v[137:138], v[131:132]
	ds_read2_b64 v[131:134], v130 offset0:125 offset1:126
	ds_read_b64 v[137:138], v130 offset:1016
	s_waitcnt vmcnt(4) lgkmcnt(1)
	v_fma_f64 v[131:132], v[155:156], v[131:132], v[135:136]
	s_waitcnt vmcnt(3)
	v_fma_f64 v[131:132], v[153:154], v[133:134], v[131:132]
	s_waitcnt vmcnt(2) lgkmcnt(0)
	v_fma_f64 v[131:132], v[149:150], v[137:138], v[131:132]
	s_waitcnt vmcnt(0)
	v_add_f64 v[131:132], v[143:144], -v[131:132]
	buffer_store_dword v132, off, s[0:3], 0 offset:68
	buffer_store_dword v131, off, s[0:3], 0 offset:64
	s_and_saveexec_b64 s[4:5], vcc
	s_cbranch_execz .LBB63_377
; %bb.376:
	buffer_load_dword v131, off, s[0:3], 0 offset:56
	buffer_load_dword v132, off, s[0:3], 0 offset:60
	s_waitcnt vmcnt(0)
	ds_write_b64 v129, v[131:132]
	buffer_store_dword v130, off, s[0:3], 0 offset:56
	buffer_store_dword v130, off, s[0:3], 0 offset:60
.LBB63_377:
	s_or_b64 exec, exec, s[4:5]
	s_waitcnt lgkmcnt(0)
	; wave barrier
	buffer_load_dword v139, off, s[0:3], 0 offset:64
	buffer_load_dword v140, off, s[0:3], 0 offset:68
	buffer_load_dword v141, off, s[0:3], 0 offset:72
	buffer_load_dword v142, off, s[0:3], 0 offset:76
	buffer_load_dword v143, off, s[0:3], 0 offset:80
	buffer_load_dword v144, off, s[0:3], 0 offset:84
	buffer_load_dword v145, off, s[0:3], 0 offset:88
	buffer_load_dword v146, off, s[0:3], 0 offset:92
	buffer_load_dword v147, off, s[0:3], 0 offset:96
	buffer_load_dword v148, off, s[0:3], 0 offset:100
	buffer_load_dword v149, off, s[0:3], 0 offset:104
	buffer_load_dword v150, off, s[0:3], 0 offset:108
	buffer_load_dword v151, off, s[0:3], 0 offset:112
	buffer_load_dword v152, off, s[0:3], 0 offset:116
	buffer_load_dword v154, off, s[0:3], 0 offset:124
	buffer_load_dword v155, off, s[0:3], 0 offset:144
	buffer_load_dword v157, off, s[0:3], 0 offset:136
	buffer_load_dword v159, off, s[0:3], 0 offset:128
	buffer_load_dword v153, off, s[0:3], 0 offset:120
	buffer_load_dword v160, off, s[0:3], 0 offset:132
	buffer_load_dword v158, off, s[0:3], 0 offset:140
	buffer_load_dword v156, off, s[0:3], 0 offset:148
	ds_read_b128 v[131:134], v130 offset:576
	ds_read_b128 v[135:138], v130 offset:592
	v_cmp_lt_u32_e32 vcc, 6, v0
	s_waitcnt vmcnt(20) lgkmcnt(1)
	v_fma_f64 v[131:132], v[139:140], v[131:132], 0
	s_waitcnt vmcnt(18)
	v_fma_f64 v[131:132], v[141:142], v[133:134], v[131:132]
	buffer_load_dword v140, off, s[0:3], 0 offset:156
	buffer_load_dword v141, off, s[0:3], 0 offset:176
	;; [unrolled: 1-line block ×7, first 2 shown]
	s_waitcnt vmcnt(23) lgkmcnt(0)
	v_fma_f64 v[131:132], v[143:144], v[135:136], v[131:132]
	s_waitcnt vmcnt(21)
	v_fma_f64 v[142:143], v[145:146], v[137:138], v[131:132]
	ds_read_b128 v[131:134], v130 offset:608
	ds_read_b128 v[135:138], v130 offset:624
	s_waitcnt vmcnt(19) lgkmcnt(1)
	v_fma_f64 v[131:132], v[147:148], v[131:132], v[142:143]
	buffer_load_dword v142, off, s[0:3], 0 offset:180
	s_waitcnt vmcnt(18)
	v_fma_f64 v[131:132], v[149:150], v[133:134], v[131:132]
	buffer_load_dword v144, off, s[0:3], 0 offset:188
	buffer_load_dword v145, off, s[0:3], 0 offset:208
	buffer_load_dword v147, off, s[0:3], 0 offset:200
	buffer_load_dword v149, off, s[0:3], 0 offset:192
	buffer_load_dword v143, off, s[0:3], 0 offset:184
	buffer_load_dword v150, off, s[0:3], 0 offset:196
	buffer_load_dword v148, off, s[0:3], 0 offset:204
	s_waitcnt vmcnt(23) lgkmcnt(0)
	v_fma_f64 v[131:132], v[151:152], v[135:136], v[131:132]
	s_waitcnt vmcnt(18)
	v_fma_f64 v[151:152], v[153:154], v[137:138], v[131:132]
	ds_read_b128 v[131:134], v130 offset:640
	ds_read_b128 v[135:138], v130 offset:656
	buffer_load_dword v146, off, s[0:3], 0 offset:212
	s_waitcnt vmcnt(18) lgkmcnt(1)
	v_fma_f64 v[131:132], v[159:160], v[131:132], v[151:152]
	s_waitcnt vmcnt(17)
	v_fma_f64 v[131:132], v[157:158], v[133:134], v[131:132]
	buffer_load_dword v152, off, s[0:3], 0 offset:220
	buffer_load_dword v153, off, s[0:3], 0 offset:240
	;; [unrolled: 1-line block ×8, first 2 shown]
	s_waitcnt vmcnt(24) lgkmcnt(0)
	v_fma_f64 v[131:132], v[155:156], v[135:136], v[131:132]
	s_waitcnt vmcnt(19)
	v_fma_f64 v[139:140], v[139:140], v[137:138], v[131:132]
	ds_read_b128 v[131:134], v130 offset:672
	ds_read_b128 v[135:138], v130 offset:688
	s_waitcnt vmcnt(18) lgkmcnt(1)
	v_fma_f64 v[131:132], v[163:164], v[131:132], v[139:140]
	s_waitcnt vmcnt(17)
	v_fma_f64 v[131:132], v[161:162], v[133:134], v[131:132]
	buffer_load_dword v140, off, s[0:3], 0 offset:252
	buffer_load_dword v155, off, s[0:3], 0 offset:272
	;; [unrolled: 1-line block ×8, first 2 shown]
	s_waitcnt vmcnt(24) lgkmcnt(0)
	v_fma_f64 v[131:132], v[141:142], v[135:136], v[131:132]
	s_waitcnt vmcnt(19)
	v_fma_f64 v[141:142], v[143:144], v[137:138], v[131:132]
	ds_read_b128 v[131:134], v130 offset:704
	ds_read_b128 v[135:138], v130 offset:720
	s_waitcnt vmcnt(18) lgkmcnt(1)
	v_fma_f64 v[131:132], v[149:150], v[131:132], v[141:142]
	s_waitcnt vmcnt(17)
	v_fma_f64 v[131:132], v[147:148], v[133:134], v[131:132]
	buffer_load_dword v142, off, s[0:3], 0 offset:284
	buffer_load_dword v143, off, s[0:3], 0 offset:304
	;; [unrolled: 1-line block ×7, first 2 shown]
	s_waitcnt vmcnt(23) lgkmcnt(0)
	v_fma_f64 v[131:132], v[145:146], v[135:136], v[131:132]
	s_waitcnt vmcnt(18)
	v_fma_f64 v[144:145], v[151:152], v[137:138], v[131:132]
	ds_read_b128 v[131:134], v130 offset:736
	ds_read_b128 v[135:138], v130 offset:752
	s_waitcnt vmcnt(17) lgkmcnt(1)
	v_fma_f64 v[131:132], v[159:160], v[131:132], v[144:145]
	buffer_load_dword v144, off, s[0:3], 0 offset:308
	s_waitcnt vmcnt(17)
	v_fma_f64 v[131:132], v[157:158], v[133:134], v[131:132]
	buffer_load_dword v146, off, s[0:3], 0 offset:316
	buffer_load_dword v151, off, s[0:3], 0 offset:336
	;; [unrolled: 1-line block ×8, first 2 shown]
	s_waitcnt vmcnt(24) lgkmcnt(0)
	v_fma_f64 v[131:132], v[153:154], v[135:136], v[131:132]
	s_waitcnt vmcnt(19)
	v_fma_f64 v[139:140], v[139:140], v[137:138], v[131:132]
	ds_read_b128 v[131:134], v130 offset:768
	ds_read_b128 v[135:138], v130 offset:784
	s_waitcnt vmcnt(18) lgkmcnt(1)
	v_fma_f64 v[131:132], v[163:164], v[131:132], v[139:140]
	s_waitcnt vmcnt(17)
	v_fma_f64 v[131:132], v[161:162], v[133:134], v[131:132]
	buffer_load_dword v140, off, s[0:3], 0 offset:348
	buffer_load_dword v153, off, s[0:3], 0 offset:368
	;; [unrolled: 1-line block ×8, first 2 shown]
	s_waitcnt vmcnt(24) lgkmcnt(0)
	v_fma_f64 v[131:132], v[155:156], v[135:136], v[131:132]
	s_waitcnt vmcnt(19)
	v_fma_f64 v[141:142], v[141:142], v[137:138], v[131:132]
	ds_read_b128 v[131:134], v130 offset:800
	ds_read_b128 v[135:138], v130 offset:816
	s_waitcnt vmcnt(18) lgkmcnt(1)
	v_fma_f64 v[131:132], v[149:150], v[131:132], v[141:142]
	s_waitcnt vmcnt(17)
	v_fma_f64 v[131:132], v[147:148], v[133:134], v[131:132]
	buffer_load_dword v142, off, s[0:3], 0 offset:380
	buffer_load_dword v147, off, s[0:3], 0 offset:400
	;; [unrolled: 1-line block ×7, first 2 shown]
	s_waitcnt vmcnt(23) lgkmcnt(0)
	v_fma_f64 v[131:132], v[143:144], v[135:136], v[131:132]
	s_waitcnt vmcnt(18)
	v_fma_f64 v[143:144], v[145:146], v[137:138], v[131:132]
	ds_read_b128 v[131:134], v130 offset:832
	ds_read_b128 v[135:138], v130 offset:848
	buffer_load_dword v148, off, s[0:3], 0 offset:404
	s_waitcnt vmcnt(18) lgkmcnt(1)
	v_fma_f64 v[131:132], v[159:160], v[131:132], v[143:144]
	s_waitcnt vmcnt(17)
	v_fma_f64 v[131:132], v[157:158], v[133:134], v[131:132]
	buffer_load_dword v144, off, s[0:3], 0 offset:412
	buffer_load_dword v145, off, s[0:3], 0 offset:432
	buffer_load_dword v157, off, s[0:3], 0 offset:424
	buffer_load_dword v159, off, s[0:3], 0 offset:416
	buffer_load_dword v143, off, s[0:3], 0 offset:408
	buffer_load_dword v160, off, s[0:3], 0 offset:420
	buffer_load_dword v158, off, s[0:3], 0 offset:428
	buffer_load_dword v146, off, s[0:3], 0 offset:436
	s_waitcnt vmcnt(24) lgkmcnt(0)
	v_fma_f64 v[131:132], v[151:152], v[135:136], v[131:132]
	s_waitcnt vmcnt(19)
	v_fma_f64 v[139:140], v[139:140], v[137:138], v[131:132]
	ds_read_b128 v[131:134], v130 offset:864
	ds_read_b128 v[135:138], v130 offset:880
	s_waitcnt vmcnt(18) lgkmcnt(1)
	v_fma_f64 v[131:132], v[163:164], v[131:132], v[139:140]
	s_waitcnt vmcnt(17)
	v_fma_f64 v[131:132], v[161:162], v[133:134], v[131:132]
	buffer_load_dword v140, off, s[0:3], 0 offset:444
	buffer_load_dword v151, off, s[0:3], 0 offset:464
	buffer_load_dword v161, off, s[0:3], 0 offset:456
	buffer_load_dword v163, off, s[0:3], 0 offset:448
	buffer_load_dword v139, off, s[0:3], 0 offset:440
	buffer_load_dword v164, off, s[0:3], 0 offset:452
	buffer_load_dword v162, off, s[0:3], 0 offset:460
	buffer_load_dword v152, off, s[0:3], 0 offset:468
	s_waitcnt vmcnt(24) lgkmcnt(0)
	v_fma_f64 v[131:132], v[153:154], v[135:136], v[131:132]
	s_waitcnt vmcnt(19)
	v_fma_f64 v[141:142], v[141:142], v[137:138], v[131:132]
	ds_read_b128 v[131:134], v130 offset:896
	ds_read_b128 v[135:138], v130 offset:912
	;; [unrolled: 18-line block ×3, first 2 shown]
	s_waitcnt vmcnt(18) lgkmcnt(1)
	v_fma_f64 v[131:132], v[159:160], v[131:132], v[143:144]
	buffer_load_dword v144, off, s[0:3], 0 offset:508
	buffer_load_dword v143, off, s[0:3], 0 offset:504
	;; [unrolled: 1-line block ×4, first 2 shown]
	s_waitcnt vmcnt(21)
	v_fma_f64 v[131:132], v[157:158], v[133:134], v[131:132]
	s_waitcnt vmcnt(20) lgkmcnt(0)
	v_fma_f64 v[131:132], v[145:146], v[135:136], v[131:132]
	s_waitcnt vmcnt(15)
	v_fma_f64 v[139:140], v[139:140], v[137:138], v[131:132]
	ds_read_b128 v[131:134], v130 offset:960
	ds_read_b128 v[135:138], v130 offset:976
	s_waitcnt vmcnt(14) lgkmcnt(1)
	v_fma_f64 v[131:132], v[163:164], v[131:132], v[139:140]
	s_waitcnt vmcnt(13)
	v_fma_f64 v[131:132], v[161:162], v[133:134], v[131:132]
	s_waitcnt vmcnt(12) lgkmcnt(0)
	v_fma_f64 v[131:132], v[151:152], v[135:136], v[131:132]
	s_waitcnt vmcnt(7)
	v_fma_f64 v[139:140], v[141:142], v[137:138], v[131:132]
	ds_read_b128 v[131:134], v130 offset:992
	ds_read_b128 v[135:138], v130 offset:1008
	s_waitcnt vmcnt(6) lgkmcnt(1)
	v_fma_f64 v[130:131], v[155:156], v[131:132], v[139:140]
	s_waitcnt vmcnt(5)
	v_fma_f64 v[130:131], v[153:154], v[133:134], v[130:131]
	s_waitcnt vmcnt(4) lgkmcnt(0)
	v_fma_f64 v[130:131], v[149:150], v[135:136], v[130:131]
	s_waitcnt vmcnt(2)
	v_fma_f64 v[130:131], v[143:144], v[137:138], v[130:131]
	s_waitcnt vmcnt(0)
	v_add_f64 v[130:131], v[147:148], -v[130:131]
	buffer_store_dword v131, off, s[0:3], 0 offset:60
	buffer_store_dword v130, off, s[0:3], 0 offset:56
	s_and_saveexec_b64 s[4:5], vcc
	s_cbranch_execz .LBB63_379
; %bb.378:
	buffer_load_dword v130, off, s[0:3], 0 offset:48
	buffer_load_dword v131, off, s[0:3], 0 offset:52
	v_mov_b32_e32 v132, 0
	buffer_store_dword v132, off, s[0:3], 0 offset:48
	buffer_store_dword v132, off, s[0:3], 0 offset:52
	s_waitcnt vmcnt(2)
	ds_write_b64 v129, v[130:131]
.LBB63_379:
	s_or_b64 exec, exec, s[4:5]
	s_waitcnt lgkmcnt(0)
	; wave barrier
	buffer_load_dword v139, off, s[0:3], 0 offset:56
	buffer_load_dword v140, off, s[0:3], 0 offset:60
	;; [unrolled: 1-line block ×21, first 2 shown]
	v_mov_b32_e32 v130, 0
	ds_read2_b64 v[131:134], v130 offset0:71 offset1:72
	ds_read2_b64 v[135:138], v130 offset0:73 offset1:74
	buffer_load_dword v156, off, s[0:3], 0 offset:140
	v_cmp_lt_u32_e32 vcc, 5, v0
	s_waitcnt vmcnt(20) lgkmcnt(1)
	v_fma_f64 v[131:132], v[139:140], v[131:132], 0
	s_waitcnt vmcnt(18)
	v_fma_f64 v[131:132], v[141:142], v[133:134], v[131:132]
	buffer_load_dword v140, off, s[0:3], 0 offset:148
	buffer_load_dword v141, off, s[0:3], 0 offset:168
	;; [unrolled: 1-line block ×7, first 2 shown]
	s_waitcnt vmcnt(23) lgkmcnt(0)
	v_fma_f64 v[131:132], v[143:144], v[135:136], v[131:132]
	s_waitcnt vmcnt(21)
	v_fma_f64 v[142:143], v[145:146], v[137:138], v[131:132]
	ds_read2_b64 v[131:134], v130 offset0:75 offset1:76
	ds_read2_b64 v[135:138], v130 offset0:77 offset1:78
	s_waitcnt vmcnt(19) lgkmcnt(1)
	v_fma_f64 v[131:132], v[147:148], v[131:132], v[142:143]
	buffer_load_dword v142, off, s[0:3], 0 offset:172
	s_waitcnt vmcnt(18)
	v_fma_f64 v[131:132], v[149:150], v[133:134], v[131:132]
	buffer_load_dword v144, off, s[0:3], 0 offset:180
	buffer_load_dword v145, off, s[0:3], 0 offset:200
	;; [unrolled: 1-line block ×7, first 2 shown]
	s_waitcnt vmcnt(23) lgkmcnt(0)
	v_fma_f64 v[131:132], v[151:152], v[135:136], v[131:132]
	s_waitcnt vmcnt(18)
	v_fma_f64 v[151:152], v[153:154], v[137:138], v[131:132]
	ds_read2_b64 v[131:134], v130 offset0:79 offset1:80
	ds_read2_b64 v[135:138], v130 offset0:81 offset1:82
	buffer_load_dword v146, off, s[0:3], 0 offset:204
	s_waitcnt vmcnt(18) lgkmcnt(1)
	v_fma_f64 v[131:132], v[159:160], v[131:132], v[151:152]
	s_waitcnt vmcnt(17)
	v_fma_f64 v[131:132], v[157:158], v[133:134], v[131:132]
	buffer_load_dword v152, off, s[0:3], 0 offset:212
	buffer_load_dword v153, off, s[0:3], 0 offset:232
	;; [unrolled: 1-line block ×7, first 2 shown]
	s_waitcnt vmcnt(23) lgkmcnt(0)
	v_fma_f64 v[131:132], v[155:156], v[135:136], v[131:132]
	s_waitcnt vmcnt(18)
	v_fma_f64 v[139:140], v[139:140], v[137:138], v[131:132]
	ds_read2_b64 v[131:134], v130 offset0:83 offset1:84
	ds_read2_b64 v[135:138], v130 offset0:85 offset1:86
	buffer_load_dword v154, off, s[0:3], 0 offset:236
	s_waitcnt vmcnt(18) lgkmcnt(1)
	v_fma_f64 v[131:132], v[163:164], v[131:132], v[139:140]
	s_waitcnt vmcnt(17)
	v_fma_f64 v[131:132], v[161:162], v[133:134], v[131:132]
	buffer_load_dword v140, off, s[0:3], 0 offset:244
	buffer_load_dword v155, off, s[0:3], 0 offset:264
	;; [unrolled: 1-line block ×8, first 2 shown]
	s_waitcnt vmcnt(24) lgkmcnt(0)
	v_fma_f64 v[131:132], v[141:142], v[135:136], v[131:132]
	s_waitcnt vmcnt(19)
	v_fma_f64 v[141:142], v[143:144], v[137:138], v[131:132]
	ds_read2_b64 v[131:134], v130 offset0:87 offset1:88
	ds_read2_b64 v[135:138], v130 offset0:89 offset1:90
	s_waitcnt vmcnt(18) lgkmcnt(1)
	v_fma_f64 v[131:132], v[149:150], v[131:132], v[141:142]
	s_waitcnt vmcnt(17)
	v_fma_f64 v[131:132], v[147:148], v[133:134], v[131:132]
	buffer_load_dword v142, off, s[0:3], 0 offset:276
	buffer_load_dword v143, off, s[0:3], 0 offset:296
	;; [unrolled: 1-line block ×7, first 2 shown]
	s_waitcnt vmcnt(23) lgkmcnt(0)
	v_fma_f64 v[131:132], v[145:146], v[135:136], v[131:132]
	s_waitcnt vmcnt(18)
	v_fma_f64 v[144:145], v[151:152], v[137:138], v[131:132]
	ds_read2_b64 v[131:134], v130 offset0:91 offset1:92
	ds_read2_b64 v[135:138], v130 offset0:93 offset1:94
	s_waitcnt vmcnt(17) lgkmcnt(1)
	v_fma_f64 v[131:132], v[159:160], v[131:132], v[144:145]
	buffer_load_dword v144, off, s[0:3], 0 offset:300
	s_waitcnt vmcnt(17)
	v_fma_f64 v[131:132], v[157:158], v[133:134], v[131:132]
	buffer_load_dword v146, off, s[0:3], 0 offset:308
	buffer_load_dword v151, off, s[0:3], 0 offset:328
	;; [unrolled: 1-line block ×7, first 2 shown]
	s_waitcnt vmcnt(23) lgkmcnt(0)
	v_fma_f64 v[131:132], v[153:154], v[135:136], v[131:132]
	s_waitcnt vmcnt(18)
	v_fma_f64 v[139:140], v[139:140], v[137:138], v[131:132]
	ds_read2_b64 v[131:134], v130 offset0:95 offset1:96
	ds_read2_b64 v[135:138], v130 offset0:97 offset1:98
	buffer_load_dword v152, off, s[0:3], 0 offset:332
	s_waitcnt vmcnt(18) lgkmcnt(1)
	v_fma_f64 v[131:132], v[163:164], v[131:132], v[139:140]
	s_waitcnt vmcnt(17)
	v_fma_f64 v[131:132], v[161:162], v[133:134], v[131:132]
	buffer_load_dword v140, off, s[0:3], 0 offset:340
	buffer_load_dword v153, off, s[0:3], 0 offset:360
	;; [unrolled: 1-line block ×8, first 2 shown]
	s_waitcnt vmcnt(24) lgkmcnt(0)
	v_fma_f64 v[131:132], v[155:156], v[135:136], v[131:132]
	s_waitcnt vmcnt(19)
	v_fma_f64 v[141:142], v[141:142], v[137:138], v[131:132]
	ds_read2_b64 v[131:134], v130 offset0:99 offset1:100
	ds_read2_b64 v[135:138], v130 offset0:101 offset1:102
	s_waitcnt vmcnt(18) lgkmcnt(1)
	v_fma_f64 v[131:132], v[149:150], v[131:132], v[141:142]
	s_waitcnt vmcnt(17)
	v_fma_f64 v[131:132], v[147:148], v[133:134], v[131:132]
	buffer_load_dword v142, off, s[0:3], 0 offset:372
	buffer_load_dword v147, off, s[0:3], 0 offset:392
	;; [unrolled: 1-line block ×7, first 2 shown]
	s_waitcnt vmcnt(23) lgkmcnt(0)
	v_fma_f64 v[131:132], v[143:144], v[135:136], v[131:132]
	s_waitcnt vmcnt(18)
	v_fma_f64 v[143:144], v[145:146], v[137:138], v[131:132]
	ds_read2_b64 v[131:134], v130 offset0:103 offset1:104
	ds_read2_b64 v[135:138], v130 offset0:105 offset1:106
	buffer_load_dword v148, off, s[0:3], 0 offset:396
	s_waitcnt vmcnt(18) lgkmcnt(1)
	v_fma_f64 v[131:132], v[159:160], v[131:132], v[143:144]
	s_waitcnt vmcnt(17)
	v_fma_f64 v[131:132], v[157:158], v[133:134], v[131:132]
	buffer_load_dword v144, off, s[0:3], 0 offset:404
	buffer_load_dword v145, off, s[0:3], 0 offset:424
	;; [unrolled: 1-line block ×7, first 2 shown]
	s_waitcnt vmcnt(23) lgkmcnt(0)
	v_fma_f64 v[131:132], v[151:152], v[135:136], v[131:132]
	s_waitcnt vmcnt(18)
	v_fma_f64 v[139:140], v[139:140], v[137:138], v[131:132]
	ds_read2_b64 v[131:134], v130 offset0:107 offset1:108
	ds_read2_b64 v[135:138], v130 offset0:109 offset1:110
	buffer_load_dword v146, off, s[0:3], 0 offset:428
	s_waitcnt vmcnt(18) lgkmcnt(1)
	v_fma_f64 v[131:132], v[163:164], v[131:132], v[139:140]
	s_waitcnt vmcnt(17)
	v_fma_f64 v[131:132], v[161:162], v[133:134], v[131:132]
	buffer_load_dword v140, off, s[0:3], 0 offset:436
	buffer_load_dword v151, off, s[0:3], 0 offset:456
	;; [unrolled: 1-line block ×8, first 2 shown]
	s_waitcnt vmcnt(24) lgkmcnt(0)
	v_fma_f64 v[131:132], v[153:154], v[135:136], v[131:132]
	s_waitcnt vmcnt(19)
	v_fma_f64 v[141:142], v[141:142], v[137:138], v[131:132]
	ds_read2_b64 v[131:134], v130 offset0:111 offset1:112
	ds_read2_b64 v[135:138], v130 offset0:113 offset1:114
	s_waitcnt vmcnt(18) lgkmcnt(1)
	v_fma_f64 v[131:132], v[155:156], v[131:132], v[141:142]
	s_waitcnt vmcnt(17)
	v_fma_f64 v[131:132], v[149:150], v[133:134], v[131:132]
	buffer_load_dword v142, off, s[0:3], 0 offset:468
	buffer_load_dword v149, off, s[0:3], 0 offset:488
	;; [unrolled: 1-line block ×7, first 2 shown]
	s_waitcnt vmcnt(23) lgkmcnt(0)
	v_fma_f64 v[131:132], v[147:148], v[135:136], v[131:132]
	s_waitcnt vmcnt(18)
	v_fma_f64 v[143:144], v[143:144], v[137:138], v[131:132]
	ds_read2_b64 v[131:134], v130 offset0:115 offset1:116
	ds_read2_b64 v[135:138], v130 offset0:117 offset1:118
	buffer_load_dword v150, off, s[0:3], 0 offset:492
	s_waitcnt vmcnt(18) lgkmcnt(1)
	v_fma_f64 v[131:132], v[159:160], v[131:132], v[143:144]
	buffer_load_dword v144, off, s[0:3], 0 offset:500
	buffer_load_dword v147, off, s[0:3], 0 offset:504
	;; [unrolled: 1-line block ×4, first 2 shown]
	s_waitcnt vmcnt(21)
	v_fma_f64 v[131:132], v[157:158], v[133:134], v[131:132]
	s_waitcnt vmcnt(20) lgkmcnt(0)
	v_fma_f64 v[131:132], v[145:146], v[135:136], v[131:132]
	buffer_load_dword v145, off, s[0:3], 0 offset:48
	buffer_load_dword v146, off, s[0:3], 0 offset:52
	s_waitcnt vmcnt(17)
	v_fma_f64 v[139:140], v[139:140], v[137:138], v[131:132]
	ds_read2_b64 v[131:134], v130 offset0:119 offset1:120
	ds_read2_b64 v[135:138], v130 offset0:121 offset1:122
	s_waitcnt vmcnt(16) lgkmcnt(1)
	v_fma_f64 v[131:132], v[163:164], v[131:132], v[139:140]
	s_waitcnt vmcnt(15)
	v_fma_f64 v[131:132], v[161:162], v[133:134], v[131:132]
	s_waitcnt vmcnt(14) lgkmcnt(0)
	v_fma_f64 v[131:132], v[151:152], v[135:136], v[131:132]
	s_waitcnt vmcnt(9)
	v_fma_f64 v[139:140], v[141:142], v[137:138], v[131:132]
	ds_read2_b64 v[131:134], v130 offset0:123 offset1:124
	ds_read2_b64 v[135:138], v130 offset0:125 offset1:126
	s_waitcnt vmcnt(8) lgkmcnt(1)
	v_fma_f64 v[131:132], v[155:156], v[131:132], v[139:140]
	s_waitcnt vmcnt(7)
	v_fma_f64 v[131:132], v[153:154], v[133:134], v[131:132]
	ds_read_b64 v[133:134], v130 offset:1016
	s_waitcnt vmcnt(6) lgkmcnt(1)
	v_fma_f64 v[131:132], v[149:150], v[135:136], v[131:132]
	s_waitcnt vmcnt(3)
	v_fma_f64 v[131:132], v[143:144], v[137:138], v[131:132]
	s_waitcnt vmcnt(2) lgkmcnt(0)
	v_fma_f64 v[131:132], v[147:148], v[133:134], v[131:132]
	s_waitcnt vmcnt(0)
	v_add_f64 v[131:132], v[145:146], -v[131:132]
	buffer_store_dword v132, off, s[0:3], 0 offset:52
	buffer_store_dword v131, off, s[0:3], 0 offset:48
	s_and_saveexec_b64 s[4:5], vcc
	s_cbranch_execz .LBB63_381
; %bb.380:
	buffer_load_dword v131, off, s[0:3], 0 offset:40
	buffer_load_dword v132, off, s[0:3], 0 offset:44
	s_waitcnt vmcnt(0)
	ds_write_b64 v129, v[131:132]
	buffer_store_dword v130, off, s[0:3], 0 offset:40
	buffer_store_dword v130, off, s[0:3], 0 offset:44
.LBB63_381:
	s_or_b64 exec, exec, s[4:5]
	s_waitcnt lgkmcnt(0)
	; wave barrier
	buffer_load_dword v139, off, s[0:3], 0 offset:48
	buffer_load_dword v140, off, s[0:3], 0 offset:52
	;; [unrolled: 1-line block ×21, first 2 shown]
	ds_read_b128 v[131:134], v130 offset:560
	ds_read_b128 v[135:138], v130 offset:576
	buffer_load_dword v156, off, s[0:3], 0 offset:132
	v_cmp_lt_u32_e32 vcc, 4, v0
	s_waitcnt vmcnt(20) lgkmcnt(1)
	v_fma_f64 v[131:132], v[139:140], v[131:132], 0
	s_waitcnt vmcnt(18)
	v_fma_f64 v[131:132], v[141:142], v[133:134], v[131:132]
	buffer_load_dword v140, off, s[0:3], 0 offset:140
	buffer_load_dword v141, off, s[0:3], 0 offset:160
	;; [unrolled: 1-line block ×7, first 2 shown]
	s_waitcnt vmcnt(23) lgkmcnt(0)
	v_fma_f64 v[131:132], v[143:144], v[135:136], v[131:132]
	s_waitcnt vmcnt(21)
	v_fma_f64 v[142:143], v[145:146], v[137:138], v[131:132]
	ds_read_b128 v[131:134], v130 offset:592
	ds_read_b128 v[135:138], v130 offset:608
	s_waitcnt vmcnt(19) lgkmcnt(1)
	v_fma_f64 v[131:132], v[147:148], v[131:132], v[142:143]
	buffer_load_dword v142, off, s[0:3], 0 offset:164
	s_waitcnt vmcnt(18)
	v_fma_f64 v[131:132], v[149:150], v[133:134], v[131:132]
	buffer_load_dword v144, off, s[0:3], 0 offset:172
	buffer_load_dword v145, off, s[0:3], 0 offset:192
	;; [unrolled: 1-line block ×8, first 2 shown]
	s_waitcnt vmcnt(24) lgkmcnt(0)
	v_fma_f64 v[131:132], v[151:152], v[135:136], v[131:132]
	s_waitcnt vmcnt(19)
	v_fma_f64 v[151:152], v[153:154], v[137:138], v[131:132]
	ds_read_b128 v[131:134], v130 offset:624
	ds_read_b128 v[135:138], v130 offset:640
	s_waitcnt vmcnt(18) lgkmcnt(1)
	v_fma_f64 v[131:132], v[159:160], v[131:132], v[151:152]
	s_waitcnt vmcnt(17)
	v_fma_f64 v[131:132], v[157:158], v[133:134], v[131:132]
	buffer_load_dword v152, off, s[0:3], 0 offset:204
	buffer_load_dword v153, off, s[0:3], 0 offset:224
	;; [unrolled: 1-line block ×7, first 2 shown]
	s_waitcnt vmcnt(23) lgkmcnt(0)
	v_fma_f64 v[131:132], v[155:156], v[135:136], v[131:132]
	s_waitcnt vmcnt(18)
	v_fma_f64 v[139:140], v[139:140], v[137:138], v[131:132]
	ds_read_b128 v[131:134], v130 offset:656
	ds_read_b128 v[135:138], v130 offset:672
	buffer_load_dword v154, off, s[0:3], 0 offset:228
	s_waitcnt vmcnt(18) lgkmcnt(1)
	v_fma_f64 v[131:132], v[163:164], v[131:132], v[139:140]
	s_waitcnt vmcnt(17)
	v_fma_f64 v[131:132], v[161:162], v[133:134], v[131:132]
	buffer_load_dword v140, off, s[0:3], 0 offset:236
	buffer_load_dword v155, off, s[0:3], 0 offset:256
	;; [unrolled: 1-line block ×8, first 2 shown]
	s_waitcnt vmcnt(24) lgkmcnt(0)
	v_fma_f64 v[131:132], v[141:142], v[135:136], v[131:132]
	s_waitcnt vmcnt(19)
	v_fma_f64 v[141:142], v[143:144], v[137:138], v[131:132]
	ds_read_b128 v[131:134], v130 offset:688
	ds_read_b128 v[135:138], v130 offset:704
	s_waitcnt vmcnt(18) lgkmcnt(1)
	v_fma_f64 v[131:132], v[149:150], v[131:132], v[141:142]
	s_waitcnt vmcnt(17)
	v_fma_f64 v[131:132], v[147:148], v[133:134], v[131:132]
	buffer_load_dword v142, off, s[0:3], 0 offset:268
	buffer_load_dword v143, off, s[0:3], 0 offset:288
	;; [unrolled: 1-line block ×7, first 2 shown]
	s_waitcnt vmcnt(23) lgkmcnt(0)
	v_fma_f64 v[131:132], v[145:146], v[135:136], v[131:132]
	s_waitcnt vmcnt(18)
	v_fma_f64 v[144:145], v[151:152], v[137:138], v[131:132]
	ds_read_b128 v[131:134], v130 offset:720
	ds_read_b128 v[135:138], v130 offset:736
	s_waitcnt vmcnt(17) lgkmcnt(1)
	v_fma_f64 v[131:132], v[159:160], v[131:132], v[144:145]
	buffer_load_dword v144, off, s[0:3], 0 offset:292
	s_waitcnt vmcnt(17)
	v_fma_f64 v[131:132], v[157:158], v[133:134], v[131:132]
	buffer_load_dword v146, off, s[0:3], 0 offset:300
	buffer_load_dword v151, off, s[0:3], 0 offset:320
	;; [unrolled: 1-line block ×7, first 2 shown]
	s_waitcnt vmcnt(23) lgkmcnt(0)
	v_fma_f64 v[131:132], v[153:154], v[135:136], v[131:132]
	s_waitcnt vmcnt(18)
	v_fma_f64 v[139:140], v[139:140], v[137:138], v[131:132]
	ds_read_b128 v[131:134], v130 offset:752
	ds_read_b128 v[135:138], v130 offset:768
	buffer_load_dword v152, off, s[0:3], 0 offset:324
	s_waitcnt vmcnt(18) lgkmcnt(1)
	v_fma_f64 v[131:132], v[163:164], v[131:132], v[139:140]
	s_waitcnt vmcnt(17)
	v_fma_f64 v[131:132], v[161:162], v[133:134], v[131:132]
	buffer_load_dword v140, off, s[0:3], 0 offset:332
	buffer_load_dword v153, off, s[0:3], 0 offset:352
	;; [unrolled: 1-line block ×8, first 2 shown]
	s_waitcnt vmcnt(24) lgkmcnt(0)
	v_fma_f64 v[131:132], v[155:156], v[135:136], v[131:132]
	s_waitcnt vmcnt(19)
	v_fma_f64 v[141:142], v[141:142], v[137:138], v[131:132]
	ds_read_b128 v[131:134], v130 offset:784
	ds_read_b128 v[135:138], v130 offset:800
	s_waitcnt vmcnt(18) lgkmcnt(1)
	v_fma_f64 v[131:132], v[149:150], v[131:132], v[141:142]
	s_waitcnt vmcnt(17)
	v_fma_f64 v[131:132], v[147:148], v[133:134], v[131:132]
	buffer_load_dword v142, off, s[0:3], 0 offset:364
	buffer_load_dword v147, off, s[0:3], 0 offset:384
	;; [unrolled: 1-line block ×8, first 2 shown]
	s_waitcnt vmcnt(24) lgkmcnt(0)
	v_fma_f64 v[131:132], v[143:144], v[135:136], v[131:132]
	s_waitcnt vmcnt(19)
	v_fma_f64 v[143:144], v[145:146], v[137:138], v[131:132]
	ds_read_b128 v[131:134], v130 offset:816
	ds_read_b128 v[135:138], v130 offset:832
	s_waitcnt vmcnt(18) lgkmcnt(1)
	v_fma_f64 v[131:132], v[159:160], v[131:132], v[143:144]
	s_waitcnt vmcnt(17)
	v_fma_f64 v[131:132], v[157:158], v[133:134], v[131:132]
	buffer_load_dword v144, off, s[0:3], 0 offset:396
	buffer_load_dword v145, off, s[0:3], 0 offset:416
	;; [unrolled: 1-line block ×7, first 2 shown]
	s_waitcnt vmcnt(23) lgkmcnt(0)
	v_fma_f64 v[131:132], v[151:152], v[135:136], v[131:132]
	s_waitcnt vmcnt(18)
	v_fma_f64 v[139:140], v[139:140], v[137:138], v[131:132]
	ds_read_b128 v[131:134], v130 offset:848
	ds_read_b128 v[135:138], v130 offset:864
	buffer_load_dword v146, off, s[0:3], 0 offset:420
	s_waitcnt vmcnt(18) lgkmcnt(1)
	v_fma_f64 v[131:132], v[163:164], v[131:132], v[139:140]
	s_waitcnt vmcnt(17)
	v_fma_f64 v[131:132], v[161:162], v[133:134], v[131:132]
	buffer_load_dword v140, off, s[0:3], 0 offset:428
	buffer_load_dword v151, off, s[0:3], 0 offset:448
	;; [unrolled: 1-line block ×8, first 2 shown]
	s_waitcnt vmcnt(24) lgkmcnt(0)
	v_fma_f64 v[131:132], v[153:154], v[135:136], v[131:132]
	s_waitcnt vmcnt(19)
	v_fma_f64 v[141:142], v[141:142], v[137:138], v[131:132]
	ds_read_b128 v[131:134], v130 offset:880
	ds_read_b128 v[135:138], v130 offset:896
	s_waitcnt vmcnt(18) lgkmcnt(1)
	v_fma_f64 v[131:132], v[155:156], v[131:132], v[141:142]
	s_waitcnt vmcnt(17)
	v_fma_f64 v[131:132], v[149:150], v[133:134], v[131:132]
	buffer_load_dword v142, off, s[0:3], 0 offset:460
	buffer_load_dword v149, off, s[0:3], 0 offset:480
	buffer_load_dword v153, off, s[0:3], 0 offset:472
	buffer_load_dword v155, off, s[0:3], 0 offset:464
	buffer_load_dword v141, off, s[0:3], 0 offset:456
	buffer_load_dword v156, off, s[0:3], 0 offset:468
	buffer_load_dword v154, off, s[0:3], 0 offset:476
	buffer_load_dword v150, off, s[0:3], 0 offset:484
	s_waitcnt vmcnt(24) lgkmcnt(0)
	v_fma_f64 v[131:132], v[147:148], v[135:136], v[131:132]
	s_waitcnt vmcnt(19)
	v_fma_f64 v[143:144], v[143:144], v[137:138], v[131:132]
	ds_read_b128 v[131:134], v130 offset:912
	ds_read_b128 v[135:138], v130 offset:928
	s_waitcnt vmcnt(18) lgkmcnt(1)
	v_fma_f64 v[131:132], v[159:160], v[131:132], v[143:144]
	s_waitcnt vmcnt(17)
	v_fma_f64 v[131:132], v[157:158], v[133:134], v[131:132]
	buffer_load_dword v144, off, s[0:3], 0 offset:492
	buffer_load_dword v147, off, s[0:3], 0 offset:504
	;; [unrolled: 1-line block ×6, first 2 shown]
	s_waitcnt vmcnt(22) lgkmcnt(0)
	v_fma_f64 v[131:132], v[145:146], v[135:136], v[131:132]
	s_waitcnt vmcnt(17)
	v_fma_f64 v[139:140], v[139:140], v[137:138], v[131:132]
	ds_read_b128 v[131:134], v130 offset:944
	buffer_load_dword v145, off, s[0:3], 0 offset:40
	buffer_load_dword v146, off, s[0:3], 0 offset:44
	ds_read_b128 v[135:138], v130 offset:960
	s_waitcnt vmcnt(18) lgkmcnt(1)
	v_fma_f64 v[131:132], v[163:164], v[131:132], v[139:140]
	s_waitcnt vmcnt(17)
	v_fma_f64 v[131:132], v[161:162], v[133:134], v[131:132]
	s_waitcnt vmcnt(16) lgkmcnt(0)
	v_fma_f64 v[131:132], v[151:152], v[135:136], v[131:132]
	s_waitcnt vmcnt(11)
	v_fma_f64 v[139:140], v[141:142], v[137:138], v[131:132]
	ds_read_b128 v[131:134], v130 offset:976
	ds_read_b128 v[135:138], v130 offset:992
	s_waitcnt vmcnt(10) lgkmcnt(1)
	v_fma_f64 v[131:132], v[155:156], v[131:132], v[139:140]
	s_waitcnt vmcnt(9)
	v_fma_f64 v[131:132], v[153:154], v[133:134], v[131:132]
	s_waitcnt vmcnt(8) lgkmcnt(0)
	v_fma_f64 v[131:132], v[149:150], v[135:136], v[131:132]
	s_waitcnt vmcnt(4)
	v_fma_f64 v[134:135], v[143:144], v[137:138], v[131:132]
	ds_read_b128 v[130:133], v130 offset:1008
	s_waitcnt vmcnt(3) lgkmcnt(0)
	v_fma_f64 v[130:131], v[157:158], v[130:131], v[134:135]
	s_waitcnt vmcnt(2)
	v_fma_f64 v[130:131], v[147:148], v[132:133], v[130:131]
	s_waitcnt vmcnt(0)
	v_add_f64 v[130:131], v[145:146], -v[130:131]
	buffer_store_dword v131, off, s[0:3], 0 offset:44
	buffer_store_dword v130, off, s[0:3], 0 offset:40
	s_and_saveexec_b64 s[4:5], vcc
	s_cbranch_execz .LBB63_383
; %bb.382:
	buffer_load_dword v130, off, s[0:3], 0 offset:32
	buffer_load_dword v131, off, s[0:3], 0 offset:36
	v_mov_b32_e32 v132, 0
	buffer_store_dword v132, off, s[0:3], 0 offset:32
	buffer_store_dword v132, off, s[0:3], 0 offset:36
	s_waitcnt vmcnt(2)
	ds_write_b64 v129, v[130:131]
.LBB63_383:
	s_or_b64 exec, exec, s[4:5]
	s_waitcnt lgkmcnt(0)
	; wave barrier
	buffer_load_dword v139, off, s[0:3], 0 offset:40
	buffer_load_dword v140, off, s[0:3], 0 offset:44
	;; [unrolled: 1-line block ×21, first 2 shown]
	v_mov_b32_e32 v130, 0
	ds_read2_b64 v[131:134], v130 offset0:69 offset1:70
	ds_read2_b64 v[135:138], v130 offset0:71 offset1:72
	buffer_load_dword v156, off, s[0:3], 0 offset:124
	v_cmp_lt_u32_e32 vcc, 3, v0
	s_waitcnt vmcnt(20) lgkmcnt(1)
	v_fma_f64 v[131:132], v[139:140], v[131:132], 0
	s_waitcnt vmcnt(18)
	v_fma_f64 v[131:132], v[141:142], v[133:134], v[131:132]
	buffer_load_dword v140, off, s[0:3], 0 offset:132
	buffer_load_dword v141, off, s[0:3], 0 offset:152
	;; [unrolled: 1-line block ×7, first 2 shown]
	s_waitcnt vmcnt(23) lgkmcnt(0)
	v_fma_f64 v[131:132], v[143:144], v[135:136], v[131:132]
	s_waitcnt vmcnt(21)
	v_fma_f64 v[142:143], v[145:146], v[137:138], v[131:132]
	ds_read2_b64 v[131:134], v130 offset0:73 offset1:74
	ds_read2_b64 v[135:138], v130 offset0:75 offset1:76
	s_waitcnt vmcnt(19) lgkmcnt(1)
	v_fma_f64 v[131:132], v[147:148], v[131:132], v[142:143]
	buffer_load_dword v142, off, s[0:3], 0 offset:156
	s_waitcnt vmcnt(18)
	v_fma_f64 v[131:132], v[149:150], v[133:134], v[131:132]
	buffer_load_dword v144, off, s[0:3], 0 offset:164
	buffer_load_dword v145, off, s[0:3], 0 offset:184
	;; [unrolled: 1-line block ×8, first 2 shown]
	s_waitcnt vmcnt(24) lgkmcnt(0)
	v_fma_f64 v[131:132], v[151:152], v[135:136], v[131:132]
	s_waitcnt vmcnt(19)
	v_fma_f64 v[151:152], v[153:154], v[137:138], v[131:132]
	ds_read2_b64 v[131:134], v130 offset0:77 offset1:78
	ds_read2_b64 v[135:138], v130 offset0:79 offset1:80
	s_waitcnt vmcnt(18) lgkmcnt(1)
	v_fma_f64 v[131:132], v[159:160], v[131:132], v[151:152]
	s_waitcnt vmcnt(17)
	v_fma_f64 v[131:132], v[157:158], v[133:134], v[131:132]
	buffer_load_dword v152, off, s[0:3], 0 offset:196
	buffer_load_dword v153, off, s[0:3], 0 offset:216
	;; [unrolled: 1-line block ×7, first 2 shown]
	s_waitcnt vmcnt(23) lgkmcnt(0)
	v_fma_f64 v[131:132], v[155:156], v[135:136], v[131:132]
	s_waitcnt vmcnt(18)
	v_fma_f64 v[139:140], v[139:140], v[137:138], v[131:132]
	ds_read2_b64 v[131:134], v130 offset0:81 offset1:82
	ds_read2_b64 v[135:138], v130 offset0:83 offset1:84
	buffer_load_dword v154, off, s[0:3], 0 offset:220
	s_waitcnt vmcnt(18) lgkmcnt(1)
	v_fma_f64 v[131:132], v[163:164], v[131:132], v[139:140]
	s_waitcnt vmcnt(17)
	v_fma_f64 v[131:132], v[161:162], v[133:134], v[131:132]
	buffer_load_dword v140, off, s[0:3], 0 offset:228
	buffer_load_dword v155, off, s[0:3], 0 offset:248
	;; [unrolled: 1-line block ×8, first 2 shown]
	s_waitcnt vmcnt(24) lgkmcnt(0)
	v_fma_f64 v[131:132], v[141:142], v[135:136], v[131:132]
	s_waitcnt vmcnt(19)
	v_fma_f64 v[141:142], v[143:144], v[137:138], v[131:132]
	ds_read2_b64 v[131:134], v130 offset0:85 offset1:86
	ds_read2_b64 v[135:138], v130 offset0:87 offset1:88
	s_waitcnt vmcnt(18) lgkmcnt(1)
	v_fma_f64 v[131:132], v[149:150], v[131:132], v[141:142]
	s_waitcnt vmcnt(17)
	v_fma_f64 v[131:132], v[147:148], v[133:134], v[131:132]
	buffer_load_dword v142, off, s[0:3], 0 offset:260
	buffer_load_dword v143, off, s[0:3], 0 offset:280
	;; [unrolled: 1-line block ×7, first 2 shown]
	s_waitcnt vmcnt(23) lgkmcnt(0)
	v_fma_f64 v[131:132], v[145:146], v[135:136], v[131:132]
	s_waitcnt vmcnt(18)
	v_fma_f64 v[144:145], v[151:152], v[137:138], v[131:132]
	ds_read2_b64 v[131:134], v130 offset0:89 offset1:90
	ds_read2_b64 v[135:138], v130 offset0:91 offset1:92
	s_waitcnt vmcnt(17) lgkmcnt(1)
	v_fma_f64 v[131:132], v[159:160], v[131:132], v[144:145]
	buffer_load_dword v144, off, s[0:3], 0 offset:284
	s_waitcnt vmcnt(17)
	v_fma_f64 v[131:132], v[157:158], v[133:134], v[131:132]
	buffer_load_dword v146, off, s[0:3], 0 offset:292
	buffer_load_dword v151, off, s[0:3], 0 offset:312
	;; [unrolled: 1-line block ×7, first 2 shown]
	s_waitcnt vmcnt(23) lgkmcnt(0)
	v_fma_f64 v[131:132], v[153:154], v[135:136], v[131:132]
	s_waitcnt vmcnt(18)
	v_fma_f64 v[139:140], v[139:140], v[137:138], v[131:132]
	ds_read2_b64 v[131:134], v130 offset0:93 offset1:94
	ds_read2_b64 v[135:138], v130 offset0:95 offset1:96
	buffer_load_dword v152, off, s[0:3], 0 offset:316
	s_waitcnt vmcnt(18) lgkmcnt(1)
	v_fma_f64 v[131:132], v[163:164], v[131:132], v[139:140]
	s_waitcnt vmcnt(17)
	v_fma_f64 v[131:132], v[161:162], v[133:134], v[131:132]
	buffer_load_dword v140, off, s[0:3], 0 offset:324
	buffer_load_dword v153, off, s[0:3], 0 offset:344
	;; [unrolled: 1-line block ×8, first 2 shown]
	s_waitcnt vmcnt(24) lgkmcnt(0)
	v_fma_f64 v[131:132], v[155:156], v[135:136], v[131:132]
	s_waitcnt vmcnt(19)
	v_fma_f64 v[141:142], v[141:142], v[137:138], v[131:132]
	ds_read2_b64 v[131:134], v130 offset0:97 offset1:98
	ds_read2_b64 v[135:138], v130 offset0:99 offset1:100
	s_waitcnt vmcnt(18) lgkmcnt(1)
	v_fma_f64 v[131:132], v[149:150], v[131:132], v[141:142]
	s_waitcnt vmcnt(17)
	v_fma_f64 v[131:132], v[147:148], v[133:134], v[131:132]
	buffer_load_dword v142, off, s[0:3], 0 offset:356
	buffer_load_dword v147, off, s[0:3], 0 offset:376
	;; [unrolled: 1-line block ×8, first 2 shown]
	s_waitcnt vmcnt(24) lgkmcnt(0)
	v_fma_f64 v[131:132], v[143:144], v[135:136], v[131:132]
	s_waitcnt vmcnt(19)
	v_fma_f64 v[143:144], v[145:146], v[137:138], v[131:132]
	ds_read2_b64 v[131:134], v130 offset0:101 offset1:102
	ds_read2_b64 v[135:138], v130 offset0:103 offset1:104
	s_waitcnt vmcnt(18) lgkmcnt(1)
	v_fma_f64 v[131:132], v[159:160], v[131:132], v[143:144]
	s_waitcnt vmcnt(17)
	v_fma_f64 v[131:132], v[157:158], v[133:134], v[131:132]
	buffer_load_dword v144, off, s[0:3], 0 offset:388
	buffer_load_dword v145, off, s[0:3], 0 offset:408
	;; [unrolled: 1-line block ×7, first 2 shown]
	s_waitcnt vmcnt(23) lgkmcnt(0)
	v_fma_f64 v[131:132], v[151:152], v[135:136], v[131:132]
	s_waitcnt vmcnt(18)
	v_fma_f64 v[139:140], v[139:140], v[137:138], v[131:132]
	ds_read2_b64 v[131:134], v130 offset0:105 offset1:106
	ds_read2_b64 v[135:138], v130 offset0:107 offset1:108
	buffer_load_dword v146, off, s[0:3], 0 offset:412
	s_waitcnt vmcnt(18) lgkmcnt(1)
	v_fma_f64 v[131:132], v[163:164], v[131:132], v[139:140]
	s_waitcnt vmcnt(17)
	v_fma_f64 v[131:132], v[161:162], v[133:134], v[131:132]
	buffer_load_dword v140, off, s[0:3], 0 offset:420
	buffer_load_dword v151, off, s[0:3], 0 offset:440
	buffer_load_dword v161, off, s[0:3], 0 offset:432
	buffer_load_dword v163, off, s[0:3], 0 offset:424
	buffer_load_dword v139, off, s[0:3], 0 offset:416
	buffer_load_dword v164, off, s[0:3], 0 offset:428
	buffer_load_dword v162, off, s[0:3], 0 offset:436
	buffer_load_dword v152, off, s[0:3], 0 offset:444
	s_waitcnt vmcnt(24) lgkmcnt(0)
	v_fma_f64 v[131:132], v[153:154], v[135:136], v[131:132]
	s_waitcnt vmcnt(19)
	v_fma_f64 v[141:142], v[141:142], v[137:138], v[131:132]
	ds_read2_b64 v[131:134], v130 offset0:109 offset1:110
	ds_read2_b64 v[135:138], v130 offset0:111 offset1:112
	s_waitcnt vmcnt(18) lgkmcnt(1)
	v_fma_f64 v[131:132], v[155:156], v[131:132], v[141:142]
	s_waitcnt vmcnt(17)
	v_fma_f64 v[131:132], v[149:150], v[133:134], v[131:132]
	buffer_load_dword v142, off, s[0:3], 0 offset:452
	buffer_load_dword v149, off, s[0:3], 0 offset:472
	buffer_load_dword v153, off, s[0:3], 0 offset:464
	buffer_load_dword v155, off, s[0:3], 0 offset:456
	buffer_load_dword v141, off, s[0:3], 0 offset:448
	buffer_load_dword v156, off, s[0:3], 0 offset:460
	buffer_load_dword v154, off, s[0:3], 0 offset:468
	buffer_load_dword v150, off, s[0:3], 0 offset:476
	s_waitcnt vmcnt(24) lgkmcnt(0)
	v_fma_f64 v[131:132], v[147:148], v[135:136], v[131:132]
	s_waitcnt vmcnt(19)
	v_fma_f64 v[143:144], v[143:144], v[137:138], v[131:132]
	ds_read2_b64 v[131:134], v130 offset0:113 offset1:114
	ds_read2_b64 v[135:138], v130 offset0:115 offset1:116
	;; [unrolled: 18-line block ×3, first 2 shown]
	s_waitcnt vmcnt(18) lgkmcnt(1)
	v_fma_f64 v[131:132], v[163:164], v[131:132], v[139:140]
	buffer_load_dword v139, off, s[0:3], 0 offset:32
	buffer_load_dword v140, off, s[0:3], 0 offset:36
	s_waitcnt vmcnt(19)
	v_fma_f64 v[131:132], v[161:162], v[133:134], v[131:132]
	s_waitcnt vmcnt(18) lgkmcnt(0)
	v_fma_f64 v[131:132], v[151:152], v[135:136], v[131:132]
	s_waitcnt vmcnt(13)
	v_fma_f64 v[141:142], v[141:142], v[137:138], v[131:132]
	ds_read2_b64 v[131:134], v130 offset0:121 offset1:122
	ds_read2_b64 v[135:138], v130 offset0:123 offset1:124
	s_waitcnt vmcnt(12) lgkmcnt(1)
	v_fma_f64 v[131:132], v[155:156], v[131:132], v[141:142]
	s_waitcnt vmcnt(11)
	v_fma_f64 v[131:132], v[153:154], v[133:134], v[131:132]
	s_waitcnt vmcnt(10) lgkmcnt(0)
	v_fma_f64 v[131:132], v[149:150], v[135:136], v[131:132]
	s_waitcnt vmcnt(5)
	v_fma_f64 v[135:136], v[143:144], v[137:138], v[131:132]
	ds_read2_b64 v[131:134], v130 offset0:125 offset1:126
	ds_read_b64 v[137:138], v130 offset:1016
	s_waitcnt vmcnt(4) lgkmcnt(1)
	v_fma_f64 v[131:132], v[159:160], v[131:132], v[135:136]
	s_waitcnt vmcnt(3)
	v_fma_f64 v[131:132], v[157:158], v[133:134], v[131:132]
	s_waitcnt vmcnt(2) lgkmcnt(0)
	v_fma_f64 v[131:132], v[147:148], v[137:138], v[131:132]
	s_waitcnt vmcnt(0)
	v_add_f64 v[131:132], v[139:140], -v[131:132]
	buffer_store_dword v132, off, s[0:3], 0 offset:36
	buffer_store_dword v131, off, s[0:3], 0 offset:32
	s_and_saveexec_b64 s[4:5], vcc
	s_cbranch_execz .LBB63_385
; %bb.384:
	buffer_load_dword v131, off, s[0:3], 0 offset:24
	buffer_load_dword v132, off, s[0:3], 0 offset:28
	s_waitcnt vmcnt(0)
	ds_write_b64 v129, v[131:132]
	buffer_store_dword v130, off, s[0:3], 0 offset:24
	buffer_store_dword v130, off, s[0:3], 0 offset:28
.LBB63_385:
	s_or_b64 exec, exec, s[4:5]
	s_waitcnt lgkmcnt(0)
	; wave barrier
	buffer_load_dword v139, off, s[0:3], 0 offset:32
	buffer_load_dword v140, off, s[0:3], 0 offset:36
	;; [unrolled: 1-line block ×21, first 2 shown]
	ds_read_b128 v[131:134], v130 offset:544
	ds_read_b128 v[135:138], v130 offset:560
	buffer_load_dword v156, off, s[0:3], 0 offset:116
	v_cmp_lt_u32_e32 vcc, 2, v0
	s_waitcnt vmcnt(20) lgkmcnt(1)
	v_fma_f64 v[131:132], v[139:140], v[131:132], 0
	s_waitcnt vmcnt(18)
	v_fma_f64 v[131:132], v[141:142], v[133:134], v[131:132]
	buffer_load_dword v140, off, s[0:3], 0 offset:124
	buffer_load_dword v141, off, s[0:3], 0 offset:144
	;; [unrolled: 1-line block ×7, first 2 shown]
	s_waitcnt vmcnt(23) lgkmcnt(0)
	v_fma_f64 v[131:132], v[143:144], v[135:136], v[131:132]
	s_waitcnt vmcnt(21)
	v_fma_f64 v[142:143], v[145:146], v[137:138], v[131:132]
	ds_read_b128 v[131:134], v130 offset:576
	ds_read_b128 v[135:138], v130 offset:592
	s_waitcnt vmcnt(19) lgkmcnt(1)
	v_fma_f64 v[131:132], v[147:148], v[131:132], v[142:143]
	buffer_load_dword v142, off, s[0:3], 0 offset:148
	s_waitcnt vmcnt(18)
	v_fma_f64 v[131:132], v[149:150], v[133:134], v[131:132]
	buffer_load_dword v144, off, s[0:3], 0 offset:156
	buffer_load_dword v145, off, s[0:3], 0 offset:176
	;; [unrolled: 1-line block ×8, first 2 shown]
	s_waitcnt vmcnt(24) lgkmcnt(0)
	v_fma_f64 v[131:132], v[151:152], v[135:136], v[131:132]
	s_waitcnt vmcnt(19)
	v_fma_f64 v[151:152], v[153:154], v[137:138], v[131:132]
	ds_read_b128 v[131:134], v130 offset:608
	ds_read_b128 v[135:138], v130 offset:624
	s_waitcnt vmcnt(18) lgkmcnt(1)
	v_fma_f64 v[131:132], v[159:160], v[131:132], v[151:152]
	s_waitcnt vmcnt(17)
	v_fma_f64 v[131:132], v[157:158], v[133:134], v[131:132]
	buffer_load_dword v152, off, s[0:3], 0 offset:188
	buffer_load_dword v153, off, s[0:3], 0 offset:208
	;; [unrolled: 1-line block ×7, first 2 shown]
	s_waitcnt vmcnt(23) lgkmcnt(0)
	v_fma_f64 v[131:132], v[155:156], v[135:136], v[131:132]
	s_waitcnt vmcnt(18)
	v_fma_f64 v[139:140], v[139:140], v[137:138], v[131:132]
	ds_read_b128 v[131:134], v130 offset:640
	ds_read_b128 v[135:138], v130 offset:656
	buffer_load_dword v154, off, s[0:3], 0 offset:212
	s_waitcnt vmcnt(18) lgkmcnt(1)
	v_fma_f64 v[131:132], v[163:164], v[131:132], v[139:140]
	s_waitcnt vmcnt(17)
	v_fma_f64 v[131:132], v[161:162], v[133:134], v[131:132]
	buffer_load_dword v140, off, s[0:3], 0 offset:220
	buffer_load_dword v155, off, s[0:3], 0 offset:240
	;; [unrolled: 1-line block ×8, first 2 shown]
	s_waitcnt vmcnt(24) lgkmcnt(0)
	v_fma_f64 v[131:132], v[141:142], v[135:136], v[131:132]
	s_waitcnt vmcnt(19)
	v_fma_f64 v[141:142], v[143:144], v[137:138], v[131:132]
	ds_read_b128 v[131:134], v130 offset:672
	ds_read_b128 v[135:138], v130 offset:688
	s_waitcnt vmcnt(18) lgkmcnt(1)
	v_fma_f64 v[131:132], v[149:150], v[131:132], v[141:142]
	s_waitcnt vmcnt(17)
	v_fma_f64 v[131:132], v[147:148], v[133:134], v[131:132]
	buffer_load_dword v142, off, s[0:3], 0 offset:252
	buffer_load_dword v143, off, s[0:3], 0 offset:272
	;; [unrolled: 1-line block ×7, first 2 shown]
	s_waitcnt vmcnt(23) lgkmcnt(0)
	v_fma_f64 v[131:132], v[145:146], v[135:136], v[131:132]
	s_waitcnt vmcnt(18)
	v_fma_f64 v[144:145], v[151:152], v[137:138], v[131:132]
	ds_read_b128 v[131:134], v130 offset:704
	ds_read_b128 v[135:138], v130 offset:720
	s_waitcnt vmcnt(17) lgkmcnt(1)
	v_fma_f64 v[131:132], v[159:160], v[131:132], v[144:145]
	buffer_load_dword v144, off, s[0:3], 0 offset:276
	s_waitcnt vmcnt(17)
	v_fma_f64 v[131:132], v[157:158], v[133:134], v[131:132]
	buffer_load_dword v146, off, s[0:3], 0 offset:284
	buffer_load_dword v151, off, s[0:3], 0 offset:304
	;; [unrolled: 1-line block ×7, first 2 shown]
	s_waitcnt vmcnt(23) lgkmcnt(0)
	v_fma_f64 v[131:132], v[153:154], v[135:136], v[131:132]
	s_waitcnt vmcnt(18)
	v_fma_f64 v[139:140], v[139:140], v[137:138], v[131:132]
	ds_read_b128 v[131:134], v130 offset:736
	ds_read_b128 v[135:138], v130 offset:752
	buffer_load_dword v152, off, s[0:3], 0 offset:308
	s_waitcnt vmcnt(18) lgkmcnt(1)
	v_fma_f64 v[131:132], v[163:164], v[131:132], v[139:140]
	s_waitcnt vmcnt(17)
	v_fma_f64 v[131:132], v[161:162], v[133:134], v[131:132]
	buffer_load_dword v140, off, s[0:3], 0 offset:316
	buffer_load_dword v153, off, s[0:3], 0 offset:336
	;; [unrolled: 1-line block ×8, first 2 shown]
	s_waitcnt vmcnt(24) lgkmcnt(0)
	v_fma_f64 v[131:132], v[155:156], v[135:136], v[131:132]
	s_waitcnt vmcnt(19)
	v_fma_f64 v[141:142], v[141:142], v[137:138], v[131:132]
	ds_read_b128 v[131:134], v130 offset:768
	ds_read_b128 v[135:138], v130 offset:784
	s_waitcnt vmcnt(18) lgkmcnt(1)
	v_fma_f64 v[131:132], v[149:150], v[131:132], v[141:142]
	s_waitcnt vmcnt(17)
	v_fma_f64 v[131:132], v[147:148], v[133:134], v[131:132]
	buffer_load_dword v142, off, s[0:3], 0 offset:348
	buffer_load_dword v147, off, s[0:3], 0 offset:368
	;; [unrolled: 1-line block ×8, first 2 shown]
	s_waitcnt vmcnt(24) lgkmcnt(0)
	v_fma_f64 v[131:132], v[143:144], v[135:136], v[131:132]
	s_waitcnt vmcnt(19)
	v_fma_f64 v[143:144], v[145:146], v[137:138], v[131:132]
	ds_read_b128 v[131:134], v130 offset:800
	ds_read_b128 v[135:138], v130 offset:816
	s_waitcnt vmcnt(18) lgkmcnt(1)
	v_fma_f64 v[131:132], v[159:160], v[131:132], v[143:144]
	s_waitcnt vmcnt(17)
	v_fma_f64 v[131:132], v[157:158], v[133:134], v[131:132]
	buffer_load_dword v144, off, s[0:3], 0 offset:380
	buffer_load_dword v145, off, s[0:3], 0 offset:400
	;; [unrolled: 1-line block ×7, first 2 shown]
	s_waitcnt vmcnt(23) lgkmcnt(0)
	v_fma_f64 v[131:132], v[151:152], v[135:136], v[131:132]
	s_waitcnt vmcnt(18)
	v_fma_f64 v[139:140], v[139:140], v[137:138], v[131:132]
	ds_read_b128 v[131:134], v130 offset:832
	ds_read_b128 v[135:138], v130 offset:848
	buffer_load_dword v146, off, s[0:3], 0 offset:404
	s_waitcnt vmcnt(18) lgkmcnt(1)
	v_fma_f64 v[131:132], v[163:164], v[131:132], v[139:140]
	s_waitcnt vmcnt(17)
	v_fma_f64 v[131:132], v[161:162], v[133:134], v[131:132]
	buffer_load_dword v140, off, s[0:3], 0 offset:412
	buffer_load_dword v151, off, s[0:3], 0 offset:432
	buffer_load_dword v161, off, s[0:3], 0 offset:424
	buffer_load_dword v163, off, s[0:3], 0 offset:416
	buffer_load_dword v139, off, s[0:3], 0 offset:408
	buffer_load_dword v164, off, s[0:3], 0 offset:420
	buffer_load_dword v162, off, s[0:3], 0 offset:428
	buffer_load_dword v152, off, s[0:3], 0 offset:436
	s_waitcnt vmcnt(24) lgkmcnt(0)
	v_fma_f64 v[131:132], v[153:154], v[135:136], v[131:132]
	s_waitcnt vmcnt(19)
	v_fma_f64 v[141:142], v[141:142], v[137:138], v[131:132]
	ds_read_b128 v[131:134], v130 offset:864
	ds_read_b128 v[135:138], v130 offset:880
	s_waitcnt vmcnt(18) lgkmcnt(1)
	v_fma_f64 v[131:132], v[155:156], v[131:132], v[141:142]
	s_waitcnt vmcnt(17)
	v_fma_f64 v[131:132], v[149:150], v[133:134], v[131:132]
	buffer_load_dword v142, off, s[0:3], 0 offset:444
	buffer_load_dword v149, off, s[0:3], 0 offset:464
	buffer_load_dword v153, off, s[0:3], 0 offset:456
	buffer_load_dword v155, off, s[0:3], 0 offset:448
	buffer_load_dword v141, off, s[0:3], 0 offset:440
	buffer_load_dword v156, off, s[0:3], 0 offset:452
	buffer_load_dword v154, off, s[0:3], 0 offset:460
	buffer_load_dword v150, off, s[0:3], 0 offset:468
	s_waitcnt vmcnt(24) lgkmcnt(0)
	v_fma_f64 v[131:132], v[147:148], v[135:136], v[131:132]
	s_waitcnt vmcnt(19)
	v_fma_f64 v[143:144], v[143:144], v[137:138], v[131:132]
	ds_read_b128 v[131:134], v130 offset:896
	ds_read_b128 v[135:138], v130 offset:912
	;; [unrolled: 18-line block ×3, first 2 shown]
	s_waitcnt vmcnt(18) lgkmcnt(1)
	v_fma_f64 v[131:132], v[163:164], v[131:132], v[139:140]
	buffer_load_dword v140, off, s[0:3], 0 offset:508
	buffer_load_dword v139, off, s[0:3], 0 offset:504
	;; [unrolled: 1-line block ×4, first 2 shown]
	s_waitcnt vmcnt(21)
	v_fma_f64 v[131:132], v[161:162], v[133:134], v[131:132]
	s_waitcnt vmcnt(20) lgkmcnt(0)
	v_fma_f64 v[131:132], v[151:152], v[135:136], v[131:132]
	s_waitcnt vmcnt(15)
	v_fma_f64 v[141:142], v[141:142], v[137:138], v[131:132]
	ds_read_b128 v[131:134], v130 offset:960
	ds_read_b128 v[135:138], v130 offset:976
	s_waitcnt vmcnt(14) lgkmcnt(1)
	v_fma_f64 v[131:132], v[155:156], v[131:132], v[141:142]
	s_waitcnt vmcnt(13)
	v_fma_f64 v[131:132], v[153:154], v[133:134], v[131:132]
	s_waitcnt vmcnt(12) lgkmcnt(0)
	v_fma_f64 v[131:132], v[149:150], v[135:136], v[131:132]
	s_waitcnt vmcnt(7)
	v_fma_f64 v[141:142], v[143:144], v[137:138], v[131:132]
	ds_read_b128 v[131:134], v130 offset:992
	ds_read_b128 v[135:138], v130 offset:1008
	s_waitcnt vmcnt(6) lgkmcnt(1)
	v_fma_f64 v[130:131], v[159:160], v[131:132], v[141:142]
	s_waitcnt vmcnt(5)
	v_fma_f64 v[130:131], v[157:158], v[133:134], v[130:131]
	s_waitcnt vmcnt(4) lgkmcnt(0)
	v_fma_f64 v[130:131], v[147:148], v[135:136], v[130:131]
	s_waitcnt vmcnt(2)
	v_fma_f64 v[130:131], v[139:140], v[137:138], v[130:131]
	s_waitcnt vmcnt(0)
	v_add_f64 v[130:131], v[145:146], -v[130:131]
	buffer_store_dword v131, off, s[0:3], 0 offset:28
	buffer_store_dword v130, off, s[0:3], 0 offset:24
	s_and_saveexec_b64 s[4:5], vcc
	s_cbranch_execz .LBB63_387
; %bb.386:
	buffer_load_dword v130, off, s[0:3], 0 offset:16
	buffer_load_dword v131, off, s[0:3], 0 offset:20
	v_mov_b32_e32 v132, 0
	buffer_store_dword v132, off, s[0:3], 0 offset:16
	buffer_store_dword v132, off, s[0:3], 0 offset:20
	s_waitcnt vmcnt(2)
	ds_write_b64 v129, v[130:131]
.LBB63_387:
	s_or_b64 exec, exec, s[4:5]
	s_waitcnt lgkmcnt(0)
	; wave barrier
	buffer_load_dword v139, off, s[0:3], 0 offset:24
	buffer_load_dword v140, off, s[0:3], 0 offset:28
	;; [unrolled: 1-line block ×21, first 2 shown]
	v_mov_b32_e32 v130, 0
	ds_read2_b64 v[131:134], v130 offset0:67 offset1:68
	ds_read2_b64 v[135:138], v130 offset0:69 offset1:70
	buffer_load_dword v156, off, s[0:3], 0 offset:108
	v_cmp_lt_u32_e32 vcc, 1, v0
	s_waitcnt vmcnt(20) lgkmcnt(1)
	v_fma_f64 v[131:132], v[139:140], v[131:132], 0
	s_waitcnt vmcnt(18)
	v_fma_f64 v[131:132], v[141:142], v[133:134], v[131:132]
	buffer_load_dword v140, off, s[0:3], 0 offset:116
	buffer_load_dword v141, off, s[0:3], 0 offset:136
	;; [unrolled: 1-line block ×7, first 2 shown]
	s_waitcnt vmcnt(23) lgkmcnt(0)
	v_fma_f64 v[131:132], v[143:144], v[135:136], v[131:132]
	s_waitcnt vmcnt(21)
	v_fma_f64 v[142:143], v[145:146], v[137:138], v[131:132]
	ds_read2_b64 v[131:134], v130 offset0:71 offset1:72
	ds_read2_b64 v[135:138], v130 offset0:73 offset1:74
	s_waitcnt vmcnt(19) lgkmcnt(1)
	v_fma_f64 v[131:132], v[147:148], v[131:132], v[142:143]
	buffer_load_dword v142, off, s[0:3], 0 offset:140
	s_waitcnt vmcnt(18)
	v_fma_f64 v[131:132], v[149:150], v[133:134], v[131:132]
	buffer_load_dword v144, off, s[0:3], 0 offset:148
	buffer_load_dword v145, off, s[0:3], 0 offset:168
	;; [unrolled: 1-line block ×8, first 2 shown]
	s_waitcnt vmcnt(24) lgkmcnt(0)
	v_fma_f64 v[131:132], v[151:152], v[135:136], v[131:132]
	s_waitcnt vmcnt(19)
	v_fma_f64 v[151:152], v[153:154], v[137:138], v[131:132]
	ds_read2_b64 v[131:134], v130 offset0:75 offset1:76
	ds_read2_b64 v[135:138], v130 offset0:77 offset1:78
	s_waitcnt vmcnt(18) lgkmcnt(1)
	v_fma_f64 v[131:132], v[159:160], v[131:132], v[151:152]
	s_waitcnt vmcnt(17)
	v_fma_f64 v[131:132], v[157:158], v[133:134], v[131:132]
	buffer_load_dword v152, off, s[0:3], 0 offset:180
	buffer_load_dword v153, off, s[0:3], 0 offset:200
	;; [unrolled: 1-line block ×7, first 2 shown]
	s_waitcnt vmcnt(23) lgkmcnt(0)
	v_fma_f64 v[131:132], v[155:156], v[135:136], v[131:132]
	s_waitcnt vmcnt(18)
	v_fma_f64 v[139:140], v[139:140], v[137:138], v[131:132]
	ds_read2_b64 v[131:134], v130 offset0:79 offset1:80
	ds_read2_b64 v[135:138], v130 offset0:81 offset1:82
	buffer_load_dword v154, off, s[0:3], 0 offset:204
	s_waitcnt vmcnt(18) lgkmcnt(1)
	v_fma_f64 v[131:132], v[163:164], v[131:132], v[139:140]
	s_waitcnt vmcnt(17)
	v_fma_f64 v[131:132], v[161:162], v[133:134], v[131:132]
	buffer_load_dword v140, off, s[0:3], 0 offset:212
	buffer_load_dword v155, off, s[0:3], 0 offset:232
	;; [unrolled: 1-line block ×7, first 2 shown]
	s_waitcnt vmcnt(23) lgkmcnt(0)
	v_fma_f64 v[131:132], v[141:142], v[135:136], v[131:132]
	s_waitcnt vmcnt(18)
	v_fma_f64 v[141:142], v[143:144], v[137:138], v[131:132]
	ds_read2_b64 v[131:134], v130 offset0:83 offset1:84
	ds_read2_b64 v[135:138], v130 offset0:85 offset1:86
	buffer_load_dword v156, off, s[0:3], 0 offset:236
	s_waitcnt vmcnt(18) lgkmcnt(1)
	v_fma_f64 v[131:132], v[149:150], v[131:132], v[141:142]
	s_waitcnt vmcnt(17)
	v_fma_f64 v[131:132], v[147:148], v[133:134], v[131:132]
	buffer_load_dword v142, off, s[0:3], 0 offset:244
	buffer_load_dword v143, off, s[0:3], 0 offset:264
	;; [unrolled: 1-line block ×7, first 2 shown]
	s_waitcnt vmcnt(23) lgkmcnt(0)
	v_fma_f64 v[131:132], v[145:146], v[135:136], v[131:132]
	s_waitcnt vmcnt(18)
	v_fma_f64 v[144:145], v[151:152], v[137:138], v[131:132]
	ds_read2_b64 v[131:134], v130 offset0:87 offset1:88
	ds_read2_b64 v[135:138], v130 offset0:89 offset1:90
	s_waitcnt vmcnt(17) lgkmcnt(1)
	v_fma_f64 v[131:132], v[159:160], v[131:132], v[144:145]
	buffer_load_dword v144, off, s[0:3], 0 offset:268
	s_waitcnt vmcnt(17)
	v_fma_f64 v[131:132], v[157:158], v[133:134], v[131:132]
	buffer_load_dword v146, off, s[0:3], 0 offset:276
	buffer_load_dword v151, off, s[0:3], 0 offset:296
	;; [unrolled: 1-line block ×7, first 2 shown]
	s_waitcnt vmcnt(23) lgkmcnt(0)
	v_fma_f64 v[131:132], v[153:154], v[135:136], v[131:132]
	s_waitcnt vmcnt(18)
	v_fma_f64 v[139:140], v[139:140], v[137:138], v[131:132]
	ds_read2_b64 v[131:134], v130 offset0:91 offset1:92
	ds_read2_b64 v[135:138], v130 offset0:93 offset1:94
	buffer_load_dword v152, off, s[0:3], 0 offset:300
	s_waitcnt vmcnt(18) lgkmcnt(1)
	v_fma_f64 v[131:132], v[163:164], v[131:132], v[139:140]
	s_waitcnt vmcnt(17)
	v_fma_f64 v[131:132], v[161:162], v[133:134], v[131:132]
	buffer_load_dword v140, off, s[0:3], 0 offset:308
	buffer_load_dword v153, off, s[0:3], 0 offset:328
	;; [unrolled: 1-line block ×7, first 2 shown]
	s_waitcnt vmcnt(23) lgkmcnt(0)
	v_fma_f64 v[131:132], v[155:156], v[135:136], v[131:132]
	s_waitcnt vmcnt(18)
	v_fma_f64 v[141:142], v[141:142], v[137:138], v[131:132]
	ds_read2_b64 v[131:134], v130 offset0:95 offset1:96
	ds_read2_b64 v[135:138], v130 offset0:97 offset1:98
	buffer_load_dword v154, off, s[0:3], 0 offset:332
	s_waitcnt vmcnt(18) lgkmcnt(1)
	v_fma_f64 v[131:132], v[149:150], v[131:132], v[141:142]
	s_waitcnt vmcnt(17)
	v_fma_f64 v[131:132], v[147:148], v[133:134], v[131:132]
	buffer_load_dword v142, off, s[0:3], 0 offset:340
	buffer_load_dword v147, off, s[0:3], 0 offset:360
	;; [unrolled: 1-line block ×8, first 2 shown]
	s_waitcnt vmcnt(24) lgkmcnt(0)
	v_fma_f64 v[131:132], v[143:144], v[135:136], v[131:132]
	s_waitcnt vmcnt(19)
	v_fma_f64 v[143:144], v[145:146], v[137:138], v[131:132]
	ds_read2_b64 v[131:134], v130 offset0:99 offset1:100
	ds_read2_b64 v[135:138], v130 offset0:101 offset1:102
	s_waitcnt vmcnt(18) lgkmcnt(1)
	v_fma_f64 v[131:132], v[159:160], v[131:132], v[143:144]
	s_waitcnt vmcnt(17)
	v_fma_f64 v[131:132], v[157:158], v[133:134], v[131:132]
	buffer_load_dword v144, off, s[0:3], 0 offset:372
	buffer_load_dword v145, off, s[0:3], 0 offset:392
	;; [unrolled: 1-line block ×7, first 2 shown]
	s_waitcnt vmcnt(23) lgkmcnt(0)
	v_fma_f64 v[131:132], v[151:152], v[135:136], v[131:132]
	s_waitcnt vmcnt(18)
	v_fma_f64 v[139:140], v[139:140], v[137:138], v[131:132]
	ds_read2_b64 v[131:134], v130 offset0:103 offset1:104
	ds_read2_b64 v[135:138], v130 offset0:105 offset1:106
	buffer_load_dword v146, off, s[0:3], 0 offset:396
	s_waitcnt vmcnt(18) lgkmcnt(1)
	v_fma_f64 v[131:132], v[163:164], v[131:132], v[139:140]
	s_waitcnt vmcnt(17)
	v_fma_f64 v[131:132], v[161:162], v[133:134], v[131:132]
	buffer_load_dword v140, off, s[0:3], 0 offset:404
	buffer_load_dword v151, off, s[0:3], 0 offset:424
	;; [unrolled: 1-line block ×7, first 2 shown]
	s_waitcnt vmcnt(23) lgkmcnt(0)
	v_fma_f64 v[131:132], v[153:154], v[135:136], v[131:132]
	s_waitcnt vmcnt(18)
	v_fma_f64 v[141:142], v[141:142], v[137:138], v[131:132]
	ds_read2_b64 v[131:134], v130 offset0:107 offset1:108
	ds_read2_b64 v[135:138], v130 offset0:109 offset1:110
	buffer_load_dword v152, off, s[0:3], 0 offset:428
	s_waitcnt vmcnt(18) lgkmcnt(1)
	v_fma_f64 v[131:132], v[155:156], v[131:132], v[141:142]
	s_waitcnt vmcnt(17)
	v_fma_f64 v[131:132], v[149:150], v[133:134], v[131:132]
	buffer_load_dword v142, off, s[0:3], 0 offset:436
	buffer_load_dword v149, off, s[0:3], 0 offset:456
	;; [unrolled: 1-line block ×8, first 2 shown]
	s_waitcnt vmcnt(24) lgkmcnt(0)
	v_fma_f64 v[131:132], v[147:148], v[135:136], v[131:132]
	s_waitcnt vmcnt(19)
	v_fma_f64 v[143:144], v[143:144], v[137:138], v[131:132]
	ds_read2_b64 v[131:134], v130 offset0:111 offset1:112
	ds_read2_b64 v[135:138], v130 offset0:113 offset1:114
	s_waitcnt vmcnt(18) lgkmcnt(1)
	v_fma_f64 v[131:132], v[159:160], v[131:132], v[143:144]
	s_waitcnt vmcnt(17)
	v_fma_f64 v[131:132], v[157:158], v[133:134], v[131:132]
	buffer_load_dword v144, off, s[0:3], 0 offset:468
	buffer_load_dword v147, off, s[0:3], 0 offset:488
	;; [unrolled: 1-line block ×7, first 2 shown]
	s_waitcnt vmcnt(23) lgkmcnt(0)
	v_fma_f64 v[131:132], v[145:146], v[135:136], v[131:132]
	s_waitcnt vmcnt(18)
	v_fma_f64 v[139:140], v[139:140], v[137:138], v[131:132]
	ds_read2_b64 v[131:134], v130 offset0:115 offset1:116
	ds_read2_b64 v[135:138], v130 offset0:117 offset1:118
	buffer_load_dword v148, off, s[0:3], 0 offset:492
	s_waitcnt vmcnt(18) lgkmcnt(1)
	v_fma_f64 v[131:132], v[163:164], v[131:132], v[139:140]
	buffer_load_dword v140, off, s[0:3], 0 offset:500
	buffer_load_dword v145, off, s[0:3], 0 offset:504
	;; [unrolled: 1-line block ×4, first 2 shown]
	s_waitcnt vmcnt(21)
	v_fma_f64 v[131:132], v[161:162], v[133:134], v[131:132]
	s_waitcnt vmcnt(20) lgkmcnt(0)
	v_fma_f64 v[131:132], v[151:152], v[135:136], v[131:132]
	buffer_load_dword v151, off, s[0:3], 0 offset:16
	buffer_load_dword v152, off, s[0:3], 0 offset:20
	s_waitcnt vmcnt(17)
	v_fma_f64 v[141:142], v[141:142], v[137:138], v[131:132]
	ds_read2_b64 v[131:134], v130 offset0:119 offset1:120
	ds_read2_b64 v[135:138], v130 offset0:121 offset1:122
	s_waitcnt vmcnt(16) lgkmcnt(1)
	v_fma_f64 v[131:132], v[155:156], v[131:132], v[141:142]
	s_waitcnt vmcnt(15)
	v_fma_f64 v[131:132], v[153:154], v[133:134], v[131:132]
	s_waitcnt vmcnt(14) lgkmcnt(0)
	v_fma_f64 v[131:132], v[149:150], v[135:136], v[131:132]
	s_waitcnt vmcnt(9)
	v_fma_f64 v[141:142], v[143:144], v[137:138], v[131:132]
	ds_read2_b64 v[131:134], v130 offset0:123 offset1:124
	ds_read2_b64 v[135:138], v130 offset0:125 offset1:126
	s_waitcnt vmcnt(8) lgkmcnt(1)
	v_fma_f64 v[131:132], v[159:160], v[131:132], v[141:142]
	s_waitcnt vmcnt(7)
	v_fma_f64 v[131:132], v[157:158], v[133:134], v[131:132]
	ds_read_b64 v[133:134], v130 offset:1016
	s_waitcnt vmcnt(6) lgkmcnt(1)
	v_fma_f64 v[131:132], v[147:148], v[135:136], v[131:132]
	s_waitcnt vmcnt(3)
	v_fma_f64 v[131:132], v[139:140], v[137:138], v[131:132]
	s_waitcnt vmcnt(2) lgkmcnt(0)
	v_fma_f64 v[131:132], v[145:146], v[133:134], v[131:132]
	s_waitcnt vmcnt(0)
	v_add_f64 v[131:132], v[151:152], -v[131:132]
	buffer_store_dword v132, off, s[0:3], 0 offset:20
	buffer_store_dword v131, off, s[0:3], 0 offset:16
	s_and_saveexec_b64 s[4:5], vcc
	s_cbranch_execz .LBB63_389
; %bb.388:
	buffer_load_dword v131, off, s[0:3], 0 offset:8
	buffer_load_dword v132, off, s[0:3], 0 offset:12
	s_waitcnt vmcnt(0)
	ds_write_b64 v129, v[131:132]
	buffer_store_dword v130, off, s[0:3], 0 offset:8
	buffer_store_dword v130, off, s[0:3], 0 offset:12
.LBB63_389:
	s_or_b64 exec, exec, s[4:5]
	s_waitcnt lgkmcnt(0)
	; wave barrier
	buffer_load_dword v139, off, s[0:3], 0 offset:16
	buffer_load_dword v140, off, s[0:3], 0 offset:20
	;; [unrolled: 1-line block ×22, first 2 shown]
	ds_read_b128 v[131:134], v130 offset:528
	ds_read_b128 v[135:138], v130 offset:544
	v_cmp_ne_u32_e32 vcc, 0, v0
	s_waitcnt vmcnt(20) lgkmcnt(1)
	v_fma_f64 v[131:132], v[139:140], v[131:132], 0
	s_waitcnt vmcnt(18)
	v_fma_f64 v[131:132], v[141:142], v[133:134], v[131:132]
	buffer_load_dword v140, off, s[0:3], 0 offset:108
	buffer_load_dword v141, off, s[0:3], 0 offset:128
	;; [unrolled: 1-line block ×7, first 2 shown]
	s_waitcnt vmcnt(23) lgkmcnt(0)
	v_fma_f64 v[131:132], v[143:144], v[135:136], v[131:132]
	s_waitcnt vmcnt(21)
	v_fma_f64 v[142:143], v[145:146], v[137:138], v[131:132]
	ds_read_b128 v[131:134], v130 offset:560
	ds_read_b128 v[135:138], v130 offset:576
	s_waitcnt vmcnt(19) lgkmcnt(1)
	v_fma_f64 v[131:132], v[147:148], v[131:132], v[142:143]
	buffer_load_dword v142, off, s[0:3], 0 offset:132
	s_waitcnt vmcnt(18)
	v_fma_f64 v[131:132], v[149:150], v[133:134], v[131:132]
	buffer_load_dword v144, off, s[0:3], 0 offset:140
	buffer_load_dword v145, off, s[0:3], 0 offset:160
	;; [unrolled: 1-line block ×8, first 2 shown]
	s_waitcnt vmcnt(24) lgkmcnt(0)
	v_fma_f64 v[131:132], v[151:152], v[135:136], v[131:132]
	s_waitcnt vmcnt(19)
	v_fma_f64 v[151:152], v[153:154], v[137:138], v[131:132]
	ds_read_b128 v[131:134], v130 offset:592
	ds_read_b128 v[135:138], v130 offset:608
	s_waitcnt vmcnt(18) lgkmcnt(1)
	v_fma_f64 v[131:132], v[159:160], v[131:132], v[151:152]
	s_waitcnt vmcnt(17)
	v_fma_f64 v[131:132], v[157:158], v[133:134], v[131:132]
	buffer_load_dword v152, off, s[0:3], 0 offset:172
	buffer_load_dword v153, off, s[0:3], 0 offset:192
	;; [unrolled: 1-line block ×8, first 2 shown]
	s_waitcnt vmcnt(24) lgkmcnt(0)
	v_fma_f64 v[131:132], v[155:156], v[135:136], v[131:132]
	s_waitcnt vmcnt(19)
	v_fma_f64 v[139:140], v[139:140], v[137:138], v[131:132]
	ds_read_b128 v[131:134], v130 offset:624
	ds_read_b128 v[135:138], v130 offset:640
	s_waitcnt vmcnt(18) lgkmcnt(1)
	v_fma_f64 v[131:132], v[163:164], v[131:132], v[139:140]
	s_waitcnt vmcnt(17)
	v_fma_f64 v[131:132], v[161:162], v[133:134], v[131:132]
	buffer_load_dword v140, off, s[0:3], 0 offset:204
	buffer_load_dword v155, off, s[0:3], 0 offset:224
	;; [unrolled: 1-line block ×7, first 2 shown]
	s_waitcnt vmcnt(23) lgkmcnt(0)
	v_fma_f64 v[131:132], v[141:142], v[135:136], v[131:132]
	s_waitcnt vmcnt(18)
	v_fma_f64 v[141:142], v[143:144], v[137:138], v[131:132]
	ds_read_b128 v[131:134], v130 offset:656
	ds_read_b128 v[135:138], v130 offset:672
	buffer_load_dword v156, off, s[0:3], 0 offset:228
	s_waitcnt vmcnt(18) lgkmcnt(1)
	v_fma_f64 v[131:132], v[149:150], v[131:132], v[141:142]
	s_waitcnt vmcnt(17)
	v_fma_f64 v[131:132], v[147:148], v[133:134], v[131:132]
	buffer_load_dword v142, off, s[0:3], 0 offset:236
	buffer_load_dword v143, off, s[0:3], 0 offset:256
	;; [unrolled: 1-line block ×7, first 2 shown]
	s_waitcnt vmcnt(23) lgkmcnt(0)
	v_fma_f64 v[131:132], v[145:146], v[135:136], v[131:132]
	s_waitcnt vmcnt(18)
	v_fma_f64 v[144:145], v[151:152], v[137:138], v[131:132]
	ds_read_b128 v[131:134], v130 offset:688
	ds_read_b128 v[135:138], v130 offset:704
	s_waitcnt vmcnt(17) lgkmcnt(1)
	v_fma_f64 v[131:132], v[159:160], v[131:132], v[144:145]
	buffer_load_dword v144, off, s[0:3], 0 offset:260
	s_waitcnt vmcnt(17)
	v_fma_f64 v[131:132], v[157:158], v[133:134], v[131:132]
	buffer_load_dword v146, off, s[0:3], 0 offset:268
	buffer_load_dword v151, off, s[0:3], 0 offset:288
	;; [unrolled: 1-line block ×8, first 2 shown]
	s_waitcnt vmcnt(24) lgkmcnt(0)
	v_fma_f64 v[131:132], v[153:154], v[135:136], v[131:132]
	s_waitcnt vmcnt(19)
	v_fma_f64 v[139:140], v[139:140], v[137:138], v[131:132]
	ds_read_b128 v[131:134], v130 offset:720
	ds_read_b128 v[135:138], v130 offset:736
	s_waitcnt vmcnt(18) lgkmcnt(1)
	v_fma_f64 v[131:132], v[163:164], v[131:132], v[139:140]
	s_waitcnt vmcnt(17)
	v_fma_f64 v[131:132], v[161:162], v[133:134], v[131:132]
	buffer_load_dword v140, off, s[0:3], 0 offset:300
	buffer_load_dword v153, off, s[0:3], 0 offset:320
	buffer_load_dword v161, off, s[0:3], 0 offset:312
	buffer_load_dword v163, off, s[0:3], 0 offset:304
	buffer_load_dword v139, off, s[0:3], 0 offset:296
	buffer_load_dword v164, off, s[0:3], 0 offset:308
	buffer_load_dword v162, off, s[0:3], 0 offset:316
	s_waitcnt vmcnt(23) lgkmcnt(0)
	v_fma_f64 v[131:132], v[155:156], v[135:136], v[131:132]
	s_waitcnt vmcnt(18)
	v_fma_f64 v[141:142], v[141:142], v[137:138], v[131:132]
	ds_read_b128 v[131:134], v130 offset:752
	ds_read_b128 v[135:138], v130 offset:768
	buffer_load_dword v154, off, s[0:3], 0 offset:324
	s_waitcnt vmcnt(18) lgkmcnt(1)
	v_fma_f64 v[131:132], v[149:150], v[131:132], v[141:142]
	s_waitcnt vmcnt(17)
	v_fma_f64 v[131:132], v[147:148], v[133:134], v[131:132]
	buffer_load_dword v142, off, s[0:3], 0 offset:332
	buffer_load_dword v147, off, s[0:3], 0 offset:352
	;; [unrolled: 1-line block ×8, first 2 shown]
	s_waitcnt vmcnt(24) lgkmcnt(0)
	v_fma_f64 v[131:132], v[143:144], v[135:136], v[131:132]
	s_waitcnt vmcnt(19)
	v_fma_f64 v[143:144], v[145:146], v[137:138], v[131:132]
	ds_read_b128 v[131:134], v130 offset:784
	ds_read_b128 v[135:138], v130 offset:800
	s_waitcnt vmcnt(18) lgkmcnt(1)
	v_fma_f64 v[131:132], v[159:160], v[131:132], v[143:144]
	s_waitcnt vmcnt(17)
	v_fma_f64 v[131:132], v[157:158], v[133:134], v[131:132]
	buffer_load_dword v144, off, s[0:3], 0 offset:364
	buffer_load_dword v145, off, s[0:3], 0 offset:384
	;; [unrolled: 1-line block ×8, first 2 shown]
	s_waitcnt vmcnt(24) lgkmcnt(0)
	v_fma_f64 v[131:132], v[151:152], v[135:136], v[131:132]
	s_waitcnt vmcnt(19)
	v_fma_f64 v[139:140], v[139:140], v[137:138], v[131:132]
	ds_read_b128 v[131:134], v130 offset:816
	ds_read_b128 v[135:138], v130 offset:832
	s_waitcnt vmcnt(18) lgkmcnt(1)
	v_fma_f64 v[131:132], v[163:164], v[131:132], v[139:140]
	s_waitcnt vmcnt(17)
	v_fma_f64 v[131:132], v[161:162], v[133:134], v[131:132]
	buffer_load_dword v140, off, s[0:3], 0 offset:396
	buffer_load_dword v151, off, s[0:3], 0 offset:416
	;; [unrolled: 1-line block ×7, first 2 shown]
	s_waitcnt vmcnt(23) lgkmcnt(0)
	v_fma_f64 v[131:132], v[153:154], v[135:136], v[131:132]
	s_waitcnt vmcnt(18)
	v_fma_f64 v[141:142], v[141:142], v[137:138], v[131:132]
	ds_read_b128 v[131:134], v130 offset:848
	ds_read_b128 v[135:138], v130 offset:864
	buffer_load_dword v152, off, s[0:3], 0 offset:420
	s_waitcnt vmcnt(18) lgkmcnt(1)
	v_fma_f64 v[131:132], v[155:156], v[131:132], v[141:142]
	s_waitcnt vmcnt(17)
	v_fma_f64 v[131:132], v[149:150], v[133:134], v[131:132]
	buffer_load_dword v142, off, s[0:3], 0 offset:428
	buffer_load_dword v149, off, s[0:3], 0 offset:448
	;; [unrolled: 1-line block ×8, first 2 shown]
	s_waitcnt vmcnt(24) lgkmcnt(0)
	v_fma_f64 v[131:132], v[147:148], v[135:136], v[131:132]
	s_waitcnt vmcnt(19)
	v_fma_f64 v[143:144], v[143:144], v[137:138], v[131:132]
	ds_read_b128 v[131:134], v130 offset:880
	ds_read_b128 v[135:138], v130 offset:896
	s_waitcnt vmcnt(18) lgkmcnt(1)
	v_fma_f64 v[131:132], v[159:160], v[131:132], v[143:144]
	s_waitcnt vmcnt(17)
	v_fma_f64 v[131:132], v[157:158], v[133:134], v[131:132]
	buffer_load_dword v144, off, s[0:3], 0 offset:460
	buffer_load_dword v147, off, s[0:3], 0 offset:480
	buffer_load_dword v157, off, s[0:3], 0 offset:472
	buffer_load_dword v159, off, s[0:3], 0 offset:464
	buffer_load_dword v143, off, s[0:3], 0 offset:456
	buffer_load_dword v160, off, s[0:3], 0 offset:468
	buffer_load_dword v158, off, s[0:3], 0 offset:476
	buffer_load_dword v148, off, s[0:3], 0 offset:484
	s_waitcnt vmcnt(24) lgkmcnt(0)
	v_fma_f64 v[131:132], v[145:146], v[135:136], v[131:132]
	s_waitcnt vmcnt(19)
	v_fma_f64 v[139:140], v[139:140], v[137:138], v[131:132]
	ds_read_b128 v[131:134], v130 offset:912
	ds_read_b128 v[135:138], v130 offset:928
	s_waitcnt vmcnt(18) lgkmcnt(1)
	v_fma_f64 v[131:132], v[163:164], v[131:132], v[139:140]
	s_waitcnt vmcnt(17)
	v_fma_f64 v[131:132], v[161:162], v[133:134], v[131:132]
	buffer_load_dword v140, off, s[0:3], 0 offset:492
	buffer_load_dword v145, off, s[0:3], 0 offset:504
	;; [unrolled: 1-line block ×6, first 2 shown]
	s_waitcnt vmcnt(22) lgkmcnt(0)
	v_fma_f64 v[131:132], v[151:152], v[135:136], v[131:132]
	s_waitcnt vmcnt(17)
	v_fma_f64 v[141:142], v[141:142], v[137:138], v[131:132]
	ds_read_b128 v[131:134], v130 offset:944
	buffer_load_dword v151, off, s[0:3], 0 offset:8
	buffer_load_dword v152, off, s[0:3], 0 offset:12
	ds_read_b128 v[135:138], v130 offset:960
	s_waitcnt vmcnt(18) lgkmcnt(1)
	v_fma_f64 v[131:132], v[155:156], v[131:132], v[141:142]
	s_waitcnt vmcnt(17)
	v_fma_f64 v[131:132], v[153:154], v[133:134], v[131:132]
	s_waitcnt vmcnt(16) lgkmcnt(0)
	v_fma_f64 v[131:132], v[149:150], v[135:136], v[131:132]
	s_waitcnt vmcnt(11)
	v_fma_f64 v[141:142], v[143:144], v[137:138], v[131:132]
	ds_read_b128 v[131:134], v130 offset:976
	ds_read_b128 v[135:138], v130 offset:992
	s_waitcnt vmcnt(10) lgkmcnt(1)
	v_fma_f64 v[131:132], v[159:160], v[131:132], v[141:142]
	s_waitcnt vmcnt(9)
	v_fma_f64 v[131:132], v[157:158], v[133:134], v[131:132]
	s_waitcnt vmcnt(8) lgkmcnt(0)
	v_fma_f64 v[131:132], v[147:148], v[135:136], v[131:132]
	s_waitcnt vmcnt(4)
	v_fma_f64 v[134:135], v[139:140], v[137:138], v[131:132]
	ds_read_b128 v[130:133], v130 offset:1008
	s_waitcnt vmcnt(3) lgkmcnt(0)
	v_fma_f64 v[130:131], v[161:162], v[130:131], v[134:135]
	s_waitcnt vmcnt(2)
	v_fma_f64 v[130:131], v[145:146], v[132:133], v[130:131]
	s_waitcnt vmcnt(0)
	v_add_f64 v[130:131], v[151:152], -v[130:131]
	buffer_store_dword v131, off, s[0:3], 0 offset:12
	buffer_store_dword v130, off, s[0:3], 0 offset:8
	s_and_saveexec_b64 s[4:5], vcc
	s_cbranch_execz .LBB63_391
; %bb.390:
	buffer_load_dword v130, off, s[0:3], 0
	buffer_load_dword v131, off, s[0:3], 0 offset:4
	v_mov_b32_e32 v0, 0
	buffer_store_dword v0, off, s[0:3], 0
	buffer_store_dword v0, off, s[0:3], 0 offset:4
	s_waitcnt vmcnt(2)
	ds_write_b64 v129, v[130:131]
.LBB63_391:
	s_or_b64 exec, exec, s[4:5]
	s_waitcnt lgkmcnt(0)
	; wave barrier
	buffer_load_dword v137, off, s[0:3], 0 offset:8
	buffer_load_dword v138, off, s[0:3], 0 offset:12
	;; [unrolled: 1-line block ×22, first 2 shown]
	v_mov_b32_e32 v0, 0
	ds_read2_b64 v[129:132], v0 offset0:65 offset1:66
	ds_read2_b64 v[133:136], v0 offset0:67 offset1:68
	s_and_b64 vcc, exec, s[22:23]
	s_waitcnt vmcnt(20) lgkmcnt(1)
	v_fma_f64 v[129:130], v[137:138], v[129:130], 0
	s_waitcnt vmcnt(18)
	v_fma_f64 v[129:130], v[139:140], v[131:132], v[129:130]
	buffer_load_dword v138, off, s[0:3], 0 offset:100
	buffer_load_dword v139, off, s[0:3], 0 offset:120
	;; [unrolled: 1-line block ×7, first 2 shown]
	s_waitcnt vmcnt(23) lgkmcnt(0)
	v_fma_f64 v[129:130], v[141:142], v[133:134], v[129:130]
	s_waitcnt vmcnt(21)
	v_fma_f64 v[140:141], v[143:144], v[135:136], v[129:130]
	ds_read2_b64 v[129:132], v0 offset0:69 offset1:70
	ds_read2_b64 v[133:136], v0 offset0:71 offset1:72
	s_waitcnt vmcnt(19) lgkmcnt(1)
	v_fma_f64 v[129:130], v[145:146], v[129:130], v[140:141]
	buffer_load_dword v140, off, s[0:3], 0 offset:124
	s_waitcnt vmcnt(18)
	v_fma_f64 v[129:130], v[147:148], v[131:132], v[129:130]
	buffer_load_dword v142, off, s[0:3], 0 offset:132
	buffer_load_dword v143, off, s[0:3], 0 offset:152
	;; [unrolled: 1-line block ×8, first 2 shown]
	s_waitcnt vmcnt(24) lgkmcnt(0)
	v_fma_f64 v[129:130], v[149:150], v[133:134], v[129:130]
	s_waitcnt vmcnt(19)
	v_fma_f64 v[149:150], v[151:152], v[135:136], v[129:130]
	ds_read2_b64 v[129:132], v0 offset0:73 offset1:74
	ds_read2_b64 v[133:136], v0 offset0:75 offset1:76
	s_waitcnt vmcnt(18) lgkmcnt(1)
	v_fma_f64 v[129:130], v[157:158], v[129:130], v[149:150]
	s_waitcnt vmcnt(17)
	v_fma_f64 v[129:130], v[155:156], v[131:132], v[129:130]
	buffer_load_dword v150, off, s[0:3], 0 offset:164
	buffer_load_dword v151, off, s[0:3], 0 offset:184
	buffer_load_dword v155, off, s[0:3], 0 offset:176
	buffer_load_dword v157, off, s[0:3], 0 offset:168
	buffer_load_dword v149, off, s[0:3], 0 offset:160
	buffer_load_dword v158, off, s[0:3], 0 offset:172
	buffer_load_dword v156, off, s[0:3], 0 offset:180
	buffer_load_dword v152, off, s[0:3], 0 offset:188
	s_waitcnt vmcnt(24) lgkmcnt(0)
	v_fma_f64 v[129:130], v[153:154], v[133:134], v[129:130]
	s_waitcnt vmcnt(19)
	v_fma_f64 v[137:138], v[137:138], v[135:136], v[129:130]
	ds_read2_b64 v[129:132], v0 offset0:77 offset1:78
	ds_read2_b64 v[133:136], v0 offset0:79 offset1:80
	s_waitcnt vmcnt(18) lgkmcnt(1)
	v_fma_f64 v[129:130], v[161:162], v[129:130], v[137:138]
	s_waitcnt vmcnt(17)
	v_fma_f64 v[129:130], v[159:160], v[131:132], v[129:130]
	buffer_load_dword v138, off, s[0:3], 0 offset:196
	buffer_load_dword v153, off, s[0:3], 0 offset:216
	;; [unrolled: 1-line block ×7, first 2 shown]
	s_waitcnt vmcnt(23) lgkmcnt(0)
	v_fma_f64 v[129:130], v[139:140], v[133:134], v[129:130]
	s_waitcnt vmcnt(18)
	v_fma_f64 v[139:140], v[141:142], v[135:136], v[129:130]
	ds_read2_b64 v[129:132], v0 offset0:81 offset1:82
	ds_read2_b64 v[133:136], v0 offset0:83 offset1:84
	buffer_load_dword v154, off, s[0:3], 0 offset:220
	s_waitcnt vmcnt(18) lgkmcnt(1)
	v_fma_f64 v[129:130], v[147:148], v[129:130], v[139:140]
	s_waitcnt vmcnt(17)
	v_fma_f64 v[129:130], v[145:146], v[131:132], v[129:130]
	buffer_load_dword v140, off, s[0:3], 0 offset:228
	buffer_load_dword v141, off, s[0:3], 0 offset:248
	buffer_load_dword v145, off, s[0:3], 0 offset:240
	buffer_load_dword v147, off, s[0:3], 0 offset:232
	buffer_load_dword v139, off, s[0:3], 0 offset:224
	buffer_load_dword v148, off, s[0:3], 0 offset:236
	buffer_load_dword v146, off, s[0:3], 0 offset:244
	s_waitcnt vmcnt(23) lgkmcnt(0)
	v_fma_f64 v[129:130], v[143:144], v[133:134], v[129:130]
	s_waitcnt vmcnt(18)
	v_fma_f64 v[142:143], v[149:150], v[135:136], v[129:130]
	ds_read2_b64 v[129:132], v0 offset0:85 offset1:86
	ds_read2_b64 v[133:136], v0 offset0:87 offset1:88
	s_waitcnt vmcnt(17) lgkmcnt(1)
	v_fma_f64 v[129:130], v[157:158], v[129:130], v[142:143]
	buffer_load_dword v142, off, s[0:3], 0 offset:252
	s_waitcnt vmcnt(17)
	v_fma_f64 v[129:130], v[155:156], v[131:132], v[129:130]
	buffer_load_dword v144, off, s[0:3], 0 offset:260
	buffer_load_dword v149, off, s[0:3], 0 offset:280
	buffer_load_dword v155, off, s[0:3], 0 offset:272
	buffer_load_dword v157, off, s[0:3], 0 offset:264
	buffer_load_dword v143, off, s[0:3], 0 offset:256
	buffer_load_dword v158, off, s[0:3], 0 offset:268
	buffer_load_dword v156, off, s[0:3], 0 offset:276
	buffer_load_dword v150, off, s[0:3], 0 offset:284
	s_waitcnt vmcnt(24) lgkmcnt(0)
	v_fma_f64 v[129:130], v[151:152], v[133:134], v[129:130]
	s_waitcnt vmcnt(19)
	v_fma_f64 v[137:138], v[137:138], v[135:136], v[129:130]
	ds_read2_b64 v[129:132], v0 offset0:89 offset1:90
	ds_read2_b64 v[133:136], v0 offset0:91 offset1:92
	s_waitcnt vmcnt(18) lgkmcnt(1)
	v_fma_f64 v[129:130], v[161:162], v[129:130], v[137:138]
	s_waitcnt vmcnt(17)
	v_fma_f64 v[129:130], v[159:160], v[131:132], v[129:130]
	buffer_load_dword v138, off, s[0:3], 0 offset:292
	buffer_load_dword v151, off, s[0:3], 0 offset:312
	;; [unrolled: 1-line block ×7, first 2 shown]
	s_waitcnt vmcnt(23) lgkmcnt(0)
	v_fma_f64 v[129:130], v[153:154], v[133:134], v[129:130]
	s_waitcnt vmcnt(18)
	v_fma_f64 v[139:140], v[139:140], v[135:136], v[129:130]
	ds_read2_b64 v[129:132], v0 offset0:93 offset1:94
	ds_read2_b64 v[133:136], v0 offset0:95 offset1:96
	buffer_load_dword v152, off, s[0:3], 0 offset:316
	s_waitcnt vmcnt(18) lgkmcnt(1)
	v_fma_f64 v[129:130], v[147:148], v[129:130], v[139:140]
	s_waitcnt vmcnt(17)
	v_fma_f64 v[129:130], v[145:146], v[131:132], v[129:130]
	buffer_load_dword v140, off, s[0:3], 0 offset:324
	buffer_load_dword v145, off, s[0:3], 0 offset:344
	;; [unrolled: 1-line block ×8, first 2 shown]
	s_waitcnt vmcnt(24) lgkmcnt(0)
	v_fma_f64 v[129:130], v[141:142], v[133:134], v[129:130]
	s_waitcnt vmcnt(19)
	v_fma_f64 v[141:142], v[143:144], v[135:136], v[129:130]
	ds_read2_b64 v[129:132], v0 offset0:97 offset1:98
	ds_read2_b64 v[133:136], v0 offset0:99 offset1:100
	s_waitcnt vmcnt(18) lgkmcnt(1)
	v_fma_f64 v[129:130], v[157:158], v[129:130], v[141:142]
	s_waitcnt vmcnt(17)
	v_fma_f64 v[129:130], v[155:156], v[131:132], v[129:130]
	buffer_load_dword v142, off, s[0:3], 0 offset:356
	buffer_load_dword v143, off, s[0:3], 0 offset:376
	;; [unrolled: 1-line block ×8, first 2 shown]
	s_waitcnt vmcnt(24) lgkmcnt(0)
	v_fma_f64 v[129:130], v[149:150], v[133:134], v[129:130]
	s_waitcnt vmcnt(19)
	v_fma_f64 v[137:138], v[137:138], v[135:136], v[129:130]
	ds_read2_b64 v[129:132], v0 offset0:101 offset1:102
	ds_read2_b64 v[133:136], v0 offset0:103 offset1:104
	s_waitcnt vmcnt(18) lgkmcnt(1)
	v_fma_f64 v[129:130], v[161:162], v[129:130], v[137:138]
	s_waitcnt vmcnt(17)
	v_fma_f64 v[129:130], v[159:160], v[131:132], v[129:130]
	buffer_load_dword v138, off, s[0:3], 0 offset:388
	buffer_load_dword v149, off, s[0:3], 0 offset:408
	;; [unrolled: 1-line block ×7, first 2 shown]
	s_waitcnt vmcnt(23) lgkmcnt(0)
	v_fma_f64 v[129:130], v[151:152], v[133:134], v[129:130]
	s_waitcnt vmcnt(18)
	v_fma_f64 v[139:140], v[139:140], v[135:136], v[129:130]
	ds_read2_b64 v[129:132], v0 offset0:105 offset1:106
	ds_read2_b64 v[133:136], v0 offset0:107 offset1:108
	buffer_load_dword v150, off, s[0:3], 0 offset:412
	s_waitcnt vmcnt(18) lgkmcnt(1)
	v_fma_f64 v[129:130], v[153:154], v[129:130], v[139:140]
	s_waitcnt vmcnt(17)
	v_fma_f64 v[129:130], v[147:148], v[131:132], v[129:130]
	buffer_load_dword v140, off, s[0:3], 0 offset:420
	buffer_load_dword v147, off, s[0:3], 0 offset:440
	;; [unrolled: 1-line block ×8, first 2 shown]
	s_waitcnt vmcnt(24) lgkmcnt(0)
	v_fma_f64 v[129:130], v[145:146], v[133:134], v[129:130]
	s_waitcnt vmcnt(19)
	v_fma_f64 v[141:142], v[141:142], v[135:136], v[129:130]
	ds_read2_b64 v[129:132], v0 offset0:109 offset1:110
	ds_read2_b64 v[133:136], v0 offset0:111 offset1:112
	s_waitcnt vmcnt(18) lgkmcnt(1)
	v_fma_f64 v[129:130], v[157:158], v[129:130], v[141:142]
	s_waitcnt vmcnt(17)
	v_fma_f64 v[129:130], v[155:156], v[131:132], v[129:130]
	buffer_load_dword v142, off, s[0:3], 0 offset:452
	buffer_load_dword v145, off, s[0:3], 0 offset:472
	;; [unrolled: 1-line block ×8, first 2 shown]
	s_waitcnt vmcnt(24) lgkmcnt(0)
	v_fma_f64 v[129:130], v[143:144], v[133:134], v[129:130]
	s_waitcnt vmcnt(19)
	v_fma_f64 v[137:138], v[137:138], v[135:136], v[129:130]
	ds_read2_b64 v[129:132], v0 offset0:113 offset1:114
	ds_read2_b64 v[133:136], v0 offset0:115 offset1:116
	s_waitcnt vmcnt(18) lgkmcnt(1)
	v_fma_f64 v[129:130], v[161:162], v[129:130], v[137:138]
	s_waitcnt vmcnt(17)
	v_fma_f64 v[130:131], v[159:160], v[131:132], v[129:130]
	buffer_load_dword v144, off, s[0:3], 0 offset:484
	buffer_load_dword v159, off, s[0:3], 0 offset:504
	;; [unrolled: 1-line block ×5, first 2 shown]
	s_waitcnt vmcnt(21) lgkmcnt(0)
	v_fma_f64 v[131:132], v[149:150], v[133:134], v[130:131]
	buffer_load_dword v162, off, s[0:3], 0 offset:492
	buffer_load_dword v130, off, s[0:3], 0 offset:500
	buffer_load_dword v160, off, s[0:3], 0 offset:508
	s_waitcnt vmcnt(19)
	v_fma_f64 v[139:140], v[139:140], v[135:136], v[131:132]
	ds_read2_b64 v[131:134], v0 offset0:117 offset1:118
	ds_read2_b64 v[135:138], v0 offset0:119 offset1:120
	s_waitcnt vmcnt(18) lgkmcnt(1)
	v_fma_f64 v[131:132], v[153:154], v[131:132], v[139:140]
	buffer_load_dword v139, off, s[0:3], 0
	buffer_load_dword v140, off, s[0:3], 0 offset:4
	s_waitcnt vmcnt(19)
	v_fma_f64 v[131:132], v[151:152], v[133:134], v[131:132]
	s_waitcnt vmcnt(18) lgkmcnt(0)
	v_fma_f64 v[131:132], v[147:148], v[135:136], v[131:132]
	s_waitcnt vmcnt(13)
	v_fma_f64 v[141:142], v[141:142], v[137:138], v[131:132]
	ds_read2_b64 v[131:134], v0 offset0:121 offset1:122
	ds_read2_b64 v[135:138], v0 offset0:123 offset1:124
	s_waitcnt vmcnt(12) lgkmcnt(1)
	v_fma_f64 v[131:132], v[157:158], v[131:132], v[141:142]
	s_waitcnt vmcnt(11)
	v_fma_f64 v[131:132], v[155:156], v[133:134], v[131:132]
	s_waitcnt vmcnt(10) lgkmcnt(0)
	v_fma_f64 v[131:132], v[145:146], v[135:136], v[131:132]
	s_waitcnt vmcnt(5)
	v_fma_f64 v[135:136], v[143:144], v[137:138], v[131:132]
	ds_read2_b64 v[131:134], v0 offset0:125 offset1:126
	ds_read_b64 v[137:138], v0 offset:1016
	s_waitcnt vmcnt(4) lgkmcnt(1)
	v_fma_f64 v[131:132], v[161:162], v[131:132], v[135:136]
	s_waitcnt vmcnt(3)
	v_fma_f64 v[131:132], v[129:130], v[133:134], v[131:132]
	s_waitcnt vmcnt(2) lgkmcnt(0)
	v_fma_f64 v[131:132], v[159:160], v[137:138], v[131:132]
	s_waitcnt vmcnt(0)
	v_add_f64 v[131:132], v[139:140], -v[131:132]
	buffer_store_dword v132, off, s[0:3], 0 offset:4
	buffer_store_dword v131, off, s[0:3], 0
	s_cbranch_vccz .LBB63_518
; %bb.392:
	global_load_dword v0, v0, s[20:21] offset:248
	s_waitcnt vmcnt(0)
	v_add_u32_e32 v0, -1, v0
	v_cmp_ne_u32_e32 vcc, 62, v0
	s_cbranch_vccz .LBB63_394
; %bb.393:
	v_lshlrev_b32_e32 v0, 3, v0
	buffer_load_dword v131, v0, s[0:3], 0 offen offset:4
	buffer_load_dword v132, v0, s[0:3], 0 offen
	s_waitcnt vmcnt(1)
	buffer_store_dword v131, off, s[0:3], 0 offset:500
	s_waitcnt vmcnt(1)
	buffer_store_dword v132, off, s[0:3], 0 offset:496
	buffer_store_dword v130, v0, s[0:3], 0 offen offset:4
	buffer_store_dword v129, v0, s[0:3], 0 offen
.LBB63_394:
	v_mov_b32_e32 v0, 0
	global_load_dword v129, v0, s[20:21] offset:244
	s_waitcnt vmcnt(0)
	v_add_u32_e32 v129, -1, v129
	v_cmp_eq_u32_e32 vcc, 61, v129
	s_cbranch_vccnz .LBB63_396
; %bb.395:
	v_lshlrev_b32_e32 v129, 3, v129
	buffer_load_dword v130, v129, s[0:3], 0 offen
	buffer_load_dword v131, v129, s[0:3], 0 offen offset:4
	buffer_load_dword v132, off, s[0:3], 0 offset:488
	buffer_load_dword v133, off, s[0:3], 0 offset:492
	s_waitcnt vmcnt(3)
	buffer_store_dword v130, off, s[0:3], 0 offset:488
	s_waitcnt vmcnt(3)
	buffer_store_dword v131, off, s[0:3], 0 offset:492
	s_waitcnt vmcnt(3)
	buffer_store_dword v132, v129, s[0:3], 0 offen
	s_waitcnt vmcnt(3)
	buffer_store_dword v133, v129, s[0:3], 0 offen offset:4
.LBB63_396:
	global_load_dword v0, v0, s[20:21] offset:240
	s_waitcnt vmcnt(0)
	v_add_u32_e32 v0, -1, v0
	v_cmp_eq_u32_e32 vcc, 60, v0
	s_cbranch_vccnz .LBB63_398
; %bb.397:
	v_lshlrev_b32_e32 v0, 3, v0
	buffer_load_dword v129, v0, s[0:3], 0 offen
	buffer_load_dword v130, v0, s[0:3], 0 offen offset:4
	buffer_load_dword v131, off, s[0:3], 0 offset:484
	buffer_load_dword v132, off, s[0:3], 0 offset:480
	s_waitcnt vmcnt(3)
	buffer_store_dword v129, off, s[0:3], 0 offset:480
	s_waitcnt vmcnt(3)
	buffer_store_dword v130, off, s[0:3], 0 offset:484
	s_waitcnt vmcnt(3)
	buffer_store_dword v131, v0, s[0:3], 0 offen offset:4
	s_waitcnt vmcnt(3)
	buffer_store_dword v132, v0, s[0:3], 0 offen
.LBB63_398:
	v_mov_b32_e32 v0, 0
	global_load_dword v129, v0, s[20:21] offset:236
	s_waitcnt vmcnt(0)
	v_add_u32_e32 v129, -1, v129
	v_cmp_eq_u32_e32 vcc, 59, v129
	s_cbranch_vccnz .LBB63_400
; %bb.399:
	v_lshlrev_b32_e32 v129, 3, v129
	buffer_load_dword v130, v129, s[0:3], 0 offen
	buffer_load_dword v131, v129, s[0:3], 0 offen offset:4
	buffer_load_dword v132, off, s[0:3], 0 offset:472
	buffer_load_dword v133, off, s[0:3], 0 offset:476
	s_waitcnt vmcnt(3)
	buffer_store_dword v130, off, s[0:3], 0 offset:472
	s_waitcnt vmcnt(3)
	buffer_store_dword v131, off, s[0:3], 0 offset:476
	s_waitcnt vmcnt(3)
	buffer_store_dword v132, v129, s[0:3], 0 offen
	s_waitcnt vmcnt(3)
	buffer_store_dword v133, v129, s[0:3], 0 offen offset:4
.LBB63_400:
	global_load_dword v0, v0, s[20:21] offset:232
	s_waitcnt vmcnt(0)
	v_add_u32_e32 v0, -1, v0
	v_cmp_eq_u32_e32 vcc, 58, v0
	s_cbranch_vccnz .LBB63_402
; %bb.401:
	v_lshlrev_b32_e32 v0, 3, v0
	buffer_load_dword v129, v0, s[0:3], 0 offen
	buffer_load_dword v130, v0, s[0:3], 0 offen offset:4
	buffer_load_dword v131, off, s[0:3], 0 offset:468
	buffer_load_dword v132, off, s[0:3], 0 offset:464
	s_waitcnt vmcnt(3)
	buffer_store_dword v129, off, s[0:3], 0 offset:464
	s_waitcnt vmcnt(3)
	buffer_store_dword v130, off, s[0:3], 0 offset:468
	s_waitcnt vmcnt(3)
	buffer_store_dword v131, v0, s[0:3], 0 offen offset:4
	s_waitcnt vmcnt(3)
	buffer_store_dword v132, v0, s[0:3], 0 offen
.LBB63_402:
	;; [unrolled: 41-line block ×30, first 2 shown]
	v_mov_b32_e32 v0, 0
	global_load_dword v129, v0, s[20:21] offset:4
	s_waitcnt vmcnt(0)
	v_add_u32_e32 v129, -1, v129
	v_cmp_eq_u32_e32 vcc, 1, v129
	s_cbranch_vccnz .LBB63_516
; %bb.515:
	v_lshlrev_b32_e32 v129, 3, v129
	buffer_load_dword v130, v129, s[0:3], 0 offen
	buffer_load_dword v131, v129, s[0:3], 0 offen offset:4
	buffer_load_dword v132, off, s[0:3], 0 offset:8
	buffer_load_dword v133, off, s[0:3], 0 offset:12
	s_waitcnt vmcnt(3)
	buffer_store_dword v130, off, s[0:3], 0 offset:8
	s_waitcnt vmcnt(3)
	buffer_store_dword v131, off, s[0:3], 0 offset:12
	s_waitcnt vmcnt(3)
	buffer_store_dword v132, v129, s[0:3], 0 offen
	s_waitcnt vmcnt(3)
	buffer_store_dword v133, v129, s[0:3], 0 offen offset:4
.LBB63_516:
	global_load_dword v0, v0, s[20:21]
	s_nop 0
	buffer_load_dword v131, off, s[0:3], 0
	buffer_load_dword v132, off, s[0:3], 0 offset:4
	s_waitcnt vmcnt(2)
	v_add_u32_e32 v0, -1, v0
	v_cmp_eq_u32_e32 vcc, 0, v0
	s_cbranch_vccnz .LBB63_518
; %bb.517:
	v_lshlrev_b32_e32 v0, 3, v0
	buffer_load_dword v129, v0, s[0:3], 0 offen offset:4
	buffer_load_dword v130, v0, s[0:3], 0 offen
	s_waitcnt vmcnt(1)
	buffer_store_dword v129, off, s[0:3], 0 offset:4
	s_waitcnt vmcnt(1)
	buffer_store_dword v130, off, s[0:3], 0
	buffer_store_dword v132, v0, s[0:3], 0 offen offset:4
	buffer_store_dword v131, v0, s[0:3], 0 offen
	buffer_load_dword v131, off, s[0:3], 0
	s_nop 0
	buffer_load_dword v132, off, s[0:3], 0 offset:4
.LBB63_518:
	s_waitcnt vmcnt(0)
	global_store_dwordx2 v[127:128], v[131:132], off
	buffer_load_dword v127, off, s[0:3], 0 offset:8
	s_nop 0
	buffer_load_dword v128, off, s[0:3], 0 offset:12
	buffer_load_dword v129, off, s[0:3], 0 offset:16
	;; [unrolled: 1-line block ×125, first 2 shown]
	s_waitcnt vmcnt(62)
	global_store_dwordx2 v[115:116], v[127:128], off
	global_store_dwordx2 v[1:2], v[129:130], off
	;; [unrolled: 1-line block ×32, first 2 shown]
	s_waitcnt vmcnt(62)
	global_store_dwordx2 v[63:64], v[191:192], off
	global_store_dwordx2 v[65:66], v[193:194], off
	;; [unrolled: 1-line block ×16, first 2 shown]
	s_waitcnt vmcnt(62)
	global_store_dwordx2 v[95:96], v[223:224], off
	global_store_dwordx2 v[97:98], v[225:226], off
	;; [unrolled: 1-line block ×8, first 2 shown]
	s_waitcnt vmcnt(62)
	global_store_dwordx2 v[111:112], v[239:240], off
	global_store_dwordx2 v[113:114], v[241:242], off
	;; [unrolled: 1-line block ×4, first 2 shown]
	s_waitcnt vmcnt(62)
	global_store_dwordx2 v[121:122], v[247:248], off
	global_store_dwordx2 v[123:124], v[249:250], off
	s_waitcnt vmcnt(62)
	global_store_dwordx2 v[125:126], v[251:252], off
	s_endpgm
	.section	.rodata,"a",@progbits
	.p2align	6, 0x0
	.amdhsa_kernel _ZN9rocsolver6v33100L18getri_kernel_smallILi64EdPdEEvT1_iilPiilS4_bb
		.amdhsa_group_segment_fixed_size 1032
		.amdhsa_private_segment_fixed_size 528
		.amdhsa_kernarg_size 60
		.amdhsa_user_sgpr_count 6
		.amdhsa_user_sgpr_private_segment_buffer 1
		.amdhsa_user_sgpr_dispatch_ptr 0
		.amdhsa_user_sgpr_queue_ptr 0
		.amdhsa_user_sgpr_kernarg_segment_ptr 1
		.amdhsa_user_sgpr_dispatch_id 0
		.amdhsa_user_sgpr_flat_scratch_init 0
		.amdhsa_user_sgpr_private_segment_size 0
		.amdhsa_uses_dynamic_stack 0
		.amdhsa_system_sgpr_private_segment_wavefront_offset 1
		.amdhsa_system_sgpr_workgroup_id_x 1
		.amdhsa_system_sgpr_workgroup_id_y 0
		.amdhsa_system_sgpr_workgroup_id_z 0
		.amdhsa_system_sgpr_workgroup_info 0
		.amdhsa_system_vgpr_workitem_id 0
		.amdhsa_next_free_vgpr 253
		.amdhsa_next_free_sgpr 24
		.amdhsa_reserve_vcc 1
		.amdhsa_reserve_flat_scratch 0
		.amdhsa_float_round_mode_32 0
		.amdhsa_float_round_mode_16_64 0
		.amdhsa_float_denorm_mode_32 3
		.amdhsa_float_denorm_mode_16_64 3
		.amdhsa_dx10_clamp 1
		.amdhsa_ieee_mode 1
		.amdhsa_fp16_overflow 0
		.amdhsa_exception_fp_ieee_invalid_op 0
		.amdhsa_exception_fp_denorm_src 0
		.amdhsa_exception_fp_ieee_div_zero 0
		.amdhsa_exception_fp_ieee_overflow 0
		.amdhsa_exception_fp_ieee_underflow 0
		.amdhsa_exception_fp_ieee_inexact 0
		.amdhsa_exception_int_div_zero 0
	.end_amdhsa_kernel
	.section	.text._ZN9rocsolver6v33100L18getri_kernel_smallILi64EdPdEEvT1_iilPiilS4_bb,"axG",@progbits,_ZN9rocsolver6v33100L18getri_kernel_smallILi64EdPdEEvT1_iilPiilS4_bb,comdat
.Lfunc_end63:
	.size	_ZN9rocsolver6v33100L18getri_kernel_smallILi64EdPdEEvT1_iilPiilS4_bb, .Lfunc_end63-_ZN9rocsolver6v33100L18getri_kernel_smallILi64EdPdEEvT1_iilPiilS4_bb
                                        ; -- End function
	.set _ZN9rocsolver6v33100L18getri_kernel_smallILi64EdPdEEvT1_iilPiilS4_bb.num_vgpr, 253
	.set _ZN9rocsolver6v33100L18getri_kernel_smallILi64EdPdEEvT1_iilPiilS4_bb.num_agpr, 0
	.set _ZN9rocsolver6v33100L18getri_kernel_smallILi64EdPdEEvT1_iilPiilS4_bb.numbered_sgpr, 24
	.set _ZN9rocsolver6v33100L18getri_kernel_smallILi64EdPdEEvT1_iilPiilS4_bb.num_named_barrier, 0
	.set _ZN9rocsolver6v33100L18getri_kernel_smallILi64EdPdEEvT1_iilPiilS4_bb.private_seg_size, 528
	.set _ZN9rocsolver6v33100L18getri_kernel_smallILi64EdPdEEvT1_iilPiilS4_bb.uses_vcc, 1
	.set _ZN9rocsolver6v33100L18getri_kernel_smallILi64EdPdEEvT1_iilPiilS4_bb.uses_flat_scratch, 0
	.set _ZN9rocsolver6v33100L18getri_kernel_smallILi64EdPdEEvT1_iilPiilS4_bb.has_dyn_sized_stack, 0
	.set _ZN9rocsolver6v33100L18getri_kernel_smallILi64EdPdEEvT1_iilPiilS4_bb.has_recursion, 0
	.set _ZN9rocsolver6v33100L18getri_kernel_smallILi64EdPdEEvT1_iilPiilS4_bb.has_indirect_call, 0
	.section	.AMDGPU.csdata,"",@progbits
; Kernel info:
; codeLenInByte = 95816
; TotalNumSgprs: 28
; NumVgprs: 253
; ScratchSize: 528
; MemoryBound: 1
; FloatMode: 240
; IeeeMode: 1
; LDSByteSize: 1032 bytes/workgroup (compile time only)
; SGPRBlocks: 3
; VGPRBlocks: 63
; NumSGPRsForWavesPerEU: 28
; NumVGPRsForWavesPerEU: 253
; Occupancy: 1
; WaveLimiterHint : 1
; COMPUTE_PGM_RSRC2:SCRATCH_EN: 1
; COMPUTE_PGM_RSRC2:USER_SGPR: 6
; COMPUTE_PGM_RSRC2:TRAP_HANDLER: 0
; COMPUTE_PGM_RSRC2:TGID_X_EN: 1
; COMPUTE_PGM_RSRC2:TGID_Y_EN: 0
; COMPUTE_PGM_RSRC2:TGID_Z_EN: 0
; COMPUTE_PGM_RSRC2:TIDIG_COMP_CNT: 0
	.section	.text._ZN9rocsolver6v33100L18getri_kernel_smallILi1EdPKPdEEvT1_iilPiilS6_bb,"axG",@progbits,_ZN9rocsolver6v33100L18getri_kernel_smallILi1EdPKPdEEvT1_iilPiilS6_bb,comdat
	.globl	_ZN9rocsolver6v33100L18getri_kernel_smallILi1EdPKPdEEvT1_iilPiilS6_bb ; -- Begin function _ZN9rocsolver6v33100L18getri_kernel_smallILi1EdPKPdEEvT1_iilPiilS6_bb
	.p2align	8
	.type	_ZN9rocsolver6v33100L18getri_kernel_smallILi1EdPKPdEEvT1_iilPiilS6_bb,@function
_ZN9rocsolver6v33100L18getri_kernel_smallILi1EdPKPdEEvT1_iilPiilS6_bb: ; @_ZN9rocsolver6v33100L18getri_kernel_smallILi1EdPKPdEEvT1_iilPiilS6_bb
; %bb.0:
	v_cmp_eq_u32_e32 vcc, 0, v0
	s_and_saveexec_b64 s[0:1], vcc
	s_cbranch_execz .LBB64_14
; %bb.1:
	s_load_dword s0, s[4:5], 0x8
	s_load_dword s7, s[4:5], 0x38
	s_load_dwordx2 s[2:3], s[4:5], 0x0
	s_load_dwordx2 s[8:9], s[4:5], 0x30
	s_waitcnt lgkmcnt(0)
	s_ashr_i32 s1, s0, 31
	s_bitcmp1_b32 s7, 0
	s_cselect_b64 s[4:5], -1, 0
	s_ashr_i32 s7, s6, 31
	s_lshl_b64 s[10:11], s[6:7], 3
	s_add_u32 s2, s2, s10
	s_addc_u32 s3, s3, s11
	s_load_dwordx2 s[2:3], s[2:3], 0x0
	s_lshl_b64 s[0:1], s[0:1], 3
	s_waitcnt lgkmcnt(0)
	s_add_u32 s2, s2, s0
	s_addc_u32 s3, s3, s1
	v_mov_b32_e32 v0, s2
	v_mov_b32_e32 v1, s3
	flat_load_dwordx2 v[0:1], v[0:1]
	s_and_b64 vcc, exec, s[4:5]
	s_cbranch_vccnz .LBB64_3
; %bb.2:
	s_lshl_b64 s[0:1], s[6:7], 2
	s_add_u32 s0, s8, s0
	s_addc_u32 s1, s9, s1
	s_load_dword s0, s[0:1], 0x0
	s_mov_b64 s[4:5], -1
	s_waitcnt lgkmcnt(0)
	s_cmp_eq_u32 s0, 0
	s_cselect_b64 s[0:1], -1, 0
	s_cbranch_execz .LBB64_4
	s_branch .LBB64_11
.LBB64_3:
	s_mov_b64 s[4:5], 0
                                        ; implicit-def: $sgpr0_sgpr1
.LBB64_4:
	s_waitcnt vmcnt(0) lgkmcnt(0)
	v_cmp_eq_f64_e32 vcc, 0, v[0:1]
	v_mov_b32_e32 v2, 0
	ds_write_b32 v2, v2
	s_waitcnt lgkmcnt(0)
	; wave barrier
	s_and_saveexec_b64 s[10:11], vcc
	s_cbranch_execz .LBB64_8
; %bb.5:
	ds_read_b32 v3, v2
	s_waitcnt lgkmcnt(0)
	v_cmp_ne_u32_e32 vcc, 0, v3
	v_cmp_gt_i32_e64 s[0:1], 2, v3
	s_and_b64 s[0:1], vcc, s[0:1]
	s_and_b64 vcc, exec, s[0:1]
	s_cbranch_vccnz .LBB64_8
; %bb.6:
	s_mov_b64 s[12:13], 0
	v_mov_b32_e32 v4, 1
	v_mov_b32_e32 v5, 0
.LBB64_7:                               ; =>This Inner Loop Header: Depth=1
	ds_cmpst_rtn_b32 v3, v5, v3, v4
	s_waitcnt lgkmcnt(0)
	v_cmp_ne_u32_e32 vcc, 0, v3
	v_cmp_gt_i32_e64 s[0:1], 2, v3
	s_and_b64 s[0:1], vcc, s[0:1]
	s_and_b64 s[0:1], exec, s[0:1]
	s_or_b64 s[12:13], s[0:1], s[12:13]
	s_andn2_b64 exec, exec, s[12:13]
	s_cbranch_execnz .LBB64_7
.LBB64_8:
	s_or_b64 exec, exec, s[10:11]
	; wave barrier
	ds_read_b32 v3, v2
	s_lshl_b64 s[0:1], s[6:7], 2
	s_add_u32 s0, s8, s0
	s_addc_u32 s1, s9, s1
	s_waitcnt lgkmcnt(0)
	v_cmp_ne_u32_e32 vcc, 0, v3
	global_store_dword v2, v3, s[0:1]
	s_cbranch_vccnz .LBB64_10
; %bb.9:
	v_div_scale_f64 v[2:3], s[0:1], v[0:1], v[0:1], 1.0
	v_div_scale_f64 v[8:9], vcc, 1.0, v[0:1], 1.0
	s_mov_b64 s[4:5], -1
	v_rcp_f64_e32 v[4:5], v[2:3]
	v_fma_f64 v[6:7], -v[2:3], v[4:5], 1.0
	v_fma_f64 v[4:5], v[4:5], v[6:7], v[4:5]
	v_fma_f64 v[6:7], -v[2:3], v[4:5], 1.0
	v_fma_f64 v[4:5], v[4:5], v[6:7], v[4:5]
	v_mul_f64 v[6:7], v[8:9], v[4:5]
	v_fma_f64 v[2:3], -v[2:3], v[6:7], v[8:9]
	v_div_fmas_f64 v[2:3], v[2:3], v[4:5], v[6:7]
	v_div_fixup_f64 v[0:1], v[2:3], v[0:1], 1.0
.LBB64_10:
	s_mov_b64 s[0:1], -1
.LBB64_11:
	s_and_b64 vcc, exec, s[4:5]
	s_cbranch_vccz .LBB64_14
; %bb.12:
	s_andn2_b64 vcc, exec, s[0:1]
	s_cbranch_vccnz .LBB64_14
; %bb.13:
	v_mov_b32_e32 v2, s2
	v_mov_b32_e32 v3, s3
	s_waitcnt vmcnt(0) lgkmcnt(0)
	flat_store_dwordx2 v[2:3], v[0:1]
.LBB64_14:
	s_endpgm
	.section	.rodata,"a",@progbits
	.p2align	6, 0x0
	.amdhsa_kernel _ZN9rocsolver6v33100L18getri_kernel_smallILi1EdPKPdEEvT1_iilPiilS6_bb
		.amdhsa_group_segment_fixed_size 4
		.amdhsa_private_segment_fixed_size 0
		.amdhsa_kernarg_size 60
		.amdhsa_user_sgpr_count 6
		.amdhsa_user_sgpr_private_segment_buffer 1
		.amdhsa_user_sgpr_dispatch_ptr 0
		.amdhsa_user_sgpr_queue_ptr 0
		.amdhsa_user_sgpr_kernarg_segment_ptr 1
		.amdhsa_user_sgpr_dispatch_id 0
		.amdhsa_user_sgpr_flat_scratch_init 0
		.amdhsa_user_sgpr_private_segment_size 0
		.amdhsa_uses_dynamic_stack 0
		.amdhsa_system_sgpr_private_segment_wavefront_offset 0
		.amdhsa_system_sgpr_workgroup_id_x 1
		.amdhsa_system_sgpr_workgroup_id_y 0
		.amdhsa_system_sgpr_workgroup_id_z 0
		.amdhsa_system_sgpr_workgroup_info 0
		.amdhsa_system_vgpr_workitem_id 0
		.amdhsa_next_free_vgpr 10
		.amdhsa_next_free_sgpr 14
		.amdhsa_reserve_vcc 1
		.amdhsa_reserve_flat_scratch 0
		.amdhsa_float_round_mode_32 0
		.amdhsa_float_round_mode_16_64 0
		.amdhsa_float_denorm_mode_32 3
		.amdhsa_float_denorm_mode_16_64 3
		.amdhsa_dx10_clamp 1
		.amdhsa_ieee_mode 1
		.amdhsa_fp16_overflow 0
		.amdhsa_exception_fp_ieee_invalid_op 0
		.amdhsa_exception_fp_denorm_src 0
		.amdhsa_exception_fp_ieee_div_zero 0
		.amdhsa_exception_fp_ieee_overflow 0
		.amdhsa_exception_fp_ieee_underflow 0
		.amdhsa_exception_fp_ieee_inexact 0
		.amdhsa_exception_int_div_zero 0
	.end_amdhsa_kernel
	.section	.text._ZN9rocsolver6v33100L18getri_kernel_smallILi1EdPKPdEEvT1_iilPiilS6_bb,"axG",@progbits,_ZN9rocsolver6v33100L18getri_kernel_smallILi1EdPKPdEEvT1_iilPiilS6_bb,comdat
.Lfunc_end64:
	.size	_ZN9rocsolver6v33100L18getri_kernel_smallILi1EdPKPdEEvT1_iilPiilS6_bb, .Lfunc_end64-_ZN9rocsolver6v33100L18getri_kernel_smallILi1EdPKPdEEvT1_iilPiilS6_bb
                                        ; -- End function
	.set _ZN9rocsolver6v33100L18getri_kernel_smallILi1EdPKPdEEvT1_iilPiilS6_bb.num_vgpr, 10
	.set _ZN9rocsolver6v33100L18getri_kernel_smallILi1EdPKPdEEvT1_iilPiilS6_bb.num_agpr, 0
	.set _ZN9rocsolver6v33100L18getri_kernel_smallILi1EdPKPdEEvT1_iilPiilS6_bb.numbered_sgpr, 14
	.set _ZN9rocsolver6v33100L18getri_kernel_smallILi1EdPKPdEEvT1_iilPiilS6_bb.num_named_barrier, 0
	.set _ZN9rocsolver6v33100L18getri_kernel_smallILi1EdPKPdEEvT1_iilPiilS6_bb.private_seg_size, 0
	.set _ZN9rocsolver6v33100L18getri_kernel_smallILi1EdPKPdEEvT1_iilPiilS6_bb.uses_vcc, 1
	.set _ZN9rocsolver6v33100L18getri_kernel_smallILi1EdPKPdEEvT1_iilPiilS6_bb.uses_flat_scratch, 0
	.set _ZN9rocsolver6v33100L18getri_kernel_smallILi1EdPKPdEEvT1_iilPiilS6_bb.has_dyn_sized_stack, 0
	.set _ZN9rocsolver6v33100L18getri_kernel_smallILi1EdPKPdEEvT1_iilPiilS6_bb.has_recursion, 0
	.set _ZN9rocsolver6v33100L18getri_kernel_smallILi1EdPKPdEEvT1_iilPiilS6_bb.has_indirect_call, 0
	.section	.AMDGPU.csdata,"",@progbits
; Kernel info:
; codeLenInByte = 472
; TotalNumSgprs: 18
; NumVgprs: 10
; ScratchSize: 0
; MemoryBound: 0
; FloatMode: 240
; IeeeMode: 1
; LDSByteSize: 4 bytes/workgroup (compile time only)
; SGPRBlocks: 2
; VGPRBlocks: 2
; NumSGPRsForWavesPerEU: 18
; NumVGPRsForWavesPerEU: 10
; Occupancy: 10
; WaveLimiterHint : 1
; COMPUTE_PGM_RSRC2:SCRATCH_EN: 0
; COMPUTE_PGM_RSRC2:USER_SGPR: 6
; COMPUTE_PGM_RSRC2:TRAP_HANDLER: 0
; COMPUTE_PGM_RSRC2:TGID_X_EN: 1
; COMPUTE_PGM_RSRC2:TGID_Y_EN: 0
; COMPUTE_PGM_RSRC2:TGID_Z_EN: 0
; COMPUTE_PGM_RSRC2:TIDIG_COMP_CNT: 0
	.section	.text._ZN9rocsolver6v33100L18getri_kernel_smallILi2EdPKPdEEvT1_iilPiilS6_bb,"axG",@progbits,_ZN9rocsolver6v33100L18getri_kernel_smallILi2EdPKPdEEvT1_iilPiilS6_bb,comdat
	.globl	_ZN9rocsolver6v33100L18getri_kernel_smallILi2EdPKPdEEvT1_iilPiilS6_bb ; -- Begin function _ZN9rocsolver6v33100L18getri_kernel_smallILi2EdPKPdEEvT1_iilPiilS6_bb
	.p2align	8
	.type	_ZN9rocsolver6v33100L18getri_kernel_smallILi2EdPKPdEEvT1_iilPiilS6_bb,@function
_ZN9rocsolver6v33100L18getri_kernel_smallILi2EdPKPdEEvT1_iilPiilS6_bb: ; @_ZN9rocsolver6v33100L18getri_kernel_smallILi2EdPKPdEEvT1_iilPiilS6_bb
; %bb.0:
	v_cmp_gt_u32_e32 vcc, 2, v0
	s_and_saveexec_b64 s[0:1], vcc
	s_cbranch_execz .LBB65_16
; %bb.1:
	s_load_dword s14, s[4:5], 0x38
	s_load_dwordx2 s[0:1], s[4:5], 0x0
	s_load_dwordx4 s[8:11], s[4:5], 0x28
	s_waitcnt lgkmcnt(0)
	s_bitcmp1_b32 s14, 8
	s_cselect_b64 s[12:13], -1, 0
	s_ashr_i32 s7, s6, 31
	s_lshl_b64 s[2:3], s[6:7], 3
	s_add_u32 s0, s0, s2
	s_addc_u32 s1, s1, s3
	s_load_dwordx2 s[0:1], s[0:1], 0x0
	s_bfe_u32 s2, s14, 0x10008
	s_cmp_eq_u32 s2, 0
                                        ; implicit-def: $sgpr14_sgpr15
	s_cbranch_scc1 .LBB65_3
; %bb.2:
	s_load_dword s2, s[4:5], 0x20
	s_load_dwordx2 s[14:15], s[4:5], 0x18
	s_mul_i32 s3, s8, s7
	s_mul_hi_u32 s16, s8, s6
	s_add_i32 s16, s16, s3
	s_mul_i32 s9, s9, s6
	s_add_i32 s9, s16, s9
	s_mul_i32 s8, s8, s6
	s_waitcnt lgkmcnt(0)
	s_ashr_i32 s3, s2, 31
	s_lshl_b64 s[8:9], s[8:9], 2
	s_add_u32 s8, s14, s8
	s_addc_u32 s9, s15, s9
	s_lshl_b64 s[2:3], s[2:3], 2
	s_add_u32 s14, s8, s2
	s_addc_u32 s15, s9, s3
.LBB65_3:
	s_load_dwordx2 s[2:3], s[4:5], 0x8
	s_load_dword s8, s[4:5], 0x38
	v_lshlrev_b32_e32 v11, 3, v0
	s_waitcnt lgkmcnt(0)
	s_ashr_i32 s5, s2, 31
	s_mov_b32 s4, s2
	s_lshl_b64 s[4:5], s[4:5], 3
	s_add_u32 s0, s0, s4
	s_addc_u32 s1, s1, s5
	v_mov_b32_e32 v1, s1
	v_add_co_u32_e32 v5, vcc, s0, v11
	s_ashr_i32 s1, s3, 31
	s_mov_b32 s0, s3
	v_addc_co_u32_e32 v6, vcc, 0, v1, vcc
	s_lshl_b64 s[0:1], s[0:1], 3
	v_mov_b32_e32 v1, s1
	v_add_co_u32_e32 v7, vcc, s0, v5
	v_addc_co_u32_e32 v8, vcc, v6, v1, vcc
	flat_load_dwordx2 v[1:2], v[5:6]
	flat_load_dwordx2 v[3:4], v[7:8]
	s_bitcmp0_b32 s8, 0
	s_mov_b64 s[0:1], -1
	s_cbranch_scc1 .LBB65_14
; %bb.4:
	v_cmp_eq_u32_e64 s[0:1], 0, v0
	s_and_saveexec_b64 s[2:3], s[0:1]
; %bb.5:
	v_mov_b32_e32 v9, 0
	ds_write_b32 v9, v9 offset:32
; %bb.6:
	s_or_b64 exec, exec, s[2:3]
	v_cmp_eq_u32_e32 vcc, 1, v0
	s_waitcnt vmcnt(0) lgkmcnt(0)
	v_cndmask_b32_e32 v10, v2, v4, vcc
	v_cndmask_b32_e32 v9, v1, v3, vcc
	v_cmp_eq_f64_e32 vcc, 0, v[9:10]
	; wave barrier
	s_and_saveexec_b64 s[4:5], vcc
	s_cbranch_execz .LBB65_10
; %bb.7:
	v_mov_b32_e32 v12, 0
	ds_read_b32 v14, v12 offset:32
	v_add_u32_e32 v13, 1, v0
	s_waitcnt lgkmcnt(0)
	v_readfirstlane_b32 s2, v14
	s_cmp_eq_u32 s2, 0
	s_cselect_b64 s[8:9], -1, 0
	v_cmp_gt_i32_e32 vcc, s2, v13
	s_or_b64 s[8:9], s[8:9], vcc
	s_and_b64 exec, exec, s[8:9]
	s_cbranch_execz .LBB65_10
; %bb.8:
	s_mov_b64 s[8:9], 0
	v_mov_b32_e32 v14, s2
.LBB65_9:                               ; =>This Inner Loop Header: Depth=1
	ds_cmpst_rtn_b32 v14, v12, v14, v13 offset:32
	s_waitcnt lgkmcnt(0)
	v_cmp_ne_u32_e32 vcc, 0, v14
	v_cmp_le_i32_e64 s[2:3], v14, v13
	s_and_b64 s[2:3], vcc, s[2:3]
	s_and_b64 s[2:3], exec, s[2:3]
	s_or_b64 s[8:9], s[2:3], s[8:9]
	s_andn2_b64 exec, exec, s[8:9]
	s_cbranch_execnz .LBB65_9
.LBB65_10:
	s_or_b64 exec, exec, s[4:5]
	v_mov_b32_e32 v13, 0
	; wave barrier
	ds_read_b32 v12, v13 offset:32
	s_and_saveexec_b64 s[2:3], s[0:1]
	s_cbranch_execz .LBB65_12
; %bb.11:
	s_lshl_b64 s[4:5], s[6:7], 2
	s_add_u32 s4, s10, s4
	s_addc_u32 s5, s11, s5
	s_waitcnt lgkmcnt(0)
	global_store_dword v13, v12, s[4:5]
.LBB65_12:
	s_or_b64 exec, exec, s[2:3]
	s_waitcnt lgkmcnt(0)
	v_cmp_ne_u32_e32 vcc, 0, v12
	s_cbranch_vccz .LBB65_17
; %bb.13:
	s_mov_b64 s[0:1], 0
                                        ; implicit-def: $vgpr1_vgpr2_vgpr3_vgpr4
.LBB65_14:
	s_and_b64 vcc, exec, s[0:1]
	s_cbranch_vccz .LBB65_16
.LBB65_15:
	s_lshl_b64 s[0:1], s[6:7], 2
	s_add_u32 s0, s10, s0
	s_addc_u32 s1, s11, s1
	v_mov_b32_e32 v9, 0
	global_load_dword v9, v9, s[0:1]
	s_waitcnt vmcnt(0)
	v_cmp_ne_u32_e32 vcc, 0, v9
	s_cbranch_vccz .LBB65_20
.LBB65_16:
	s_endpgm
.LBB65_17:
	v_div_scale_f64 v[12:13], s[2:3], v[9:10], v[9:10], 1.0
	v_rcp_f64_e32 v[14:15], v[12:13]
	v_fma_f64 v[16:17], -v[12:13], v[14:15], 1.0
	v_fma_f64 v[14:15], v[14:15], v[16:17], v[14:15]
	v_div_scale_f64 v[16:17], vcc, 1.0, v[9:10], 1.0
	v_fma_f64 v[18:19], -v[12:13], v[14:15], 1.0
	v_fma_f64 v[14:15], v[14:15], v[18:19], v[14:15]
	v_mul_f64 v[18:19], v[16:17], v[14:15]
	v_fma_f64 v[12:13], -v[12:13], v[18:19], v[16:17]
	v_div_fmas_f64 v[12:13], v[12:13], v[14:15], v[18:19]
	v_cmp_eq_u32_e32 vcc, 1, v0
	v_div_fixup_f64 v[9:10], v[12:13], v[9:10], 1.0
	v_cndmask_b32_e32 v4, v4, v10, vcc
	v_cndmask_b32_e32 v3, v3, v9, vcc
	v_cmp_eq_u32_e32 vcc, 0, v0
	v_cndmask_b32_e32 v2, v2, v10, vcc
	v_cndmask_b32_e32 v1, v1, v9, vcc
	v_xor_b32_e32 v10, 0x80000000, v10
	ds_write2_b64 v11, v[9:10], v[3:4] offset1:2
	s_waitcnt lgkmcnt(0)
	; wave barrier
	s_and_saveexec_b64 s[2:3], s[0:1]
	s_cbranch_execz .LBB65_19
; %bb.18:
	v_mov_b32_e32 v3, 0
	ds_read2_b64 v[9:12], v3 offset0:1 offset1:2
	s_waitcnt lgkmcnt(0)
	v_fma_f64 v[3:4], v[1:2], v[11:12], 0
	v_mul_f64 v[3:4], v[3:4], v[9:10]
.LBB65_19:
	s_or_b64 exec, exec, s[2:3]
	; wave barrier
	s_cbranch_execnz .LBB65_15
	s_branch .LBB65_16
.LBB65_20:
	v_cmp_eq_u32_e32 vcc, 1, v0
	s_and_saveexec_b64 s[0:1], vcc
	s_cbranch_execz .LBB65_22
; %bb.21:
	s_waitcnt lgkmcnt(0)
	v_mov_b32_e32 v12, v4
	s_mov_b32 s2, 0
	v_mov_b32_e32 v9, v1
	v_mov_b32_e32 v10, v2
	;; [unrolled: 1-line block ×6, first 2 shown]
	ds_write_b64 v0, v[1:2] offset:24
	v_mov_b32_e32 v1, v9
	v_mov_b32_e32 v2, v10
	;; [unrolled: 1-line block ×4, first 2 shown]
.LBB65_22:
	s_or_b64 exec, exec, s[0:1]
	v_mov_b32_e32 v0, 0
	s_waitcnt lgkmcnt(0)
	; wave barrier
	ds_read_b64 v[9:10], v0 offset:24
	s_and_b64 vcc, exec, s[12:13]
	s_waitcnt lgkmcnt(0)
	v_fma_f64 v[9:10], v[3:4], v[9:10], 0
	v_add_f64 v[1:2], v[1:2], -v[9:10]
	s_cbranch_vccz .LBB65_24
; %bb.23:
	global_load_dword v0, v0, s[14:15]
	s_waitcnt vmcnt(0)
	v_add_u32_e32 v0, -1, v0
	v_cmp_eq_u32_e32 vcc, 1, v0
	v_cndmask_b32_e32 v9, v2, v4, vcc
	v_cndmask_b32_e32 v10, v1, v3, vcc
	v_cndmask_b32_e32 v11, v3, v1, vcc
	v_cndmask_b32_e32 v12, v4, v2, vcc
	v_cmp_eq_u32_e32 vcc, 0, v0
	v_cndmask_b32_e32 v0, v10, v1, vcc
	v_cndmask_b32_e32 v9, v9, v2, vcc
	v_cndmask_b32_e32 v4, v12, v4, vcc
	v_cndmask_b32_e32 v3, v11, v3, vcc
	v_cndmask_b32_e32 v2, v9, v2, vcc
	v_cndmask_b32_e32 v1, v0, v1, vcc
.LBB65_24:
	flat_store_dwordx2 v[5:6], v[1:2]
	flat_store_dwordx2 v[7:8], v[3:4]
	s_endpgm
	.section	.rodata,"a",@progbits
	.p2align	6, 0x0
	.amdhsa_kernel _ZN9rocsolver6v33100L18getri_kernel_smallILi2EdPKPdEEvT1_iilPiilS6_bb
		.amdhsa_group_segment_fixed_size 40
		.amdhsa_private_segment_fixed_size 0
		.amdhsa_kernarg_size 60
		.amdhsa_user_sgpr_count 6
		.amdhsa_user_sgpr_private_segment_buffer 1
		.amdhsa_user_sgpr_dispatch_ptr 0
		.amdhsa_user_sgpr_queue_ptr 0
		.amdhsa_user_sgpr_kernarg_segment_ptr 1
		.amdhsa_user_sgpr_dispatch_id 0
		.amdhsa_user_sgpr_flat_scratch_init 0
		.amdhsa_user_sgpr_private_segment_size 0
		.amdhsa_uses_dynamic_stack 0
		.amdhsa_system_sgpr_private_segment_wavefront_offset 0
		.amdhsa_system_sgpr_workgroup_id_x 1
		.amdhsa_system_sgpr_workgroup_id_y 0
		.amdhsa_system_sgpr_workgroup_id_z 0
		.amdhsa_system_sgpr_workgroup_info 0
		.amdhsa_system_vgpr_workitem_id 0
		.amdhsa_next_free_vgpr 20
		.amdhsa_next_free_sgpr 17
		.amdhsa_reserve_vcc 1
		.amdhsa_reserve_flat_scratch 0
		.amdhsa_float_round_mode_32 0
		.amdhsa_float_round_mode_16_64 0
		.amdhsa_float_denorm_mode_32 3
		.amdhsa_float_denorm_mode_16_64 3
		.amdhsa_dx10_clamp 1
		.amdhsa_ieee_mode 1
		.amdhsa_fp16_overflow 0
		.amdhsa_exception_fp_ieee_invalid_op 0
		.amdhsa_exception_fp_denorm_src 0
		.amdhsa_exception_fp_ieee_div_zero 0
		.amdhsa_exception_fp_ieee_overflow 0
		.amdhsa_exception_fp_ieee_underflow 0
		.amdhsa_exception_fp_ieee_inexact 0
		.amdhsa_exception_int_div_zero 0
	.end_amdhsa_kernel
	.section	.text._ZN9rocsolver6v33100L18getri_kernel_smallILi2EdPKPdEEvT1_iilPiilS6_bb,"axG",@progbits,_ZN9rocsolver6v33100L18getri_kernel_smallILi2EdPKPdEEvT1_iilPiilS6_bb,comdat
.Lfunc_end65:
	.size	_ZN9rocsolver6v33100L18getri_kernel_smallILi2EdPKPdEEvT1_iilPiilS6_bb, .Lfunc_end65-_ZN9rocsolver6v33100L18getri_kernel_smallILi2EdPKPdEEvT1_iilPiilS6_bb
                                        ; -- End function
	.set _ZN9rocsolver6v33100L18getri_kernel_smallILi2EdPKPdEEvT1_iilPiilS6_bb.num_vgpr, 20
	.set _ZN9rocsolver6v33100L18getri_kernel_smallILi2EdPKPdEEvT1_iilPiilS6_bb.num_agpr, 0
	.set _ZN9rocsolver6v33100L18getri_kernel_smallILi2EdPKPdEEvT1_iilPiilS6_bb.numbered_sgpr, 17
	.set _ZN9rocsolver6v33100L18getri_kernel_smallILi2EdPKPdEEvT1_iilPiilS6_bb.num_named_barrier, 0
	.set _ZN9rocsolver6v33100L18getri_kernel_smallILi2EdPKPdEEvT1_iilPiilS6_bb.private_seg_size, 0
	.set _ZN9rocsolver6v33100L18getri_kernel_smallILi2EdPKPdEEvT1_iilPiilS6_bb.uses_vcc, 1
	.set _ZN9rocsolver6v33100L18getri_kernel_smallILi2EdPKPdEEvT1_iilPiilS6_bb.uses_flat_scratch, 0
	.set _ZN9rocsolver6v33100L18getri_kernel_smallILi2EdPKPdEEvT1_iilPiilS6_bb.has_dyn_sized_stack, 0
	.set _ZN9rocsolver6v33100L18getri_kernel_smallILi2EdPKPdEEvT1_iilPiilS6_bb.has_recursion, 0
	.set _ZN9rocsolver6v33100L18getri_kernel_smallILi2EdPKPdEEvT1_iilPiilS6_bb.has_indirect_call, 0
	.section	.AMDGPU.csdata,"",@progbits
; Kernel info:
; codeLenInByte = 924
; TotalNumSgprs: 21
; NumVgprs: 20
; ScratchSize: 0
; MemoryBound: 0
; FloatMode: 240
; IeeeMode: 1
; LDSByteSize: 40 bytes/workgroup (compile time only)
; SGPRBlocks: 2
; VGPRBlocks: 4
; NumSGPRsForWavesPerEU: 21
; NumVGPRsForWavesPerEU: 20
; Occupancy: 10
; WaveLimiterHint : 1
; COMPUTE_PGM_RSRC2:SCRATCH_EN: 0
; COMPUTE_PGM_RSRC2:USER_SGPR: 6
; COMPUTE_PGM_RSRC2:TRAP_HANDLER: 0
; COMPUTE_PGM_RSRC2:TGID_X_EN: 1
; COMPUTE_PGM_RSRC2:TGID_Y_EN: 0
; COMPUTE_PGM_RSRC2:TGID_Z_EN: 0
; COMPUTE_PGM_RSRC2:TIDIG_COMP_CNT: 0
	.section	.text._ZN9rocsolver6v33100L18getri_kernel_smallILi3EdPKPdEEvT1_iilPiilS6_bb,"axG",@progbits,_ZN9rocsolver6v33100L18getri_kernel_smallILi3EdPKPdEEvT1_iilPiilS6_bb,comdat
	.globl	_ZN9rocsolver6v33100L18getri_kernel_smallILi3EdPKPdEEvT1_iilPiilS6_bb ; -- Begin function _ZN9rocsolver6v33100L18getri_kernel_smallILi3EdPKPdEEvT1_iilPiilS6_bb
	.p2align	8
	.type	_ZN9rocsolver6v33100L18getri_kernel_smallILi3EdPKPdEEvT1_iilPiilS6_bb,@function
_ZN9rocsolver6v33100L18getri_kernel_smallILi3EdPKPdEEvT1_iilPiilS6_bb: ; @_ZN9rocsolver6v33100L18getri_kernel_smallILi3EdPKPdEEvT1_iilPiilS6_bb
; %bb.0:
	v_cmp_gt_u32_e32 vcc, 3, v0
	s_and_saveexec_b64 s[0:1], vcc
	s_cbranch_execz .LBB66_16
; %bb.1:
	s_load_dword s12, s[4:5], 0x38
	s_load_dwordx2 s[0:1], s[4:5], 0x0
	s_load_dwordx4 s[8:11], s[4:5], 0x28
	s_waitcnt lgkmcnt(0)
	s_bitcmp1_b32 s12, 8
	s_cselect_b64 s[14:15], -1, 0
	s_ashr_i32 s7, s6, 31
	s_lshl_b64 s[2:3], s[6:7], 3
	s_add_u32 s0, s0, s2
	s_addc_u32 s1, s1, s3
	s_load_dwordx2 s[0:1], s[0:1], 0x0
	s_bfe_u32 s2, s12, 0x10008
	s_cmp_eq_u32 s2, 0
                                        ; implicit-def: $sgpr12_sgpr13
	s_cbranch_scc1 .LBB66_3
; %bb.2:
	s_load_dword s2, s[4:5], 0x20
	s_load_dwordx2 s[12:13], s[4:5], 0x18
	s_mul_i32 s3, s8, s7
	s_mul_hi_u32 s16, s8, s6
	s_add_i32 s16, s16, s3
	s_mul_i32 s9, s9, s6
	s_add_i32 s9, s16, s9
	s_mul_i32 s8, s8, s6
	s_waitcnt lgkmcnt(0)
	s_ashr_i32 s3, s2, 31
	s_lshl_b64 s[8:9], s[8:9], 2
	s_add_u32 s8, s12, s8
	s_addc_u32 s9, s13, s9
	s_lshl_b64 s[2:3], s[2:3], 2
	s_add_u32 s12, s8, s2
	s_addc_u32 s13, s9, s3
.LBB66_3:
	s_load_dwordx2 s[2:3], s[4:5], 0x8
	s_load_dword s8, s[4:5], 0x38
	v_lshlrev_b32_e32 v15, 3, v0
	s_waitcnt lgkmcnt(0)
	s_ashr_i32 s5, s2, 31
	s_mov_b32 s4, s2
	s_lshl_b64 s[4:5], s[4:5], 3
	s_add_u32 s2, s0, s4
	s_addc_u32 s4, s1, s5
	v_mov_b32_e32 v1, s4
	v_add_co_u32_e32 v7, vcc, s2, v15
	s_ashr_i32 s1, s3, 31
	s_mov_b32 s0, s3
	v_addc_co_u32_e32 v8, vcc, 0, v1, vcc
	s_lshl_b64 s[0:1], s[0:1], 3
	v_mov_b32_e32 v1, s1
	v_add_co_u32_e32 v9, vcc, s0, v7
	s_add_i32 s0, s3, s3
	v_addc_co_u32_e32 v10, vcc, v8, v1, vcc
	v_add_u32_e32 v1, s0, v0
	v_ashrrev_i32_e32 v2, 31, v1
	v_lshlrev_b64 v[1:2], 3, v[1:2]
	v_mov_b32_e32 v3, s4
	v_add_co_u32_e32 v11, vcc, s2, v1
	v_addc_co_u32_e32 v12, vcc, v3, v2, vcc
	flat_load_dwordx2 v[1:2], v[7:8]
	flat_load_dwordx2 v[3:4], v[9:10]
	;; [unrolled: 1-line block ×3, first 2 shown]
	s_bitcmp0_b32 s8, 0
	s_mov_b64 s[0:1], -1
	s_cbranch_scc1 .LBB66_14
; %bb.4:
	v_cmp_eq_u32_e64 s[0:1], 0, v0
	s_and_saveexec_b64 s[2:3], s[0:1]
; %bb.5:
	v_mov_b32_e32 v13, 0
	ds_write_b32 v13, v13 offset:24
; %bb.6:
	s_or_b64 exec, exec, s[2:3]
	v_cmp_eq_u32_e32 vcc, 1, v0
	s_waitcnt vmcnt(0) lgkmcnt(0)
	v_cndmask_b32_e32 v13, v2, v4, vcc
	v_cmp_eq_u32_e64 s[2:3], 2, v0
	v_cndmask_b32_e64 v14, v13, v6, s[2:3]
	v_cndmask_b32_e32 v13, v1, v3, vcc
	v_cndmask_b32_e64 v13, v13, v5, s[2:3]
	v_cmp_eq_f64_e32 vcc, 0, v[13:14]
	; wave barrier
	s_and_saveexec_b64 s[4:5], vcc
	s_cbranch_execz .LBB66_10
; %bb.7:
	v_mov_b32_e32 v16, 0
	ds_read_b32 v18, v16 offset:24
	v_add_u32_e32 v17, 1, v0
	s_waitcnt lgkmcnt(0)
	v_readfirstlane_b32 s2, v18
	s_cmp_eq_u32 s2, 0
	s_cselect_b64 s[8:9], -1, 0
	v_cmp_gt_i32_e32 vcc, s2, v17
	s_or_b64 s[8:9], s[8:9], vcc
	s_and_b64 exec, exec, s[8:9]
	s_cbranch_execz .LBB66_10
; %bb.8:
	s_mov_b64 s[8:9], 0
	v_mov_b32_e32 v18, s2
.LBB66_9:                               ; =>This Inner Loop Header: Depth=1
	ds_cmpst_rtn_b32 v18, v16, v18, v17 offset:24
	s_waitcnt lgkmcnt(0)
	v_cmp_ne_u32_e32 vcc, 0, v18
	v_cmp_le_i32_e64 s[2:3], v18, v17
	s_and_b64 s[2:3], vcc, s[2:3]
	s_and_b64 s[2:3], exec, s[2:3]
	s_or_b64 s[8:9], s[2:3], s[8:9]
	s_andn2_b64 exec, exec, s[8:9]
	s_cbranch_execnz .LBB66_9
.LBB66_10:
	s_or_b64 exec, exec, s[4:5]
	v_mov_b32_e32 v17, 0
	; wave barrier
	ds_read_b32 v16, v17 offset:24
	s_and_saveexec_b64 s[2:3], s[0:1]
	s_cbranch_execz .LBB66_12
; %bb.11:
	s_lshl_b64 s[4:5], s[6:7], 2
	s_add_u32 s4, s10, s4
	s_addc_u32 s5, s11, s5
	s_waitcnt lgkmcnt(0)
	global_store_dword v17, v16, s[4:5]
.LBB66_12:
	s_or_b64 exec, exec, s[2:3]
	s_waitcnt lgkmcnt(0)
	v_cmp_ne_u32_e32 vcc, 0, v16
	s_cbranch_vccz .LBB66_17
; %bb.13:
	s_mov_b64 s[0:1], 0
                                        ; implicit-def: $vgpr1_vgpr2_vgpr3_vgpr4_vgpr5_vgpr6
.LBB66_14:
	s_and_b64 vcc, exec, s[0:1]
	s_cbranch_vccz .LBB66_16
.LBB66_15:
	s_lshl_b64 s[0:1], s[6:7], 2
	s_add_u32 s0, s10, s0
	s_addc_u32 s1, s11, s1
	v_mov_b32_e32 v13, 0
	global_load_dword v13, v13, s[0:1]
	s_waitcnt vmcnt(0)
	v_cmp_ne_u32_e32 vcc, 0, v13
	s_cbranch_vccz .LBB66_22
.LBB66_16:
	s_endpgm
.LBB66_17:
	v_div_scale_f64 v[16:17], s[2:3], v[13:14], v[13:14], 1.0
	v_rcp_f64_e32 v[18:19], v[16:17]
	v_fma_f64 v[20:21], -v[16:17], v[18:19], 1.0
	v_fma_f64 v[18:19], v[18:19], v[20:21], v[18:19]
	v_div_scale_f64 v[20:21], vcc, 1.0, v[13:14], 1.0
	v_fma_f64 v[22:23], -v[16:17], v[18:19], 1.0
	v_fma_f64 v[18:19], v[18:19], v[22:23], v[18:19]
	v_mul_f64 v[22:23], v[20:21], v[18:19]
	v_fma_f64 v[16:17], -v[16:17], v[22:23], v[20:21]
	v_div_fmas_f64 v[16:17], v[16:17], v[18:19], v[22:23]
	v_cmp_eq_u32_e32 vcc, 2, v0
	v_div_fixup_f64 v[13:14], v[16:17], v[13:14], 1.0
	v_add_u32_e32 v16, 32, v15
	v_cndmask_b32_e32 v6, v6, v14, vcc
	v_cndmask_b32_e32 v5, v5, v13, vcc
	v_cmp_eq_u32_e32 vcc, 1, v0
	v_cndmask_b32_e32 v4, v4, v14, vcc
	v_cndmask_b32_e32 v3, v3, v13, vcc
	v_cmp_eq_u32_e32 vcc, 0, v0
	v_cndmask_b32_e32 v2, v2, v14, vcc
	v_cndmask_b32_e32 v1, v1, v13, vcc
	v_xor_b32_e32 v18, 0x80000000, v14
	v_mov_b32_e32 v17, v13
	ds_write2_b64 v15, v[17:18], v[3:4] offset1:4
	s_waitcnt lgkmcnt(0)
	; wave barrier
	s_and_saveexec_b64 s[2:3], s[0:1]
	s_cbranch_execz .LBB66_19
; %bb.18:
	ds_read_b64 v[3:4], v16
	v_mov_b32_e32 v15, 0
	ds_read_b64 v[17:18], v15 offset:8
	s_waitcnt lgkmcnt(1)
	v_fma_f64 v[3:4], v[13:14], v[3:4], 0
	s_waitcnt lgkmcnt(0)
	v_mul_f64 v[3:4], v[3:4], v[17:18]
.LBB66_19:
	s_or_b64 exec, exec, s[2:3]
	v_cmp_ne_u32_e32 vcc, 2, v0
	; wave barrier
	ds_write_b64 v16, v[5:6]
	s_waitcnt lgkmcnt(0)
	; wave barrier
	s_and_saveexec_b64 s[4:5], vcc
	s_cbranch_execz .LBB66_21
; %bb.20:
	ds_read_b64 v[13:14], v16
	v_cmp_eq_u32_e32 vcc, 1, v0
	v_cndmask_b32_e32 v15, v2, v4, vcc
	v_cmp_eq_u32_e64 s[2:3], 2, v0
	v_cndmask_b32_e64 v6, v15, v6, s[2:3]
	v_cndmask_b32_e32 v15, v1, v3, vcc
	v_cndmask_b32_e64 v5, v15, v5, s[2:3]
	s_waitcnt lgkmcnt(0)
	v_fma_f64 v[5:6], v[5:6], v[13:14], 0
	v_mov_b32_e32 v13, 0
	ds_read2_b64 v[13:16], v13 offset0:2 offset1:5
	s_waitcnt lgkmcnt(0)
	v_fma_f64 v[15:16], v[3:4], v[15:16], v[5:6]
	v_cndmask_b32_e64 v6, v6, v16, s[0:1]
	v_cndmask_b32_e64 v5, v5, v15, s[0:1]
	v_mul_f64 v[5:6], v[5:6], v[13:14]
.LBB66_21:
	s_or_b64 exec, exec, s[4:5]
	; wave barrier
	s_cbranch_execnz .LBB66_15
	s_branch .LBB66_16
.LBB66_22:
	v_lshl_add_u32 v13, v0, 3, 32
	v_cmp_eq_u32_e32 vcc, 2, v0
	s_and_saveexec_b64 s[0:1], vcc
	s_cbranch_execz .LBB66_24
; %bb.23:
	s_waitcnt lgkmcnt(0)
	v_mov_b32_e32 v19, v6
	s_mov_b32 s2, 0
	v_mov_b32_e32 v17, v4
	v_mov_b32_e32 v16, v3
	v_mov_b32_e32 v14, v1
	v_mov_b32_e32 v18, v5
	v_mov_b32_e32 v15, v2
	v_mov_b32_e32 v16, s2
	v_mov_b32_e32 v17, s2
	ds_write_b64 v13, v[3:4]
	v_mov_b32_e32 v1, v14
	v_mov_b32_e32 v2, v15
	;; [unrolled: 1-line block ×6, first 2 shown]
.LBB66_24:
	s_or_b64 exec, exec, s[0:1]
	v_mov_b32_e32 v14, 0
	s_waitcnt lgkmcnt(0)
	; wave barrier
	ds_read_b64 v[15:16], v14 offset:48
	s_mov_b32 s2, 0
	v_cmp_ne_u32_e32 vcc, 0, v0
	s_waitcnt lgkmcnt(0)
	v_fma_f64 v[15:16], v[5:6], v[15:16], 0
	v_add_f64 v[3:4], v[3:4], -v[15:16]
	s_and_saveexec_b64 s[0:1], vcc
	s_cbranch_execz .LBB66_26
; %bb.25:
	v_mov_b32_e32 v20, v6
	v_mov_b32_e32 v15, v1
	;; [unrolled: 1-line block ×8, first 2 shown]
	ds_write_b64 v13, v[1:2]
	v_mov_b32_e32 v1, v15
	v_mov_b32_e32 v2, v16
	;; [unrolled: 1-line block ×6, first 2 shown]
.LBB66_26:
	s_or_b64 exec, exec, s[0:1]
	s_waitcnt lgkmcnt(0)
	; wave barrier
	ds_read2_b64 v[13:16], v14 offset0:5 offset1:6
	s_and_b64 vcc, exec, s[14:15]
	s_waitcnt lgkmcnt(0)
	v_fma_f64 v[13:14], v[3:4], v[13:14], 0
	v_fma_f64 v[13:14], v[5:6], v[15:16], v[13:14]
	v_add_f64 v[1:2], v[1:2], -v[13:14]
	s_cbranch_vccz .LBB66_31
; %bb.27:
	v_mov_b32_e32 v0, 0
	global_load_dword v13, v0, s[12:13] offset:4
	s_waitcnt vmcnt(0)
	v_readfirstlane_b32 s2, v13
	s_add_i32 s2, s2, -1
	s_cmp_lg_u32 s2, 1
	s_cbranch_scc0 .LBB66_29
; %bb.28:
	s_cmp_eq_u32 s2, 1
	s_cselect_b64 vcc, -1, 0
	s_cmp_eq_u32 s2, 2
	v_cndmask_b32_e32 v13, v1, v3, vcc
	s_cselect_b64 s[0:1], -1, 0
	v_cndmask_b32_e32 v14, v2, v4, vcc
	v_cndmask_b32_e64 v13, v13, v5, s[0:1]
	v_cndmask_b32_e64 v14, v14, v6, s[0:1]
	s_cmp_eq_u32 s2, 0
	v_cndmask_b32_e32 v16, v14, v4, vcc
	v_cndmask_b32_e32 v15, v13, v3, vcc
	s_cselect_b64 vcc, -1, 0
	v_cndmask_b32_e32 v13, v1, v3, vcc
	v_cndmask_b32_e64 v18, v6, v4, s[0:1]
	v_cndmask_b32_e64 v17, v5, v3, s[0:1]
	v_cndmask_b32_e32 v14, v2, v4, vcc
	v_mov_b32_e32 v1, v13
	v_mov_b32_e32 v2, v14
	;; [unrolled: 1-line block ×6, first 2 shown]
.LBB66_29:
	global_load_dword v0, v0, s[12:13]
	s_waitcnt vmcnt(0)
	v_readfirstlane_b32 s2, v0
	s_add_i32 s2, s2, -1
	s_cmp_eq_u32 s2, 0
	s_cbranch_scc1 .LBB66_31
; %bb.30:
	s_cmp_eq_u32 s2, 1
	s_cselect_b64 vcc, -1, 0
	s_cmp_eq_u32 s2, 2
	v_cndmask_b32_e32 v0, v1, v3, vcc
	s_cselect_b64 s[0:1], -1, 0
	v_cndmask_b32_e32 v13, v2, v4, vcc
	s_cmp_eq_u32 s2, 0
	v_cndmask_b32_e64 v0, v0, v5, s[0:1]
	v_cndmask_b32_e64 v13, v13, v6, s[0:1]
	s_cselect_b64 s[2:3], -1, 0
	v_cndmask_b32_e64 v14, v13, v2, s[2:3]
	v_cndmask_b32_e64 v13, v0, v1, s[2:3]
	;; [unrolled: 1-line block ×4, first 2 shown]
	v_cndmask_b32_e32 v16, v4, v2, vcc
	v_cndmask_b32_e32 v15, v3, v1, vcc
	v_mov_b32_e32 v1, v13
	v_mov_b32_e32 v2, v14
	;; [unrolled: 1-line block ×6, first 2 shown]
.LBB66_31:
	flat_store_dwordx2 v[7:8], v[1:2]
	flat_store_dwordx2 v[9:10], v[3:4]
	;; [unrolled: 1-line block ×3, first 2 shown]
	s_endpgm
	.section	.rodata,"a",@progbits
	.p2align	6, 0x0
	.amdhsa_kernel _ZN9rocsolver6v33100L18getri_kernel_smallILi3EdPKPdEEvT1_iilPiilS6_bb
		.amdhsa_group_segment_fixed_size 56
		.amdhsa_private_segment_fixed_size 0
		.amdhsa_kernarg_size 60
		.amdhsa_user_sgpr_count 6
		.amdhsa_user_sgpr_private_segment_buffer 1
		.amdhsa_user_sgpr_dispatch_ptr 0
		.amdhsa_user_sgpr_queue_ptr 0
		.amdhsa_user_sgpr_kernarg_segment_ptr 1
		.amdhsa_user_sgpr_dispatch_id 0
		.amdhsa_user_sgpr_flat_scratch_init 0
		.amdhsa_user_sgpr_private_segment_size 0
		.amdhsa_uses_dynamic_stack 0
		.amdhsa_system_sgpr_private_segment_wavefront_offset 0
		.amdhsa_system_sgpr_workgroup_id_x 1
		.amdhsa_system_sgpr_workgroup_id_y 0
		.amdhsa_system_sgpr_workgroup_id_z 0
		.amdhsa_system_sgpr_workgroup_info 0
		.amdhsa_system_vgpr_workitem_id 0
		.amdhsa_next_free_vgpr 24
		.amdhsa_next_free_sgpr 17
		.amdhsa_reserve_vcc 1
		.amdhsa_reserve_flat_scratch 0
		.amdhsa_float_round_mode_32 0
		.amdhsa_float_round_mode_16_64 0
		.amdhsa_float_denorm_mode_32 3
		.amdhsa_float_denorm_mode_16_64 3
		.amdhsa_dx10_clamp 1
		.amdhsa_ieee_mode 1
		.amdhsa_fp16_overflow 0
		.amdhsa_exception_fp_ieee_invalid_op 0
		.amdhsa_exception_fp_denorm_src 0
		.amdhsa_exception_fp_ieee_div_zero 0
		.amdhsa_exception_fp_ieee_overflow 0
		.amdhsa_exception_fp_ieee_underflow 0
		.amdhsa_exception_fp_ieee_inexact 0
		.amdhsa_exception_int_div_zero 0
	.end_amdhsa_kernel
	.section	.text._ZN9rocsolver6v33100L18getri_kernel_smallILi3EdPKPdEEvT1_iilPiilS6_bb,"axG",@progbits,_ZN9rocsolver6v33100L18getri_kernel_smallILi3EdPKPdEEvT1_iilPiilS6_bb,comdat
.Lfunc_end66:
	.size	_ZN9rocsolver6v33100L18getri_kernel_smallILi3EdPKPdEEvT1_iilPiilS6_bb, .Lfunc_end66-_ZN9rocsolver6v33100L18getri_kernel_smallILi3EdPKPdEEvT1_iilPiilS6_bb
                                        ; -- End function
	.set _ZN9rocsolver6v33100L18getri_kernel_smallILi3EdPKPdEEvT1_iilPiilS6_bb.num_vgpr, 24
	.set _ZN9rocsolver6v33100L18getri_kernel_smallILi3EdPKPdEEvT1_iilPiilS6_bb.num_agpr, 0
	.set _ZN9rocsolver6v33100L18getri_kernel_smallILi3EdPKPdEEvT1_iilPiilS6_bb.numbered_sgpr, 17
	.set _ZN9rocsolver6v33100L18getri_kernel_smallILi3EdPKPdEEvT1_iilPiilS6_bb.num_named_barrier, 0
	.set _ZN9rocsolver6v33100L18getri_kernel_smallILi3EdPKPdEEvT1_iilPiilS6_bb.private_seg_size, 0
	.set _ZN9rocsolver6v33100L18getri_kernel_smallILi3EdPKPdEEvT1_iilPiilS6_bb.uses_vcc, 1
	.set _ZN9rocsolver6v33100L18getri_kernel_smallILi3EdPKPdEEvT1_iilPiilS6_bb.uses_flat_scratch, 0
	.set _ZN9rocsolver6v33100L18getri_kernel_smallILi3EdPKPdEEvT1_iilPiilS6_bb.has_dyn_sized_stack, 0
	.set _ZN9rocsolver6v33100L18getri_kernel_smallILi3EdPKPdEEvT1_iilPiilS6_bb.has_recursion, 0
	.set _ZN9rocsolver6v33100L18getri_kernel_smallILi3EdPKPdEEvT1_iilPiilS6_bb.has_indirect_call, 0
	.section	.AMDGPU.csdata,"",@progbits
; Kernel info:
; codeLenInByte = 1516
; TotalNumSgprs: 21
; NumVgprs: 24
; ScratchSize: 0
; MemoryBound: 0
; FloatMode: 240
; IeeeMode: 1
; LDSByteSize: 56 bytes/workgroup (compile time only)
; SGPRBlocks: 2
; VGPRBlocks: 5
; NumSGPRsForWavesPerEU: 21
; NumVGPRsForWavesPerEU: 24
; Occupancy: 10
; WaveLimiterHint : 1
; COMPUTE_PGM_RSRC2:SCRATCH_EN: 0
; COMPUTE_PGM_RSRC2:USER_SGPR: 6
; COMPUTE_PGM_RSRC2:TRAP_HANDLER: 0
; COMPUTE_PGM_RSRC2:TGID_X_EN: 1
; COMPUTE_PGM_RSRC2:TGID_Y_EN: 0
; COMPUTE_PGM_RSRC2:TGID_Z_EN: 0
; COMPUTE_PGM_RSRC2:TIDIG_COMP_CNT: 0
	.section	.text._ZN9rocsolver6v33100L18getri_kernel_smallILi4EdPKPdEEvT1_iilPiilS6_bb,"axG",@progbits,_ZN9rocsolver6v33100L18getri_kernel_smallILi4EdPKPdEEvT1_iilPiilS6_bb,comdat
	.globl	_ZN9rocsolver6v33100L18getri_kernel_smallILi4EdPKPdEEvT1_iilPiilS6_bb ; -- Begin function _ZN9rocsolver6v33100L18getri_kernel_smallILi4EdPKPdEEvT1_iilPiilS6_bb
	.p2align	8
	.type	_ZN9rocsolver6v33100L18getri_kernel_smallILi4EdPKPdEEvT1_iilPiilS6_bb,@function
_ZN9rocsolver6v33100L18getri_kernel_smallILi4EdPKPdEEvT1_iilPiilS6_bb: ; @_ZN9rocsolver6v33100L18getri_kernel_smallILi4EdPKPdEEvT1_iilPiilS6_bb
; %bb.0:
	v_cmp_gt_u32_e32 vcc, 4, v0
	s_and_saveexec_b64 s[0:1], vcc
	s_cbranch_execz .LBB67_16
; %bb.1:
	s_load_dword s12, s[4:5], 0x38
	s_load_dwordx2 s[0:1], s[4:5], 0x0
	s_load_dwordx4 s[8:11], s[4:5], 0x28
	s_waitcnt lgkmcnt(0)
	s_bitcmp1_b32 s12, 8
	s_cselect_b64 s[14:15], -1, 0
	s_ashr_i32 s7, s6, 31
	s_lshl_b64 s[2:3], s[6:7], 3
	s_add_u32 s0, s0, s2
	s_addc_u32 s1, s1, s3
	s_load_dwordx2 s[0:1], s[0:1], 0x0
	s_bfe_u32 s2, s12, 0x10008
	s_cmp_eq_u32 s2, 0
                                        ; implicit-def: $sgpr12_sgpr13
	s_cbranch_scc1 .LBB67_3
; %bb.2:
	s_load_dword s2, s[4:5], 0x20
	s_load_dwordx2 s[12:13], s[4:5], 0x18
	s_mul_i32 s3, s8, s7
	s_mul_hi_u32 s16, s8, s6
	s_add_i32 s16, s16, s3
	s_mul_i32 s9, s9, s6
	s_add_i32 s9, s16, s9
	s_mul_i32 s8, s8, s6
	s_waitcnt lgkmcnt(0)
	s_ashr_i32 s3, s2, 31
	s_lshl_b64 s[8:9], s[8:9], 2
	s_add_u32 s8, s12, s8
	s_addc_u32 s9, s13, s9
	s_lshl_b64 s[2:3], s[2:3], 2
	s_add_u32 s12, s8, s2
	s_addc_u32 s13, s9, s3
.LBB67_3:
	s_load_dwordx2 s[2:3], s[4:5], 0x8
	s_load_dword s8, s[4:5], 0x38
	v_lshlrev_b32_e32 v20, 3, v0
	s_waitcnt lgkmcnt(0)
	s_ashr_i32 s5, s2, 31
	s_mov_b32 s4, s2
	s_lshl_b64 s[4:5], s[4:5], 3
	s_add_u32 s2, s0, s4
	s_addc_u32 s4, s1, s5
	v_mov_b32_e32 v1, s4
	v_add_co_u32_e32 v10, vcc, s2, v20
	s_ashr_i32 s1, s3, 31
	s_mov_b32 s0, s3
	v_addc_co_u32_e32 v11, vcc, 0, v1, vcc
	s_lshl_b64 s[0:1], s[0:1], 3
	v_mov_b32_e32 v1, s1
	v_add_co_u32_e32 v12, vcc, s0, v10
	s_add_i32 s0, s3, s3
	v_addc_co_u32_e32 v13, vcc, v11, v1, vcc
	v_add_u32_e32 v1, s0, v0
	v_ashrrev_i32_e32 v2, 31, v1
	v_lshlrev_b64 v[2:3], 3, v[1:2]
	v_add_u32_e32 v1, s3, v1
	v_add_co_u32_e32 v14, vcc, s2, v2
	v_ashrrev_i32_e32 v2, 31, v1
	v_mov_b32_e32 v4, s4
	v_lshlrev_b64 v[1:2], 3, v[1:2]
	v_addc_co_u32_e32 v15, vcc, v4, v3, vcc
	v_mov_b32_e32 v3, s4
	v_add_co_u32_e32 v16, vcc, s2, v1
	v_addc_co_u32_e32 v17, vcc, v3, v2, vcc
	flat_load_dwordx2 v[2:3], v[10:11]
	flat_load_dwordx2 v[4:5], v[12:13]
	;; [unrolled: 1-line block ×4, first 2 shown]
	v_mov_b32_e32 v1, 0
	s_bitcmp0_b32 s8, 0
	s_mov_b64 s[0:1], -1
	s_cbranch_scc1 .LBB67_14
; %bb.4:
	v_cmp_eq_u32_e64 s[0:1], 0, v0
	s_and_saveexec_b64 s[2:3], s[0:1]
; %bb.5:
	v_mov_b32_e32 v18, 0
	ds_write_b32 v18, v18 offset:64
; %bb.6:
	s_or_b64 exec, exec, s[2:3]
	v_cmp_eq_u32_e32 vcc, 1, v0
	s_waitcnt vmcnt(0) lgkmcnt(0)
	v_cndmask_b32_e32 v18, v3, v5, vcc
	v_cmp_eq_u32_e64 s[2:3], 2, v0
	v_cndmask_b32_e64 v18, v18, v7, s[2:3]
	v_cmp_eq_u32_e64 s[4:5], 3, v0
	v_cndmask_b32_e64 v19, v18, v9, s[4:5]
	v_cndmask_b32_e32 v18, v2, v4, vcc
	v_cndmask_b32_e64 v18, v18, v6, s[2:3]
	v_cndmask_b32_e64 v18, v18, v8, s[4:5]
	v_cmp_eq_f64_e32 vcc, 0, v[18:19]
	; wave barrier
	s_and_saveexec_b64 s[4:5], vcc
	s_cbranch_execz .LBB67_10
; %bb.7:
	v_mov_b32_e32 v21, 0
	ds_read_b32 v23, v21 offset:64
	v_add_u32_e32 v22, 1, v0
	s_waitcnt lgkmcnt(0)
	v_readfirstlane_b32 s2, v23
	s_cmp_eq_u32 s2, 0
	s_cselect_b64 s[8:9], -1, 0
	v_cmp_gt_i32_e32 vcc, s2, v22
	s_or_b64 s[8:9], s[8:9], vcc
	s_and_b64 exec, exec, s[8:9]
	s_cbranch_execz .LBB67_10
; %bb.8:
	s_mov_b64 s[8:9], 0
	v_mov_b32_e32 v23, s2
.LBB67_9:                               ; =>This Inner Loop Header: Depth=1
	ds_cmpst_rtn_b32 v23, v21, v23, v22 offset:64
	s_waitcnt lgkmcnt(0)
	v_cmp_ne_u32_e32 vcc, 0, v23
	v_cmp_le_i32_e64 s[2:3], v23, v22
	s_and_b64 s[2:3], vcc, s[2:3]
	s_and_b64 s[2:3], exec, s[2:3]
	s_or_b64 s[8:9], s[2:3], s[8:9]
	s_andn2_b64 exec, exec, s[8:9]
	s_cbranch_execnz .LBB67_9
.LBB67_10:
	s_or_b64 exec, exec, s[4:5]
	v_mov_b32_e32 v22, 0
	; wave barrier
	ds_read_b32 v21, v22 offset:64
	s_and_saveexec_b64 s[2:3], s[0:1]
	s_cbranch_execz .LBB67_12
; %bb.11:
	s_lshl_b64 s[4:5], s[6:7], 2
	s_add_u32 s4, s10, s4
	s_addc_u32 s5, s11, s5
	s_waitcnt lgkmcnt(0)
	global_store_dword v22, v21, s[4:5]
.LBB67_12:
	s_or_b64 exec, exec, s[2:3]
	s_waitcnt lgkmcnt(0)
	v_cmp_ne_u32_e32 vcc, 0, v21
	s_cbranch_vccz .LBB67_17
; %bb.13:
	s_mov_b64 s[0:1], 0
                                        ; implicit-def: $vgpr2_vgpr3_vgpr4_vgpr5_vgpr6_vgpr7_vgpr8_vgpr9
.LBB67_14:
	s_and_b64 vcc, exec, s[0:1]
	s_cbranch_vccz .LBB67_16
.LBB67_15:
	s_lshl_b64 s[0:1], s[6:7], 2
	s_add_u32 s0, s10, s0
	s_addc_u32 s1, s11, s1
	v_mov_b32_e32 v1, 0
	global_load_dword v1, v1, s[0:1]
	s_waitcnt vmcnt(0)
	v_cmp_ne_u32_e32 vcc, 0, v1
	s_cbranch_vccz .LBB67_26
.LBB67_16:
	s_endpgm
.LBB67_17:
	v_div_scale_f64 v[21:22], s[2:3], v[18:19], v[18:19], 1.0
	v_rcp_f64_e32 v[23:24], v[21:22]
	v_fma_f64 v[25:26], -v[21:22], v[23:24], 1.0
	v_fma_f64 v[23:24], v[23:24], v[25:26], v[23:24]
	v_div_scale_f64 v[25:26], vcc, 1.0, v[18:19], 1.0
	v_fma_f64 v[27:28], -v[21:22], v[23:24], 1.0
	v_fma_f64 v[23:24], v[23:24], v[27:28], v[23:24]
	v_mul_f64 v[27:28], v[25:26], v[23:24]
	v_fma_f64 v[21:22], -v[21:22], v[27:28], v[25:26]
	v_div_fmas_f64 v[21:22], v[21:22], v[23:24], v[27:28]
	v_cmp_eq_u32_e32 vcc, 3, v0
	v_div_fixup_f64 v[18:19], v[21:22], v[18:19], 1.0
	v_add_u32_e32 v21, 32, v20
	v_cndmask_b32_e32 v9, v9, v19, vcc
	v_cndmask_b32_e32 v8, v8, v18, vcc
	v_cmp_eq_u32_e32 vcc, 2, v0
	v_cndmask_b32_e32 v7, v7, v19, vcc
	v_cndmask_b32_e32 v6, v6, v18, vcc
	v_cmp_eq_u32_e32 vcc, 1, v0
	;; [unrolled: 3-line block ×3, first 2 shown]
	v_cndmask_b32_e32 v3, v3, v19, vcc
	v_cndmask_b32_e32 v2, v2, v18, vcc
	v_xor_b32_e32 v23, 0x80000000, v19
	v_mov_b32_e32 v22, v18
	ds_write2_b64 v20, v[22:23], v[4:5] offset1:4
	s_waitcnt lgkmcnt(0)
	; wave barrier
	s_and_saveexec_b64 s[2:3], s[0:1]
	s_cbranch_execz .LBB67_19
; %bb.18:
	ds_read_b64 v[4:5], v21
	v_mov_b32_e32 v20, 0
	ds_read_b64 v[22:23], v20 offset:8
	s_waitcnt lgkmcnt(1)
	v_fma_f64 v[4:5], v[18:19], v[4:5], 0
	s_waitcnt lgkmcnt(0)
	v_mul_f64 v[4:5], v[4:5], v[22:23]
.LBB67_19:
	s_or_b64 exec, exec, s[2:3]
	v_cmp_gt_u32_e32 vcc, 2, v0
	; wave barrier
	ds_write_b64 v21, v[6:7]
	s_waitcnt lgkmcnt(0)
	; wave barrier
	s_and_saveexec_b64 s[8:9], vcc
	s_cbranch_execz .LBB67_21
; %bb.20:
	v_cmp_eq_u32_e32 vcc, 1, v0
	v_cndmask_b32_e32 v18, v3, v5, vcc
	v_cmp_eq_u32_e64 s[2:3], 2, v0
	v_cndmask_b32_e64 v7, v18, v7, s[2:3]
	ds_read_b64 v[18:19], v21
	v_cndmask_b32_e32 v20, v2, v4, vcc
	v_cmp_eq_u32_e64 s[4:5], 3, v0
	v_cndmask_b32_e64 v6, v20, v6, s[2:3]
	v_cndmask_b32_e64 v7, v7, v9, s[4:5]
	v_cndmask_b32_e64 v6, v6, v8, s[4:5]
	s_waitcnt lgkmcnt(0)
	v_fma_f64 v[6:7], v[6:7], v[18:19], 0
	v_mov_b32_e32 v18, 0
	ds_read2_b64 v[22:25], v18 offset0:2 offset1:5
	s_waitcnt lgkmcnt(0)
	v_fma_f64 v[18:19], v[4:5], v[24:25], v[6:7]
	v_cndmask_b32_e64 v7, v7, v19, s[0:1]
	v_cndmask_b32_e64 v6, v6, v18, s[0:1]
	v_mul_f64 v[6:7], v[6:7], v[22:23]
.LBB67_21:
	s_or_b64 exec, exec, s[8:9]
	v_cmp_ne_u32_e32 vcc, 3, v0
	; wave barrier
	ds_write_b64 v21, v[8:9]
	s_waitcnt lgkmcnt(0)
	; wave barrier
	s_and_saveexec_b64 s[2:3], vcc
	s_cbranch_execz .LBB67_25
; %bb.22:
	v_mov_b32_e32 v18, 0
	v_mov_b32_e32 v21, v1
	v_lshl_add_u32 v22, v0, 3, 32
	v_mov_b32_e32 v19, 0
	s_mov_b64 s[4:5], 0
	v_mov_b32_e32 v20, v0
.LBB67_23:                              ; =>This Inner Loop Header: Depth=1
	v_cmp_eq_u32_e32 vcc, 1, v20
	ds_read_b64 v[23:24], v22
	v_cndmask_b32_e32 v1, v3, v5, vcc
	v_cmp_eq_u32_e64 s[0:1], 2, v20
	v_cndmask_b32_e64 v1, v1, v7, s[0:1]
	v_cndmask_b32_e32 v25, v2, v4, vcc
	v_cmp_eq_u32_e32 vcc, 3, v20
	v_cndmask_b32_e32 v26, v1, v9, vcc
	v_cndmask_b32_e64 v1, v25, v6, s[0:1]
	v_cndmask_b32_e32 v25, v1, v8, vcc
	s_waitcnt lgkmcnt(0)
	v_fma_f64 v[18:19], v[25:26], v[23:24], v[18:19]
	v_add_co_u32_e32 v20, vcc, 1, v20
	v_addc_co_u32_e32 v21, vcc, 0, v21, vcc
	v_add_u32_e32 v1, -1, v20
	v_cmp_lt_u32_e32 vcc, 1, v1
	s_or_b64 s[4:5], vcc, s[4:5]
	v_add_u32_e32 v22, 8, v22
	s_andn2_b64 exec, exec, s[4:5]
	s_cbranch_execnz .LBB67_23
; %bb.24:
	s_or_b64 exec, exec, s[4:5]
	v_mov_b32_e32 v1, 0
	ds_read_b64 v[8:9], v1 offset:24
	s_waitcnt lgkmcnt(0)
	v_mul_f64 v[8:9], v[18:19], v[8:9]
.LBB67_25:
	s_or_b64 exec, exec, s[2:3]
	; wave barrier
	s_cbranch_execnz .LBB67_15
	s_branch .LBB67_16
.LBB67_26:
	v_lshl_add_u32 v1, v0, 3, 32
	v_cmp_eq_u32_e32 vcc, 3, v0
	s_and_saveexec_b64 s[0:1], vcc
	s_cbranch_execz .LBB67_28
; %bb.27:
	s_waitcnt lgkmcnt(0)
	v_mov_b32_e32 v25, v9
	s_mov_b32 s2, 0
	v_mov_b32_e32 v23, v7
	v_mov_b32_e32 v22, v6
	v_mov_b32_e32 v18, v2
	v_mov_b32_e32 v24, v8
	v_mov_b32_e32 v21, v5
	v_mov_b32_e32 v20, v4
	v_mov_b32_e32 v19, v3
	v_mov_b32_e32 v22, s2
	v_mov_b32_e32 v23, s2
	ds_write_b64 v1, v[6:7]
	v_mov_b32_e32 v2, v18
	v_mov_b32_e32 v3, v19
	;; [unrolled: 1-line block ×8, first 2 shown]
.LBB67_28:
	s_or_b64 exec, exec, s[0:1]
	v_mov_b32_e32 v18, 0
	s_waitcnt lgkmcnt(0)
	; wave barrier
	ds_read_b64 v[19:20], v18 offset:56
	v_cmp_lt_u32_e32 vcc, 1, v0
	s_waitcnt lgkmcnt(0)
	v_fma_f64 v[19:20], v[8:9], v[19:20], 0
	v_add_f64 v[6:7], v[6:7], -v[19:20]
	s_and_saveexec_b64 s[0:1], vcc
	s_cbranch_execz .LBB67_30
; %bb.29:
	v_mov_b32_e32 v26, v9
	s_mov_b32 s2, 0
	v_mov_b32_e32 v22, v5
	v_mov_b32_e32 v21, v4
	;; [unrolled: 1-line block ×9, first 2 shown]
	ds_write_b64 v1, v[4:5]
	v_mov_b32_e32 v2, v19
	v_mov_b32_e32 v3, v20
	v_mov_b32_e32 v4, v21
	v_mov_b32_e32 v5, v22
	v_mov_b32_e32 v6, v23
	v_mov_b32_e32 v7, v24
	v_mov_b32_e32 v8, v25
	v_mov_b32_e32 v9, v26
.LBB67_30:
	s_or_b64 exec, exec, s[0:1]
	s_waitcnt lgkmcnt(0)
	; wave barrier
	ds_read_b128 v[18:21], v18 offset:48
	s_mov_b32 s2, 0
	v_cmp_ne_u32_e32 vcc, 0, v0
	s_waitcnt lgkmcnt(0)
	v_fma_f64 v[18:19], v[6:7], v[18:19], 0
	v_fma_f64 v[18:19], v[8:9], v[20:21], v[18:19]
	v_add_f64 v[4:5], v[4:5], -v[18:19]
	s_and_saveexec_b64 s[0:1], vcc
	s_cbranch_execz .LBB67_32
; %bb.31:
	v_mov_b32_e32 v25, v9
	v_mov_b32_e32 v18, v2
	;; [unrolled: 1-line block ×10, first 2 shown]
	ds_write_b64 v1, v[2:3]
	v_mov_b32_e32 v2, v18
	v_mov_b32_e32 v3, v19
	;; [unrolled: 1-line block ×8, first 2 shown]
.LBB67_32:
	s_or_b64 exec, exec, s[0:1]
	v_mov_b32_e32 v0, 0
	s_waitcnt lgkmcnt(0)
	; wave barrier
	ds_read2_b64 v[18:21], v0 offset0:5 offset1:6
	ds_read_b64 v[22:23], v0 offset:56
	s_and_b64 vcc, exec, s[14:15]
	s_waitcnt lgkmcnt(1)
	v_fma_f64 v[18:19], v[4:5], v[18:19], 0
	v_fma_f64 v[18:19], v[6:7], v[20:21], v[18:19]
	s_waitcnt lgkmcnt(0)
	v_fma_f64 v[18:19], v[8:9], v[22:23], v[18:19]
	v_add_f64 v[2:3], v[2:3], -v[18:19]
	s_cbranch_vccz .LBB67_39
; %bb.33:
	global_load_dword v0, v0, s[12:13] offset:8
	s_waitcnt vmcnt(0)
	v_readfirstlane_b32 s4, v0
	s_add_i32 s4, s4, -1
	s_cmp_lg_u32 s4, 2
	s_cbranch_scc0 .LBB67_35
; %bb.34:
	s_cmp_eq_u32 s4, 1
	s_cselect_b64 vcc, -1, 0
	s_cmp_eq_u32 s4, 2
	s_cselect_b64 s[0:1], -1, 0
	s_cmp_eq_u32 s4, 3
	v_cndmask_b32_e32 v0, v2, v4, vcc
	s_cselect_b64 s[2:3], -1, 0
	v_cndmask_b32_e32 v1, v3, v5, vcc
	s_cmp_eq_u32 s4, 0
	v_cndmask_b32_e64 v0, v0, v6, s[0:1]
	v_cndmask_b32_e64 v1, v1, v7, s[0:1]
	v_cndmask_b32_e32 v21, v5, v7, vcc
	v_cndmask_b32_e32 v20, v4, v6, vcc
	s_cselect_b64 vcc, -1, 0
	v_cndmask_b32_e64 v0, v0, v8, s[2:3]
	v_cndmask_b32_e64 v1, v1, v9, s[2:3]
	v_cndmask_b32_e32 v18, v2, v6, vcc
	v_cndmask_b32_e64 v23, v1, v7, s[0:1]
	v_cndmask_b32_e64 v22, v0, v6, s[0:1]
	;; [unrolled: 1-line block ×4, first 2 shown]
	v_cndmask_b32_e32 v19, v3, v7, vcc
	v_mov_b32_e32 v2, v18
	v_mov_b32_e32 v3, v19
	;; [unrolled: 1-line block ×8, first 2 shown]
.LBB67_35:
	v_mov_b32_e32 v0, 0
	global_load_dword v1, v0, s[12:13] offset:4
	s_waitcnt vmcnt(0)
	v_readfirstlane_b32 s4, v1
	s_add_i32 s4, s4, -1
	s_cmp_eq_u32 s4, 1
	s_cbranch_scc1 .LBB67_37
; %bb.36:
	s_cselect_b64 vcc, -1, 0
	s_cmp_eq_u32 s4, 2
	v_cndmask_b32_e32 v1, v2, v4, vcc
	s_cselect_b64 s[0:1], -1, 0
	s_cmp_eq_u32 s4, 3
	v_cndmask_b32_e32 v18, v3, v5, vcc
	v_cndmask_b32_e64 v1, v1, v6, s[0:1]
	s_cselect_b64 s[2:3], -1, 0
	v_cndmask_b32_e64 v18, v18, v7, s[0:1]
	v_cndmask_b32_e64 v1, v1, v8, s[2:3]
	;; [unrolled: 1-line block ×3, first 2 shown]
	s_cmp_eq_u32 s4, 0
	v_cndmask_b32_e32 v21, v18, v5, vcc
	v_cndmask_b32_e32 v20, v1, v4, vcc
	s_cselect_b64 vcc, -1, 0
	v_cndmask_b32_e32 v18, v2, v4, vcc
	v_cndmask_b32_e64 v25, v9, v5, s[2:3]
	v_cndmask_b32_e64 v24, v8, v4, s[2:3]
	;; [unrolled: 1-line block ×4, first 2 shown]
	v_cndmask_b32_e32 v19, v3, v5, vcc
	v_mov_b32_e32 v2, v18
	v_mov_b32_e32 v3, v19
	;; [unrolled: 1-line block ×8, first 2 shown]
.LBB67_37:
	global_load_dword v0, v0, s[12:13]
	s_waitcnt vmcnt(0)
	v_readfirstlane_b32 s4, v0
	s_add_i32 s4, s4, -1
	s_cmp_eq_u32 s4, 0
	s_cbranch_scc1 .LBB67_39
; %bb.38:
	s_cmp_eq_u32 s4, 1
	s_cselect_b64 vcc, -1, 0
	s_cmp_eq_u32 s4, 2
	v_cndmask_b32_e32 v0, v2, v4, vcc
	s_cselect_b64 s[0:1], -1, 0
	s_cmp_eq_u32 s4, 3
	v_cndmask_b32_e64 v0, v0, v6, s[0:1]
	s_cselect_b64 s[2:3], -1, 0
	v_cndmask_b32_e32 v1, v3, v5, vcc
	s_cmp_eq_u32 s4, 0
	v_cndmask_b32_e64 v0, v0, v8, s[2:3]
	v_cndmask_b32_e64 v1, v1, v7, s[0:1]
	s_cselect_b64 s[4:5], -1, 0
	v_cndmask_b32_e64 v1, v1, v9, s[2:3]
	v_cndmask_b32_e64 v18, v0, v2, s[4:5]
	;; [unrolled: 1-line block ×7, first 2 shown]
	v_cndmask_b32_e32 v21, v5, v3, vcc
	v_cndmask_b32_e32 v20, v4, v2, vcc
	v_mov_b32_e32 v2, v18
	v_mov_b32_e32 v3, v19
	;; [unrolled: 1-line block ×8, first 2 shown]
.LBB67_39:
	flat_store_dwordx2 v[10:11], v[2:3]
	flat_store_dwordx2 v[12:13], v[4:5]
	;; [unrolled: 1-line block ×4, first 2 shown]
	s_endpgm
	.section	.rodata,"a",@progbits
	.p2align	6, 0x0
	.amdhsa_kernel _ZN9rocsolver6v33100L18getri_kernel_smallILi4EdPKPdEEvT1_iilPiilS6_bb
		.amdhsa_group_segment_fixed_size 72
		.amdhsa_private_segment_fixed_size 0
		.amdhsa_kernarg_size 60
		.amdhsa_user_sgpr_count 6
		.amdhsa_user_sgpr_private_segment_buffer 1
		.amdhsa_user_sgpr_dispatch_ptr 0
		.amdhsa_user_sgpr_queue_ptr 0
		.amdhsa_user_sgpr_kernarg_segment_ptr 1
		.amdhsa_user_sgpr_dispatch_id 0
		.amdhsa_user_sgpr_flat_scratch_init 0
		.amdhsa_user_sgpr_private_segment_size 0
		.amdhsa_uses_dynamic_stack 0
		.amdhsa_system_sgpr_private_segment_wavefront_offset 0
		.amdhsa_system_sgpr_workgroup_id_x 1
		.amdhsa_system_sgpr_workgroup_id_y 0
		.amdhsa_system_sgpr_workgroup_id_z 0
		.amdhsa_system_sgpr_workgroup_info 0
		.amdhsa_system_vgpr_workitem_id 0
		.amdhsa_next_free_vgpr 29
		.amdhsa_next_free_sgpr 17
		.amdhsa_reserve_vcc 1
		.amdhsa_reserve_flat_scratch 0
		.amdhsa_float_round_mode_32 0
		.amdhsa_float_round_mode_16_64 0
		.amdhsa_float_denorm_mode_32 3
		.amdhsa_float_denorm_mode_16_64 3
		.amdhsa_dx10_clamp 1
		.amdhsa_ieee_mode 1
		.amdhsa_fp16_overflow 0
		.amdhsa_exception_fp_ieee_invalid_op 0
		.amdhsa_exception_fp_denorm_src 0
		.amdhsa_exception_fp_ieee_div_zero 0
		.amdhsa_exception_fp_ieee_overflow 0
		.amdhsa_exception_fp_ieee_underflow 0
		.amdhsa_exception_fp_ieee_inexact 0
		.amdhsa_exception_int_div_zero 0
	.end_amdhsa_kernel
	.section	.text._ZN9rocsolver6v33100L18getri_kernel_smallILi4EdPKPdEEvT1_iilPiilS6_bb,"axG",@progbits,_ZN9rocsolver6v33100L18getri_kernel_smallILi4EdPKPdEEvT1_iilPiilS6_bb,comdat
.Lfunc_end67:
	.size	_ZN9rocsolver6v33100L18getri_kernel_smallILi4EdPKPdEEvT1_iilPiilS6_bb, .Lfunc_end67-_ZN9rocsolver6v33100L18getri_kernel_smallILi4EdPKPdEEvT1_iilPiilS6_bb
                                        ; -- End function
	.set _ZN9rocsolver6v33100L18getri_kernel_smallILi4EdPKPdEEvT1_iilPiilS6_bb.num_vgpr, 29
	.set _ZN9rocsolver6v33100L18getri_kernel_smallILi4EdPKPdEEvT1_iilPiilS6_bb.num_agpr, 0
	.set _ZN9rocsolver6v33100L18getri_kernel_smallILi4EdPKPdEEvT1_iilPiilS6_bb.numbered_sgpr, 17
	.set _ZN9rocsolver6v33100L18getri_kernel_smallILi4EdPKPdEEvT1_iilPiilS6_bb.num_named_barrier, 0
	.set _ZN9rocsolver6v33100L18getri_kernel_smallILi4EdPKPdEEvT1_iilPiilS6_bb.private_seg_size, 0
	.set _ZN9rocsolver6v33100L18getri_kernel_smallILi4EdPKPdEEvT1_iilPiilS6_bb.uses_vcc, 1
	.set _ZN9rocsolver6v33100L18getri_kernel_smallILi4EdPKPdEEvT1_iilPiilS6_bb.uses_flat_scratch, 0
	.set _ZN9rocsolver6v33100L18getri_kernel_smallILi4EdPKPdEEvT1_iilPiilS6_bb.has_dyn_sized_stack, 0
	.set _ZN9rocsolver6v33100L18getri_kernel_smallILi4EdPKPdEEvT1_iilPiilS6_bb.has_recursion, 0
	.set _ZN9rocsolver6v33100L18getri_kernel_smallILi4EdPKPdEEvT1_iilPiilS6_bb.has_indirect_call, 0
	.section	.AMDGPU.csdata,"",@progbits
; Kernel info:
; codeLenInByte = 2276
; TotalNumSgprs: 21
; NumVgprs: 29
; ScratchSize: 0
; MemoryBound: 0
; FloatMode: 240
; IeeeMode: 1
; LDSByteSize: 72 bytes/workgroup (compile time only)
; SGPRBlocks: 2
; VGPRBlocks: 7
; NumSGPRsForWavesPerEU: 21
; NumVGPRsForWavesPerEU: 29
; Occupancy: 8
; WaveLimiterHint : 1
; COMPUTE_PGM_RSRC2:SCRATCH_EN: 0
; COMPUTE_PGM_RSRC2:USER_SGPR: 6
; COMPUTE_PGM_RSRC2:TRAP_HANDLER: 0
; COMPUTE_PGM_RSRC2:TGID_X_EN: 1
; COMPUTE_PGM_RSRC2:TGID_Y_EN: 0
; COMPUTE_PGM_RSRC2:TGID_Z_EN: 0
; COMPUTE_PGM_RSRC2:TIDIG_COMP_CNT: 0
	.section	.text._ZN9rocsolver6v33100L18getri_kernel_smallILi5EdPKPdEEvT1_iilPiilS6_bb,"axG",@progbits,_ZN9rocsolver6v33100L18getri_kernel_smallILi5EdPKPdEEvT1_iilPiilS6_bb,comdat
	.globl	_ZN9rocsolver6v33100L18getri_kernel_smallILi5EdPKPdEEvT1_iilPiilS6_bb ; -- Begin function _ZN9rocsolver6v33100L18getri_kernel_smallILi5EdPKPdEEvT1_iilPiilS6_bb
	.p2align	8
	.type	_ZN9rocsolver6v33100L18getri_kernel_smallILi5EdPKPdEEvT1_iilPiilS6_bb,@function
_ZN9rocsolver6v33100L18getri_kernel_smallILi5EdPKPdEEvT1_iilPiilS6_bb: ; @_ZN9rocsolver6v33100L18getri_kernel_smallILi5EdPKPdEEvT1_iilPiilS6_bb
; %bb.0:
	v_cmp_gt_u32_e32 vcc, 5, v0
	s_and_saveexec_b64 s[0:1], vcc
	s_cbranch_execz .LBB68_16
; %bb.1:
	s_load_dword s12, s[4:5], 0x38
	s_load_dwordx2 s[0:1], s[4:5], 0x0
	s_load_dwordx4 s[8:11], s[4:5], 0x28
	s_waitcnt lgkmcnt(0)
	s_bitcmp1_b32 s12, 8
	s_cselect_b64 s[14:15], -1, 0
	s_ashr_i32 s7, s6, 31
	s_lshl_b64 s[2:3], s[6:7], 3
	s_add_u32 s0, s0, s2
	s_addc_u32 s1, s1, s3
	s_load_dwordx2 s[0:1], s[0:1], 0x0
	s_bfe_u32 s2, s12, 0x10008
	s_cmp_eq_u32 s2, 0
                                        ; implicit-def: $sgpr12_sgpr13
	s_cbranch_scc1 .LBB68_3
; %bb.2:
	s_load_dword s2, s[4:5], 0x20
	s_load_dwordx2 s[12:13], s[4:5], 0x18
	s_mul_i32 s3, s8, s7
	s_mul_hi_u32 s16, s8, s6
	s_add_i32 s16, s16, s3
	s_mul_i32 s9, s9, s6
	s_add_i32 s9, s16, s9
	s_mul_i32 s8, s8, s6
	s_waitcnt lgkmcnt(0)
	s_ashr_i32 s3, s2, 31
	s_lshl_b64 s[8:9], s[8:9], 2
	s_add_u32 s8, s12, s8
	s_addc_u32 s9, s13, s9
	s_lshl_b64 s[2:3], s[2:3], 2
	s_add_u32 s12, s8, s2
	s_addc_u32 s13, s9, s3
.LBB68_3:
	s_load_dwordx2 s[2:3], s[4:5], 0x8
	s_load_dword s8, s[4:5], 0x38
	v_lshlrev_b32_e32 v14, 3, v0
	s_waitcnt lgkmcnt(0)
	s_ashr_i32 s5, s2, 31
	s_mov_b32 s4, s2
	s_lshl_b64 s[4:5], s[4:5], 3
	s_add_u32 s2, s0, s4
	s_addc_u32 s4, s1, s5
	v_mov_b32_e32 v1, s4
	v_add_co_u32_e32 v28, vcc, s2, v14
	s_ashr_i32 s1, s3, 31
	s_mov_b32 s0, s3
	v_addc_co_u32_e32 v29, vcc, 0, v1, vcc
	s_lshl_b64 s[0:1], s[0:1], 3
	v_mov_b32_e32 v1, s1
	v_add_co_u32_e32 v30, vcc, s0, v28
	s_add_i32 s0, s3, s3
	v_addc_co_u32_e32 v31, vcc, v29, v1, vcc
	v_add_u32_e32 v1, s0, v0
	v_ashrrev_i32_e32 v2, 31, v1
	v_lshlrev_b64 v[2:3], 3, v[1:2]
	v_add_u32_e32 v1, s3, v1
	v_mov_b32_e32 v4, s4
	v_add_co_u32_e32 v32, vcc, s2, v2
	v_ashrrev_i32_e32 v2, 31, v1
	v_addc_co_u32_e32 v33, vcc, v4, v3, vcc
	v_lshlrev_b64 v[2:3], 3, v[1:2]
	v_add_u32_e32 v1, s3, v1
	v_add_co_u32_e32 v34, vcc, s2, v2
	v_ashrrev_i32_e32 v2, 31, v1
	v_lshlrev_b64 v[1:2], 3, v[1:2]
	v_addc_co_u32_e32 v35, vcc, v4, v3, vcc
	v_mov_b32_e32 v3, s4
	v_add_co_u32_e32 v36, vcc, s2, v1
	v_addc_co_u32_e32 v37, vcc, v3, v2, vcc
	flat_load_dwordx2 v[2:3], v[28:29]
	flat_load_dwordx2 v[4:5], v[30:31]
	;; [unrolled: 1-line block ×5, first 2 shown]
	v_mov_b32_e32 v1, 0
	s_bitcmp0_b32 s8, 0
	s_mov_b64 s[0:1], -1
	s_cbranch_scc1 .LBB68_14
; %bb.4:
	v_cmp_eq_u32_e64 s[0:1], 0, v0
	s_and_saveexec_b64 s[2:3], s[0:1]
; %bb.5:
	v_mov_b32_e32 v12, 0
	ds_write_b32 v12, v12 offset:40
; %bb.6:
	s_or_b64 exec, exec, s[2:3]
	v_cmp_eq_u32_e32 vcc, 1, v0
	s_waitcnt vmcnt(0) lgkmcnt(0)
	v_cndmask_b32_e32 v12, v3, v5, vcc
	v_cmp_eq_u32_e64 s[2:3], 2, v0
	v_cndmask_b32_e32 v13, v2, v4, vcc
	v_cndmask_b32_e64 v12, v12, v7, s[2:3]
	v_cmp_eq_u32_e64 s[4:5], 3, v0
	v_cndmask_b32_e64 v13, v13, v6, s[2:3]
	v_cndmask_b32_e64 v12, v12, v9, s[4:5]
	v_cndmask_b32_e64 v15, v13, v8, s[4:5]
	v_cmp_eq_u32_e32 vcc, 4, v0
	v_cndmask_b32_e32 v13, v12, v11, vcc
	v_cndmask_b32_e32 v12, v15, v10, vcc
	v_cmp_eq_f64_e32 vcc, 0, v[12:13]
	; wave barrier
	s_and_saveexec_b64 s[4:5], vcc
	s_cbranch_execz .LBB68_10
; %bb.7:
	v_mov_b32_e32 v15, 0
	ds_read_b32 v17, v15 offset:40
	v_add_u32_e32 v16, 1, v0
	s_waitcnt lgkmcnt(0)
	v_readfirstlane_b32 s2, v17
	s_cmp_eq_u32 s2, 0
	s_cselect_b64 s[8:9], -1, 0
	v_cmp_gt_i32_e32 vcc, s2, v16
	s_or_b64 s[8:9], s[8:9], vcc
	s_and_b64 exec, exec, s[8:9]
	s_cbranch_execz .LBB68_10
; %bb.8:
	s_mov_b64 s[8:9], 0
	v_mov_b32_e32 v17, s2
.LBB68_9:                               ; =>This Inner Loop Header: Depth=1
	ds_cmpst_rtn_b32 v17, v15, v17, v16 offset:40
	s_waitcnt lgkmcnt(0)
	v_cmp_ne_u32_e32 vcc, 0, v17
	v_cmp_le_i32_e64 s[2:3], v17, v16
	s_and_b64 s[2:3], vcc, s[2:3]
	s_and_b64 s[2:3], exec, s[2:3]
	s_or_b64 s[8:9], s[2:3], s[8:9]
	s_andn2_b64 exec, exec, s[8:9]
	s_cbranch_execnz .LBB68_9
.LBB68_10:
	s_or_b64 exec, exec, s[4:5]
	v_mov_b32_e32 v16, 0
	; wave barrier
	ds_read_b32 v15, v16 offset:40
	s_and_saveexec_b64 s[2:3], s[0:1]
	s_cbranch_execz .LBB68_12
; %bb.11:
	s_lshl_b64 s[4:5], s[6:7], 2
	s_add_u32 s4, s10, s4
	s_addc_u32 s5, s11, s5
	s_waitcnt lgkmcnt(0)
	global_store_dword v16, v15, s[4:5]
.LBB68_12:
	s_or_b64 exec, exec, s[2:3]
	s_waitcnt lgkmcnt(0)
	v_cmp_ne_u32_e32 vcc, 0, v15
	s_cbranch_vccz .LBB68_17
; %bb.13:
	s_mov_b64 s[0:1], 0
                                        ; implicit-def: $vgpr2_vgpr3_vgpr4_vgpr5_vgpr6_vgpr7_vgpr8_vgpr9_vgpr10_vgpr11_vgpr12_vgpr13_vgpr14_vgpr15_vgpr16_vgpr17
.LBB68_14:
	s_and_b64 vcc, exec, s[0:1]
	s_cbranch_vccz .LBB68_16
.LBB68_15:
	s_lshl_b64 s[0:1], s[6:7], 2
	s_add_u32 s0, s10, s0
	s_addc_u32 s1, s11, s1
	v_mov_b32_e32 v1, 0
	global_load_dword v1, v1, s[0:1]
	s_waitcnt vmcnt(0)
	v_cmp_ne_u32_e32 vcc, 0, v1
	s_cbranch_vccz .LBB68_30
.LBB68_16:
	s_endpgm
.LBB68_17:
	v_div_scale_f64 v[15:16], s[2:3], v[12:13], v[12:13], 1.0
	v_rcp_f64_e32 v[17:18], v[15:16]
	v_fma_f64 v[19:20], -v[15:16], v[17:18], 1.0
	v_fma_f64 v[17:18], v[17:18], v[19:20], v[17:18]
	v_div_scale_f64 v[19:20], vcc, 1.0, v[12:13], 1.0
	v_fma_f64 v[21:22], -v[15:16], v[17:18], 1.0
	v_fma_f64 v[17:18], v[17:18], v[21:22], v[17:18]
	v_mul_f64 v[21:22], v[19:20], v[17:18]
	v_fma_f64 v[15:16], -v[15:16], v[21:22], v[19:20]
	v_div_fmas_f64 v[15:16], v[15:16], v[17:18], v[21:22]
	v_cmp_eq_u32_e32 vcc, 4, v0
	v_div_fixup_f64 v[12:13], v[15:16], v[12:13], 1.0
	v_add_u32_e32 v16, 48, v14
	v_cndmask_b32_e32 v11, v11, v13, vcc
	v_cndmask_b32_e32 v10, v10, v12, vcc
	v_cmp_eq_u32_e32 vcc, 3, v0
	v_cndmask_b32_e32 v9, v9, v13, vcc
	v_cndmask_b32_e32 v8, v8, v12, vcc
	v_cmp_eq_u32_e32 vcc, 2, v0
	;; [unrolled: 3-line block ×4, first 2 shown]
	v_cndmask_b32_e32 v3, v3, v13, vcc
	v_cndmask_b32_e32 v2, v2, v12, vcc
	v_xor_b32_e32 v18, 0x80000000, v13
	v_mov_b32_e32 v17, v12
	ds_write2_b64 v14, v[17:18], v[4:5] offset1:6
	s_waitcnt lgkmcnt(0)
	; wave barrier
	s_and_saveexec_b64 s[2:3], s[0:1]
	s_cbranch_execz .LBB68_19
; %bb.18:
	ds_read_b64 v[4:5], v16
	v_mov_b32_e32 v14, 0
	ds_read_b64 v[14:15], v14 offset:8
	s_waitcnt lgkmcnt(1)
	v_fma_f64 v[4:5], v[12:13], v[4:5], 0
	s_waitcnt lgkmcnt(0)
	v_mul_f64 v[4:5], v[4:5], v[14:15]
.LBB68_19:
	s_or_b64 exec, exec, s[2:3]
	v_cmp_gt_u32_e32 vcc, 2, v0
	; wave barrier
	ds_write_b64 v16, v[6:7]
	s_waitcnt lgkmcnt(0)
	; wave barrier
	s_and_saveexec_b64 s[16:17], vcc
	s_cbranch_execz .LBB68_21
; %bb.20:
	v_cmp_eq_u32_e32 vcc, 1, v0
	v_cndmask_b32_e32 v12, v3, v5, vcc
	v_cmp_eq_u32_e64 s[2:3], 2, v0
	v_cndmask_b32_e64 v7, v12, v7, s[2:3]
	ds_read_b64 v[12:13], v16
	v_cndmask_b32_e32 v14, v2, v4, vcc
	v_cmp_eq_u32_e64 s[4:5], 3, v0
	v_cndmask_b32_e64 v6, v14, v6, s[2:3]
	v_cndmask_b32_e64 v7, v7, v9, s[4:5]
	v_cmp_eq_u32_e64 s[8:9], 4, v0
	v_cndmask_b32_e64 v6, v6, v8, s[4:5]
	v_cndmask_b32_e64 v7, v7, v11, s[8:9]
	v_cndmask_b32_e64 v6, v6, v10, s[8:9]
	s_waitcnt lgkmcnt(0)
	v_fma_f64 v[6:7], v[6:7], v[12:13], 0
	v_mov_b32_e32 v12, 0
	ds_read2_b64 v[12:15], v12 offset0:2 offset1:7
	s_waitcnt lgkmcnt(0)
	v_fma_f64 v[14:15], v[4:5], v[14:15], v[6:7]
	v_cndmask_b32_e64 v7, v7, v15, s[0:1]
	v_cndmask_b32_e64 v6, v6, v14, s[0:1]
	v_mul_f64 v[6:7], v[6:7], v[12:13]
.LBB68_21:
	s_or_b64 exec, exec, s[16:17]
	v_cmp_gt_u32_e32 vcc, 3, v0
	; wave barrier
	ds_write_b64 v16, v[8:9]
	s_waitcnt lgkmcnt(0)
	; wave barrier
	s_and_saveexec_b64 s[2:3], vcc
	s_cbranch_execz .LBB68_25
; %bb.22:
	v_mov_b32_e32 v12, 0
	v_mov_b32_e32 v15, v1
	v_lshl_add_u32 v17, v0, 3, 48
	v_mov_b32_e32 v13, 0
	s_mov_b64 s[4:5], 0
	v_mov_b32_e32 v14, v0
.LBB68_23:                              ; =>This Inner Loop Header: Depth=1
	v_cmp_eq_u32_e32 vcc, 1, v14
	v_cndmask_b32_e32 v20, v3, v5, vcc
	ds_read_b64 v[18:19], v17
	v_cmp_eq_u32_e64 s[0:1], 2, v14
	v_cndmask_b32_e64 v20, v20, v7, s[0:1]
	v_cndmask_b32_e32 v21, v2, v4, vcc
	v_cmp_eq_u32_e32 vcc, 3, v14
	v_cndmask_b32_e32 v20, v20, v9, vcc
	v_cndmask_b32_e64 v22, v21, v6, s[0:1]
	v_cmp_eq_u32_e64 s[0:1], 4, v14
	v_cndmask_b32_e64 v21, v20, v11, s[0:1]
	v_cndmask_b32_e32 v20, v22, v8, vcc
	v_cndmask_b32_e64 v20, v20, v10, s[0:1]
	s_waitcnt lgkmcnt(0)
	v_fma_f64 v[12:13], v[20:21], v[18:19], v[12:13]
	v_add_co_u32_e32 v14, vcc, 1, v14
	v_addc_co_u32_e32 v15, vcc, 0, v15, vcc
	v_add_u32_e32 v18, -1, v14
	v_cmp_lt_u32_e32 vcc, 1, v18
	s_or_b64 s[4:5], vcc, s[4:5]
	v_add_u32_e32 v17, 8, v17
	s_andn2_b64 exec, exec, s[4:5]
	s_cbranch_execnz .LBB68_23
; %bb.24:
	s_or_b64 exec, exec, s[4:5]
	v_mov_b32_e32 v8, 0
	ds_read_b64 v[8:9], v8 offset:24
	s_waitcnt lgkmcnt(0)
	v_mul_f64 v[8:9], v[12:13], v[8:9]
.LBB68_25:
	s_or_b64 exec, exec, s[2:3]
	v_cmp_ne_u32_e32 vcc, 4, v0
	; wave barrier
	ds_write_b64 v16, v[10:11]
	s_waitcnt lgkmcnt(0)
	; wave barrier
	s_and_saveexec_b64 s[2:3], vcc
	s_cbranch_execz .LBB68_29
; %bb.26:
	v_mov_b32_e32 v12, 0
	v_mov_b32_e32 v15, v1
	v_lshl_add_u32 v16, v0, 3, 48
	v_mov_b32_e32 v13, 0
	s_mov_b64 s[4:5], 0
	v_mov_b32_e32 v14, v0
.LBB68_27:                              ; =>This Inner Loop Header: Depth=1
	v_cmp_eq_u32_e32 vcc, 1, v14
	v_cndmask_b32_e32 v1, v3, v5, vcc
	ds_read_b64 v[17:18], v16
	v_cmp_eq_u32_e64 s[0:1], 2, v14
	v_cndmask_b32_e64 v1, v1, v7, s[0:1]
	v_cndmask_b32_e32 v19, v2, v4, vcc
	v_cmp_eq_u32_e32 vcc, 3, v14
	v_cndmask_b32_e32 v1, v1, v9, vcc
	v_cndmask_b32_e64 v19, v19, v6, s[0:1]
	v_cmp_eq_u32_e64 s[0:1], 4, v14
	v_cndmask_b32_e64 v20, v1, v11, s[0:1]
	v_cndmask_b32_e32 v1, v19, v8, vcc
	v_cndmask_b32_e64 v19, v1, v10, s[0:1]
	s_waitcnt lgkmcnt(0)
	v_fma_f64 v[12:13], v[19:20], v[17:18], v[12:13]
	v_add_co_u32_e32 v14, vcc, 1, v14
	v_addc_co_u32_e32 v15, vcc, 0, v15, vcc
	v_add_u32_e32 v1, -1, v14
	v_cmp_lt_u32_e32 vcc, 2, v1
	s_or_b64 s[4:5], vcc, s[4:5]
	v_add_u32_e32 v16, 8, v16
	s_andn2_b64 exec, exec, s[4:5]
	s_cbranch_execnz .LBB68_27
; %bb.28:
	s_or_b64 exec, exec, s[4:5]
	v_mov_b32_e32 v1, 0
	ds_read_b64 v[10:11], v1 offset:32
	s_waitcnt lgkmcnt(0)
	v_mul_f64 v[10:11], v[12:13], v[10:11]
.LBB68_29:
	s_or_b64 exec, exec, s[2:3]
	; wave barrier
	s_cbranch_execnz .LBB68_15
	s_branch .LBB68_16
.LBB68_30:
	v_lshl_add_u32 v1, v0, 3, 48
	v_cmp_eq_u32_e32 vcc, 4, v0
	s_and_saveexec_b64 s[0:1], vcc
	s_cbranch_execz .LBB68_32
; %bb.31:
	s_waitcnt lgkmcnt(0)
	ds_write_b64 v1, v[8:9]
	v_mov_b32_e32 v8, 0
	v_mov_b32_e32 v9, v8
.LBB68_32:
	s_or_b64 exec, exec, s[0:1]
	v_mov_b32_e32 v18, 0
	s_waitcnt lgkmcnt(0)
	; wave barrier
	ds_read_b64 v[12:13], v18 offset:80
	v_cmp_lt_u32_e32 vcc, 2, v0
	s_waitcnt lgkmcnt(0)
	v_fma_f64 v[12:13], v[10:11], v[12:13], 0
	v_add_f64 v[8:9], v[8:9], -v[12:13]
	s_and_saveexec_b64 s[0:1], vcc
	s_cbranch_execz .LBB68_34
; %bb.33:
	v_mov_b32_e32 v14, v2
	v_mov_b32_e32 v15, v3
	;; [unrolled: 1-line block ×9, first 2 shown]
	ds_write_b64 v1, v[6:7]
	v_mov_b32_e32 v2, v14
	v_mov_b32_e32 v3, v15
	v_mov_b32_e32 v4, v16
	v_mov_b32_e32 v5, v17
	v_mov_b32_e32 v6, v18
	v_mov_b32_e32 v7, v19
	v_mov_b32_e32 v8, v20
	v_mov_b32_e32 v9, v21
	v_mov_b32_e32 v10, v22
	v_mov_b32_e32 v11, v23
	v_mov_b32_e32 v12, v24
	v_mov_b32_e32 v13, v25
	v_mov_b32_e32 v14, v26
	v_mov_b32_e32 v15, v27
	v_mov_b32_e32 v16, v28
	v_mov_b32_e32 v17, v29
.LBB68_34:
	s_or_b64 exec, exec, s[0:1]
	s_waitcnt lgkmcnt(0)
	; wave barrier
	ds_read2_b64 v[12:15], v18 offset0:9 offset1:10
	v_cmp_lt_u32_e32 vcc, 1, v0
	s_waitcnt lgkmcnt(0)
	v_fma_f64 v[12:13], v[8:9], v[12:13], 0
	v_fma_f64 v[12:13], v[10:11], v[14:15], v[12:13]
	v_add_f64 v[6:7], v[6:7], -v[12:13]
	s_and_saveexec_b64 s[0:1], vcc
	s_cbranch_execz .LBB68_36
; %bb.35:
	v_mov_b32_e32 v14, 0
	v_mov_b32_e32 v12, v2
	;; [unrolled: 1-line block ×10, first 2 shown]
	ds_write_b64 v1, v[4:5]
	v_mov_b32_e32 v2, v12
	v_mov_b32_e32 v3, v13
	;; [unrolled: 1-line block ×16, first 2 shown]
.LBB68_36:
	s_or_b64 exec, exec, s[0:1]
	v_mov_b32_e32 v18, 0
	s_waitcnt lgkmcnt(0)
	; wave barrier
	ds_read_b128 v[12:15], v18 offset:64
	v_cmp_ne_u32_e32 vcc, 0, v0
	s_waitcnt lgkmcnt(0)
	v_fma_f64 v[12:13], v[6:7], v[12:13], 0
	v_fma_f64 v[12:13], v[8:9], v[14:15], v[12:13]
	ds_read_b64 v[14:15], v18 offset:80
	s_waitcnt lgkmcnt(0)
	v_fma_f64 v[12:13], v[10:11], v[14:15], v[12:13]
	v_add_f64 v[4:5], v[4:5], -v[12:13]
	s_and_saveexec_b64 s[0:1], vcc
	s_cbranch_execz .LBB68_38
; %bb.37:
	v_mov_b32_e32 v19, v18
	v_mov_b32_e32 v20, v4
	;; [unrolled: 1-line block ×9, first 2 shown]
	ds_write_b64 v1, v[2:3]
	v_mov_b32_e32 v2, v18
	v_mov_b32_e32 v3, v19
	;; [unrolled: 1-line block ×16, first 2 shown]
.LBB68_38:
	s_or_b64 exec, exec, s[0:1]
	s_waitcnt lgkmcnt(0)
	; wave barrier
	ds_read2_b64 v[12:15], v18 offset0:7 offset1:8
	ds_read2_b64 v[16:19], v18 offset0:9 offset1:10
	s_and_b64 vcc, exec, s[14:15]
	s_waitcnt lgkmcnt(1)
	v_fma_f64 v[0:1], v[4:5], v[12:13], 0
	v_fma_f64 v[0:1], v[6:7], v[14:15], v[0:1]
	s_waitcnt lgkmcnt(0)
	v_fma_f64 v[0:1], v[8:9], v[16:17], v[0:1]
	v_fma_f64 v[0:1], v[10:11], v[18:19], v[0:1]
	v_add_f64 v[2:3], v[2:3], -v[0:1]
	s_cbranch_vccz .LBB68_47
; %bb.39:
	v_mov_b32_e32 v0, 0
	global_load_dword v1, v0, s[12:13] offset:12
	s_waitcnt vmcnt(0)
	v_readfirstlane_b32 s6, v1
	s_add_i32 s6, s6, -1
	s_cmp_lg_u32 s6, 3
	s_cbranch_scc0 .LBB68_41
; %bb.40:
	s_cmp_eq_u32 s6, 1
	s_cselect_b64 vcc, -1, 0
	s_cmp_eq_u32 s6, 2
	v_cndmask_b32_e32 v1, v2, v4, vcc
	s_cselect_b64 s[0:1], -1, 0
	s_cmp_eq_u32 s6, 3
	v_cndmask_b32_e32 v12, v3, v5, vcc
	v_cndmask_b32_e64 v1, v1, v6, s[0:1]
	s_cselect_b64 s[2:3], -1, 0
	s_cmp_eq_u32 s6, 4
	v_cndmask_b32_e64 v12, v12, v7, s[0:1]
	v_cndmask_b32_e64 v1, v1, v8, s[2:3]
	s_cselect_b64 s[4:5], -1, 0
	v_cndmask_b32_e64 v12, v12, v9, s[2:3]
	s_cmp_eq_u32 s6, 0
	v_cndmask_b32_e64 v1, v1, v10, s[4:5]
	v_cndmask_b32_e64 v12, v12, v11, s[4:5]
	;; [unrolled: 1-line block ×4, first 2 shown]
	v_cndmask_b32_e32 v11, v5, v9, vcc
	v_cndmask_b32_e32 v10, v4, v8, vcc
	s_cselect_b64 vcc, -1, 0
	v_cndmask_b32_e64 v15, v12, v9, s[2:3]
	v_cndmask_b32_e64 v14, v1, v8, s[2:3]
	v_cndmask_b32_e64 v13, v7, v9, s[0:1]
	v_cndmask_b32_e64 v12, v6, v8, s[0:1]
	v_cndmask_b32_e32 v9, v3, v9, vcc
	v_cndmask_b32_e32 v8, v2, v8, vcc
	v_mov_b32_e32 v2, v8
	v_mov_b32_e32 v3, v9
	;; [unrolled: 1-line block ×16, first 2 shown]
.LBB68_41:
	global_load_dword v0, v0, s[12:13] offset:8
	s_waitcnt vmcnt(0)
	v_readfirstlane_b32 s6, v0
	s_add_i32 s6, s6, -1
	s_cmp_eq_u32 s6, 2
	s_cbranch_scc1 .LBB68_43
; %bb.42:
	s_cmp_eq_u32 s6, 1
	s_cselect_b64 vcc, -1, 0
	s_cmp_eq_u32 s6, 2
	v_cndmask_b32_e32 v0, v2, v4, vcc
	s_cselect_b64 s[0:1], -1, 0
	s_cmp_eq_u32 s6, 3
	v_cndmask_b32_e32 v1, v3, v5, vcc
	v_cndmask_b32_e64 v0, v0, v6, s[0:1]
	s_cselect_b64 s[2:3], -1, 0
	s_cmp_eq_u32 s6, 4
	v_cndmask_b32_e64 v1, v1, v7, s[0:1]
	v_cndmask_b32_e64 v0, v0, v8, s[2:3]
	s_cselect_b64 s[4:5], -1, 0
	v_cndmask_b32_e64 v1, v1, v9, s[2:3]
	s_cmp_eq_u32 s6, 0
	v_cndmask_b32_e64 v0, v0, v10, s[4:5]
	v_cndmask_b32_e64 v1, v1, v11, s[4:5]
	;; [unrolled: 1-line block ×4, first 2 shown]
	v_cndmask_b32_e32 v11, v5, v7, vcc
	v_cndmask_b32_e32 v10, v4, v6, vcc
	s_cselect_b64 vcc, -1, 0
	v_cndmask_b32_e64 v13, v1, v7, s[0:1]
	v_cndmask_b32_e64 v12, v0, v6, s[0:1]
	v_cndmask_b32_e64 v15, v9, v7, s[2:3]
	v_cndmask_b32_e64 v14, v8, v6, s[2:3]
	v_cndmask_b32_e32 v9, v3, v7, vcc
	v_cndmask_b32_e32 v8, v2, v6, vcc
	v_mov_b32_e32 v2, v8
	v_mov_b32_e32 v3, v9
	;; [unrolled: 1-line block ×16, first 2 shown]
.LBB68_43:
	v_mov_b32_e32 v0, 0
	global_load_dword v1, v0, s[12:13] offset:4
	s_waitcnt vmcnt(0)
	v_readfirstlane_b32 s6, v1
	s_add_i32 s6, s6, -1
	s_cmp_eq_u32 s6, 1
	s_cbranch_scc1 .LBB68_45
; %bb.44:
	s_cselect_b64 vcc, -1, 0
	s_cmp_eq_u32 s6, 2
	v_cndmask_b32_e32 v1, v2, v4, vcc
	s_cselect_b64 s[0:1], -1, 0
	s_cmp_eq_u32 s6, 3
	v_cndmask_b32_e32 v12, v3, v5, vcc
	v_cndmask_b32_e64 v1, v1, v6, s[0:1]
	s_cselect_b64 s[2:3], -1, 0
	s_cmp_eq_u32 s6, 4
	v_cndmask_b32_e64 v12, v12, v7, s[0:1]
	v_cndmask_b32_e64 v1, v1, v8, s[2:3]
	s_cselect_b64 s[4:5], -1, 0
	v_cndmask_b32_e64 v12, v12, v9, s[2:3]
	v_cndmask_b32_e64 v1, v1, v10, s[4:5]
	;; [unrolled: 1-line block ×3, first 2 shown]
	s_cmp_eq_u32 s6, 0
	v_cndmask_b32_e32 v13, v12, v5, vcc
	v_cndmask_b32_e32 v12, v1, v4, vcc
	s_cselect_b64 vcc, -1, 0
	v_cndmask_b32_e64 v19, v11, v5, s[4:5]
	v_cndmask_b32_e64 v18, v10, v4, s[4:5]
	;; [unrolled: 1-line block ×6, first 2 shown]
	v_cndmask_b32_e32 v11, v3, v5, vcc
	v_cndmask_b32_e32 v10, v2, v4, vcc
	v_mov_b32_e32 v2, v10
	v_mov_b32_e32 v3, v11
	v_mov_b32_e32 v4, v12
	v_mov_b32_e32 v5, v13
	v_mov_b32_e32 v6, v14
	v_mov_b32_e32 v7, v15
	v_mov_b32_e32 v8, v16
	v_mov_b32_e32 v9, v17
	v_mov_b32_e32 v10, v18
	v_mov_b32_e32 v11, v19
	v_mov_b32_e32 v12, v20
	v_mov_b32_e32 v13, v21
	v_mov_b32_e32 v14, v22
	v_mov_b32_e32 v15, v23
	v_mov_b32_e32 v16, v24
	v_mov_b32_e32 v17, v25
.LBB68_45:
	global_load_dword v0, v0, s[12:13]
	s_waitcnt vmcnt(0)
	v_readfirstlane_b32 s6, v0
	s_add_i32 s6, s6, -1
	s_cmp_eq_u32 s6, 0
	s_cbranch_scc1 .LBB68_47
; %bb.46:
	s_cmp_eq_u32 s6, 1
	s_cselect_b64 vcc, -1, 0
	s_cmp_eq_u32 s6, 2
	v_cndmask_b32_e32 v0, v2, v4, vcc
	s_cselect_b64 s[0:1], -1, 0
	s_cmp_eq_u32 s6, 3
	v_cndmask_b32_e32 v1, v3, v5, vcc
	v_cndmask_b32_e64 v0, v0, v6, s[0:1]
	s_cselect_b64 s[2:3], -1, 0
	s_cmp_eq_u32 s6, 4
	v_cndmask_b32_e64 v1, v1, v7, s[0:1]
	v_cndmask_b32_e64 v0, v0, v8, s[2:3]
	s_cselect_b64 s[4:5], -1, 0
	v_cndmask_b32_e64 v1, v1, v9, s[2:3]
	s_cmp_eq_u32 s6, 0
	v_cndmask_b32_e64 v0, v0, v10, s[4:5]
	v_cndmask_b32_e64 v1, v1, v11, s[4:5]
	s_cselect_b64 s[6:7], -1, 0
	v_cndmask_b32_e64 v13, v1, v3, s[6:7]
	v_cndmask_b32_e64 v12, v0, v2, s[6:7]
	;; [unrolled: 1-line block ×4, first 2 shown]
	v_cndmask_b32_e32 v15, v5, v3, vcc
	v_cndmask_b32_e32 v14, v4, v2, vcc
	v_cndmask_b32_e64 v21, v11, v3, s[4:5]
	v_cndmask_b32_e64 v20, v10, v2, s[4:5]
	;; [unrolled: 1-line block ×4, first 2 shown]
	v_mov_b32_e32 v2, v12
	v_mov_b32_e32 v3, v13
	;; [unrolled: 1-line block ×16, first 2 shown]
.LBB68_47:
	flat_store_dwordx2 v[28:29], v[2:3]
	flat_store_dwordx2 v[30:31], v[4:5]
	;; [unrolled: 1-line block ×5, first 2 shown]
	s_endpgm
	.section	.rodata,"a",@progbits
	.p2align	6, 0x0
	.amdhsa_kernel _ZN9rocsolver6v33100L18getri_kernel_smallILi5EdPKPdEEvT1_iilPiilS6_bb
		.amdhsa_group_segment_fixed_size 88
		.amdhsa_private_segment_fixed_size 0
		.amdhsa_kernarg_size 60
		.amdhsa_user_sgpr_count 6
		.amdhsa_user_sgpr_private_segment_buffer 1
		.amdhsa_user_sgpr_dispatch_ptr 0
		.amdhsa_user_sgpr_queue_ptr 0
		.amdhsa_user_sgpr_kernarg_segment_ptr 1
		.amdhsa_user_sgpr_dispatch_id 0
		.amdhsa_user_sgpr_flat_scratch_init 0
		.amdhsa_user_sgpr_private_segment_size 0
		.amdhsa_uses_dynamic_stack 0
		.amdhsa_system_sgpr_private_segment_wavefront_offset 0
		.amdhsa_system_sgpr_workgroup_id_x 1
		.amdhsa_system_sgpr_workgroup_id_y 0
		.amdhsa_system_sgpr_workgroup_id_z 0
		.amdhsa_system_sgpr_workgroup_info 0
		.amdhsa_system_vgpr_workitem_id 0
		.amdhsa_next_free_vgpr 38
		.amdhsa_next_free_sgpr 18
		.amdhsa_reserve_vcc 1
		.amdhsa_reserve_flat_scratch 0
		.amdhsa_float_round_mode_32 0
		.amdhsa_float_round_mode_16_64 0
		.amdhsa_float_denorm_mode_32 3
		.amdhsa_float_denorm_mode_16_64 3
		.amdhsa_dx10_clamp 1
		.amdhsa_ieee_mode 1
		.amdhsa_fp16_overflow 0
		.amdhsa_exception_fp_ieee_invalid_op 0
		.amdhsa_exception_fp_denorm_src 0
		.amdhsa_exception_fp_ieee_div_zero 0
		.amdhsa_exception_fp_ieee_overflow 0
		.amdhsa_exception_fp_ieee_underflow 0
		.amdhsa_exception_fp_ieee_inexact 0
		.amdhsa_exception_int_div_zero 0
	.end_amdhsa_kernel
	.section	.text._ZN9rocsolver6v33100L18getri_kernel_smallILi5EdPKPdEEvT1_iilPiilS6_bb,"axG",@progbits,_ZN9rocsolver6v33100L18getri_kernel_smallILi5EdPKPdEEvT1_iilPiilS6_bb,comdat
.Lfunc_end68:
	.size	_ZN9rocsolver6v33100L18getri_kernel_smallILi5EdPKPdEEvT1_iilPiilS6_bb, .Lfunc_end68-_ZN9rocsolver6v33100L18getri_kernel_smallILi5EdPKPdEEvT1_iilPiilS6_bb
                                        ; -- End function
	.set _ZN9rocsolver6v33100L18getri_kernel_smallILi5EdPKPdEEvT1_iilPiilS6_bb.num_vgpr, 38
	.set _ZN9rocsolver6v33100L18getri_kernel_smallILi5EdPKPdEEvT1_iilPiilS6_bb.num_agpr, 0
	.set _ZN9rocsolver6v33100L18getri_kernel_smallILi5EdPKPdEEvT1_iilPiilS6_bb.numbered_sgpr, 18
	.set _ZN9rocsolver6v33100L18getri_kernel_smallILi5EdPKPdEEvT1_iilPiilS6_bb.num_named_barrier, 0
	.set _ZN9rocsolver6v33100L18getri_kernel_smallILi5EdPKPdEEvT1_iilPiilS6_bb.private_seg_size, 0
	.set _ZN9rocsolver6v33100L18getri_kernel_smallILi5EdPKPdEEvT1_iilPiilS6_bb.uses_vcc, 1
	.set _ZN9rocsolver6v33100L18getri_kernel_smallILi5EdPKPdEEvT1_iilPiilS6_bb.uses_flat_scratch, 0
	.set _ZN9rocsolver6v33100L18getri_kernel_smallILi5EdPKPdEEvT1_iilPiilS6_bb.has_dyn_sized_stack, 0
	.set _ZN9rocsolver6v33100L18getri_kernel_smallILi5EdPKPdEEvT1_iilPiilS6_bb.has_recursion, 0
	.set _ZN9rocsolver6v33100L18getri_kernel_smallILi5EdPKPdEEvT1_iilPiilS6_bb.has_indirect_call, 0
	.section	.AMDGPU.csdata,"",@progbits
; Kernel info:
; codeLenInByte = 3244
; TotalNumSgprs: 22
; NumVgprs: 38
; ScratchSize: 0
; MemoryBound: 0
; FloatMode: 240
; IeeeMode: 1
; LDSByteSize: 88 bytes/workgroup (compile time only)
; SGPRBlocks: 2
; VGPRBlocks: 9
; NumSGPRsForWavesPerEU: 22
; NumVGPRsForWavesPerEU: 38
; Occupancy: 6
; WaveLimiterHint : 1
; COMPUTE_PGM_RSRC2:SCRATCH_EN: 0
; COMPUTE_PGM_RSRC2:USER_SGPR: 6
; COMPUTE_PGM_RSRC2:TRAP_HANDLER: 0
; COMPUTE_PGM_RSRC2:TGID_X_EN: 1
; COMPUTE_PGM_RSRC2:TGID_Y_EN: 0
; COMPUTE_PGM_RSRC2:TGID_Z_EN: 0
; COMPUTE_PGM_RSRC2:TIDIG_COMP_CNT: 0
	.section	.text._ZN9rocsolver6v33100L18getri_kernel_smallILi6EdPKPdEEvT1_iilPiilS6_bb,"axG",@progbits,_ZN9rocsolver6v33100L18getri_kernel_smallILi6EdPKPdEEvT1_iilPiilS6_bb,comdat
	.globl	_ZN9rocsolver6v33100L18getri_kernel_smallILi6EdPKPdEEvT1_iilPiilS6_bb ; -- Begin function _ZN9rocsolver6v33100L18getri_kernel_smallILi6EdPKPdEEvT1_iilPiilS6_bb
	.p2align	8
	.type	_ZN9rocsolver6v33100L18getri_kernel_smallILi6EdPKPdEEvT1_iilPiilS6_bb,@function
_ZN9rocsolver6v33100L18getri_kernel_smallILi6EdPKPdEEvT1_iilPiilS6_bb: ; @_ZN9rocsolver6v33100L18getri_kernel_smallILi6EdPKPdEEvT1_iilPiilS6_bb
; %bb.0:
	v_cmp_gt_u32_e32 vcc, 6, v0
	s_and_saveexec_b64 s[0:1], vcc
	s_cbranch_execz .LBB69_16
; %bb.1:
	s_load_dword s8, s[4:5], 0x38
	s_load_dwordx2 s[0:1], s[4:5], 0x0
	s_load_dwordx4 s[12:15], s[4:5], 0x28
                                        ; implicit-def: $sgpr16_sgpr17
	s_waitcnt lgkmcnt(0)
	s_bitcmp1_b32 s8, 8
	s_cselect_b64 s[18:19], -1, 0
	s_ashr_i32 s7, s6, 31
	s_lshl_b64 s[2:3], s[6:7], 3
	s_add_u32 s0, s0, s2
	s_addc_u32 s1, s1, s3
	s_load_dwordx2 s[0:1], s[0:1], 0x0
	s_bfe_u32 s2, s8, 0x10008
	s_cmp_eq_u32 s2, 0
	s_cbranch_scc1 .LBB69_3
; %bb.2:
	s_load_dword s2, s[4:5], 0x20
	s_load_dwordx2 s[8:9], s[4:5], 0x18
	s_mul_i32 s3, s12, s7
	s_mul_hi_u32 s10, s12, s6
	s_add_i32 s10, s10, s3
	s_mul_i32 s11, s13, s6
	s_add_i32 s11, s10, s11
	s_mul_i32 s10, s12, s6
	s_waitcnt lgkmcnt(0)
	s_ashr_i32 s3, s2, 31
	s_lshl_b64 s[10:11], s[10:11], 2
	s_add_u32 s8, s8, s10
	s_addc_u32 s9, s9, s11
	s_lshl_b64 s[2:3], s[2:3], 2
	s_add_u32 s16, s8, s2
	s_addc_u32 s17, s9, s3
.LBB69_3:
	s_load_dwordx2 s[2:3], s[4:5], 0x8
	s_load_dword s8, s[4:5], 0x38
	v_lshlrev_b32_e32 v16, 3, v0
	s_waitcnt lgkmcnt(0)
	s_ashr_i32 s5, s2, 31
	s_mov_b32 s4, s2
	s_lshl_b64 s[4:5], s[4:5], 3
	s_add_u32 s2, s0, s4
	s_addc_u32 s4, s1, s5
	v_mov_b32_e32 v1, s4
	v_add_co_u32_e32 v28, vcc, s2, v16
	s_ashr_i32 s1, s3, 31
	s_mov_b32 s0, s3
	v_addc_co_u32_e32 v29, vcc, 0, v1, vcc
	s_lshl_b64 s[0:1], s[0:1], 3
	v_mov_b32_e32 v1, s1
	v_add_co_u32_e32 v30, vcc, s0, v28
	s_add_i32 s0, s3, s3
	v_addc_co_u32_e32 v31, vcc, v29, v1, vcc
	v_add_u32_e32 v1, s0, v0
	v_ashrrev_i32_e32 v2, 31, v1
	v_lshlrev_b64 v[2:3], 3, v[1:2]
	v_add_u32_e32 v1, s3, v1
	v_mov_b32_e32 v4, s4
	v_add_co_u32_e32 v32, vcc, s2, v2
	v_ashrrev_i32_e32 v2, 31, v1
	v_addc_co_u32_e32 v33, vcc, v4, v3, vcc
	v_lshlrev_b64 v[2:3], 3, v[1:2]
	v_add_u32_e32 v1, s3, v1
	v_add_co_u32_e32 v34, vcc, s2, v2
	v_ashrrev_i32_e32 v2, 31, v1
	v_addc_co_u32_e32 v35, vcc, v4, v3, vcc
	v_lshlrev_b64 v[2:3], 3, v[1:2]
	v_add_u32_e32 v1, s3, v1
	v_add_co_u32_e32 v36, vcc, s2, v2
	v_ashrrev_i32_e32 v2, 31, v1
	v_lshlrev_b64 v[1:2], 3, v[1:2]
	v_addc_co_u32_e32 v37, vcc, v4, v3, vcc
	v_mov_b32_e32 v3, s4
	v_add_co_u32_e32 v38, vcc, s2, v1
	v_addc_co_u32_e32 v39, vcc, v3, v2, vcc
	flat_load_dwordx2 v[2:3], v[28:29]
	flat_load_dwordx2 v[4:5], v[30:31]
	;; [unrolled: 1-line block ×6, first 2 shown]
	v_mov_b32_e32 v1, 0
	s_bitcmp0_b32 s8, 0
	s_mov_b64 s[0:1], -1
	s_cbranch_scc1 .LBB69_14
; %bb.4:
	v_cmp_eq_u32_e64 s[0:1], 0, v0
	s_and_saveexec_b64 s[2:3], s[0:1]
; %bb.5:
	v_mov_b32_e32 v14, 0
	ds_write_b32 v14, v14 offset:96
; %bb.6:
	s_or_b64 exec, exec, s[2:3]
	v_cmp_eq_u32_e32 vcc, 1, v0
	s_waitcnt vmcnt(0) lgkmcnt(0)
	v_cndmask_b32_e32 v14, v3, v5, vcc
	v_cmp_eq_u32_e64 s[2:3], 2, v0
	v_cndmask_b32_e64 v14, v14, v7, s[2:3]
	v_cmp_eq_u32_e64 s[4:5], 3, v0
	v_cndmask_b32_e64 v14, v14, v9, s[4:5]
	;; [unrolled: 2-line block ×4, first 2 shown]
	v_cndmask_b32_e32 v14, v2, v4, vcc
	v_cndmask_b32_e64 v14, v14, v6, s[2:3]
	v_cndmask_b32_e64 v14, v14, v8, s[4:5]
	;; [unrolled: 1-line block ×4, first 2 shown]
	v_cmp_eq_f64_e32 vcc, 0, v[14:15]
	; wave barrier
	s_and_saveexec_b64 s[4:5], vcc
	s_cbranch_execz .LBB69_10
; %bb.7:
	v_mov_b32_e32 v17, 0
	ds_read_b32 v19, v17 offset:96
	v_add_u32_e32 v18, 1, v0
	s_waitcnt lgkmcnt(0)
	v_readfirstlane_b32 s2, v19
	s_cmp_eq_u32 s2, 0
	s_cselect_b64 s[8:9], -1, 0
	v_cmp_gt_i32_e32 vcc, s2, v18
	s_or_b64 s[8:9], s[8:9], vcc
	s_and_b64 exec, exec, s[8:9]
	s_cbranch_execz .LBB69_10
; %bb.8:
	s_mov_b64 s[8:9], 0
	v_mov_b32_e32 v19, s2
.LBB69_9:                               ; =>This Inner Loop Header: Depth=1
	ds_cmpst_rtn_b32 v19, v17, v19, v18 offset:96
	s_waitcnt lgkmcnt(0)
	v_cmp_ne_u32_e32 vcc, 0, v19
	v_cmp_le_i32_e64 s[2:3], v19, v18
	s_and_b64 s[2:3], vcc, s[2:3]
	s_and_b64 s[2:3], exec, s[2:3]
	s_or_b64 s[8:9], s[2:3], s[8:9]
	s_andn2_b64 exec, exec, s[8:9]
	s_cbranch_execnz .LBB69_9
.LBB69_10:
	s_or_b64 exec, exec, s[4:5]
	v_mov_b32_e32 v18, 0
	; wave barrier
	ds_read_b32 v17, v18 offset:96
	s_and_saveexec_b64 s[2:3], s[0:1]
	s_cbranch_execz .LBB69_12
; %bb.11:
	s_lshl_b64 s[4:5], s[6:7], 2
	s_add_u32 s4, s14, s4
	s_addc_u32 s5, s15, s5
	s_waitcnt lgkmcnt(0)
	global_store_dword v18, v17, s[4:5]
.LBB69_12:
	s_or_b64 exec, exec, s[2:3]
	s_waitcnt lgkmcnt(0)
	v_cmp_ne_u32_e32 vcc, 0, v17
	s_cbranch_vccz .LBB69_17
; %bb.13:
	s_mov_b64 s[0:1], 0
                                        ; implicit-def: $vgpr2_vgpr3_vgpr4_vgpr5_vgpr6_vgpr7_vgpr8_vgpr9_vgpr10_vgpr11_vgpr12_vgpr13_vgpr14_vgpr15_vgpr16_vgpr17
.LBB69_14:
	s_and_b64 vcc, exec, s[0:1]
	s_cbranch_vccz .LBB69_16
.LBB69_15:
	s_lshl_b64 s[0:1], s[6:7], 2
	s_add_u32 s0, s14, s0
	s_addc_u32 s1, s15, s1
	v_mov_b32_e32 v1, 0
	global_load_dword v1, v1, s[0:1]
	s_waitcnt vmcnt(0)
	v_cmp_ne_u32_e32 vcc, 0, v1
	s_cbranch_vccz .LBB69_34
.LBB69_16:
	s_endpgm
.LBB69_17:
	v_div_scale_f64 v[17:18], s[2:3], v[14:15], v[14:15], 1.0
	v_rcp_f64_e32 v[19:20], v[17:18]
	v_fma_f64 v[21:22], -v[17:18], v[19:20], 1.0
	v_fma_f64 v[19:20], v[19:20], v[21:22], v[19:20]
	v_div_scale_f64 v[21:22], vcc, 1.0, v[14:15], 1.0
	v_fma_f64 v[23:24], -v[17:18], v[19:20], 1.0
	v_fma_f64 v[19:20], v[19:20], v[23:24], v[19:20]
	v_mul_f64 v[23:24], v[21:22], v[19:20]
	v_fma_f64 v[17:18], -v[17:18], v[23:24], v[21:22]
	v_div_fmas_f64 v[17:18], v[17:18], v[19:20], v[23:24]
	v_cmp_eq_u32_e32 vcc, 5, v0
	v_div_fixup_f64 v[14:15], v[17:18], v[14:15], 1.0
	v_add_u32_e32 v18, 48, v16
	v_cndmask_b32_e32 v13, v13, v15, vcc
	v_cndmask_b32_e32 v12, v12, v14, vcc
	v_cmp_eq_u32_e32 vcc, 4, v0
	v_cndmask_b32_e32 v11, v11, v15, vcc
	v_cndmask_b32_e32 v10, v10, v14, vcc
	v_cmp_eq_u32_e32 vcc, 3, v0
	;; [unrolled: 3-line block ×5, first 2 shown]
	v_cndmask_b32_e32 v3, v3, v15, vcc
	v_cndmask_b32_e32 v2, v2, v14, vcc
	v_xor_b32_e32 v20, 0x80000000, v15
	v_mov_b32_e32 v19, v14
	ds_write2_b64 v16, v[19:20], v[4:5] offset1:6
	s_waitcnt lgkmcnt(0)
	; wave barrier
	s_and_saveexec_b64 s[2:3], s[0:1]
	s_cbranch_execz .LBB69_19
; %bb.18:
	ds_read_b64 v[4:5], v18
	v_mov_b32_e32 v16, 0
	ds_read_b64 v[16:17], v16 offset:8
	s_waitcnt lgkmcnt(1)
	v_fma_f64 v[4:5], v[14:15], v[4:5], 0
	s_waitcnt lgkmcnt(0)
	v_mul_f64 v[4:5], v[4:5], v[16:17]
.LBB69_19:
	s_or_b64 exec, exec, s[2:3]
	v_cmp_gt_u32_e32 vcc, 2, v0
	; wave barrier
	ds_write_b64 v18, v[6:7]
	s_waitcnt lgkmcnt(0)
	; wave barrier
	s_and_saveexec_b64 s[12:13], vcc
	s_cbranch_execz .LBB69_21
; %bb.20:
	v_cmp_eq_u32_e32 vcc, 1, v0
	v_cndmask_b32_e32 v14, v3, v5, vcc
	v_cmp_eq_u32_e64 s[2:3], 2, v0
	v_cndmask_b32_e64 v7, v14, v7, s[2:3]
	v_cndmask_b32_e32 v16, v2, v4, vcc
	ds_read_b64 v[14:15], v18
	v_cmp_eq_u32_e64 s[4:5], 3, v0
	v_cndmask_b32_e64 v6, v16, v6, s[2:3]
	v_cndmask_b32_e64 v7, v7, v9, s[4:5]
	v_cmp_eq_u32_e64 s[8:9], 4, v0
	v_cndmask_b32_e64 v6, v6, v8, s[4:5]
	v_cndmask_b32_e64 v7, v7, v11, s[8:9]
	;; [unrolled: 3-line block ×3, first 2 shown]
	v_cndmask_b32_e64 v6, v6, v12, s[10:11]
	s_waitcnt lgkmcnt(0)
	v_fma_f64 v[6:7], v[6:7], v[14:15], 0
	v_mov_b32_e32 v14, 0
	ds_read2_b64 v[14:17], v14 offset0:2 offset1:7
	s_waitcnt lgkmcnt(0)
	v_fma_f64 v[16:17], v[4:5], v[16:17], v[6:7]
	v_cndmask_b32_e64 v7, v7, v17, s[0:1]
	v_cndmask_b32_e64 v6, v6, v16, s[0:1]
	v_mul_f64 v[6:7], v[6:7], v[14:15]
.LBB69_21:
	s_or_b64 exec, exec, s[12:13]
	v_cmp_gt_u32_e32 vcc, 3, v0
	; wave barrier
	ds_write_b64 v18, v[8:9]
	s_waitcnt lgkmcnt(0)
	; wave barrier
	s_and_saveexec_b64 s[2:3], vcc
	s_cbranch_execz .LBB69_25
; %bb.22:
	v_mov_b32_e32 v14, 0
	v_mov_b32_e32 v17, v1
	v_lshl_add_u32 v19, v0, 3, 48
	v_mov_b32_e32 v15, 0
	s_mov_b64 s[4:5], 0
	v_mov_b32_e32 v16, v0
.LBB69_23:                              ; =>This Inner Loop Header: Depth=1
	v_cmp_eq_u32_e32 vcc, 1, v16
	v_cndmask_b32_e32 v22, v3, v5, vcc
	v_cmp_eq_u32_e64 s[0:1], 2, v16
	ds_read_b64 v[20:21], v19
	v_cndmask_b32_e64 v22, v22, v7, s[0:1]
	v_cndmask_b32_e32 v23, v2, v4, vcc
	v_cmp_eq_u32_e32 vcc, 3, v16
	v_cndmask_b32_e32 v22, v22, v9, vcc
	v_cndmask_b32_e64 v23, v23, v6, s[0:1]
	v_cmp_eq_u32_e64 s[0:1], 4, v16
	v_cndmask_b32_e64 v22, v22, v11, s[0:1]
	v_cndmask_b32_e32 v24, v23, v8, vcc
	v_cmp_eq_u32_e32 vcc, 5, v16
	v_cndmask_b32_e32 v23, v22, v13, vcc
	v_cndmask_b32_e64 v22, v24, v10, s[0:1]
	v_cndmask_b32_e32 v22, v22, v12, vcc
	s_waitcnt lgkmcnt(0)
	v_fma_f64 v[14:15], v[22:23], v[20:21], v[14:15]
	v_add_co_u32_e32 v16, vcc, 1, v16
	v_addc_co_u32_e32 v17, vcc, 0, v17, vcc
	v_add_u32_e32 v20, -1, v16
	v_cmp_lt_u32_e32 vcc, 1, v20
	s_or_b64 s[4:5], vcc, s[4:5]
	v_add_u32_e32 v19, 8, v19
	s_andn2_b64 exec, exec, s[4:5]
	s_cbranch_execnz .LBB69_23
; %bb.24:
	s_or_b64 exec, exec, s[4:5]
	v_mov_b32_e32 v8, 0
	ds_read_b64 v[8:9], v8 offset:24
	s_waitcnt lgkmcnt(0)
	v_mul_f64 v[8:9], v[14:15], v[8:9]
.LBB69_25:
	s_or_b64 exec, exec, s[2:3]
	v_cmp_gt_u32_e32 vcc, 4, v0
	; wave barrier
	ds_write_b64 v18, v[10:11]
	s_waitcnt lgkmcnt(0)
	; wave barrier
	s_and_saveexec_b64 s[2:3], vcc
	s_cbranch_execz .LBB69_29
; %bb.26:
	v_mov_b32_e32 v14, 0
	v_mov_b32_e32 v17, v1
	v_lshl_add_u32 v19, v0, 3, 48
	v_mov_b32_e32 v15, 0
	s_mov_b64 s[4:5], 0
	v_mov_b32_e32 v16, v0
.LBB69_27:                              ; =>This Inner Loop Header: Depth=1
	v_cmp_eq_u32_e32 vcc, 1, v16
	v_cndmask_b32_e32 v22, v3, v5, vcc
	v_cmp_eq_u32_e64 s[0:1], 2, v16
	ds_read_b64 v[20:21], v19
	v_cndmask_b32_e64 v22, v22, v7, s[0:1]
	v_cndmask_b32_e32 v23, v2, v4, vcc
	v_cmp_eq_u32_e32 vcc, 3, v16
	v_cndmask_b32_e32 v22, v22, v9, vcc
	v_cndmask_b32_e64 v23, v23, v6, s[0:1]
	v_cmp_eq_u32_e64 s[0:1], 4, v16
	v_cndmask_b32_e64 v22, v22, v11, s[0:1]
	v_cndmask_b32_e32 v24, v23, v8, vcc
	v_cmp_eq_u32_e32 vcc, 5, v16
	v_cndmask_b32_e32 v23, v22, v13, vcc
	v_cndmask_b32_e64 v22, v24, v10, s[0:1]
	v_cndmask_b32_e32 v22, v22, v12, vcc
	s_waitcnt lgkmcnt(0)
	v_fma_f64 v[14:15], v[22:23], v[20:21], v[14:15]
	v_add_co_u32_e32 v16, vcc, 1, v16
	v_addc_co_u32_e32 v17, vcc, 0, v17, vcc
	v_add_u32_e32 v20, -1, v16
	v_cmp_lt_u32_e32 vcc, 2, v20
	s_or_b64 s[4:5], vcc, s[4:5]
	v_add_u32_e32 v19, 8, v19
	s_andn2_b64 exec, exec, s[4:5]
	s_cbranch_execnz .LBB69_27
; %bb.28:
	s_or_b64 exec, exec, s[4:5]
	v_mov_b32_e32 v10, 0
	ds_read_b64 v[10:11], v10 offset:32
	s_waitcnt lgkmcnt(0)
	v_mul_f64 v[10:11], v[14:15], v[10:11]
.LBB69_29:
	s_or_b64 exec, exec, s[2:3]
	v_cmp_ne_u32_e32 vcc, 5, v0
	; wave barrier
	ds_write_b64 v18, v[12:13]
	s_waitcnt lgkmcnt(0)
	; wave barrier
	s_and_saveexec_b64 s[2:3], vcc
	s_cbranch_execz .LBB69_33
; %bb.30:
	v_mov_b32_e32 v14, 0
	v_mov_b32_e32 v17, v1
	v_lshl_add_u32 v18, v0, 3, 48
	v_mov_b32_e32 v15, 0
	s_mov_b64 s[4:5], 0
	v_mov_b32_e32 v16, v0
.LBB69_31:                              ; =>This Inner Loop Header: Depth=1
	v_cmp_eq_u32_e32 vcc, 1, v16
	v_cndmask_b32_e32 v1, v3, v5, vcc
	v_cmp_eq_u32_e64 s[0:1], 2, v16
	ds_read_b64 v[19:20], v18
	v_cndmask_b32_e64 v1, v1, v7, s[0:1]
	v_cndmask_b32_e32 v21, v2, v4, vcc
	v_cmp_eq_u32_e32 vcc, 3, v16
	v_cndmask_b32_e32 v1, v1, v9, vcc
	v_cndmask_b32_e64 v21, v21, v6, s[0:1]
	v_cmp_eq_u32_e64 s[0:1], 4, v16
	v_cndmask_b32_e64 v1, v1, v11, s[0:1]
	v_cndmask_b32_e32 v21, v21, v8, vcc
	v_cmp_eq_u32_e32 vcc, 5, v16
	v_cndmask_b32_e32 v22, v1, v13, vcc
	v_cndmask_b32_e64 v1, v21, v10, s[0:1]
	v_cndmask_b32_e32 v21, v1, v12, vcc
	s_waitcnt lgkmcnt(0)
	v_fma_f64 v[14:15], v[21:22], v[19:20], v[14:15]
	v_add_co_u32_e32 v16, vcc, 1, v16
	v_addc_co_u32_e32 v17, vcc, 0, v17, vcc
	v_add_u32_e32 v1, -1, v16
	v_cmp_lt_u32_e32 vcc, 3, v1
	s_or_b64 s[4:5], vcc, s[4:5]
	v_add_u32_e32 v18, 8, v18
	s_andn2_b64 exec, exec, s[4:5]
	s_cbranch_execnz .LBB69_31
; %bb.32:
	s_or_b64 exec, exec, s[4:5]
	v_mov_b32_e32 v1, 0
	ds_read_b64 v[12:13], v1 offset:40
	s_waitcnt lgkmcnt(0)
	v_mul_f64 v[12:13], v[14:15], v[12:13]
.LBB69_33:
	s_or_b64 exec, exec, s[2:3]
	; wave barrier
	s_cbranch_execnz .LBB69_15
	s_branch .LBB69_16
.LBB69_34:
	v_lshl_add_u32 v1, v0, 3, 48
	v_cmp_eq_u32_e32 vcc, 5, v0
	s_and_saveexec_b64 s[0:1], vcc
	s_cbranch_execz .LBB69_36
; %bb.35:
	s_waitcnt lgkmcnt(0)
	ds_write_b64 v1, v[10:11]
	v_mov_b32_e32 v10, 0
	v_mov_b32_e32 v11, v10
.LBB69_36:
	s_or_b64 exec, exec, s[0:1]
	v_mov_b32_e32 v20, 0
	s_waitcnt lgkmcnt(0)
	; wave barrier
	ds_read_b64 v[14:15], v20 offset:88
	v_cmp_lt_u32_e32 vcc, 3, v0
	s_waitcnt lgkmcnt(0)
	v_fma_f64 v[14:15], v[12:13], v[14:15], 0
	v_add_f64 v[10:11], v[10:11], -v[14:15]
	s_and_saveexec_b64 s[0:1], vcc
	s_cbranch_execz .LBB69_38
; %bb.37:
	v_mov_b32_e32 v14, v2
	v_mov_b32_e32 v15, v3
	;; [unrolled: 1-line block ×11, first 2 shown]
	ds_write_b64 v1, v[8:9]
	v_mov_b32_e32 v2, v14
	v_mov_b32_e32 v3, v15
	;; [unrolled: 1-line block ×16, first 2 shown]
.LBB69_38:
	s_or_b64 exec, exec, s[0:1]
	s_waitcnt lgkmcnt(0)
	; wave barrier
	ds_read_b128 v[14:17], v20 offset:80
	v_cmp_lt_u32_e32 vcc, 2, v0
	s_waitcnt lgkmcnt(0)
	v_fma_f64 v[14:15], v[10:11], v[14:15], 0
	v_fma_f64 v[14:15], v[12:13], v[16:17], v[14:15]
	v_add_f64 v[8:9], v[8:9], -v[14:15]
	s_and_saveexec_b64 s[0:1], vcc
	s_cbranch_execz .LBB69_40
; %bb.39:
	v_mov_b32_e32 v18, 0
	v_mov_b32_e32 v14, v2
	;; [unrolled: 1-line block ×12, first 2 shown]
	ds_write_b64 v1, v[6:7]
	v_mov_b32_e32 v2, v14
	v_mov_b32_e32 v3, v15
	;; [unrolled: 1-line block ×16, first 2 shown]
.LBB69_40:
	s_or_b64 exec, exec, s[0:1]
	v_mov_b32_e32 v18, 0
	s_waitcnt lgkmcnt(0)
	; wave barrier
	ds_read2_b64 v[14:17], v18 offset0:9 offset1:10
	ds_read_b64 v[19:20], v18 offset:88
	v_cmp_lt_u32_e32 vcc, 1, v0
	s_waitcnt lgkmcnt(1)
	v_fma_f64 v[14:15], v[8:9], v[14:15], 0
	v_fma_f64 v[14:15], v[10:11], v[16:17], v[14:15]
	s_waitcnt lgkmcnt(0)
	v_fma_f64 v[14:15], v[12:13], v[19:20], v[14:15]
	v_add_f64 v[6:7], v[6:7], -v[14:15]
	s_and_saveexec_b64 s[0:1], vcc
	s_cbranch_execz .LBB69_42
; %bb.41:
	v_mov_b32_e32 v16, v2
	v_mov_b32_e32 v17, v3
	;; [unrolled: 1-line block ×11, first 2 shown]
	ds_write_b64 v1, v[4:5]
	v_mov_b32_e32 v2, v16
	v_mov_b32_e32 v3, v17
	;; [unrolled: 1-line block ×16, first 2 shown]
.LBB69_42:
	s_or_b64 exec, exec, s[0:1]
	s_waitcnt lgkmcnt(0)
	; wave barrier
	ds_read_b128 v[14:17], v18 offset:64
	ds_read_b128 v[18:21], v18 offset:80
	v_cmp_ne_u32_e32 vcc, 0, v0
	s_waitcnt lgkmcnt(1)
	v_fma_f64 v[14:15], v[6:7], v[14:15], 0
	v_fma_f64 v[14:15], v[8:9], v[16:17], v[14:15]
	s_waitcnt lgkmcnt(0)
	v_fma_f64 v[14:15], v[10:11], v[18:19], v[14:15]
	v_fma_f64 v[14:15], v[12:13], v[20:21], v[14:15]
	v_add_f64 v[4:5], v[4:5], -v[14:15]
	s_and_saveexec_b64 s[0:1], vcc
	s_cbranch_execz .LBB69_44
; %bb.43:
	v_mov_b32_e32 v14, 0
	v_mov_b32_e32 v15, v14
	;; [unrolled: 1-line block ×12, first 2 shown]
	ds_write_b64 v1, v[2:3]
	v_mov_b32_e32 v2, v14
	v_mov_b32_e32 v3, v15
	;; [unrolled: 1-line block ×16, first 2 shown]
.LBB69_44:
	s_or_b64 exec, exec, s[0:1]
	v_mov_b32_e32 v0, 0
	s_waitcnt lgkmcnt(0)
	; wave barrier
	ds_read2_b64 v[14:17], v0 offset0:7 offset1:8
	ds_read2_b64 v[18:21], v0 offset0:9 offset1:10
	s_and_b64 vcc, exec, s[18:19]
	s_waitcnt lgkmcnt(1)
	v_fma_f64 v[14:15], v[4:5], v[14:15], 0
	v_fma_f64 v[14:15], v[6:7], v[16:17], v[14:15]
	ds_read_b64 v[16:17], v0 offset:88
	s_waitcnt lgkmcnt(1)
	v_fma_f64 v[14:15], v[8:9], v[18:19], v[14:15]
	v_fma_f64 v[14:15], v[10:11], v[20:21], v[14:15]
	s_waitcnt lgkmcnt(0)
	v_fma_f64 v[14:15], v[12:13], v[16:17], v[14:15]
	v_add_f64 v[2:3], v[2:3], -v[14:15]
	s_cbranch_vccz .LBB69_55
; %bb.45:
	global_load_dword v0, v0, s[16:17] offset:16
	s_waitcnt vmcnt(0)
	v_readfirstlane_b32 s0, v0
	s_add_i32 s0, s0, -1
	s_cmp_lg_u32 s0, 4
	s_cbranch_scc0 .LBB69_47
; %bb.46:
	s_lshl_b32 s0, s0, 1
	s_set_gpr_idx_on s0, gpr_idx(SRC0)
	v_mov_b32_e32 v0, v3
	v_mov_b32_e32 v1, v2
	s_set_gpr_idx_off
	v_mov_b32_e32 v27, v17
	v_mov_b32_e32 v21, v11
	;; [unrolled: 1-line block ×18, first 2 shown]
	s_set_gpr_idx_on s0, gpr_idx(DST)
	v_mov_b32_e32 v12, v10
	v_mov_b32_e32 v13, v11
	s_set_gpr_idx_off
	v_mov_b32_e32 v2, v12
	v_mov_b32_e32 v3, v13
	;; [unrolled: 1-line block ×16, first 2 shown]
.LBB69_47:
	v_mov_b32_e32 v0, 0
	global_load_dword v1, v0, s[16:17] offset:12
	s_waitcnt vmcnt(0)
	v_readfirstlane_b32 s0, v1
	s_add_i32 s0, s0, -1
	s_cmp_eq_u32 s0, 3
	s_cbranch_scc1 .LBB69_49
; %bb.48:
	s_lshl_b32 s0, s0, 1
	s_set_gpr_idx_on s0, gpr_idx(SRC0)
	v_mov_b32_e32 v1, v3
	v_mov_b32_e32 v26, v2
	s_set_gpr_idx_off
	v_mov_b32_e32 v25, v17
	v_mov_b32_e32 v24, v16
	;; [unrolled: 1-line block ×18, first 2 shown]
	s_set_gpr_idx_on s0, gpr_idx(DST)
	v_mov_b32_e32 v10, v8
	v_mov_b32_e32 v11, v9
	s_set_gpr_idx_off
	v_mov_b32_e32 v2, v10
	v_mov_b32_e32 v3, v11
	;; [unrolled: 1-line block ×16, first 2 shown]
.LBB69_49:
	global_load_dword v0, v0, s[16:17] offset:8
	s_waitcnt vmcnt(0)
	v_readfirstlane_b32 s0, v0
	s_add_i32 s0, s0, -1
	s_cmp_eq_u32 s0, 2
	s_cbranch_scc1 .LBB69_51
; %bb.50:
	s_lshl_b32 s0, s0, 1
	s_set_gpr_idx_on s0, gpr_idx(SRC0)
	v_mov_b32_e32 v0, v3
	v_mov_b32_e32 v1, v2
	s_set_gpr_idx_off
	v_mov_b32_e32 v23, v17
	v_mov_b32_e32 v22, v16
	;; [unrolled: 1-line block ×18, first 2 shown]
	s_set_gpr_idx_on s0, gpr_idx(DST)
	v_mov_b32_e32 v8, v6
	v_mov_b32_e32 v9, v7
	s_set_gpr_idx_off
	v_mov_b32_e32 v2, v8
	v_mov_b32_e32 v3, v9
	;; [unrolled: 1-line block ×16, first 2 shown]
.LBB69_51:
	v_mov_b32_e32 v0, 0
	global_load_dword v1, v0, s[16:17] offset:4
	s_waitcnt vmcnt(0)
	v_readfirstlane_b32 s0, v1
	s_add_i32 s0, s0, -1
	s_cmp_eq_u32 s0, 1
	s_cbranch_scc1 .LBB69_53
; %bb.52:
	s_lshl_b32 s0, s0, 1
	s_set_gpr_idx_on s0, gpr_idx(SRC0)
	v_mov_b32_e32 v1, v3
	v_mov_b32_e32 v22, v2
	s_set_gpr_idx_off
	v_mov_b32_e32 v21, v17
	v_mov_b32_e32 v20, v16
	;; [unrolled: 1-line block ×18, first 2 shown]
	s_set_gpr_idx_on s0, gpr_idx(DST)
	v_mov_b32_e32 v6, v4
	v_mov_b32_e32 v7, v5
	s_set_gpr_idx_off
	v_mov_b32_e32 v2, v6
	v_mov_b32_e32 v3, v7
	;; [unrolled: 1-line block ×16, first 2 shown]
.LBB69_53:
	global_load_dword v0, v0, s[16:17]
	s_waitcnt vmcnt(0)
	v_readfirstlane_b32 s0, v0
	s_add_i32 s0, s0, -1
	s_cmp_eq_u32 s0, 0
	s_cbranch_scc1 .LBB69_55
; %bb.54:
	s_lshl_b32 s0, s0, 1
	s_set_gpr_idx_on s0, gpr_idx(SRC0)
	v_mov_b32_e32 v0, v3
	v_mov_b32_e32 v1, v2
	s_set_gpr_idx_off
	v_mov_b32_e32 v19, v17
	v_mov_b32_e32 v18, v16
	v_mov_b32_e32 v17, v15
	v_mov_b32_e32 v16, v14
	v_mov_b32_e32 v15, v13
	v_mov_b32_e32 v14, v12
	v_mov_b32_e32 v13, v11
	v_mov_b32_e32 v12, v10
	v_mov_b32_e32 v11, v9
	v_mov_b32_e32 v10, v8
	v_mov_b32_e32 v9, v7
	v_mov_b32_e32 v8, v6
	v_mov_b32_e32 v7, v5
	v_mov_b32_e32 v6, v4
	v_mov_b32_e32 v5, v3
	v_mov_b32_e32 v4, v2
	v_mov_b32_e32 v4, v1
	v_mov_b32_e32 v5, v0
	s_set_gpr_idx_on s0, gpr_idx(DST)
	v_mov_b32_e32 v4, v2
	v_mov_b32_e32 v5, v3
	s_set_gpr_idx_off
	v_mov_b32_e32 v2, v4
	v_mov_b32_e32 v3, v5
	;; [unrolled: 1-line block ×16, first 2 shown]
.LBB69_55:
	flat_store_dwordx2 v[28:29], v[2:3]
	flat_store_dwordx2 v[30:31], v[4:5]
	;; [unrolled: 1-line block ×6, first 2 shown]
	s_endpgm
	.section	.rodata,"a",@progbits
	.p2align	6, 0x0
	.amdhsa_kernel _ZN9rocsolver6v33100L18getri_kernel_smallILi6EdPKPdEEvT1_iilPiilS6_bb
		.amdhsa_group_segment_fixed_size 104
		.amdhsa_private_segment_fixed_size 0
		.amdhsa_kernarg_size 60
		.amdhsa_user_sgpr_count 6
		.amdhsa_user_sgpr_private_segment_buffer 1
		.amdhsa_user_sgpr_dispatch_ptr 0
		.amdhsa_user_sgpr_queue_ptr 0
		.amdhsa_user_sgpr_kernarg_segment_ptr 1
		.amdhsa_user_sgpr_dispatch_id 0
		.amdhsa_user_sgpr_flat_scratch_init 0
		.amdhsa_user_sgpr_private_segment_size 0
		.amdhsa_uses_dynamic_stack 0
		.amdhsa_system_sgpr_private_segment_wavefront_offset 0
		.amdhsa_system_sgpr_workgroup_id_x 1
		.amdhsa_system_sgpr_workgroup_id_y 0
		.amdhsa_system_sgpr_workgroup_id_z 0
		.amdhsa_system_sgpr_workgroup_info 0
		.amdhsa_system_vgpr_workitem_id 0
		.amdhsa_next_free_vgpr 40
		.amdhsa_next_free_sgpr 20
		.amdhsa_reserve_vcc 1
		.amdhsa_reserve_flat_scratch 0
		.amdhsa_float_round_mode_32 0
		.amdhsa_float_round_mode_16_64 0
		.amdhsa_float_denorm_mode_32 3
		.amdhsa_float_denorm_mode_16_64 3
		.amdhsa_dx10_clamp 1
		.amdhsa_ieee_mode 1
		.amdhsa_fp16_overflow 0
		.amdhsa_exception_fp_ieee_invalid_op 0
		.amdhsa_exception_fp_denorm_src 0
		.amdhsa_exception_fp_ieee_div_zero 0
		.amdhsa_exception_fp_ieee_overflow 0
		.amdhsa_exception_fp_ieee_underflow 0
		.amdhsa_exception_fp_ieee_inexact 0
		.amdhsa_exception_int_div_zero 0
	.end_amdhsa_kernel
	.section	.text._ZN9rocsolver6v33100L18getri_kernel_smallILi6EdPKPdEEvT1_iilPiilS6_bb,"axG",@progbits,_ZN9rocsolver6v33100L18getri_kernel_smallILi6EdPKPdEEvT1_iilPiilS6_bb,comdat
.Lfunc_end69:
	.size	_ZN9rocsolver6v33100L18getri_kernel_smallILi6EdPKPdEEvT1_iilPiilS6_bb, .Lfunc_end69-_ZN9rocsolver6v33100L18getri_kernel_smallILi6EdPKPdEEvT1_iilPiilS6_bb
                                        ; -- End function
	.set _ZN9rocsolver6v33100L18getri_kernel_smallILi6EdPKPdEEvT1_iilPiilS6_bb.num_vgpr, 40
	.set _ZN9rocsolver6v33100L18getri_kernel_smallILi6EdPKPdEEvT1_iilPiilS6_bb.num_agpr, 0
	.set _ZN9rocsolver6v33100L18getri_kernel_smallILi6EdPKPdEEvT1_iilPiilS6_bb.numbered_sgpr, 20
	.set _ZN9rocsolver6v33100L18getri_kernel_smallILi6EdPKPdEEvT1_iilPiilS6_bb.num_named_barrier, 0
	.set _ZN9rocsolver6v33100L18getri_kernel_smallILi6EdPKPdEEvT1_iilPiilS6_bb.private_seg_size, 0
	.set _ZN9rocsolver6v33100L18getri_kernel_smallILi6EdPKPdEEvT1_iilPiilS6_bb.uses_vcc, 1
	.set _ZN9rocsolver6v33100L18getri_kernel_smallILi6EdPKPdEEvT1_iilPiilS6_bb.uses_flat_scratch, 0
	.set _ZN9rocsolver6v33100L18getri_kernel_smallILi6EdPKPdEEvT1_iilPiilS6_bb.has_dyn_sized_stack, 0
	.set _ZN9rocsolver6v33100L18getri_kernel_smallILi6EdPKPdEEvT1_iilPiilS6_bb.has_recursion, 0
	.set _ZN9rocsolver6v33100L18getri_kernel_smallILi6EdPKPdEEvT1_iilPiilS6_bb.has_indirect_call, 0
	.section	.AMDGPU.csdata,"",@progbits
; Kernel info:
; codeLenInByte = 3840
; TotalNumSgprs: 24
; NumVgprs: 40
; ScratchSize: 0
; MemoryBound: 0
; FloatMode: 240
; IeeeMode: 1
; LDSByteSize: 104 bytes/workgroup (compile time only)
; SGPRBlocks: 2
; VGPRBlocks: 9
; NumSGPRsForWavesPerEU: 24
; NumVGPRsForWavesPerEU: 40
; Occupancy: 6
; WaveLimiterHint : 1
; COMPUTE_PGM_RSRC2:SCRATCH_EN: 0
; COMPUTE_PGM_RSRC2:USER_SGPR: 6
; COMPUTE_PGM_RSRC2:TRAP_HANDLER: 0
; COMPUTE_PGM_RSRC2:TGID_X_EN: 1
; COMPUTE_PGM_RSRC2:TGID_Y_EN: 0
; COMPUTE_PGM_RSRC2:TGID_Z_EN: 0
; COMPUTE_PGM_RSRC2:TIDIG_COMP_CNT: 0
	.section	.text._ZN9rocsolver6v33100L18getri_kernel_smallILi7EdPKPdEEvT1_iilPiilS6_bb,"axG",@progbits,_ZN9rocsolver6v33100L18getri_kernel_smallILi7EdPKPdEEvT1_iilPiilS6_bb,comdat
	.globl	_ZN9rocsolver6v33100L18getri_kernel_smallILi7EdPKPdEEvT1_iilPiilS6_bb ; -- Begin function _ZN9rocsolver6v33100L18getri_kernel_smallILi7EdPKPdEEvT1_iilPiilS6_bb
	.p2align	8
	.type	_ZN9rocsolver6v33100L18getri_kernel_smallILi7EdPKPdEEvT1_iilPiilS6_bb,@function
_ZN9rocsolver6v33100L18getri_kernel_smallILi7EdPKPdEEvT1_iilPiilS6_bb: ; @_ZN9rocsolver6v33100L18getri_kernel_smallILi7EdPKPdEEvT1_iilPiilS6_bb
; %bb.0:
	v_cmp_gt_u32_e32 vcc, 7, v0
	s_and_saveexec_b64 s[0:1], vcc
	s_cbranch_execz .LBB70_16
; %bb.1:
	s_load_dword s8, s[4:5], 0x38
	s_load_dwordx2 s[0:1], s[4:5], 0x0
	s_load_dwordx4 s[12:15], s[4:5], 0x28
                                        ; implicit-def: $sgpr16_sgpr17
	s_waitcnt lgkmcnt(0)
	s_bitcmp1_b32 s8, 8
	s_cselect_b64 s[18:19], -1, 0
	s_ashr_i32 s7, s6, 31
	s_lshl_b64 s[2:3], s[6:7], 3
	s_add_u32 s0, s0, s2
	s_addc_u32 s1, s1, s3
	s_load_dwordx2 s[0:1], s[0:1], 0x0
	s_bfe_u32 s2, s8, 0x10008
	s_cmp_eq_u32 s2, 0
	s_cbranch_scc1 .LBB70_3
; %bb.2:
	s_load_dword s2, s[4:5], 0x20
	s_load_dwordx2 s[8:9], s[4:5], 0x18
	s_mul_i32 s3, s12, s7
	s_mul_hi_u32 s10, s12, s6
	s_add_i32 s10, s10, s3
	s_mul_i32 s11, s13, s6
	s_add_i32 s11, s10, s11
	s_mul_i32 s10, s12, s6
	s_waitcnt lgkmcnt(0)
	s_ashr_i32 s3, s2, 31
	s_lshl_b64 s[10:11], s[10:11], 2
	s_add_u32 s8, s8, s10
	s_addc_u32 s9, s9, s11
	s_lshl_b64 s[2:3], s[2:3], 2
	s_add_u32 s16, s8, s2
	s_addc_u32 s17, s9, s3
.LBB70_3:
	s_load_dwordx2 s[2:3], s[4:5], 0x8
	s_load_dword s8, s[4:5], 0x38
	v_lshlrev_b32_e32 v18, 3, v0
	s_waitcnt lgkmcnt(0)
	s_ashr_i32 s5, s2, 31
	s_mov_b32 s4, s2
	s_lshl_b64 s[4:5], s[4:5], 3
	s_add_u32 s2, s0, s4
	s_addc_u32 s4, s1, s5
	v_mov_b32_e32 v1, s4
	v_add_co_u32_e32 v32, vcc, s2, v18
	s_ashr_i32 s1, s3, 31
	s_mov_b32 s0, s3
	v_addc_co_u32_e32 v33, vcc, 0, v1, vcc
	s_lshl_b64 s[0:1], s[0:1], 3
	v_mov_b32_e32 v1, s1
	v_add_co_u32_e32 v34, vcc, s0, v32
	s_add_i32 s0, s3, s3
	v_addc_co_u32_e32 v35, vcc, v33, v1, vcc
	v_add_u32_e32 v1, s0, v0
	v_ashrrev_i32_e32 v2, 31, v1
	v_lshlrev_b64 v[2:3], 3, v[1:2]
	v_add_u32_e32 v1, s3, v1
	v_mov_b32_e32 v4, s4
	v_add_co_u32_e32 v36, vcc, s2, v2
	v_ashrrev_i32_e32 v2, 31, v1
	v_addc_co_u32_e32 v37, vcc, v4, v3, vcc
	v_lshlrev_b64 v[2:3], 3, v[1:2]
	v_add_u32_e32 v1, s3, v1
	v_add_co_u32_e32 v38, vcc, s2, v2
	v_ashrrev_i32_e32 v2, 31, v1
	v_addc_co_u32_e32 v39, vcc, v4, v3, vcc
	v_lshlrev_b64 v[2:3], 3, v[1:2]
	v_add_u32_e32 v1, s3, v1
	;; [unrolled: 5-line block ×3, first 2 shown]
	v_add_co_u32_e32 v42, vcc, s2, v2
	v_ashrrev_i32_e32 v2, 31, v1
	v_lshlrev_b64 v[1:2], 3, v[1:2]
	v_addc_co_u32_e32 v43, vcc, v4, v3, vcc
	v_mov_b32_e32 v3, s4
	v_add_co_u32_e32 v44, vcc, s2, v1
	v_addc_co_u32_e32 v45, vcc, v3, v2, vcc
	flat_load_dwordx2 v[2:3], v[32:33]
	flat_load_dwordx2 v[4:5], v[34:35]
	;; [unrolled: 1-line block ×7, first 2 shown]
	v_mov_b32_e32 v1, 0
	s_bitcmp0_b32 s8, 0
	s_mov_b64 s[0:1], -1
	s_cbranch_scc1 .LBB70_14
; %bb.4:
	v_cmp_eq_u32_e64 s[0:1], 0, v0
	s_and_saveexec_b64 s[2:3], s[0:1]
; %bb.5:
	v_mov_b32_e32 v16, 0
	ds_write_b32 v16, v16 offset:56
; %bb.6:
	s_or_b64 exec, exec, s[2:3]
	v_cmp_eq_u32_e32 vcc, 1, v0
	s_waitcnt vmcnt(0) lgkmcnt(0)
	v_cndmask_b32_e32 v16, v3, v5, vcc
	v_cmp_eq_u32_e64 s[2:3], 2, v0
	v_cndmask_b32_e64 v16, v16, v7, s[2:3]
	v_cmp_eq_u32_e64 s[4:5], 3, v0
	v_cndmask_b32_e64 v16, v16, v9, s[4:5]
	;; [unrolled: 2-line block ×5, first 2 shown]
	v_cndmask_b32_e32 v16, v2, v4, vcc
	v_cndmask_b32_e64 v16, v16, v6, s[2:3]
	v_cndmask_b32_e64 v16, v16, v8, s[4:5]
	;; [unrolled: 1-line block ×5, first 2 shown]
	v_cmp_eq_f64_e32 vcc, 0, v[16:17]
	; wave barrier
	s_and_saveexec_b64 s[4:5], vcc
	s_cbranch_execz .LBB70_10
; %bb.7:
	v_mov_b32_e32 v19, 0
	ds_read_b32 v21, v19 offset:56
	v_add_u32_e32 v20, 1, v0
	s_waitcnt lgkmcnt(0)
	v_readfirstlane_b32 s2, v21
	s_cmp_eq_u32 s2, 0
	s_cselect_b64 s[8:9], -1, 0
	v_cmp_gt_i32_e32 vcc, s2, v20
	s_or_b64 s[8:9], s[8:9], vcc
	s_and_b64 exec, exec, s[8:9]
	s_cbranch_execz .LBB70_10
; %bb.8:
	s_mov_b64 s[8:9], 0
	v_mov_b32_e32 v21, s2
.LBB70_9:                               ; =>This Inner Loop Header: Depth=1
	ds_cmpst_rtn_b32 v21, v19, v21, v20 offset:56
	s_waitcnt lgkmcnt(0)
	v_cmp_ne_u32_e32 vcc, 0, v21
	v_cmp_le_i32_e64 s[2:3], v21, v20
	s_and_b64 s[2:3], vcc, s[2:3]
	s_and_b64 s[2:3], exec, s[2:3]
	s_or_b64 s[8:9], s[2:3], s[8:9]
	s_andn2_b64 exec, exec, s[8:9]
	s_cbranch_execnz .LBB70_9
.LBB70_10:
	s_or_b64 exec, exec, s[4:5]
	v_mov_b32_e32 v20, 0
	; wave barrier
	ds_read_b32 v19, v20 offset:56
	s_and_saveexec_b64 s[2:3], s[0:1]
	s_cbranch_execz .LBB70_12
; %bb.11:
	s_lshl_b64 s[4:5], s[6:7], 2
	s_add_u32 s4, s14, s4
	s_addc_u32 s5, s15, s5
	s_waitcnt lgkmcnt(0)
	global_store_dword v20, v19, s[4:5]
.LBB70_12:
	s_or_b64 exec, exec, s[2:3]
	s_waitcnt lgkmcnt(0)
	v_cmp_ne_u32_e32 vcc, 0, v19
	s_cbranch_vccz .LBB70_17
; %bb.13:
	s_mov_b64 s[0:1], 0
                                        ; implicit-def: $vgpr2_vgpr3_vgpr4_vgpr5_vgpr6_vgpr7_vgpr8_vgpr9_vgpr10_vgpr11_vgpr12_vgpr13_vgpr14_vgpr15_vgpr16_vgpr17
.LBB70_14:
	s_and_b64 vcc, exec, s[0:1]
	s_cbranch_vccz .LBB70_16
.LBB70_15:
	s_lshl_b64 s[0:1], s[6:7], 2
	s_add_u32 s0, s14, s0
	s_addc_u32 s1, s15, s1
	v_mov_b32_e32 v1, 0
	global_load_dword v1, v1, s[0:1]
	s_waitcnt vmcnt(0)
	v_cmp_ne_u32_e32 vcc, 0, v1
	s_cbranch_vccz .LBB70_38
.LBB70_16:
	s_endpgm
.LBB70_17:
	v_div_scale_f64 v[19:20], s[2:3], v[16:17], v[16:17], 1.0
	v_rcp_f64_e32 v[21:22], v[19:20]
	v_fma_f64 v[23:24], -v[19:20], v[21:22], 1.0
	v_fma_f64 v[21:22], v[21:22], v[23:24], v[21:22]
	v_div_scale_f64 v[23:24], vcc, 1.0, v[16:17], 1.0
	v_fma_f64 v[25:26], -v[19:20], v[21:22], 1.0
	v_fma_f64 v[21:22], v[21:22], v[25:26], v[21:22]
	v_mul_f64 v[25:26], v[23:24], v[21:22]
	v_fma_f64 v[19:20], -v[19:20], v[25:26], v[23:24]
	v_div_fmas_f64 v[19:20], v[19:20], v[21:22], v[25:26]
	v_cmp_eq_u32_e32 vcc, 6, v0
	v_div_fixup_f64 v[16:17], v[19:20], v[16:17], 1.0
	v_add_u32_e32 v20, 64, v18
	v_cndmask_b32_e32 v15, v15, v17, vcc
	v_cndmask_b32_e32 v14, v14, v16, vcc
	v_cmp_eq_u32_e32 vcc, 5, v0
	v_cndmask_b32_e32 v13, v13, v17, vcc
	v_cndmask_b32_e32 v12, v12, v16, vcc
	v_cmp_eq_u32_e32 vcc, 4, v0
	;; [unrolled: 3-line block ×6, first 2 shown]
	v_cndmask_b32_e32 v3, v3, v17, vcc
	v_cndmask_b32_e32 v2, v2, v16, vcc
	v_xor_b32_e32 v22, 0x80000000, v17
	v_mov_b32_e32 v21, v16
	ds_write2_b64 v18, v[21:22], v[4:5] offset1:8
	s_waitcnt lgkmcnt(0)
	; wave barrier
	s_and_saveexec_b64 s[2:3], s[0:1]
	s_cbranch_execz .LBB70_19
; %bb.18:
	ds_read_b64 v[4:5], v20
	v_mov_b32_e32 v18, 0
	ds_read_b64 v[18:19], v18 offset:8
	s_waitcnt lgkmcnt(1)
	v_fma_f64 v[4:5], v[16:17], v[4:5], 0
	s_waitcnt lgkmcnt(0)
	v_mul_f64 v[4:5], v[4:5], v[18:19]
.LBB70_19:
	s_or_b64 exec, exec, s[2:3]
	v_cmp_gt_u32_e32 vcc, 2, v0
	; wave barrier
	ds_write_b64 v20, v[6:7]
	s_waitcnt lgkmcnt(0)
	; wave barrier
	s_and_saveexec_b64 s[20:21], vcc
	s_cbranch_execz .LBB70_21
; %bb.20:
	v_cmp_eq_u32_e32 vcc, 1, v0
	v_cndmask_b32_e32 v16, v3, v5, vcc
	v_cmp_eq_u32_e64 s[2:3], 2, v0
	v_cndmask_b32_e64 v7, v16, v7, s[2:3]
	v_cndmask_b32_e32 v16, v2, v4, vcc
	v_cmp_eq_u32_e64 s[4:5], 3, v0
	v_cndmask_b32_e64 v6, v16, v6, s[2:3]
	ds_read_b64 v[16:17], v20
	v_cndmask_b32_e64 v7, v7, v9, s[4:5]
	v_cmp_eq_u32_e64 s[8:9], 4, v0
	v_cndmask_b32_e64 v6, v6, v8, s[4:5]
	v_cndmask_b32_e64 v7, v7, v11, s[8:9]
	v_cmp_eq_u32_e64 s[10:11], 5, v0
	v_cndmask_b32_e64 v6, v6, v10, s[8:9]
	;; [unrolled: 3-line block ×3, first 2 shown]
	v_cndmask_b32_e64 v7, v7, v15, s[12:13]
	v_cndmask_b32_e64 v6, v6, v14, s[12:13]
	s_waitcnt lgkmcnt(0)
	v_fma_f64 v[6:7], v[6:7], v[16:17], 0
	v_mov_b32_e32 v16, 0
	ds_read2_b64 v[16:19], v16 offset0:2 offset1:9
	s_waitcnt lgkmcnt(0)
	v_fma_f64 v[18:19], v[4:5], v[18:19], v[6:7]
	v_cndmask_b32_e64 v7, v7, v19, s[0:1]
	v_cndmask_b32_e64 v6, v6, v18, s[0:1]
	v_mul_f64 v[6:7], v[6:7], v[16:17]
.LBB70_21:
	s_or_b64 exec, exec, s[20:21]
	v_cmp_gt_u32_e32 vcc, 3, v0
	; wave barrier
	ds_write_b64 v20, v[8:9]
	s_waitcnt lgkmcnt(0)
	; wave barrier
	s_and_saveexec_b64 s[2:3], vcc
	s_cbranch_execz .LBB70_25
; %bb.22:
	v_mov_b32_e32 v16, 0
	v_mov_b32_e32 v19, v1
	v_lshl_add_u32 v21, v0, 3, 64
	v_mov_b32_e32 v17, 0
	s_mov_b64 s[4:5], 0
	v_mov_b32_e32 v18, v0
.LBB70_23:                              ; =>This Inner Loop Header: Depth=1
	v_cmp_eq_u32_e32 vcc, 1, v18
	v_cndmask_b32_e32 v24, v3, v5, vcc
	v_cmp_eq_u32_e64 s[0:1], 2, v18
	v_cndmask_b32_e64 v24, v24, v7, s[0:1]
	v_cndmask_b32_e32 v25, v2, v4, vcc
	v_cmp_eq_u32_e32 vcc, 3, v18
	ds_read_b64 v[22:23], v21
	v_cndmask_b32_e32 v24, v24, v9, vcc
	v_cndmask_b32_e64 v25, v25, v6, s[0:1]
	v_cmp_eq_u32_e64 s[0:1], 4, v18
	v_cndmask_b32_e64 v24, v24, v11, s[0:1]
	v_cndmask_b32_e32 v25, v25, v8, vcc
	v_cmp_eq_u32_e32 vcc, 5, v18
	v_cndmask_b32_e32 v24, v24, v13, vcc
	v_cndmask_b32_e64 v26, v25, v10, s[0:1]
	v_cmp_eq_u32_e64 s[0:1], 6, v18
	v_cndmask_b32_e64 v25, v24, v15, s[0:1]
	v_cndmask_b32_e32 v24, v26, v12, vcc
	v_cndmask_b32_e64 v24, v24, v14, s[0:1]
	s_waitcnt lgkmcnt(0)
	v_fma_f64 v[16:17], v[24:25], v[22:23], v[16:17]
	v_add_co_u32_e32 v18, vcc, 1, v18
	v_addc_co_u32_e32 v19, vcc, 0, v19, vcc
	v_add_u32_e32 v22, -1, v18
	v_cmp_lt_u32_e32 vcc, 1, v22
	s_or_b64 s[4:5], vcc, s[4:5]
	v_add_u32_e32 v21, 8, v21
	s_andn2_b64 exec, exec, s[4:5]
	s_cbranch_execnz .LBB70_23
; %bb.24:
	s_or_b64 exec, exec, s[4:5]
	v_mov_b32_e32 v8, 0
	ds_read_b64 v[8:9], v8 offset:24
	s_waitcnt lgkmcnt(0)
	v_mul_f64 v[8:9], v[16:17], v[8:9]
.LBB70_25:
	s_or_b64 exec, exec, s[2:3]
	v_cmp_gt_u32_e32 vcc, 4, v0
	; wave barrier
	ds_write_b64 v20, v[10:11]
	s_waitcnt lgkmcnt(0)
	; wave barrier
	s_and_saveexec_b64 s[2:3], vcc
	s_cbranch_execz .LBB70_29
; %bb.26:
	v_mov_b32_e32 v16, 0
	v_mov_b32_e32 v19, v1
	v_lshl_add_u32 v21, v0, 3, 64
	v_mov_b32_e32 v17, 0
	s_mov_b64 s[4:5], 0
	v_mov_b32_e32 v18, v0
.LBB70_27:                              ; =>This Inner Loop Header: Depth=1
	v_cmp_eq_u32_e32 vcc, 1, v18
	v_cndmask_b32_e32 v24, v3, v5, vcc
	v_cmp_eq_u32_e64 s[0:1], 2, v18
	v_cndmask_b32_e64 v24, v24, v7, s[0:1]
	v_cndmask_b32_e32 v25, v2, v4, vcc
	v_cmp_eq_u32_e32 vcc, 3, v18
	ds_read_b64 v[22:23], v21
	v_cndmask_b32_e32 v24, v24, v9, vcc
	v_cndmask_b32_e64 v25, v25, v6, s[0:1]
	v_cmp_eq_u32_e64 s[0:1], 4, v18
	v_cndmask_b32_e64 v24, v24, v11, s[0:1]
	v_cndmask_b32_e32 v25, v25, v8, vcc
	v_cmp_eq_u32_e32 vcc, 5, v18
	v_cndmask_b32_e32 v24, v24, v13, vcc
	v_cndmask_b32_e64 v26, v25, v10, s[0:1]
	v_cmp_eq_u32_e64 s[0:1], 6, v18
	v_cndmask_b32_e64 v25, v24, v15, s[0:1]
	v_cndmask_b32_e32 v24, v26, v12, vcc
	v_cndmask_b32_e64 v24, v24, v14, s[0:1]
	s_waitcnt lgkmcnt(0)
	v_fma_f64 v[16:17], v[24:25], v[22:23], v[16:17]
	v_add_co_u32_e32 v18, vcc, 1, v18
	v_addc_co_u32_e32 v19, vcc, 0, v19, vcc
	v_add_u32_e32 v22, -1, v18
	v_cmp_lt_u32_e32 vcc, 2, v22
	s_or_b64 s[4:5], vcc, s[4:5]
	v_add_u32_e32 v21, 8, v21
	s_andn2_b64 exec, exec, s[4:5]
	s_cbranch_execnz .LBB70_27
; %bb.28:
	s_or_b64 exec, exec, s[4:5]
	v_mov_b32_e32 v10, 0
	ds_read_b64 v[10:11], v10 offset:32
	s_waitcnt lgkmcnt(0)
	v_mul_f64 v[10:11], v[16:17], v[10:11]
.LBB70_29:
	;; [unrolled: 52-line block ×3, first 2 shown]
	s_or_b64 exec, exec, s[2:3]
	v_cmp_ne_u32_e32 vcc, 6, v0
	; wave barrier
	ds_write_b64 v20, v[14:15]
	s_waitcnt lgkmcnt(0)
	; wave barrier
	s_and_saveexec_b64 s[2:3], vcc
	s_cbranch_execz .LBB70_37
; %bb.34:
	v_mov_b32_e32 v16, 0
	v_mov_b32_e32 v19, v1
	v_lshl_add_u32 v20, v0, 3, 64
	v_mov_b32_e32 v17, 0
	s_mov_b64 s[4:5], 0
	v_mov_b32_e32 v18, v0
.LBB70_35:                              ; =>This Inner Loop Header: Depth=1
	v_cmp_eq_u32_e32 vcc, 1, v18
	v_cndmask_b32_e32 v1, v3, v5, vcc
	v_cmp_eq_u32_e64 s[0:1], 2, v18
	v_cndmask_b32_e64 v1, v1, v7, s[0:1]
	v_cndmask_b32_e32 v23, v2, v4, vcc
	v_cmp_eq_u32_e32 vcc, 3, v18
	ds_read_b64 v[21:22], v20
	v_cndmask_b32_e32 v1, v1, v9, vcc
	v_cndmask_b32_e64 v23, v23, v6, s[0:1]
	v_cmp_eq_u32_e64 s[0:1], 4, v18
	v_cndmask_b32_e64 v1, v1, v11, s[0:1]
	v_cndmask_b32_e32 v23, v23, v8, vcc
	v_cmp_eq_u32_e32 vcc, 5, v18
	v_cndmask_b32_e32 v1, v1, v13, vcc
	v_cndmask_b32_e64 v23, v23, v10, s[0:1]
	v_cmp_eq_u32_e64 s[0:1], 6, v18
	v_cndmask_b32_e64 v24, v1, v15, s[0:1]
	v_cndmask_b32_e32 v1, v23, v12, vcc
	v_cndmask_b32_e64 v23, v1, v14, s[0:1]
	s_waitcnt lgkmcnt(0)
	v_fma_f64 v[16:17], v[23:24], v[21:22], v[16:17]
	v_add_co_u32_e32 v18, vcc, 1, v18
	v_addc_co_u32_e32 v19, vcc, 0, v19, vcc
	v_add_u32_e32 v1, -1, v18
	v_cmp_lt_u32_e32 vcc, 4, v1
	s_or_b64 s[4:5], vcc, s[4:5]
	v_add_u32_e32 v20, 8, v20
	s_andn2_b64 exec, exec, s[4:5]
	s_cbranch_execnz .LBB70_35
; %bb.36:
	s_or_b64 exec, exec, s[4:5]
	v_mov_b32_e32 v1, 0
	ds_read_b64 v[14:15], v1 offset:48
	s_waitcnt lgkmcnt(0)
	v_mul_f64 v[14:15], v[16:17], v[14:15]
.LBB70_37:
	s_or_b64 exec, exec, s[2:3]
	; wave barrier
	s_cbranch_execnz .LBB70_15
	s_branch .LBB70_16
.LBB70_38:
	v_lshl_add_u32 v1, v0, 3, 64
	v_cmp_eq_u32_e32 vcc, 6, v0
	s_and_saveexec_b64 s[0:1], vcc
	s_cbranch_execz .LBB70_40
; %bb.39:
	v_mov_b32_e32 v26, 0
	s_waitcnt lgkmcnt(0)
	v_mov_b32_e32 v16, v2
	v_mov_b32_e32 v17, v3
	;; [unrolled: 1-line block ×13, first 2 shown]
	ds_write_b64 v1, v[12:13]
	v_mov_b32_e32 v2, v16
	v_mov_b32_e32 v3, v17
	;; [unrolled: 1-line block ×16, first 2 shown]
.LBB70_40:
	s_or_b64 exec, exec, s[0:1]
	v_mov_b32_e32 v24, 0
	s_waitcnt lgkmcnt(0)
	; wave barrier
	ds_read_b64 v[16:17], v24 offset:112
	v_cmp_lt_u32_e32 vcc, 4, v0
	s_waitcnt lgkmcnt(0)
	v_fma_f64 v[16:17], v[14:15], v[16:17], 0
	v_add_f64 v[12:13], v[12:13], -v[16:17]
	s_and_saveexec_b64 s[0:1], vcc
	s_cbranch_execz .LBB70_42
; %bb.41:
	v_mov_b32_e32 v16, v2
	v_mov_b32_e32 v17, v3
	;; [unrolled: 1-line block ×13, first 2 shown]
	ds_write_b64 v1, v[10:11]
	v_mov_b32_e32 v2, v16
	v_mov_b32_e32 v3, v17
	;; [unrolled: 1-line block ×16, first 2 shown]
.LBB70_42:
	s_or_b64 exec, exec, s[0:1]
	s_waitcnt lgkmcnt(0)
	; wave barrier
	ds_read2_b64 v[16:19], v24 offset0:13 offset1:14
	v_cmp_lt_u32_e32 vcc, 3, v0
	s_waitcnt lgkmcnt(0)
	v_fma_f64 v[16:17], v[12:13], v[16:17], 0
	v_fma_f64 v[16:17], v[14:15], v[18:19], v[16:17]
	v_add_f64 v[10:11], v[10:11], -v[16:17]
	s_and_saveexec_b64 s[0:1], vcc
	s_cbranch_execz .LBB70_44
; %bb.43:
	v_mov_b32_e32 v22, 0
	v_mov_b32_e32 v16, v2
	;; [unrolled: 1-line block ×14, first 2 shown]
	ds_write_b64 v1, v[8:9]
	v_mov_b32_e32 v2, v16
	v_mov_b32_e32 v3, v17
	;; [unrolled: 1-line block ×16, first 2 shown]
.LBB70_44:
	s_or_b64 exec, exec, s[0:1]
	v_mov_b32_e32 v20, 0
	s_waitcnt lgkmcnt(0)
	; wave barrier
	ds_read_b128 v[16:19], v20 offset:96
	ds_read_b64 v[21:22], v20 offset:112
	v_cmp_lt_u32_e32 vcc, 2, v0
	s_waitcnt lgkmcnt(1)
	v_fma_f64 v[16:17], v[10:11], v[16:17], 0
	v_fma_f64 v[16:17], v[12:13], v[18:19], v[16:17]
	s_waitcnt lgkmcnt(0)
	v_fma_f64 v[16:17], v[14:15], v[21:22], v[16:17]
	v_add_f64 v[8:9], v[8:9], -v[16:17]
	s_and_saveexec_b64 s[0:1], vcc
	s_cbranch_execz .LBB70_46
; %bb.45:
	v_mov_b32_e32 v16, v2
	v_mov_b32_e32 v17, v3
	;; [unrolled: 1-line block ×13, first 2 shown]
	ds_write_b64 v1, v[6:7]
	v_mov_b32_e32 v2, v16
	v_mov_b32_e32 v3, v17
	v_mov_b32_e32 v4, v18
	v_mov_b32_e32 v5, v19
	v_mov_b32_e32 v6, v20
	v_mov_b32_e32 v7, v21
	v_mov_b32_e32 v8, v22
	v_mov_b32_e32 v9, v23
	v_mov_b32_e32 v10, v24
	v_mov_b32_e32 v11, v25
	v_mov_b32_e32 v12, v26
	v_mov_b32_e32 v13, v27
	v_mov_b32_e32 v14, v28
	v_mov_b32_e32 v15, v29
	v_mov_b32_e32 v16, v30
	v_mov_b32_e32 v17, v31
.LBB70_46:
	s_or_b64 exec, exec, s[0:1]
	s_waitcnt lgkmcnt(0)
	; wave barrier
	ds_read2_b64 v[16:19], v20 offset0:11 offset1:12
	ds_read2_b64 v[20:23], v20 offset0:13 offset1:14
	v_cmp_lt_u32_e32 vcc, 1, v0
	s_waitcnt lgkmcnt(1)
	v_fma_f64 v[16:17], v[8:9], v[16:17], 0
	v_fma_f64 v[16:17], v[10:11], v[18:19], v[16:17]
	s_waitcnt lgkmcnt(0)
	v_fma_f64 v[16:17], v[12:13], v[20:21], v[16:17]
	v_fma_f64 v[16:17], v[14:15], v[22:23], v[16:17]
	v_add_f64 v[6:7], v[6:7], -v[16:17]
	s_and_saveexec_b64 s[0:1], vcc
	s_cbranch_execz .LBB70_48
; %bb.47:
	v_mov_b32_e32 v18, 0
	v_mov_b32_e32 v16, v2
	;; [unrolled: 1-line block ×14, first 2 shown]
	ds_write_b64 v1, v[4:5]
	v_mov_b32_e32 v2, v16
	v_mov_b32_e32 v3, v17
	;; [unrolled: 1-line block ×16, first 2 shown]
.LBB70_48:
	s_or_b64 exec, exec, s[0:1]
	v_mov_b32_e32 v18, 0
	s_waitcnt lgkmcnt(0)
	; wave barrier
	ds_read_b128 v[19:22], v18 offset:80
	ds_read_b128 v[23:26], v18 offset:96
	v_cmp_ne_u32_e32 vcc, 0, v0
	s_waitcnt lgkmcnt(1)
	v_fma_f64 v[16:17], v[6:7], v[19:20], 0
	ds_read_b64 v[19:20], v18 offset:112
	v_fma_f64 v[16:17], v[8:9], v[21:22], v[16:17]
	s_waitcnt lgkmcnt(1)
	v_fma_f64 v[16:17], v[10:11], v[23:24], v[16:17]
	v_fma_f64 v[16:17], v[12:13], v[25:26], v[16:17]
	s_waitcnt lgkmcnt(0)
	v_fma_f64 v[16:17], v[14:15], v[19:20], v[16:17]
	v_add_f64 v[4:5], v[4:5], -v[16:17]
	s_and_saveexec_b64 s[0:1], vcc
	s_cbranch_execz .LBB70_50
; %bb.49:
	v_mov_b32_e32 v19, v18
	v_mov_b32_e32 v20, v4
	;; [unrolled: 1-line block ×13, first 2 shown]
	ds_write_b64 v1, v[2:3]
	v_mov_b32_e32 v2, v18
	v_mov_b32_e32 v3, v19
	;; [unrolled: 1-line block ×16, first 2 shown]
.LBB70_50:
	s_or_b64 exec, exec, s[0:1]
	s_waitcnt lgkmcnt(0)
	; wave barrier
	ds_read2_b64 v[19:22], v18 offset0:9 offset1:10
	ds_read2_b64 v[23:26], v18 offset0:11 offset1:12
	s_and_b64 vcc, exec, s[18:19]
	s_waitcnt lgkmcnt(1)
	v_fma_f64 v[0:1], v[4:5], v[19:20], 0
	ds_read2_b64 v[16:19], v18 offset0:13 offset1:14
	v_fma_f64 v[0:1], v[6:7], v[21:22], v[0:1]
	s_waitcnt lgkmcnt(1)
	v_fma_f64 v[0:1], v[8:9], v[23:24], v[0:1]
	v_fma_f64 v[0:1], v[10:11], v[25:26], v[0:1]
	s_waitcnt lgkmcnt(0)
	v_fma_f64 v[0:1], v[12:13], v[16:17], v[0:1]
	v_fma_f64 v[0:1], v[14:15], v[18:19], v[0:1]
	v_add_f64 v[2:3], v[2:3], -v[0:1]
	s_cbranch_vccz .LBB70_63
; %bb.51:
	v_mov_b32_e32 v0, 0
	global_load_dword v1, v0, s[16:17] offset:20
	s_waitcnt vmcnt(0)
	v_readfirstlane_b32 s0, v1
	s_add_i32 s0, s0, -1
	s_cmp_lg_u32 s0, 5
	s_cbranch_scc0 .LBB70_53
; %bb.52:
	s_lshl_b32 s0, s0, 1
	s_set_gpr_idx_on s0, gpr_idx(SRC0)
	v_mov_b32_e32 v1, v3
	v_mov_b32_e32 v30, v2
	s_set_gpr_idx_off
	v_mov_b32_e32 v29, v17
	v_mov_b32_e32 v25, v13
	;; [unrolled: 1-line block ×18, first 2 shown]
	s_set_gpr_idx_on s0, gpr_idx(DST)
	v_mov_b32_e32 v14, v12
	v_mov_b32_e32 v15, v13
	s_set_gpr_idx_off
	v_mov_b32_e32 v2, v14
	v_mov_b32_e32 v3, v15
	;; [unrolled: 1-line block ×16, first 2 shown]
.LBB70_53:
	global_load_dword v0, v0, s[16:17] offset:16
	s_waitcnt vmcnt(0)
	v_readfirstlane_b32 s0, v0
	s_add_i32 s0, s0, -1
	s_cmp_eq_u32 s0, 4
	s_cbranch_scc1 .LBB70_55
; %bb.54:
	s_lshl_b32 s0, s0, 1
	s_set_gpr_idx_on s0, gpr_idx(SRC0)
	v_mov_b32_e32 v0, v3
	v_mov_b32_e32 v1, v2
	s_set_gpr_idx_off
	v_mov_b32_e32 v27, v17
	v_mov_b32_e32 v21, v11
	;; [unrolled: 1-line block ×18, first 2 shown]
	s_set_gpr_idx_on s0, gpr_idx(DST)
	v_mov_b32_e32 v12, v10
	v_mov_b32_e32 v13, v11
	s_set_gpr_idx_off
	v_mov_b32_e32 v2, v12
	v_mov_b32_e32 v3, v13
	;; [unrolled: 1-line block ×16, first 2 shown]
.LBB70_55:
	v_mov_b32_e32 v0, 0
	global_load_dword v1, v0, s[16:17] offset:12
	s_waitcnt vmcnt(0)
	v_readfirstlane_b32 s0, v1
	s_add_i32 s0, s0, -1
	s_cmp_eq_u32 s0, 3
	s_cbranch_scc1 .LBB70_57
; %bb.56:
	s_lshl_b32 s0, s0, 1
	s_set_gpr_idx_on s0, gpr_idx(SRC0)
	v_mov_b32_e32 v1, v3
	v_mov_b32_e32 v26, v2
	s_set_gpr_idx_off
	v_mov_b32_e32 v25, v17
	v_mov_b32_e32 v24, v16
	v_mov_b32_e32 v23, v15
	v_mov_b32_e32 v22, v14
	v_mov_b32_e32 v21, v13
	v_mov_b32_e32 v20, v12
	v_mov_b32_e32 v19, v11
	v_mov_b32_e32 v18, v10
	v_mov_b32_e32 v17, v9
	v_mov_b32_e32 v16, v8
	v_mov_b32_e32 v15, v7
	v_mov_b32_e32 v14, v6
	v_mov_b32_e32 v13, v5
	v_mov_b32_e32 v12, v4
	v_mov_b32_e32 v11, v3
	v_mov_b32_e32 v10, v2
	v_mov_b32_e32 v16, v26
	v_mov_b32_e32 v17, v1
	s_set_gpr_idx_on s0, gpr_idx(DST)
	v_mov_b32_e32 v10, v8
	v_mov_b32_e32 v11, v9
	s_set_gpr_idx_off
	v_mov_b32_e32 v2, v10
	v_mov_b32_e32 v3, v11
	v_mov_b32_e32 v4, v12
	v_mov_b32_e32 v5, v13
	v_mov_b32_e32 v6, v14
	v_mov_b32_e32 v7, v15
	v_mov_b32_e32 v8, v16
	v_mov_b32_e32 v9, v17
	v_mov_b32_e32 v10, v18
	v_mov_b32_e32 v11, v19
	v_mov_b32_e32 v12, v20
	v_mov_b32_e32 v13, v21
	v_mov_b32_e32 v14, v22
	v_mov_b32_e32 v15, v23
	v_mov_b32_e32 v16, v24
	v_mov_b32_e32 v17, v25
.LBB70_57:
	global_load_dword v0, v0, s[16:17] offset:8
	s_waitcnt vmcnt(0)
	v_readfirstlane_b32 s0, v0
	s_add_i32 s0, s0, -1
	s_cmp_eq_u32 s0, 2
	s_cbranch_scc1 .LBB70_59
; %bb.58:
	s_lshl_b32 s0, s0, 1
	s_set_gpr_idx_on s0, gpr_idx(SRC0)
	v_mov_b32_e32 v0, v3
	v_mov_b32_e32 v1, v2
	s_set_gpr_idx_off
	v_mov_b32_e32 v23, v17
	v_mov_b32_e32 v22, v16
	;; [unrolled: 1-line block ×18, first 2 shown]
	s_set_gpr_idx_on s0, gpr_idx(DST)
	v_mov_b32_e32 v8, v6
	v_mov_b32_e32 v9, v7
	s_set_gpr_idx_off
	v_mov_b32_e32 v2, v8
	v_mov_b32_e32 v3, v9
	;; [unrolled: 1-line block ×16, first 2 shown]
.LBB70_59:
	v_mov_b32_e32 v0, 0
	global_load_dword v1, v0, s[16:17] offset:4
	s_waitcnt vmcnt(0)
	v_readfirstlane_b32 s0, v1
	s_add_i32 s0, s0, -1
	s_cmp_eq_u32 s0, 1
	s_cbranch_scc1 .LBB70_61
; %bb.60:
	s_lshl_b32 s0, s0, 1
	s_set_gpr_idx_on s0, gpr_idx(SRC0)
	v_mov_b32_e32 v1, v3
	v_mov_b32_e32 v22, v2
	s_set_gpr_idx_off
	v_mov_b32_e32 v21, v17
	v_mov_b32_e32 v20, v16
	;; [unrolled: 1-line block ×18, first 2 shown]
	s_set_gpr_idx_on s0, gpr_idx(DST)
	v_mov_b32_e32 v6, v4
	v_mov_b32_e32 v7, v5
	s_set_gpr_idx_off
	v_mov_b32_e32 v2, v6
	v_mov_b32_e32 v3, v7
	;; [unrolled: 1-line block ×16, first 2 shown]
.LBB70_61:
	global_load_dword v0, v0, s[16:17]
	s_waitcnt vmcnt(0)
	v_readfirstlane_b32 s0, v0
	s_add_i32 s0, s0, -1
	s_cmp_eq_u32 s0, 0
	s_cbranch_scc1 .LBB70_63
; %bb.62:
	s_lshl_b32 s0, s0, 1
	s_set_gpr_idx_on s0, gpr_idx(SRC0)
	v_mov_b32_e32 v0, v3
	v_mov_b32_e32 v1, v2
	s_set_gpr_idx_off
	v_mov_b32_e32 v19, v17
	v_mov_b32_e32 v18, v16
	;; [unrolled: 1-line block ×18, first 2 shown]
	s_set_gpr_idx_on s0, gpr_idx(DST)
	v_mov_b32_e32 v4, v2
	v_mov_b32_e32 v5, v3
	s_set_gpr_idx_off
	v_mov_b32_e32 v2, v4
	v_mov_b32_e32 v3, v5
	;; [unrolled: 1-line block ×16, first 2 shown]
.LBB70_63:
	flat_store_dwordx2 v[32:33], v[2:3]
	flat_store_dwordx2 v[34:35], v[4:5]
	;; [unrolled: 1-line block ×7, first 2 shown]
	s_endpgm
	.section	.rodata,"a",@progbits
	.p2align	6, 0x0
	.amdhsa_kernel _ZN9rocsolver6v33100L18getri_kernel_smallILi7EdPKPdEEvT1_iilPiilS6_bb
		.amdhsa_group_segment_fixed_size 120
		.amdhsa_private_segment_fixed_size 0
		.amdhsa_kernarg_size 60
		.amdhsa_user_sgpr_count 6
		.amdhsa_user_sgpr_private_segment_buffer 1
		.amdhsa_user_sgpr_dispatch_ptr 0
		.amdhsa_user_sgpr_queue_ptr 0
		.amdhsa_user_sgpr_kernarg_segment_ptr 1
		.amdhsa_user_sgpr_dispatch_id 0
		.amdhsa_user_sgpr_flat_scratch_init 0
		.amdhsa_user_sgpr_private_segment_size 0
		.amdhsa_uses_dynamic_stack 0
		.amdhsa_system_sgpr_private_segment_wavefront_offset 0
		.amdhsa_system_sgpr_workgroup_id_x 1
		.amdhsa_system_sgpr_workgroup_id_y 0
		.amdhsa_system_sgpr_workgroup_id_z 0
		.amdhsa_system_sgpr_workgroup_info 0
		.amdhsa_system_vgpr_workitem_id 0
		.amdhsa_next_free_vgpr 46
		.amdhsa_next_free_sgpr 22
		.amdhsa_reserve_vcc 1
		.amdhsa_reserve_flat_scratch 0
		.amdhsa_float_round_mode_32 0
		.amdhsa_float_round_mode_16_64 0
		.amdhsa_float_denorm_mode_32 3
		.amdhsa_float_denorm_mode_16_64 3
		.amdhsa_dx10_clamp 1
		.amdhsa_ieee_mode 1
		.amdhsa_fp16_overflow 0
		.amdhsa_exception_fp_ieee_invalid_op 0
		.amdhsa_exception_fp_denorm_src 0
		.amdhsa_exception_fp_ieee_div_zero 0
		.amdhsa_exception_fp_ieee_overflow 0
		.amdhsa_exception_fp_ieee_underflow 0
		.amdhsa_exception_fp_ieee_inexact 0
		.amdhsa_exception_int_div_zero 0
	.end_amdhsa_kernel
	.section	.text._ZN9rocsolver6v33100L18getri_kernel_smallILi7EdPKPdEEvT1_iilPiilS6_bb,"axG",@progbits,_ZN9rocsolver6v33100L18getri_kernel_smallILi7EdPKPdEEvT1_iilPiilS6_bb,comdat
.Lfunc_end70:
	.size	_ZN9rocsolver6v33100L18getri_kernel_smallILi7EdPKPdEEvT1_iilPiilS6_bb, .Lfunc_end70-_ZN9rocsolver6v33100L18getri_kernel_smallILi7EdPKPdEEvT1_iilPiilS6_bb
                                        ; -- End function
	.set _ZN9rocsolver6v33100L18getri_kernel_smallILi7EdPKPdEEvT1_iilPiilS6_bb.num_vgpr, 46
	.set _ZN9rocsolver6v33100L18getri_kernel_smallILi7EdPKPdEEvT1_iilPiilS6_bb.num_agpr, 0
	.set _ZN9rocsolver6v33100L18getri_kernel_smallILi7EdPKPdEEvT1_iilPiilS6_bb.numbered_sgpr, 22
	.set _ZN9rocsolver6v33100L18getri_kernel_smallILi7EdPKPdEEvT1_iilPiilS6_bb.num_named_barrier, 0
	.set _ZN9rocsolver6v33100L18getri_kernel_smallILi7EdPKPdEEvT1_iilPiilS6_bb.private_seg_size, 0
	.set _ZN9rocsolver6v33100L18getri_kernel_smallILi7EdPKPdEEvT1_iilPiilS6_bb.uses_vcc, 1
	.set _ZN9rocsolver6v33100L18getri_kernel_smallILi7EdPKPdEEvT1_iilPiilS6_bb.uses_flat_scratch, 0
	.set _ZN9rocsolver6v33100L18getri_kernel_smallILi7EdPKPdEEvT1_iilPiilS6_bb.has_dyn_sized_stack, 0
	.set _ZN9rocsolver6v33100L18getri_kernel_smallILi7EdPKPdEEvT1_iilPiilS6_bb.has_recursion, 0
	.set _ZN9rocsolver6v33100L18getri_kernel_smallILi7EdPKPdEEvT1_iilPiilS6_bb.has_indirect_call, 0
	.section	.AMDGPU.csdata,"",@progbits
; Kernel info:
; codeLenInByte = 4840
; TotalNumSgprs: 26
; NumVgprs: 46
; ScratchSize: 0
; MemoryBound: 0
; FloatMode: 240
; IeeeMode: 1
; LDSByteSize: 120 bytes/workgroup (compile time only)
; SGPRBlocks: 3
; VGPRBlocks: 11
; NumSGPRsForWavesPerEU: 26
; NumVGPRsForWavesPerEU: 46
; Occupancy: 5
; WaveLimiterHint : 1
; COMPUTE_PGM_RSRC2:SCRATCH_EN: 0
; COMPUTE_PGM_RSRC2:USER_SGPR: 6
; COMPUTE_PGM_RSRC2:TRAP_HANDLER: 0
; COMPUTE_PGM_RSRC2:TGID_X_EN: 1
; COMPUTE_PGM_RSRC2:TGID_Y_EN: 0
; COMPUTE_PGM_RSRC2:TGID_Z_EN: 0
; COMPUTE_PGM_RSRC2:TIDIG_COMP_CNT: 0
	.section	.text._ZN9rocsolver6v33100L18getri_kernel_smallILi8EdPKPdEEvT1_iilPiilS6_bb,"axG",@progbits,_ZN9rocsolver6v33100L18getri_kernel_smallILi8EdPKPdEEvT1_iilPiilS6_bb,comdat
	.globl	_ZN9rocsolver6v33100L18getri_kernel_smallILi8EdPKPdEEvT1_iilPiilS6_bb ; -- Begin function _ZN9rocsolver6v33100L18getri_kernel_smallILi8EdPKPdEEvT1_iilPiilS6_bb
	.p2align	8
	.type	_ZN9rocsolver6v33100L18getri_kernel_smallILi8EdPKPdEEvT1_iilPiilS6_bb,@function
_ZN9rocsolver6v33100L18getri_kernel_smallILi8EdPKPdEEvT1_iilPiilS6_bb: ; @_ZN9rocsolver6v33100L18getri_kernel_smallILi8EdPKPdEEvT1_iilPiilS6_bb
; %bb.0:
	v_cmp_gt_u32_e32 vcc, 8, v0
	s_and_saveexec_b64 s[0:1], vcc
	s_cbranch_execz .LBB71_16
; %bb.1:
	s_load_dword s8, s[4:5], 0x38
	s_load_dwordx2 s[0:1], s[4:5], 0x0
	s_load_dwordx4 s[16:19], s[4:5], 0x28
                                        ; implicit-def: $sgpr20_sgpr21
	s_waitcnt lgkmcnt(0)
	s_bitcmp1_b32 s8, 8
	s_cselect_b64 s[22:23], -1, 0
	s_ashr_i32 s7, s6, 31
	s_lshl_b64 s[2:3], s[6:7], 3
	s_add_u32 s0, s0, s2
	s_addc_u32 s1, s1, s3
	s_load_dwordx2 s[0:1], s[0:1], 0x0
	s_bfe_u32 s2, s8, 0x10008
	s_cmp_eq_u32 s2, 0
	s_cbranch_scc1 .LBB71_3
; %bb.2:
	s_load_dword s2, s[4:5], 0x20
	s_load_dwordx2 s[8:9], s[4:5], 0x18
	s_mul_i32 s3, s16, s7
	s_mul_hi_u32 s10, s16, s6
	s_add_i32 s10, s10, s3
	s_mul_i32 s11, s17, s6
	s_add_i32 s11, s10, s11
	s_mul_i32 s10, s16, s6
	s_waitcnt lgkmcnt(0)
	s_ashr_i32 s3, s2, 31
	s_lshl_b64 s[10:11], s[10:11], 2
	s_add_u32 s8, s8, s10
	s_addc_u32 s9, s9, s11
	s_lshl_b64 s[2:3], s[2:3], 2
	s_add_u32 s20, s8, s2
	s_addc_u32 s21, s9, s3
.LBB71_3:
	s_load_dwordx2 s[2:3], s[4:5], 0x8
	s_load_dword s8, s[4:5], 0x38
	v_lshlrev_b32_e32 v20, 3, v0
	s_waitcnt lgkmcnt(0)
	s_ashr_i32 s5, s2, 31
	s_mov_b32 s4, s2
	s_lshl_b64 s[4:5], s[4:5], 3
	s_add_u32 s2, s0, s4
	s_addc_u32 s4, s1, s5
	v_mov_b32_e32 v1, s4
	v_add_co_u32_e32 v32, vcc, s2, v20
	s_add_i32 s5, s3, s3
	v_addc_co_u32_e32 v33, vcc, 0, v1, vcc
	v_add_u32_e32 v1, s5, v0
	v_ashrrev_i32_e32 v2, 31, v1
	v_lshlrev_b64 v[2:3], 3, v[1:2]
	v_add_u32_e32 v1, s3, v1
	v_mov_b32_e32 v4, s4
	v_add_co_u32_e32 v34, vcc, s2, v2
	v_ashrrev_i32_e32 v2, 31, v1
	v_addc_co_u32_e32 v35, vcc, v4, v3, vcc
	v_lshlrev_b64 v[2:3], 3, v[1:2]
	v_add_u32_e32 v1, s3, v1
	v_add_co_u32_e32 v36, vcc, s2, v2
	v_ashrrev_i32_e32 v2, 31, v1
	v_addc_co_u32_e32 v37, vcc, v4, v3, vcc
	v_lshlrev_b64 v[2:3], 3, v[1:2]
	v_add_u32_e32 v1, s3, v1
	;; [unrolled: 5-line block ×4, first 2 shown]
	v_add_co_u32_e32 v42, vcc, s2, v2
	v_ashrrev_i32_e32 v2, 31, v1
	v_lshlrev_b64 v[1:2], 3, v[1:2]
	v_addc_co_u32_e32 v43, vcc, v4, v3, vcc
	s_ashr_i32 s1, s3, 31
	s_mov_b32 s0, s3
	v_mov_b32_e32 v3, s4
	v_add_co_u32_e32 v44, vcc, s2, v1
	s_lshl_b64 s[0:1], s[0:1], 3
	v_addc_co_u32_e32 v45, vcc, v3, v2, vcc
	v_mov_b32_e32 v1, s1
	v_add_co_u32_e32 v46, vcc, s0, v32
	v_addc_co_u32_e32 v47, vcc, v33, v1, vcc
	flat_load_dwordx2 v[2:3], v[32:33]
	flat_load_dwordx2 v[4:5], v[46:47]
	;; [unrolled: 1-line block ×8, first 2 shown]
	v_mov_b32_e32 v1, 0
	s_bitcmp0_b32 s8, 0
	s_mov_b64 s[0:1], -1
	s_cbranch_scc1 .LBB71_14
; %bb.4:
	v_cmp_eq_u32_e64 s[0:1], 0, v0
	s_and_saveexec_b64 s[2:3], s[0:1]
; %bb.5:
	v_mov_b32_e32 v18, 0
	ds_write_b32 v18, v18 offset:128
; %bb.6:
	s_or_b64 exec, exec, s[2:3]
	v_cmp_eq_u32_e32 vcc, 1, v0
	s_waitcnt vmcnt(0) lgkmcnt(0)
	v_cndmask_b32_e32 v18, v3, v5, vcc
	v_cmp_eq_u32_e64 s[2:3], 2, v0
	v_cndmask_b32_e64 v18, v18, v7, s[2:3]
	v_cmp_eq_u32_e64 s[4:5], 3, v0
	v_cndmask_b32_e64 v18, v18, v9, s[4:5]
	v_cmp_eq_u32_e64 s[8:9], 4, v0
	v_cndmask_b32_e64 v18, v18, v11, s[8:9]
	v_cmp_eq_u32_e64 s[10:11], 5, v0
	v_cndmask_b32_e64 v18, v18, v13, s[10:11]
	v_cmp_eq_u32_e64 s[12:13], 6, v0
	v_cndmask_b32_e64 v18, v18, v15, s[12:13]
	v_cmp_eq_u32_e64 s[14:15], 7, v0
	v_cndmask_b32_e64 v19, v18, v17, s[14:15]
	v_cndmask_b32_e32 v18, v2, v4, vcc
	v_cndmask_b32_e64 v18, v18, v6, s[2:3]
	v_cndmask_b32_e64 v18, v18, v8, s[4:5]
	;; [unrolled: 1-line block ×6, first 2 shown]
	v_cmp_eq_f64_e32 vcc, 0, v[18:19]
	; wave barrier
	s_and_saveexec_b64 s[4:5], vcc
	s_cbranch_execz .LBB71_10
; %bb.7:
	v_mov_b32_e32 v21, 0
	ds_read_b32 v23, v21 offset:128
	v_add_u32_e32 v22, 1, v0
	s_waitcnt lgkmcnt(0)
	v_readfirstlane_b32 s2, v23
	s_cmp_eq_u32 s2, 0
	s_cselect_b64 s[8:9], -1, 0
	v_cmp_gt_i32_e32 vcc, s2, v22
	s_or_b64 s[8:9], s[8:9], vcc
	s_and_b64 exec, exec, s[8:9]
	s_cbranch_execz .LBB71_10
; %bb.8:
	s_mov_b64 s[8:9], 0
	v_mov_b32_e32 v23, s2
.LBB71_9:                               ; =>This Inner Loop Header: Depth=1
	ds_cmpst_rtn_b32 v23, v21, v23, v22 offset:128
	s_waitcnt lgkmcnt(0)
	v_cmp_ne_u32_e32 vcc, 0, v23
	v_cmp_le_i32_e64 s[2:3], v23, v22
	s_and_b64 s[2:3], vcc, s[2:3]
	s_and_b64 s[2:3], exec, s[2:3]
	s_or_b64 s[8:9], s[2:3], s[8:9]
	s_andn2_b64 exec, exec, s[8:9]
	s_cbranch_execnz .LBB71_9
.LBB71_10:
	s_or_b64 exec, exec, s[4:5]
	v_mov_b32_e32 v22, 0
	; wave barrier
	ds_read_b32 v21, v22 offset:128
	s_and_saveexec_b64 s[2:3], s[0:1]
	s_cbranch_execz .LBB71_12
; %bb.11:
	s_lshl_b64 s[4:5], s[6:7], 2
	s_add_u32 s4, s18, s4
	s_addc_u32 s5, s19, s5
	s_waitcnt lgkmcnt(0)
	global_store_dword v22, v21, s[4:5]
.LBB71_12:
	s_or_b64 exec, exec, s[2:3]
	s_waitcnt lgkmcnt(0)
	v_cmp_ne_u32_e32 vcc, 0, v21
	s_cbranch_vccz .LBB71_17
; %bb.13:
	s_mov_b64 s[0:1], 0
                                        ; implicit-def: $vgpr2_vgpr3_vgpr4_vgpr5_vgpr6_vgpr7_vgpr8_vgpr9_vgpr10_vgpr11_vgpr12_vgpr13_vgpr14_vgpr15_vgpr16_vgpr17
.LBB71_14:
	s_and_b64 vcc, exec, s[0:1]
	s_cbranch_vccz .LBB71_16
.LBB71_15:
	s_lshl_b64 s[0:1], s[6:7], 2
	s_add_u32 s0, s18, s0
	s_addc_u32 s1, s19, s1
	v_mov_b32_e32 v1, 0
	global_load_dword v1, v1, s[0:1]
	s_waitcnt vmcnt(0)
	v_cmp_ne_u32_e32 vcc, 0, v1
	s_cbranch_vccz .LBB71_42
.LBB71_16:
	s_endpgm
.LBB71_17:
	v_div_scale_f64 v[21:22], s[2:3], v[18:19], v[18:19], 1.0
	v_rcp_f64_e32 v[23:24], v[21:22]
	v_fma_f64 v[25:26], -v[21:22], v[23:24], 1.0
	v_fma_f64 v[23:24], v[23:24], v[25:26], v[23:24]
	v_div_scale_f64 v[25:26], vcc, 1.0, v[18:19], 1.0
	v_fma_f64 v[27:28], -v[21:22], v[23:24], 1.0
	v_fma_f64 v[23:24], v[23:24], v[27:28], v[23:24]
	v_mul_f64 v[27:28], v[25:26], v[23:24]
	v_fma_f64 v[21:22], -v[21:22], v[27:28], v[25:26]
	v_div_fmas_f64 v[21:22], v[21:22], v[23:24], v[27:28]
	v_cmp_eq_u32_e32 vcc, 7, v0
	v_div_fixup_f64 v[18:19], v[21:22], v[18:19], 1.0
	v_add_u32_e32 v22, 64, v20
	v_cndmask_b32_e32 v17, v17, v19, vcc
	v_cndmask_b32_e32 v16, v16, v18, vcc
	v_cmp_eq_u32_e32 vcc, 6, v0
	v_cndmask_b32_e32 v15, v15, v19, vcc
	v_cndmask_b32_e32 v14, v14, v18, vcc
	v_cmp_eq_u32_e32 vcc, 5, v0
	;; [unrolled: 3-line block ×7, first 2 shown]
	v_cndmask_b32_e32 v3, v3, v19, vcc
	v_cndmask_b32_e32 v2, v2, v18, vcc
	v_xor_b32_e32 v24, 0x80000000, v19
	v_mov_b32_e32 v23, v18
	ds_write2_b64 v20, v[23:24], v[4:5] offset1:8
	s_waitcnt lgkmcnt(0)
	; wave barrier
	s_and_saveexec_b64 s[2:3], s[0:1]
	s_cbranch_execz .LBB71_19
; %bb.18:
	ds_read_b64 v[4:5], v22
	v_mov_b32_e32 v20, 0
	ds_read_b64 v[20:21], v20 offset:8
	s_waitcnt lgkmcnt(1)
	v_fma_f64 v[4:5], v[18:19], v[4:5], 0
	s_waitcnt lgkmcnt(0)
	v_mul_f64 v[4:5], v[4:5], v[20:21]
.LBB71_19:
	s_or_b64 exec, exec, s[2:3]
	v_cmp_gt_u32_e32 vcc, 2, v0
	; wave barrier
	ds_write_b64 v22, v[6:7]
	s_waitcnt lgkmcnt(0)
	; wave barrier
	s_and_saveexec_b64 s[16:17], vcc
	s_cbranch_execz .LBB71_21
; %bb.20:
	v_cmp_eq_u32_e32 vcc, 1, v0
	v_cndmask_b32_e32 v18, v3, v5, vcc
	v_cmp_eq_u32_e64 s[2:3], 2, v0
	v_cndmask_b32_e64 v7, v18, v7, s[2:3]
	v_cndmask_b32_e32 v18, v2, v4, vcc
	v_cmp_eq_u32_e64 s[4:5], 3, v0
	v_cndmask_b32_e64 v6, v18, v6, s[2:3]
	v_cndmask_b32_e64 v7, v7, v9, s[4:5]
	v_cmp_eq_u32_e64 s[8:9], 4, v0
	v_cndmask_b32_e64 v6, v6, v8, s[4:5]
	ds_read_b64 v[18:19], v22
	v_cndmask_b32_e64 v7, v7, v11, s[8:9]
	v_cmp_eq_u32_e64 s[10:11], 5, v0
	v_cndmask_b32_e64 v6, v6, v10, s[8:9]
	v_cndmask_b32_e64 v7, v7, v13, s[10:11]
	v_cmp_eq_u32_e64 s[12:13], 6, v0
	v_cndmask_b32_e64 v6, v6, v12, s[10:11]
	v_cndmask_b32_e64 v7, v7, v15, s[12:13]
	v_cmp_eq_u32_e64 s[14:15], 7, v0
	v_cndmask_b32_e64 v6, v6, v14, s[12:13]
	v_cndmask_b32_e64 v7, v7, v17, s[14:15]
	v_cndmask_b32_e64 v6, v6, v16, s[14:15]
	s_waitcnt lgkmcnt(0)
	v_fma_f64 v[6:7], v[6:7], v[18:19], 0
	v_mov_b32_e32 v18, 0
	ds_read2_b64 v[18:21], v18 offset0:2 offset1:9
	s_waitcnt lgkmcnt(0)
	v_fma_f64 v[20:21], v[4:5], v[20:21], v[6:7]
	v_cndmask_b32_e64 v7, v7, v21, s[0:1]
	v_cndmask_b32_e64 v6, v6, v20, s[0:1]
	v_mul_f64 v[6:7], v[6:7], v[18:19]
.LBB71_21:
	s_or_b64 exec, exec, s[16:17]
	v_cmp_gt_u32_e32 vcc, 3, v0
	; wave barrier
	ds_write_b64 v22, v[8:9]
	s_waitcnt lgkmcnt(0)
	; wave barrier
	s_and_saveexec_b64 s[2:3], vcc
	s_cbranch_execz .LBB71_25
; %bb.22:
	v_mov_b32_e32 v18, 0
	v_mov_b32_e32 v21, v1
	v_lshl_add_u32 v23, v0, 3, 64
	v_mov_b32_e32 v19, 0
	s_mov_b64 s[4:5], 0
	v_mov_b32_e32 v20, v0
.LBB71_23:                              ; =>This Inner Loop Header: Depth=1
	v_cmp_eq_u32_e32 vcc, 1, v20
	v_cndmask_b32_e32 v26, v3, v5, vcc
	v_cmp_eq_u32_e64 s[0:1], 2, v20
	v_cndmask_b32_e64 v26, v26, v7, s[0:1]
	v_cndmask_b32_e32 v27, v2, v4, vcc
	v_cmp_eq_u32_e32 vcc, 3, v20
	v_cndmask_b32_e32 v26, v26, v9, vcc
	v_cndmask_b32_e64 v27, v27, v6, s[0:1]
	v_cmp_eq_u32_e64 s[0:1], 4, v20
	ds_read_b64 v[24:25], v23
	v_cndmask_b32_e64 v26, v26, v11, s[0:1]
	v_cndmask_b32_e32 v27, v27, v8, vcc
	v_cmp_eq_u32_e32 vcc, 5, v20
	v_cndmask_b32_e32 v26, v26, v13, vcc
	v_cndmask_b32_e64 v27, v27, v10, s[0:1]
	v_cmp_eq_u32_e64 s[0:1], 6, v20
	v_cndmask_b32_e64 v26, v26, v15, s[0:1]
	v_cndmask_b32_e32 v28, v27, v12, vcc
	v_cmp_eq_u32_e32 vcc, 7, v20
	v_cndmask_b32_e32 v27, v26, v17, vcc
	v_cndmask_b32_e64 v26, v28, v14, s[0:1]
	v_cndmask_b32_e32 v26, v26, v16, vcc
	s_waitcnt lgkmcnt(0)
	v_fma_f64 v[18:19], v[26:27], v[24:25], v[18:19]
	v_add_co_u32_e32 v20, vcc, 1, v20
	v_addc_co_u32_e32 v21, vcc, 0, v21, vcc
	v_add_u32_e32 v24, -1, v20
	v_cmp_lt_u32_e32 vcc, 1, v24
	s_or_b64 s[4:5], vcc, s[4:5]
	v_add_u32_e32 v23, 8, v23
	s_andn2_b64 exec, exec, s[4:5]
	s_cbranch_execnz .LBB71_23
; %bb.24:
	s_or_b64 exec, exec, s[4:5]
	v_mov_b32_e32 v8, 0
	ds_read_b64 v[8:9], v8 offset:24
	s_waitcnt lgkmcnt(0)
	v_mul_f64 v[8:9], v[18:19], v[8:9]
.LBB71_25:
	s_or_b64 exec, exec, s[2:3]
	v_cmp_gt_u32_e32 vcc, 4, v0
	; wave barrier
	ds_write_b64 v22, v[10:11]
	s_waitcnt lgkmcnt(0)
	; wave barrier
	s_and_saveexec_b64 s[2:3], vcc
	s_cbranch_execz .LBB71_29
; %bb.26:
	v_mov_b32_e32 v18, 0
	v_mov_b32_e32 v21, v1
	v_lshl_add_u32 v23, v0, 3, 64
	v_mov_b32_e32 v19, 0
	s_mov_b64 s[4:5], 0
	v_mov_b32_e32 v20, v0
.LBB71_27:                              ; =>This Inner Loop Header: Depth=1
	v_cmp_eq_u32_e32 vcc, 1, v20
	v_cndmask_b32_e32 v26, v3, v5, vcc
	v_cmp_eq_u32_e64 s[0:1], 2, v20
	v_cndmask_b32_e64 v26, v26, v7, s[0:1]
	v_cndmask_b32_e32 v27, v2, v4, vcc
	v_cmp_eq_u32_e32 vcc, 3, v20
	v_cndmask_b32_e32 v26, v26, v9, vcc
	v_cndmask_b32_e64 v27, v27, v6, s[0:1]
	v_cmp_eq_u32_e64 s[0:1], 4, v20
	ds_read_b64 v[24:25], v23
	v_cndmask_b32_e64 v26, v26, v11, s[0:1]
	v_cndmask_b32_e32 v27, v27, v8, vcc
	v_cmp_eq_u32_e32 vcc, 5, v20
	v_cndmask_b32_e32 v26, v26, v13, vcc
	v_cndmask_b32_e64 v27, v27, v10, s[0:1]
	v_cmp_eq_u32_e64 s[0:1], 6, v20
	v_cndmask_b32_e64 v26, v26, v15, s[0:1]
	v_cndmask_b32_e32 v28, v27, v12, vcc
	v_cmp_eq_u32_e32 vcc, 7, v20
	v_cndmask_b32_e32 v27, v26, v17, vcc
	v_cndmask_b32_e64 v26, v28, v14, s[0:1]
	v_cndmask_b32_e32 v26, v26, v16, vcc
	s_waitcnt lgkmcnt(0)
	v_fma_f64 v[18:19], v[26:27], v[24:25], v[18:19]
	v_add_co_u32_e32 v20, vcc, 1, v20
	v_addc_co_u32_e32 v21, vcc, 0, v21, vcc
	v_add_u32_e32 v24, -1, v20
	v_cmp_lt_u32_e32 vcc, 2, v24
	s_or_b64 s[4:5], vcc, s[4:5]
	v_add_u32_e32 v23, 8, v23
	s_andn2_b64 exec, exec, s[4:5]
	s_cbranch_execnz .LBB71_27
; %bb.28:
	s_or_b64 exec, exec, s[4:5]
	v_mov_b32_e32 v10, 0
	ds_read_b64 v[10:11], v10 offset:32
	s_waitcnt lgkmcnt(0)
	v_mul_f64 v[10:11], v[18:19], v[10:11]
.LBB71_29:
	s_or_b64 exec, exec, s[2:3]
	v_cmp_gt_u32_e32 vcc, 5, v0
	; wave barrier
	ds_write_b64 v22, v[12:13]
	s_waitcnt lgkmcnt(0)
	; wave barrier
	s_and_saveexec_b64 s[2:3], vcc
	s_cbranch_execz .LBB71_33
; %bb.30:
	v_mov_b32_e32 v18, 0
	v_mov_b32_e32 v21, v1
	v_lshl_add_u32 v23, v0, 3, 64
	v_mov_b32_e32 v19, 0
	s_mov_b64 s[4:5], 0
	v_mov_b32_e32 v20, v0
.LBB71_31:                              ; =>This Inner Loop Header: Depth=1
	v_cmp_eq_u32_e32 vcc, 1, v20
	v_cndmask_b32_e32 v26, v3, v5, vcc
	v_cmp_eq_u32_e64 s[0:1], 2, v20
	v_cndmask_b32_e64 v26, v26, v7, s[0:1]
	v_cndmask_b32_e32 v27, v2, v4, vcc
	v_cmp_eq_u32_e32 vcc, 3, v20
	v_cndmask_b32_e32 v26, v26, v9, vcc
	v_cndmask_b32_e64 v27, v27, v6, s[0:1]
	v_cmp_eq_u32_e64 s[0:1], 4, v20
	ds_read_b64 v[24:25], v23
	v_cndmask_b32_e64 v26, v26, v11, s[0:1]
	v_cndmask_b32_e32 v27, v27, v8, vcc
	v_cmp_eq_u32_e32 vcc, 5, v20
	v_cndmask_b32_e32 v26, v26, v13, vcc
	v_cndmask_b32_e64 v27, v27, v10, s[0:1]
	v_cmp_eq_u32_e64 s[0:1], 6, v20
	v_cndmask_b32_e64 v26, v26, v15, s[0:1]
	v_cndmask_b32_e32 v28, v27, v12, vcc
	v_cmp_eq_u32_e32 vcc, 7, v20
	v_cndmask_b32_e32 v27, v26, v17, vcc
	v_cndmask_b32_e64 v26, v28, v14, s[0:1]
	v_cndmask_b32_e32 v26, v26, v16, vcc
	s_waitcnt lgkmcnt(0)
	v_fma_f64 v[18:19], v[26:27], v[24:25], v[18:19]
	v_add_co_u32_e32 v20, vcc, 1, v20
	v_addc_co_u32_e32 v21, vcc, 0, v21, vcc
	v_add_u32_e32 v24, -1, v20
	v_cmp_lt_u32_e32 vcc, 3, v24
	s_or_b64 s[4:5], vcc, s[4:5]
	v_add_u32_e32 v23, 8, v23
	s_andn2_b64 exec, exec, s[4:5]
	s_cbranch_execnz .LBB71_31
; %bb.32:
	s_or_b64 exec, exec, s[4:5]
	v_mov_b32_e32 v12, 0
	ds_read_b64 v[12:13], v12 offset:40
	s_waitcnt lgkmcnt(0)
	v_mul_f64 v[12:13], v[18:19], v[12:13]
.LBB71_33:
	s_or_b64 exec, exec, s[2:3]
	v_cmp_gt_u32_e32 vcc, 6, v0
	; wave barrier
	ds_write_b64 v22, v[14:15]
	s_waitcnt lgkmcnt(0)
	; wave barrier
	s_and_saveexec_b64 s[2:3], vcc
	s_cbranch_execz .LBB71_37
; %bb.34:
	v_mov_b32_e32 v18, 0
	v_mov_b32_e32 v21, v1
	v_lshl_add_u32 v23, v0, 3, 64
	v_mov_b32_e32 v19, 0
	s_mov_b64 s[4:5], 0
	v_mov_b32_e32 v20, v0
.LBB71_35:                              ; =>This Inner Loop Header: Depth=1
	v_cmp_eq_u32_e32 vcc, 1, v20
	v_cndmask_b32_e32 v26, v3, v5, vcc
	v_cmp_eq_u32_e64 s[0:1], 2, v20
	v_cndmask_b32_e64 v26, v26, v7, s[0:1]
	v_cndmask_b32_e32 v27, v2, v4, vcc
	v_cmp_eq_u32_e32 vcc, 3, v20
	v_cndmask_b32_e32 v26, v26, v9, vcc
	v_cndmask_b32_e64 v27, v27, v6, s[0:1]
	v_cmp_eq_u32_e64 s[0:1], 4, v20
	ds_read_b64 v[24:25], v23
	v_cndmask_b32_e64 v26, v26, v11, s[0:1]
	v_cndmask_b32_e32 v27, v27, v8, vcc
	v_cmp_eq_u32_e32 vcc, 5, v20
	v_cndmask_b32_e32 v26, v26, v13, vcc
	v_cndmask_b32_e64 v27, v27, v10, s[0:1]
	v_cmp_eq_u32_e64 s[0:1], 6, v20
	v_cndmask_b32_e64 v26, v26, v15, s[0:1]
	v_cndmask_b32_e32 v28, v27, v12, vcc
	v_cmp_eq_u32_e32 vcc, 7, v20
	v_cndmask_b32_e32 v27, v26, v17, vcc
	v_cndmask_b32_e64 v26, v28, v14, s[0:1]
	v_cndmask_b32_e32 v26, v26, v16, vcc
	s_waitcnt lgkmcnt(0)
	v_fma_f64 v[18:19], v[26:27], v[24:25], v[18:19]
	v_add_co_u32_e32 v20, vcc, 1, v20
	v_addc_co_u32_e32 v21, vcc, 0, v21, vcc
	v_add_u32_e32 v24, -1, v20
	v_cmp_lt_u32_e32 vcc, 4, v24
	s_or_b64 s[4:5], vcc, s[4:5]
	v_add_u32_e32 v23, 8, v23
	s_andn2_b64 exec, exec, s[4:5]
	s_cbranch_execnz .LBB71_35
; %bb.36:
	s_or_b64 exec, exec, s[4:5]
	v_mov_b32_e32 v14, 0
	ds_read_b64 v[14:15], v14 offset:48
	s_waitcnt lgkmcnt(0)
	v_mul_f64 v[14:15], v[18:19], v[14:15]
.LBB71_37:
	s_or_b64 exec, exec, s[2:3]
	v_cmp_ne_u32_e32 vcc, 7, v0
	; wave barrier
	ds_write_b64 v22, v[16:17]
	s_waitcnt lgkmcnt(0)
	; wave barrier
	s_and_saveexec_b64 s[2:3], vcc
	s_cbranch_execz .LBB71_41
; %bb.38:
	v_mov_b32_e32 v18, 0
	v_mov_b32_e32 v21, v1
	v_lshl_add_u32 v22, v0, 3, 64
	v_mov_b32_e32 v19, 0
	s_mov_b64 s[4:5], 0
	v_mov_b32_e32 v20, v0
.LBB71_39:                              ; =>This Inner Loop Header: Depth=1
	v_cmp_eq_u32_e32 vcc, 1, v20
	v_cndmask_b32_e32 v1, v3, v5, vcc
	v_cmp_eq_u32_e64 s[0:1], 2, v20
	v_cndmask_b32_e64 v1, v1, v7, s[0:1]
	v_cndmask_b32_e32 v25, v2, v4, vcc
	v_cmp_eq_u32_e32 vcc, 3, v20
	v_cndmask_b32_e32 v1, v1, v9, vcc
	v_cndmask_b32_e64 v25, v25, v6, s[0:1]
	v_cmp_eq_u32_e64 s[0:1], 4, v20
	ds_read_b64 v[23:24], v22
	v_cndmask_b32_e64 v1, v1, v11, s[0:1]
	v_cndmask_b32_e32 v25, v25, v8, vcc
	v_cmp_eq_u32_e32 vcc, 5, v20
	v_cndmask_b32_e32 v1, v1, v13, vcc
	v_cndmask_b32_e64 v25, v25, v10, s[0:1]
	v_cmp_eq_u32_e64 s[0:1], 6, v20
	v_cndmask_b32_e64 v1, v1, v15, s[0:1]
	v_cndmask_b32_e32 v25, v25, v12, vcc
	v_cmp_eq_u32_e32 vcc, 7, v20
	v_cndmask_b32_e32 v26, v1, v17, vcc
	v_cndmask_b32_e64 v1, v25, v14, s[0:1]
	v_cndmask_b32_e32 v25, v1, v16, vcc
	s_waitcnt lgkmcnt(0)
	v_fma_f64 v[18:19], v[25:26], v[23:24], v[18:19]
	v_add_co_u32_e32 v20, vcc, 1, v20
	v_addc_co_u32_e32 v21, vcc, 0, v21, vcc
	v_add_u32_e32 v1, -1, v20
	v_cmp_lt_u32_e32 vcc, 5, v1
	s_or_b64 s[4:5], vcc, s[4:5]
	v_add_u32_e32 v22, 8, v22
	s_andn2_b64 exec, exec, s[4:5]
	s_cbranch_execnz .LBB71_39
; %bb.40:
	s_or_b64 exec, exec, s[4:5]
	v_mov_b32_e32 v1, 0
	ds_read_b64 v[16:17], v1 offset:56
	s_waitcnt lgkmcnt(0)
	v_mul_f64 v[16:17], v[18:19], v[16:17]
.LBB71_41:
	s_or_b64 exec, exec, s[2:3]
	; wave barrier
	s_cbranch_execnz .LBB71_15
	s_branch .LBB71_16
.LBB71_42:
	v_lshl_add_u32 v1, v0, 3, 64
	v_cmp_eq_u32_e32 vcc, 7, v0
	s_and_saveexec_b64 s[0:1], vcc
	s_cbranch_execz .LBB71_44
; %bb.43:
	s_waitcnt lgkmcnt(0)
	v_mov_b32_e32 v31, v17
	s_mov_b32 s2, 0
	v_mov_b32_e32 v30, v16
	v_mov_b32_e32 v29, v15
	;; [unrolled: 1-line block ×17, first 2 shown]
	ds_write_b64 v1, v[14:15]
	v_mov_b32_e32 v2, v16
	v_mov_b32_e32 v3, v17
	;; [unrolled: 1-line block ×16, first 2 shown]
.LBB71_44:
	s_or_b64 exec, exec, s[0:1]
	v_mov_b32_e32 v30, 0
	s_waitcnt lgkmcnt(0)
	; wave barrier
	ds_read_b64 v[18:19], v30 offset:120
	v_cmp_lt_u32_e32 vcc, 5, v0
	s_waitcnt lgkmcnt(0)
	v_fma_f64 v[18:19], v[16:17], v[18:19], 0
	v_add_f64 v[14:15], v[14:15], -v[18:19]
	s_and_saveexec_b64 s[0:1], vcc
	s_cbranch_execz .LBB71_46
; %bb.45:
	v_mov_b32_e32 v29, v17
	s_mov_b32 s2, 0
	v_mov_b32_e32 v28, v16
	v_mov_b32_e32 v27, v15
	;; [unrolled: 1-line block ×17, first 2 shown]
	ds_write_b64 v1, v[12:13]
	v_mov_b32_e32 v2, v14
	v_mov_b32_e32 v3, v15
	;; [unrolled: 1-line block ×16, first 2 shown]
.LBB71_46:
	s_or_b64 exec, exec, s[0:1]
	s_waitcnt lgkmcnt(0)
	; wave barrier
	ds_read_b128 v[18:21], v30 offset:112
	v_cmp_lt_u32_e32 vcc, 4, v0
	s_waitcnt lgkmcnt(0)
	v_fma_f64 v[18:19], v[14:15], v[18:19], 0
	v_fma_f64 v[18:19], v[16:17], v[20:21], v[18:19]
	v_add_f64 v[12:13], v[12:13], -v[18:19]
	s_and_saveexec_b64 s[0:1], vcc
	s_cbranch_execz .LBB71_48
; %bb.47:
	v_mov_b32_e32 v27, v17
	s_mov_b32 s2, 0
	v_mov_b32_e32 v26, v16
	v_mov_b32_e32 v25, v15
	v_mov_b32_e32 v24, v14
	v_mov_b32_e32 v23, v13
	v_mov_b32_e32 v22, v12
	v_mov_b32_e32 v21, v11
	v_mov_b32_e32 v20, v10
	v_mov_b32_e32 v19, v9
	v_mov_b32_e32 v18, v8
	v_mov_b32_e32 v17, v7
	v_mov_b32_e32 v16, v6
	v_mov_b32_e32 v15, v5
	v_mov_b32_e32 v14, v4
	v_mov_b32_e32 v13, v3
	v_mov_b32_e32 v12, v2
	v_mov_b32_e32 v20, s2
	v_mov_b32_e32 v21, s2
	ds_write_b64 v1, v[10:11]
	v_mov_b32_e32 v2, v12
	v_mov_b32_e32 v3, v13
	;; [unrolled: 1-line block ×16, first 2 shown]
.LBB71_48:
	s_or_b64 exec, exec, s[0:1]
	v_mov_b32_e32 v26, 0
	s_waitcnt lgkmcnt(0)
	; wave barrier
	ds_read2_b64 v[18:21], v26 offset0:13 offset1:14
	ds_read_b64 v[22:23], v26 offset:120
	v_cmp_lt_u32_e32 vcc, 3, v0
	s_waitcnt lgkmcnt(1)
	v_fma_f64 v[18:19], v[12:13], v[18:19], 0
	v_fma_f64 v[18:19], v[14:15], v[20:21], v[18:19]
	s_waitcnt lgkmcnt(0)
	v_fma_f64 v[18:19], v[16:17], v[22:23], v[18:19]
	v_add_f64 v[10:11], v[10:11], -v[18:19]
	s_and_saveexec_b64 s[0:1], vcc
	s_cbranch_execz .LBB71_50
; %bb.49:
	v_mov_b32_e32 v25, v17
	s_mov_b32 s2, 0
	v_mov_b32_e32 v24, v16
	v_mov_b32_e32 v23, v15
	;; [unrolled: 1-line block ×17, first 2 shown]
	ds_write_b64 v1, v[8:9]
	v_mov_b32_e32 v2, v10
	v_mov_b32_e32 v3, v11
	;; [unrolled: 1-line block ×16, first 2 shown]
.LBB71_50:
	s_or_b64 exec, exec, s[0:1]
	s_waitcnt lgkmcnt(0)
	; wave barrier
	ds_read_b128 v[18:21], v26 offset:96
	ds_read_b128 v[22:25], v26 offset:112
	v_cmp_lt_u32_e32 vcc, 2, v0
	s_waitcnt lgkmcnt(1)
	v_fma_f64 v[18:19], v[10:11], v[18:19], 0
	v_fma_f64 v[18:19], v[12:13], v[20:21], v[18:19]
	s_waitcnt lgkmcnt(0)
	v_fma_f64 v[18:19], v[14:15], v[22:23], v[18:19]
	v_fma_f64 v[18:19], v[16:17], v[24:25], v[18:19]
	v_add_f64 v[8:9], v[8:9], -v[18:19]
	s_and_saveexec_b64 s[0:1], vcc
	s_cbranch_execz .LBB71_52
; %bb.51:
	v_mov_b32_e32 v23, v17
	s_mov_b32 s2, 0
	v_mov_b32_e32 v22, v16
	v_mov_b32_e32 v21, v15
	;; [unrolled: 1-line block ×17, first 2 shown]
	ds_write_b64 v1, v[6:7]
	v_mov_b32_e32 v2, v8
	v_mov_b32_e32 v3, v9
	;; [unrolled: 1-line block ×16, first 2 shown]
.LBB71_52:
	s_or_b64 exec, exec, s[0:1]
	v_mov_b32_e32 v22, 0
	s_waitcnt lgkmcnt(0)
	; wave barrier
	ds_read2_b64 v[18:21], v22 offset0:11 offset1:12
	ds_read2_b64 v[23:26], v22 offset0:13 offset1:14
	v_cmp_lt_u32_e32 vcc, 1, v0
	s_waitcnt lgkmcnt(1)
	v_fma_f64 v[18:19], v[8:9], v[18:19], 0
	v_fma_f64 v[18:19], v[10:11], v[20:21], v[18:19]
	ds_read_b64 v[20:21], v22 offset:120
	s_waitcnt lgkmcnt(1)
	v_fma_f64 v[18:19], v[12:13], v[23:24], v[18:19]
	v_fma_f64 v[18:19], v[14:15], v[25:26], v[18:19]
	s_waitcnt lgkmcnt(0)
	v_fma_f64 v[18:19], v[16:17], v[20:21], v[18:19]
	v_add_f64 v[6:7], v[6:7], -v[18:19]
	s_and_saveexec_b64 s[0:1], vcc
	s_cbranch_execz .LBB71_54
; %bb.53:
	v_mov_b32_e32 v21, v17
	s_mov_b32 s2, 0
	v_mov_b32_e32 v20, v16
	v_mov_b32_e32 v19, v15
	;; [unrolled: 1-line block ×17, first 2 shown]
	ds_write_b64 v1, v[4:5]
	v_mov_b32_e32 v2, v6
	v_mov_b32_e32 v3, v7
	;; [unrolled: 1-line block ×16, first 2 shown]
.LBB71_54:
	s_or_b64 exec, exec, s[0:1]
	s_waitcnt lgkmcnt(0)
	; wave barrier
	ds_read_b128 v[18:21], v22 offset:80
	ds_read_b128 v[23:26], v22 offset:96
	s_mov_b32 s2, 0
	v_cmp_ne_u32_e32 vcc, 0, v0
	s_waitcnt lgkmcnt(1)
	v_fma_f64 v[18:19], v[6:7], v[18:19], 0
	v_fma_f64 v[18:19], v[8:9], v[20:21], v[18:19]
	s_waitcnt lgkmcnt(0)
	v_fma_f64 v[18:19], v[10:11], v[23:24], v[18:19]
	v_fma_f64 v[23:24], v[12:13], v[25:26], v[18:19]
	ds_read_b128 v[18:21], v22 offset:112
	s_waitcnt lgkmcnt(0)
	v_fma_f64 v[18:19], v[14:15], v[18:19], v[23:24]
	v_fma_f64 v[18:19], v[16:17], v[20:21], v[18:19]
	v_add_f64 v[4:5], v[4:5], -v[18:19]
	s_and_saveexec_b64 s[0:1], vcc
	s_cbranch_execz .LBB71_56
; %bb.55:
	v_mov_b32_e32 v19, v17
	v_mov_b32_e32 v18, v16
	;; [unrolled: 1-line block ×18, first 2 shown]
	ds_write_b64 v1, v[2:3]
	v_mov_b32_e32 v2, v4
	v_mov_b32_e32 v3, v5
	;; [unrolled: 1-line block ×16, first 2 shown]
.LBB71_56:
	s_or_b64 exec, exec, s[0:1]
	v_mov_b32_e32 v0, 0
	s_waitcnt lgkmcnt(0)
	; wave barrier
	ds_read2_b64 v[18:21], v0 offset0:9 offset1:10
	ds_read2_b64 v[22:25], v0 offset0:11 offset1:12
	s_and_b64 vcc, exec, s[22:23]
	s_waitcnt lgkmcnt(1)
	v_fma_f64 v[18:19], v[4:5], v[18:19], 0
	v_fma_f64 v[18:19], v[6:7], v[20:21], v[18:19]
	s_waitcnt lgkmcnt(0)
	v_fma_f64 v[18:19], v[8:9], v[22:23], v[18:19]
	v_fma_f64 v[22:23], v[10:11], v[24:25], v[18:19]
	ds_read2_b64 v[18:21], v0 offset0:13 offset1:14
	ds_read_b64 v[24:25], v0 offset:120
	s_waitcnt lgkmcnt(1)
	v_fma_f64 v[18:19], v[12:13], v[18:19], v[22:23]
	v_fma_f64 v[18:19], v[14:15], v[20:21], v[18:19]
	s_waitcnt lgkmcnt(0)
	v_fma_f64 v[18:19], v[16:17], v[24:25], v[18:19]
	v_add_f64 v[2:3], v[2:3], -v[18:19]
	s_cbranch_vccz .LBB71_71
; %bb.57:
	global_load_dword v0, v0, s[20:21] offset:24
	s_waitcnt vmcnt(0)
	v_readfirstlane_b32 s0, v0
	s_add_i32 s0, s0, -1
	s_cmp_lg_u32 s0, 6
	s_cbranch_scc0 .LBB71_59
; %bb.58:
	s_lshl_b32 s0, s0, 1
	s_set_gpr_idx_on s0, gpr_idx(SRC0)
	v_mov_b32_e32 v0, v3
	v_mov_b32_e32 v1, v2
	s_set_gpr_idx_off
	v_mov_b32_e32 v31, v17
	v_mov_b32_e32 v29, v15
	;; [unrolled: 1-line block ×18, first 2 shown]
	s_set_gpr_idx_on s0, gpr_idx(DST)
	v_mov_b32_e32 v16, v14
	v_mov_b32_e32 v17, v15
	s_set_gpr_idx_off
	v_mov_b32_e32 v2, v16
	v_mov_b32_e32 v3, v17
	;; [unrolled: 1-line block ×16, first 2 shown]
.LBB71_59:
	v_mov_b32_e32 v0, 0
	global_load_dword v1, v0, s[20:21] offset:20
	s_waitcnt vmcnt(0)
	v_readfirstlane_b32 s0, v1
	s_add_i32 s0, s0, -1
	s_cmp_eq_u32 s0, 5
	s_cbranch_scc1 .LBB71_61
; %bb.60:
	s_lshl_b32 s0, s0, 1
	s_set_gpr_idx_on s0, gpr_idx(SRC0)
	v_mov_b32_e32 v1, v3
	v_mov_b32_e32 v30, v2
	s_set_gpr_idx_off
	v_mov_b32_e32 v29, v17
	v_mov_b32_e32 v25, v13
	;; [unrolled: 1-line block ×18, first 2 shown]
	s_set_gpr_idx_on s0, gpr_idx(DST)
	v_mov_b32_e32 v14, v12
	v_mov_b32_e32 v15, v13
	s_set_gpr_idx_off
	v_mov_b32_e32 v2, v14
	v_mov_b32_e32 v3, v15
	;; [unrolled: 1-line block ×16, first 2 shown]
.LBB71_61:
	global_load_dword v0, v0, s[20:21] offset:16
	s_waitcnt vmcnt(0)
	v_readfirstlane_b32 s0, v0
	s_add_i32 s0, s0, -1
	s_cmp_eq_u32 s0, 4
	s_cbranch_scc1 .LBB71_63
; %bb.62:
	s_lshl_b32 s0, s0, 1
	s_set_gpr_idx_on s0, gpr_idx(SRC0)
	v_mov_b32_e32 v0, v3
	v_mov_b32_e32 v1, v2
	s_set_gpr_idx_off
	v_mov_b32_e32 v27, v17
	v_mov_b32_e32 v21, v11
	;; [unrolled: 1-line block ×18, first 2 shown]
	s_set_gpr_idx_on s0, gpr_idx(DST)
	v_mov_b32_e32 v12, v10
	v_mov_b32_e32 v13, v11
	s_set_gpr_idx_off
	v_mov_b32_e32 v2, v12
	v_mov_b32_e32 v3, v13
	;; [unrolled: 1-line block ×16, first 2 shown]
.LBB71_63:
	v_mov_b32_e32 v0, 0
	global_load_dword v1, v0, s[20:21] offset:12
	s_waitcnt vmcnt(0)
	v_readfirstlane_b32 s0, v1
	s_add_i32 s0, s0, -1
	s_cmp_eq_u32 s0, 3
	s_cbranch_scc1 .LBB71_65
; %bb.64:
	s_lshl_b32 s0, s0, 1
	s_set_gpr_idx_on s0, gpr_idx(SRC0)
	v_mov_b32_e32 v1, v3
	v_mov_b32_e32 v26, v2
	s_set_gpr_idx_off
	v_mov_b32_e32 v25, v17
	v_mov_b32_e32 v24, v16
	;; [unrolled: 1-line block ×18, first 2 shown]
	s_set_gpr_idx_on s0, gpr_idx(DST)
	v_mov_b32_e32 v10, v8
	v_mov_b32_e32 v11, v9
	s_set_gpr_idx_off
	v_mov_b32_e32 v2, v10
	v_mov_b32_e32 v3, v11
	;; [unrolled: 1-line block ×16, first 2 shown]
.LBB71_65:
	global_load_dword v0, v0, s[20:21] offset:8
	s_waitcnt vmcnt(0)
	v_readfirstlane_b32 s0, v0
	s_add_i32 s0, s0, -1
	s_cmp_eq_u32 s0, 2
	s_cbranch_scc1 .LBB71_67
; %bb.66:
	s_lshl_b32 s0, s0, 1
	s_set_gpr_idx_on s0, gpr_idx(SRC0)
	v_mov_b32_e32 v0, v3
	v_mov_b32_e32 v1, v2
	s_set_gpr_idx_off
	v_mov_b32_e32 v23, v17
	v_mov_b32_e32 v22, v16
	;; [unrolled: 1-line block ×18, first 2 shown]
	s_set_gpr_idx_on s0, gpr_idx(DST)
	v_mov_b32_e32 v8, v6
	v_mov_b32_e32 v9, v7
	s_set_gpr_idx_off
	v_mov_b32_e32 v2, v8
	v_mov_b32_e32 v3, v9
	;; [unrolled: 1-line block ×16, first 2 shown]
.LBB71_67:
	v_mov_b32_e32 v0, 0
	global_load_dword v1, v0, s[20:21] offset:4
	s_waitcnt vmcnt(0)
	v_readfirstlane_b32 s0, v1
	s_add_i32 s0, s0, -1
	s_cmp_eq_u32 s0, 1
	s_cbranch_scc1 .LBB71_69
; %bb.68:
	s_lshl_b32 s0, s0, 1
	s_set_gpr_idx_on s0, gpr_idx(SRC0)
	v_mov_b32_e32 v1, v3
	v_mov_b32_e32 v22, v2
	s_set_gpr_idx_off
	v_mov_b32_e32 v21, v17
	v_mov_b32_e32 v20, v16
	;; [unrolled: 1-line block ×18, first 2 shown]
	s_set_gpr_idx_on s0, gpr_idx(DST)
	v_mov_b32_e32 v6, v4
	v_mov_b32_e32 v7, v5
	s_set_gpr_idx_off
	v_mov_b32_e32 v2, v6
	v_mov_b32_e32 v3, v7
	;; [unrolled: 1-line block ×16, first 2 shown]
.LBB71_69:
	global_load_dword v0, v0, s[20:21]
	s_waitcnt vmcnt(0)
	v_readfirstlane_b32 s0, v0
	s_add_i32 s0, s0, -1
	s_cmp_eq_u32 s0, 0
	s_cbranch_scc1 .LBB71_71
; %bb.70:
	s_lshl_b32 s0, s0, 1
	s_set_gpr_idx_on s0, gpr_idx(SRC0)
	v_mov_b32_e32 v0, v3
	v_mov_b32_e32 v1, v2
	s_set_gpr_idx_off
	v_mov_b32_e32 v19, v17
	v_mov_b32_e32 v18, v16
	v_mov_b32_e32 v17, v15
	v_mov_b32_e32 v16, v14
	v_mov_b32_e32 v15, v13
	v_mov_b32_e32 v14, v12
	v_mov_b32_e32 v13, v11
	v_mov_b32_e32 v12, v10
	v_mov_b32_e32 v11, v9
	v_mov_b32_e32 v10, v8
	v_mov_b32_e32 v9, v7
	v_mov_b32_e32 v8, v6
	v_mov_b32_e32 v7, v5
	v_mov_b32_e32 v6, v4
	v_mov_b32_e32 v5, v3
	v_mov_b32_e32 v4, v2
	v_mov_b32_e32 v4, v1
	v_mov_b32_e32 v5, v0
	s_set_gpr_idx_on s0, gpr_idx(DST)
	v_mov_b32_e32 v4, v2
	v_mov_b32_e32 v5, v3
	s_set_gpr_idx_off
	v_mov_b32_e32 v2, v4
	v_mov_b32_e32 v3, v5
	;; [unrolled: 1-line block ×16, first 2 shown]
.LBB71_71:
	flat_store_dwordx2 v[32:33], v[2:3]
	flat_store_dwordx2 v[46:47], v[4:5]
	;; [unrolled: 1-line block ×8, first 2 shown]
	s_endpgm
	.section	.rodata,"a",@progbits
	.p2align	6, 0x0
	.amdhsa_kernel _ZN9rocsolver6v33100L18getri_kernel_smallILi8EdPKPdEEvT1_iilPiilS6_bb
		.amdhsa_group_segment_fixed_size 136
		.amdhsa_private_segment_fixed_size 0
		.amdhsa_kernarg_size 60
		.amdhsa_user_sgpr_count 6
		.amdhsa_user_sgpr_private_segment_buffer 1
		.amdhsa_user_sgpr_dispatch_ptr 0
		.amdhsa_user_sgpr_queue_ptr 0
		.amdhsa_user_sgpr_kernarg_segment_ptr 1
		.amdhsa_user_sgpr_dispatch_id 0
		.amdhsa_user_sgpr_flat_scratch_init 0
		.amdhsa_user_sgpr_private_segment_size 0
		.amdhsa_uses_dynamic_stack 0
		.amdhsa_system_sgpr_private_segment_wavefront_offset 0
		.amdhsa_system_sgpr_workgroup_id_x 1
		.amdhsa_system_sgpr_workgroup_id_y 0
		.amdhsa_system_sgpr_workgroup_id_z 0
		.amdhsa_system_sgpr_workgroup_info 0
		.amdhsa_system_vgpr_workitem_id 0
		.amdhsa_next_free_vgpr 48
		.amdhsa_next_free_sgpr 24
		.amdhsa_reserve_vcc 1
		.amdhsa_reserve_flat_scratch 0
		.amdhsa_float_round_mode_32 0
		.amdhsa_float_round_mode_16_64 0
		.amdhsa_float_denorm_mode_32 3
		.amdhsa_float_denorm_mode_16_64 3
		.amdhsa_dx10_clamp 1
		.amdhsa_ieee_mode 1
		.amdhsa_fp16_overflow 0
		.amdhsa_exception_fp_ieee_invalid_op 0
		.amdhsa_exception_fp_denorm_src 0
		.amdhsa_exception_fp_ieee_div_zero 0
		.amdhsa_exception_fp_ieee_overflow 0
		.amdhsa_exception_fp_ieee_underflow 0
		.amdhsa_exception_fp_ieee_inexact 0
		.amdhsa_exception_int_div_zero 0
	.end_amdhsa_kernel
	.section	.text._ZN9rocsolver6v33100L18getri_kernel_smallILi8EdPKPdEEvT1_iilPiilS6_bb,"axG",@progbits,_ZN9rocsolver6v33100L18getri_kernel_smallILi8EdPKPdEEvT1_iilPiilS6_bb,comdat
.Lfunc_end71:
	.size	_ZN9rocsolver6v33100L18getri_kernel_smallILi8EdPKPdEEvT1_iilPiilS6_bb, .Lfunc_end71-_ZN9rocsolver6v33100L18getri_kernel_smallILi8EdPKPdEEvT1_iilPiilS6_bb
                                        ; -- End function
	.set _ZN9rocsolver6v33100L18getri_kernel_smallILi8EdPKPdEEvT1_iilPiilS6_bb.num_vgpr, 48
	.set _ZN9rocsolver6v33100L18getri_kernel_smallILi8EdPKPdEEvT1_iilPiilS6_bb.num_agpr, 0
	.set _ZN9rocsolver6v33100L18getri_kernel_smallILi8EdPKPdEEvT1_iilPiilS6_bb.numbered_sgpr, 24
	.set _ZN9rocsolver6v33100L18getri_kernel_smallILi8EdPKPdEEvT1_iilPiilS6_bb.num_named_barrier, 0
	.set _ZN9rocsolver6v33100L18getri_kernel_smallILi8EdPKPdEEvT1_iilPiilS6_bb.private_seg_size, 0
	.set _ZN9rocsolver6v33100L18getri_kernel_smallILi8EdPKPdEEvT1_iilPiilS6_bb.uses_vcc, 1
	.set _ZN9rocsolver6v33100L18getri_kernel_smallILi8EdPKPdEEvT1_iilPiilS6_bb.uses_flat_scratch, 0
	.set _ZN9rocsolver6v33100L18getri_kernel_smallILi8EdPKPdEEvT1_iilPiilS6_bb.has_dyn_sized_stack, 0
	.set _ZN9rocsolver6v33100L18getri_kernel_smallILi8EdPKPdEEvT1_iilPiilS6_bb.has_recursion, 0
	.set _ZN9rocsolver6v33100L18getri_kernel_smallILi8EdPKPdEEvT1_iilPiilS6_bb.has_indirect_call, 0
	.section	.AMDGPU.csdata,"",@progbits
; Kernel info:
; codeLenInByte = 5860
; TotalNumSgprs: 28
; NumVgprs: 48
; ScratchSize: 0
; MemoryBound: 0
; FloatMode: 240
; IeeeMode: 1
; LDSByteSize: 136 bytes/workgroup (compile time only)
; SGPRBlocks: 3
; VGPRBlocks: 11
; NumSGPRsForWavesPerEU: 28
; NumVGPRsForWavesPerEU: 48
; Occupancy: 5
; WaveLimiterHint : 1
; COMPUTE_PGM_RSRC2:SCRATCH_EN: 0
; COMPUTE_PGM_RSRC2:USER_SGPR: 6
; COMPUTE_PGM_RSRC2:TRAP_HANDLER: 0
; COMPUTE_PGM_RSRC2:TGID_X_EN: 1
; COMPUTE_PGM_RSRC2:TGID_Y_EN: 0
; COMPUTE_PGM_RSRC2:TGID_Z_EN: 0
; COMPUTE_PGM_RSRC2:TIDIG_COMP_CNT: 0
	.section	.text._ZN9rocsolver6v33100L18getri_kernel_smallILi9EdPKPdEEvT1_iilPiilS6_bb,"axG",@progbits,_ZN9rocsolver6v33100L18getri_kernel_smallILi9EdPKPdEEvT1_iilPiilS6_bb,comdat
	.globl	_ZN9rocsolver6v33100L18getri_kernel_smallILi9EdPKPdEEvT1_iilPiilS6_bb ; -- Begin function _ZN9rocsolver6v33100L18getri_kernel_smallILi9EdPKPdEEvT1_iilPiilS6_bb
	.p2align	8
	.type	_ZN9rocsolver6v33100L18getri_kernel_smallILi9EdPKPdEEvT1_iilPiilS6_bb,@function
_ZN9rocsolver6v33100L18getri_kernel_smallILi9EdPKPdEEvT1_iilPiilS6_bb: ; @_ZN9rocsolver6v33100L18getri_kernel_smallILi9EdPKPdEEvT1_iilPiilS6_bb
; %bb.0:
	v_cmp_gt_u32_e32 vcc, 9, v0
	s_and_saveexec_b64 s[0:1], vcc
	s_cbranch_execz .LBB72_16
; %bb.1:
	s_load_dword s8, s[4:5], 0x38
	s_load_dwordx2 s[0:1], s[4:5], 0x0
	s_load_dwordx4 s[24:27], s[4:5], 0x28
                                        ; implicit-def: $sgpr28_sgpr29
	s_waitcnt lgkmcnt(0)
	s_bitcmp1_b32 s8, 8
	s_cselect_b64 s[30:31], -1, 0
	s_ashr_i32 s7, s6, 31
	s_lshl_b64 s[2:3], s[6:7], 3
	s_add_u32 s0, s0, s2
	s_addc_u32 s1, s1, s3
	s_load_dwordx2 s[2:3], s[0:1], 0x0
	s_bfe_u32 s0, s8, 0x10008
	s_cmp_eq_u32 s0, 0
	s_cbranch_scc1 .LBB72_3
; %bb.2:
	s_load_dword s0, s[4:5], 0x20
	s_load_dwordx2 s[8:9], s[4:5], 0x18
	s_mul_i32 s1, s24, s7
	s_mul_hi_u32 s10, s24, s6
	s_add_i32 s10, s10, s1
	s_mul_i32 s11, s25, s6
	s_add_i32 s11, s10, s11
	s_mul_i32 s10, s24, s6
	s_waitcnt lgkmcnt(0)
	s_ashr_i32 s1, s0, 31
	s_lshl_b64 s[10:11], s[10:11], 2
	s_add_u32 s8, s8, s10
	s_addc_u32 s9, s9, s11
	s_lshl_b64 s[0:1], s[0:1], 2
	s_add_u32 s28, s8, s0
	s_addc_u32 s29, s9, s1
.LBB72_3:
	s_load_dwordx2 s[0:1], s[4:5], 0x8
	s_load_dword s8, s[4:5], 0x38
	v_lshlrev_b32_e32 v22, 3, v0
	s_waitcnt lgkmcnt(0)
	s_ashr_i32 s5, s0, 31
	s_mov_b32 s4, s0
	s_lshl_b64 s[4:5], s[4:5], 3
	s_add_u32 s0, s2, s4
	s_addc_u32 s2, s3, s5
	s_add_i32 s3, s1, s1
	v_add_u32_e32 v1, s3, v0
	v_ashrrev_i32_e32 v2, 31, v1
	v_lshlrev_b64 v[2:3], 3, v[1:2]
	v_add_u32_e32 v1, s1, v1
	v_mov_b32_e32 v4, s2
	v_add_co_u32_e32 v52, vcc, s0, v2
	v_ashrrev_i32_e32 v2, 31, v1
	v_addc_co_u32_e32 v53, vcc, v4, v3, vcc
	v_lshlrev_b64 v[2:3], 3, v[1:2]
	v_add_u32_e32 v1, s1, v1
	v_add_co_u32_e32 v54, vcc, s0, v2
	v_ashrrev_i32_e32 v2, 31, v1
	v_addc_co_u32_e32 v55, vcc, v4, v3, vcc
	v_lshlrev_b64 v[2:3], 3, v[1:2]
	v_add_u32_e32 v1, s1, v1
	v_add_co_u32_e32 v56, vcc, s0, v2
	v_ashrrev_i32_e32 v2, 31, v1
	v_addc_co_u32_e32 v57, vcc, v4, v3, vcc
	v_lshlrev_b64 v[2:3], 3, v[1:2]
	v_add_u32_e32 v1, s1, v1
	v_add_co_u32_e32 v58, vcc, s0, v2
	v_ashrrev_i32_e32 v2, 31, v1
	v_addc_co_u32_e32 v59, vcc, v4, v3, vcc
	v_lshlrev_b64 v[2:3], 3, v[1:2]
	v_add_u32_e32 v1, s1, v1
	v_add_co_u32_e32 v60, vcc, s0, v2
	v_ashrrev_i32_e32 v2, 31, v1
	v_addc_co_u32_e32 v61, vcc, v4, v3, vcc
	v_lshlrev_b64 v[2:3], 3, v[1:2]
	v_add_u32_e32 v1, s1, v1
	v_add_co_u32_e32 v62, vcc, s0, v2
	v_ashrrev_i32_e32 v2, 31, v1
	v_lshlrev_b64 v[1:2], 3, v[1:2]
	v_addc_co_u32_e32 v63, vcc, v4, v3, vcc
	v_mov_b32_e32 v3, s2
	v_add_co_u32_e32 v64, vcc, s0, v1
	v_addc_co_u32_e32 v65, vcc, v3, v2, vcc
	v_mov_b32_e32 v1, s2
	v_add_co_u32_e32 v66, vcc, s0, v22
	s_ashr_i32 s3, s1, 31
	s_mov_b32 s2, s1
	v_addc_co_u32_e32 v67, vcc, 0, v1, vcc
	s_lshl_b64 s[0:1], s[2:3], 3
	v_mov_b32_e32 v1, s1
	v_add_co_u32_e32 v68, vcc, s0, v66
	v_addc_co_u32_e32 v69, vcc, v67, v1, vcc
	flat_load_dwordx2 v[2:3], v[66:67]
	flat_load_dwordx2 v[4:5], v[68:69]
	;; [unrolled: 1-line block ×9, first 2 shown]
	v_mov_b32_e32 v1, 0
	s_bitcmp0_b32 s8, 0
	s_mov_b64 s[0:1], -1
	s_cbranch_scc1 .LBB72_14
; %bb.4:
	v_cmp_eq_u32_e64 s[0:1], 0, v0
	s_and_saveexec_b64 s[2:3], s[0:1]
; %bb.5:
	v_mov_b32_e32 v20, 0
	ds_write_b32 v20, v20 offset:72
; %bb.6:
	s_or_b64 exec, exec, s[2:3]
	v_cmp_eq_u32_e32 vcc, 1, v0
	s_waitcnt vmcnt(0) lgkmcnt(0)
	v_cndmask_b32_e32 v20, v3, v5, vcc
	v_cmp_eq_u32_e64 s[2:3], 2, v0
	v_cndmask_b32_e32 v21, v2, v4, vcc
	v_cndmask_b32_e64 v20, v20, v7, s[2:3]
	v_cmp_eq_u32_e64 s[4:5], 3, v0
	v_cndmask_b32_e64 v21, v21, v6, s[2:3]
	v_cndmask_b32_e64 v20, v20, v9, s[4:5]
	v_cmp_eq_u32_e64 s[8:9], 4, v0
	v_cndmask_b32_e64 v21, v21, v8, s[4:5]
	;; [unrolled: 3-line block ×5, first 2 shown]
	v_cndmask_b32_e64 v20, v20, v17, s[14:15]
	v_cndmask_b32_e64 v23, v21, v16, s[14:15]
	v_cmp_eq_u32_e32 vcc, 8, v0
	v_cndmask_b32_e32 v21, v20, v19, vcc
	v_cndmask_b32_e32 v20, v23, v18, vcc
	v_cmp_eq_f64_e32 vcc, 0, v[20:21]
	; wave barrier
	s_and_saveexec_b64 s[4:5], vcc
	s_cbranch_execz .LBB72_10
; %bb.7:
	v_mov_b32_e32 v23, 0
	ds_read_b32 v25, v23 offset:72
	v_add_u32_e32 v24, 1, v0
	s_waitcnt lgkmcnt(0)
	v_readfirstlane_b32 s2, v25
	s_cmp_eq_u32 s2, 0
	s_cselect_b64 s[8:9], -1, 0
	v_cmp_gt_i32_e32 vcc, s2, v24
	s_or_b64 s[8:9], s[8:9], vcc
	s_and_b64 exec, exec, s[8:9]
	s_cbranch_execz .LBB72_10
; %bb.8:
	s_mov_b64 s[8:9], 0
	v_mov_b32_e32 v25, s2
.LBB72_9:                               ; =>This Inner Loop Header: Depth=1
	ds_cmpst_rtn_b32 v25, v23, v25, v24 offset:72
	s_waitcnt lgkmcnt(0)
	v_cmp_ne_u32_e32 vcc, 0, v25
	v_cmp_le_i32_e64 s[2:3], v25, v24
	s_and_b64 s[2:3], vcc, s[2:3]
	s_and_b64 s[2:3], exec, s[2:3]
	s_or_b64 s[8:9], s[2:3], s[8:9]
	s_andn2_b64 exec, exec, s[8:9]
	s_cbranch_execnz .LBB72_9
.LBB72_10:
	s_or_b64 exec, exec, s[4:5]
	v_mov_b32_e32 v24, 0
	; wave barrier
	ds_read_b32 v23, v24 offset:72
	s_and_saveexec_b64 s[2:3], s[0:1]
	s_cbranch_execz .LBB72_12
; %bb.11:
	s_lshl_b64 s[4:5], s[6:7], 2
	s_add_u32 s4, s26, s4
	s_addc_u32 s5, s27, s5
	s_waitcnt lgkmcnt(0)
	global_store_dword v24, v23, s[4:5]
.LBB72_12:
	s_or_b64 exec, exec, s[2:3]
	s_waitcnt lgkmcnt(0)
	v_cmp_ne_u32_e32 vcc, 0, v23
	s_cbranch_vccz .LBB72_17
; %bb.13:
	s_mov_b64 s[0:1], 0
                                        ; implicit-def: $vgpr2_vgpr3_vgpr4_vgpr5_vgpr6_vgpr7_vgpr8_vgpr9_vgpr10_vgpr11_vgpr12_vgpr13_vgpr14_vgpr15_vgpr16_vgpr17_vgpr18_vgpr19_vgpr20_vgpr21_vgpr22_vgpr23_vgpr24_vgpr25_vgpr26_vgpr27_vgpr28_vgpr29_vgpr30_vgpr31_vgpr32_vgpr33
.LBB72_14:
	s_and_b64 vcc, exec, s[0:1]
	s_cbranch_vccz .LBB72_16
.LBB72_15:
	s_lshl_b64 s[0:1], s[6:7], 2
	s_add_u32 s0, s26, s0
	s_addc_u32 s1, s27, s1
	v_mov_b32_e32 v1, 0
	global_load_dword v1, v1, s[0:1]
	s_waitcnt vmcnt(0)
	v_cmp_ne_u32_e32 vcc, 0, v1
	s_cbranch_vccz .LBB72_58
.LBB72_16:
	s_endpgm
.LBB72_17:
	v_div_scale_f64 v[23:24], s[2:3], v[20:21], v[20:21], 1.0
	v_rcp_f64_e32 v[25:26], v[23:24]
	v_fma_f64 v[27:28], -v[23:24], v[25:26], 1.0
	v_fma_f64 v[25:26], v[25:26], v[27:28], v[25:26]
	v_div_scale_f64 v[27:28], vcc, 1.0, v[20:21], 1.0
	v_fma_f64 v[29:30], -v[23:24], v[25:26], 1.0
	v_fma_f64 v[25:26], v[25:26], v[29:30], v[25:26]
	v_mul_f64 v[29:30], v[27:28], v[25:26]
	v_fma_f64 v[23:24], -v[23:24], v[29:30], v[27:28]
	v_div_fmas_f64 v[23:24], v[23:24], v[25:26], v[29:30]
	v_cmp_eq_u32_e32 vcc, 8, v0
	v_div_fixup_f64 v[20:21], v[23:24], v[20:21], 1.0
	v_add_u32_e32 v24, 0x50, v22
	v_cndmask_b32_e32 v19, v19, v21, vcc
	v_cndmask_b32_e32 v18, v18, v20, vcc
	v_cmp_eq_u32_e32 vcc, 7, v0
	v_cndmask_b32_e32 v17, v17, v21, vcc
	v_cndmask_b32_e32 v16, v16, v20, vcc
	v_cmp_eq_u32_e32 vcc, 6, v0
	;; [unrolled: 3-line block ×8, first 2 shown]
	v_cndmask_b32_e32 v3, v3, v21, vcc
	v_cndmask_b32_e32 v2, v2, v20, vcc
	v_xor_b32_e32 v26, 0x80000000, v21
	v_mov_b32_e32 v25, v20
	ds_write2_b64 v22, v[25:26], v[4:5] offset1:10
	s_waitcnt lgkmcnt(0)
	; wave barrier
	s_and_saveexec_b64 s[2:3], s[0:1]
	s_cbranch_execz .LBB72_19
; %bb.18:
	ds_read_b64 v[4:5], v24
	v_mov_b32_e32 v22, 0
	ds_read_b64 v[22:23], v22 offset:8
	s_waitcnt lgkmcnt(1)
	v_fma_f64 v[4:5], v[20:21], v[4:5], 0
	s_waitcnt lgkmcnt(0)
	v_mul_f64 v[4:5], v[4:5], v[22:23]
.LBB72_19:
	s_or_b64 exec, exec, s[2:3]
	v_cmp_gt_u32_e32 vcc, 2, v0
	; wave barrier
	ds_write_b64 v24, v[6:7]
	s_waitcnt lgkmcnt(0)
	; wave barrier
	s_and_saveexec_b64 s[18:19], vcc
	s_cbranch_execz .LBB72_21
; %bb.20:
	v_cmp_eq_u32_e32 vcc, 1, v0
	v_cndmask_b32_e32 v20, v3, v5, vcc
	v_cmp_eq_u32_e64 s[2:3], 2, v0
	v_cndmask_b32_e64 v7, v20, v7, s[2:3]
	v_cndmask_b32_e32 v20, v2, v4, vcc
	v_cmp_eq_u32_e64 s[4:5], 3, v0
	v_cndmask_b32_e64 v6, v20, v6, s[2:3]
	v_cndmask_b32_e64 v7, v7, v9, s[4:5]
	v_cmp_eq_u32_e64 s[8:9], 4, v0
	v_cndmask_b32_e64 v6, v6, v8, s[4:5]
	v_cndmask_b32_e64 v7, v7, v11, s[8:9]
	v_cmp_eq_u32_e64 s[10:11], 5, v0
	v_cndmask_b32_e64 v6, v6, v10, s[8:9]
	ds_read_b64 v[20:21], v24
	v_cndmask_b32_e64 v7, v7, v13, s[10:11]
	v_cmp_eq_u32_e64 s[12:13], 6, v0
	v_cndmask_b32_e64 v6, v6, v12, s[10:11]
	v_cndmask_b32_e64 v7, v7, v15, s[12:13]
	v_cmp_eq_u32_e64 s[14:15], 7, v0
	v_cndmask_b32_e64 v6, v6, v14, s[12:13]
	;; [unrolled: 3-line block ×3, first 2 shown]
	v_cndmask_b32_e64 v7, v7, v19, s[16:17]
	v_cndmask_b32_e64 v6, v6, v18, s[16:17]
	s_waitcnt lgkmcnt(0)
	v_fma_f64 v[6:7], v[6:7], v[20:21], 0
	v_mov_b32_e32 v20, 0
	ds_read2_b64 v[20:23], v20 offset0:2 offset1:11
	s_waitcnt lgkmcnt(0)
	v_fma_f64 v[22:23], v[4:5], v[22:23], v[6:7]
	v_cndmask_b32_e64 v7, v7, v23, s[0:1]
	v_cndmask_b32_e64 v6, v6, v22, s[0:1]
	v_mul_f64 v[6:7], v[6:7], v[20:21]
.LBB72_21:
	s_or_b64 exec, exec, s[18:19]
	v_cmp_gt_u32_e32 vcc, 3, v0
	; wave barrier
	ds_write_b64 v24, v[8:9]
	s_waitcnt lgkmcnt(0)
	; wave barrier
	s_and_saveexec_b64 s[8:9], vcc
	s_cbranch_execz .LBB72_25
; %bb.22:
	v_mov_b32_e32 v20, 0x50
	v_lshl_add_u32 v25, v0, 3, v20
	v_mov_b32_e32 v20, 0
	v_mov_b32_e32 v23, v1
	v_mov_b32_e32 v21, 0
	s_mov_b64 s[10:11], 0
	v_mov_b32_e32 v22, v0
.LBB72_23:                              ; =>This Inner Loop Header: Depth=1
	v_cmp_eq_u32_e64 s[2:3], 1, v22
	v_cndmask_b32_e64 v28, v3, v5, s[2:3]
	v_cmp_eq_u32_e64 s[4:5], 2, v22
	v_cndmask_b32_e64 v28, v28, v7, s[4:5]
	v_cndmask_b32_e64 v29, v2, v4, s[2:3]
	v_cmp_eq_u32_e64 s[2:3], 3, v22
	v_cndmask_b32_e64 v28, v28, v9, s[2:3]
	v_cndmask_b32_e64 v29, v29, v6, s[4:5]
	v_cmp_eq_u32_e64 s[4:5], 4, v22
	v_cndmask_b32_e64 v28, v28, v11, s[4:5]
	v_cndmask_b32_e64 v29, v29, v8, s[2:3]
	v_cmp_eq_u32_e64 s[2:3], 5, v22
	ds_read_b64 v[26:27], v25
	v_cndmask_b32_e64 v28, v28, v13, s[2:3]
	v_cndmask_b32_e64 v29, v29, v10, s[4:5]
	v_cmp_eq_u32_e64 s[4:5], 6, v22
	v_cndmask_b32_e64 v28, v28, v15, s[4:5]
	v_cndmask_b32_e64 v29, v29, v12, s[2:3]
	v_cmp_eq_u32_e64 s[2:3], 7, v22
	v_cndmask_b32_e64 v28, v28, v17, s[2:3]
	v_cndmask_b32_e64 v30, v29, v14, s[4:5]
	v_cmp_eq_u32_e64 s[4:5], 8, v22
	v_cndmask_b32_e64 v29, v28, v19, s[4:5]
	v_cndmask_b32_e64 v28, v30, v16, s[2:3]
	v_cndmask_b32_e64 v28, v28, v18, s[4:5]
	s_waitcnt lgkmcnt(0)
	v_fma_f64 v[20:21], v[28:29], v[26:27], v[20:21]
	v_add_co_u32_e64 v22, s[2:3], 1, v22
	v_addc_co_u32_e64 v23, s[2:3], 0, v23, s[2:3]
	v_add_u32_e32 v26, -1, v22
	v_cmp_lt_u32_e64 s[2:3], 1, v26
	s_or_b64 s[10:11], s[2:3], s[10:11]
	v_add_u32_e32 v25, 8, v25
	s_andn2_b64 exec, exec, s[10:11]
	s_cbranch_execnz .LBB72_23
; %bb.24:
	s_or_b64 exec, exec, s[10:11]
	v_mov_b32_e32 v8, 0
	ds_read_b64 v[8:9], v8 offset:24
	s_waitcnt lgkmcnt(0)
	v_mul_f64 v[8:9], v[20:21], v[8:9]
.LBB72_25:
	s_or_b64 exec, exec, s[8:9]
	v_cmp_gt_u32_e64 s[2:3], 4, v0
	; wave barrier
	ds_write_b64 v24, v[10:11]
	s_waitcnt lgkmcnt(0)
	; wave barrier
	s_and_saveexec_b64 s[8:9], s[2:3]
	s_cbranch_execz .LBB72_29
; %bb.26:
	v_mov_b32_e32 v20, 0x50
	v_lshl_add_u32 v25, v0, 3, v20
	v_mov_b32_e32 v20, 0
	v_mov_b32_e32 v23, v1
	v_mov_b32_e32 v21, 0
	s_mov_b64 s[10:11], 0
	v_mov_b32_e32 v22, v0
.LBB72_27:                              ; =>This Inner Loop Header: Depth=1
	v_cmp_eq_u32_e64 s[2:3], 1, v22
	v_cndmask_b32_e64 v28, v3, v5, s[2:3]
	v_cmp_eq_u32_e64 s[4:5], 2, v22
	v_cndmask_b32_e64 v28, v28, v7, s[4:5]
	v_cndmask_b32_e64 v29, v2, v4, s[2:3]
	v_cmp_eq_u32_e64 s[2:3], 3, v22
	v_cndmask_b32_e64 v28, v28, v9, s[2:3]
	v_cndmask_b32_e64 v29, v29, v6, s[4:5]
	v_cmp_eq_u32_e64 s[4:5], 4, v22
	v_cndmask_b32_e64 v28, v28, v11, s[4:5]
	v_cndmask_b32_e64 v29, v29, v8, s[2:3]
	v_cmp_eq_u32_e64 s[2:3], 5, v22
	ds_read_b64 v[26:27], v25
	v_cndmask_b32_e64 v28, v28, v13, s[2:3]
	v_cndmask_b32_e64 v29, v29, v10, s[4:5]
	v_cmp_eq_u32_e64 s[4:5], 6, v22
	v_cndmask_b32_e64 v28, v28, v15, s[4:5]
	v_cndmask_b32_e64 v29, v29, v12, s[2:3]
	v_cmp_eq_u32_e64 s[2:3], 7, v22
	v_cndmask_b32_e64 v28, v28, v17, s[2:3]
	v_cndmask_b32_e64 v30, v29, v14, s[4:5]
	v_cmp_eq_u32_e64 s[4:5], 8, v22
	v_cndmask_b32_e64 v29, v28, v19, s[4:5]
	v_cndmask_b32_e64 v28, v30, v16, s[2:3]
	v_cndmask_b32_e64 v28, v28, v18, s[4:5]
	s_waitcnt lgkmcnt(0)
	v_fma_f64 v[20:21], v[28:29], v[26:27], v[20:21]
	v_add_co_u32_e64 v22, s[2:3], 1, v22
	v_addc_co_u32_e64 v23, s[2:3], 0, v23, s[2:3]
	v_add_u32_e32 v26, -1, v22
	v_cmp_lt_u32_e64 s[2:3], 2, v26
	s_or_b64 s[10:11], s[2:3], s[10:11]
	v_add_u32_e32 v25, 8, v25
	s_andn2_b64 exec, exec, s[10:11]
	s_cbranch_execnz .LBB72_27
; %bb.28:
	s_or_b64 exec, exec, s[10:11]
	v_mov_b32_e32 v10, 0
	ds_read_b64 v[10:11], v10 offset:32
	s_waitcnt lgkmcnt(0)
	v_mul_f64 v[10:11], v[20:21], v[10:11]
.LBB72_29:
	s_or_b64 exec, exec, s[8:9]
	v_cmp_gt_u32_e64 s[2:3], 5, v0
	; wave barrier
	ds_write_b64 v24, v[12:13]
	s_waitcnt lgkmcnt(0)
	; wave barrier
	s_and_saveexec_b64 s[10:11], s[2:3]
	s_cbranch_execz .LBB72_33
; %bb.30:
	v_mov_b32_e32 v20, 0x50
	v_lshl_add_u32 v25, v0, 3, v20
	v_mov_b32_e32 v20, 0
	v_mov_b32_e32 v23, v1
	v_mov_b32_e32 v21, 0
	s_mov_b64 s[12:13], 0
	v_mov_b32_e32 v22, v0
.LBB72_31:                              ; =>This Inner Loop Header: Depth=1
	v_cmp_eq_u32_e64 s[4:5], 1, v22
	v_cndmask_b32_e64 v28, v3, v5, s[4:5]
	v_cmp_eq_u32_e64 s[8:9], 2, v22
	v_cndmask_b32_e64 v28, v28, v7, s[8:9]
	v_cndmask_b32_e64 v29, v2, v4, s[4:5]
	v_cmp_eq_u32_e64 s[4:5], 3, v22
	v_cndmask_b32_e64 v28, v28, v9, s[4:5]
	v_cndmask_b32_e64 v29, v29, v6, s[8:9]
	v_cmp_eq_u32_e64 s[8:9], 4, v22
	v_cndmask_b32_e64 v28, v28, v11, s[8:9]
	v_cndmask_b32_e64 v29, v29, v8, s[4:5]
	v_cmp_eq_u32_e64 s[4:5], 5, v22
	ds_read_b64 v[26:27], v25
	v_cndmask_b32_e64 v28, v28, v13, s[4:5]
	v_cndmask_b32_e64 v29, v29, v10, s[8:9]
	v_cmp_eq_u32_e64 s[8:9], 6, v22
	v_cndmask_b32_e64 v28, v28, v15, s[8:9]
	v_cndmask_b32_e64 v29, v29, v12, s[4:5]
	v_cmp_eq_u32_e64 s[4:5], 7, v22
	v_cndmask_b32_e64 v28, v28, v17, s[4:5]
	v_cndmask_b32_e64 v30, v29, v14, s[8:9]
	v_cmp_eq_u32_e64 s[8:9], 8, v22
	v_cndmask_b32_e64 v29, v28, v19, s[8:9]
	v_cndmask_b32_e64 v28, v30, v16, s[4:5]
	v_cndmask_b32_e64 v28, v28, v18, s[8:9]
	s_waitcnt lgkmcnt(0)
	v_fma_f64 v[20:21], v[28:29], v[26:27], v[20:21]
	v_add_co_u32_e64 v22, s[4:5], 1, v22
	v_addc_co_u32_e64 v23, s[4:5], 0, v23, s[4:5]
	v_add_u32_e32 v26, -1, v22
	v_cmp_lt_u32_e64 s[4:5], 3, v26
	s_or_b64 s[12:13], s[4:5], s[12:13]
	v_add_u32_e32 v25, 8, v25
	s_andn2_b64 exec, exec, s[12:13]
	s_cbranch_execnz .LBB72_31
; %bb.32:
	s_or_b64 exec, exec, s[12:13]
	v_mov_b32_e32 v12, 0
	ds_read_b64 v[12:13], v12 offset:40
	s_waitcnt lgkmcnt(0)
	v_mul_f64 v[12:13], v[20:21], v[12:13]
.LBB72_33:
	s_or_b64 exec, exec, s[10:11]
	v_cmp_gt_u32_e64 s[4:5], 6, v0
	; wave barrier
	ds_write_b64 v24, v[14:15]
	s_waitcnt lgkmcnt(0)
	; wave barrier
	s_and_saveexec_b64 s[10:11], s[4:5]
	s_cbranch_execz .LBB72_37
; %bb.34:
	v_mov_b32_e32 v20, 0x50
	v_lshl_add_u32 v25, v0, 3, v20
	v_mov_b32_e32 v20, 0
	v_mov_b32_e32 v23, v1
	v_mov_b32_e32 v21, 0
	s_mov_b64 s[12:13], 0
	v_mov_b32_e32 v22, v0
.LBB72_35:                              ; =>This Inner Loop Header: Depth=1
	v_cmp_eq_u32_e64 s[4:5], 1, v22
	v_cndmask_b32_e64 v28, v3, v5, s[4:5]
	v_cmp_eq_u32_e64 s[8:9], 2, v22
	v_cndmask_b32_e64 v28, v28, v7, s[8:9]
	v_cndmask_b32_e64 v29, v2, v4, s[4:5]
	v_cmp_eq_u32_e64 s[4:5], 3, v22
	v_cndmask_b32_e64 v28, v28, v9, s[4:5]
	v_cndmask_b32_e64 v29, v29, v6, s[8:9]
	v_cmp_eq_u32_e64 s[8:9], 4, v22
	v_cndmask_b32_e64 v28, v28, v11, s[8:9]
	v_cndmask_b32_e64 v29, v29, v8, s[4:5]
	v_cmp_eq_u32_e64 s[4:5], 5, v22
	ds_read_b64 v[26:27], v25
	v_cndmask_b32_e64 v28, v28, v13, s[4:5]
	v_cndmask_b32_e64 v29, v29, v10, s[8:9]
	v_cmp_eq_u32_e64 s[8:9], 6, v22
	v_cndmask_b32_e64 v28, v28, v15, s[8:9]
	v_cndmask_b32_e64 v29, v29, v12, s[4:5]
	v_cmp_eq_u32_e64 s[4:5], 7, v22
	v_cndmask_b32_e64 v28, v28, v17, s[4:5]
	v_cndmask_b32_e64 v30, v29, v14, s[8:9]
	v_cmp_eq_u32_e64 s[8:9], 8, v22
	v_cndmask_b32_e64 v29, v28, v19, s[8:9]
	v_cndmask_b32_e64 v28, v30, v16, s[4:5]
	v_cndmask_b32_e64 v28, v28, v18, s[8:9]
	s_waitcnt lgkmcnt(0)
	v_fma_f64 v[20:21], v[28:29], v[26:27], v[20:21]
	v_add_co_u32_e64 v22, s[4:5], 1, v22
	v_addc_co_u32_e64 v23, s[4:5], 0, v23, s[4:5]
	v_add_u32_e32 v26, -1, v22
	v_cmp_lt_u32_e64 s[4:5], 4, v26
	s_or_b64 s[12:13], s[4:5], s[12:13]
	v_add_u32_e32 v25, 8, v25
	s_andn2_b64 exec, exec, s[12:13]
	s_cbranch_execnz .LBB72_35
; %bb.36:
	s_or_b64 exec, exec, s[12:13]
	v_mov_b32_e32 v14, 0
	ds_read_b64 v[14:15], v14 offset:48
	s_waitcnt lgkmcnt(0)
	v_mul_f64 v[14:15], v[20:21], v[14:15]
.LBB72_37:
	s_or_b64 exec, exec, s[10:11]
	v_cmp_gt_u32_e64 s[4:5], 7, v0
	; wave barrier
	ds_write_b64 v24, v[16:17]
	s_waitcnt lgkmcnt(0)
	; wave barrier
	s_and_saveexec_b64 s[12:13], s[4:5]
	s_cbranch_execz .LBB72_41
; %bb.38:
	v_mov_b32_e32 v20, 0x50
	v_lshl_add_u32 v25, v0, 3, v20
	v_mov_b32_e32 v20, 0
	v_mov_b32_e32 v23, v1
	;; [unrolled: 1-line block ×3, first 2 shown]
	s_mov_b64 s[14:15], 0
	v_mov_b32_e32 v22, v0
.LBB72_39:                              ; =>This Inner Loop Header: Depth=1
	v_cmp_eq_u32_e64 s[8:9], 1, v22
	v_cndmask_b32_e64 v1, v3, v5, s[8:9]
	v_cmp_eq_u32_e64 s[10:11], 2, v22
	v_cndmask_b32_e64 v1, v1, v7, s[10:11]
	v_cndmask_b32_e64 v28, v2, v4, s[8:9]
	v_cmp_eq_u32_e64 s[8:9], 3, v22
	v_cndmask_b32_e64 v1, v1, v9, s[8:9]
	;; [unrolled: 3-line block ×3, first 2 shown]
	v_cndmask_b32_e64 v28, v28, v8, s[8:9]
	v_cmp_eq_u32_e64 s[8:9], 5, v22
	ds_read_b64 v[26:27], v25
	v_cndmask_b32_e64 v1, v1, v13, s[8:9]
	v_cndmask_b32_e64 v28, v28, v10, s[10:11]
	v_cmp_eq_u32_e64 s[10:11], 6, v22
	v_cndmask_b32_e64 v1, v1, v15, s[10:11]
	v_cndmask_b32_e64 v28, v28, v12, s[8:9]
	v_cmp_eq_u32_e64 s[8:9], 7, v22
	;; [unrolled: 3-line block ×3, first 2 shown]
	v_cndmask_b32_e64 v29, v1, v19, s[10:11]
	v_cndmask_b32_e64 v1, v28, v16, s[8:9]
	;; [unrolled: 1-line block ×3, first 2 shown]
	s_waitcnt lgkmcnt(0)
	v_fma_f64 v[20:21], v[28:29], v[26:27], v[20:21]
	v_add_co_u32_e64 v22, s[8:9], 1, v22
	v_addc_co_u32_e64 v23, s[8:9], 0, v23, s[8:9]
	v_add_u32_e32 v1, -1, v22
	v_cmp_lt_u32_e64 s[8:9], 5, v1
	s_or_b64 s[14:15], s[8:9], s[14:15]
	v_add_u32_e32 v25, 8, v25
	s_andn2_b64 exec, exec, s[14:15]
	s_cbranch_execnz .LBB72_39
; %bb.40:
	s_or_b64 exec, exec, s[14:15]
	v_mov_b32_e32 v1, 0
	ds_read_b64 v[16:17], v1 offset:56
	s_waitcnt lgkmcnt(0)
	v_mul_f64 v[16:17], v[20:21], v[16:17]
.LBB72_41:
	s_or_b64 exec, exec, s[12:13]
	v_cmp_ne_u32_e64 s[8:9], 8, v0
	; wave barrier
	ds_write_b64 v24, v[18:19]
	s_waitcnt lgkmcnt(0)
	; wave barrier
	s_and_saveexec_b64 s[24:25], s[8:9]
	s_cbranch_execz .LBB72_57
; %bb.42:
	v_cmp_eq_u32_e64 s[8:9], 1, v0
	v_cndmask_b32_e64 v1, v3, v5, s[8:9]
	v_cmp_eq_u32_e64 s[10:11], 2, v0
	v_cndmask_b32_e64 v1, v1, v7, s[10:11]
	;; [unrolled: 2-line block ×8, first 2 shown]
	v_cndmask_b32_e64 v1, v2, v4, s[8:9]
	v_cndmask_b32_e64 v1, v1, v6, s[10:11]
	;; [unrolled: 1-line block ×4, first 2 shown]
	ds_read_b64 v[22:23], v24
	v_cndmask_b32_e64 v1, v1, v12, s[16:17]
	v_cndmask_b32_e64 v1, v1, v14, s[18:19]
	;; [unrolled: 1-line block ×4, first 2 shown]
	s_waitcnt lgkmcnt(0)
	v_fma_f64 v[20:21], v[20:21], v[22:23], 0
	s_and_saveexec_b64 s[22:23], s[4:5]
	s_cbranch_execz .LBB72_56
; %bb.43:
	v_add_u32_e32 v1, 1, v0
	v_cmp_eq_u32_e64 s[4:5], 1, v1
	v_cndmask_b32_e64 v22, v3, v5, s[4:5]
	v_cmp_eq_u32_e64 s[8:9], 2, v1
	v_cmp_eq_u32_e64 s[10:11], 3, v1
	;; [unrolled: 1-line block ×7, first 2 shown]
	v_cndmask_b32_e64 v1, v2, v4, s[4:5]
	v_cndmask_b32_e64 v22, v22, v7, s[8:9]
	;; [unrolled: 1-line block ×7, first 2 shown]
	ds_read_b64 v[25:26], v24 offset:8
	v_cndmask_b32_e64 v22, v22, v13, s[14:15]
	v_cndmask_b32_e64 v1, v1, v12, s[14:15]
	;; [unrolled: 1-line block ×8, first 2 shown]
	s_waitcnt lgkmcnt(0)
	v_fma_f64 v[20:21], v[22:23], v[25:26], v[20:21]
	v_cmp_ne_u32_e64 s[4:5], 6, v0
	s_and_saveexec_b64 s[34:35], s[4:5]
	s_cbranch_execz .LBB72_55
; %bb.44:
	v_add_u32_e32 v1, 2, v0
	v_cmp_eq_u32_e64 s[4:5], 1, v1
	v_cndmask_b32_e64 v22, v3, v5, s[4:5]
	v_cmp_eq_u32_e64 s[8:9], 2, v1
	v_cmp_eq_u32_e64 s[10:11], 3, v1
	;; [unrolled: 1-line block ×7, first 2 shown]
	v_cndmask_b32_e64 v1, v2, v4, s[4:5]
	v_cndmask_b32_e64 v22, v22, v7, s[8:9]
	;; [unrolled: 1-line block ×7, first 2 shown]
	ds_read_b64 v[25:26], v24 offset:16
	v_cndmask_b32_e64 v22, v22, v13, s[14:15]
	v_cndmask_b32_e64 v1, v1, v12, s[14:15]
	;; [unrolled: 1-line block ×8, first 2 shown]
	s_waitcnt lgkmcnt(0)
	v_fma_f64 v[20:21], v[22:23], v[25:26], v[20:21]
	s_and_saveexec_b64 s[20:21], s[2:3]
	s_cbranch_execz .LBB72_54
; %bb.45:
	v_add_u32_e32 v1, 3, v0
	v_cmp_eq_u32_e64 s[2:3], 1, v1
	v_cndmask_b32_e64 v22, v3, v5, s[2:3]
	v_cmp_eq_u32_e64 s[4:5], 2, v1
	v_cmp_eq_u32_e64 s[8:9], 3, v1
	;; [unrolled: 1-line block ×7, first 2 shown]
	v_cndmask_b32_e64 v1, v2, v4, s[2:3]
	v_cndmask_b32_e64 v22, v22, v7, s[4:5]
	;; [unrolled: 1-line block ×7, first 2 shown]
	ds_read_b64 v[25:26], v24 offset:24
	v_cndmask_b32_e64 v22, v22, v13, s[12:13]
	v_cndmask_b32_e64 v1, v1, v12, s[12:13]
	;; [unrolled: 1-line block ×8, first 2 shown]
	s_waitcnt lgkmcnt(0)
	v_fma_f64 v[20:21], v[22:23], v[25:26], v[20:21]
	v_cmp_ne_u32_e64 s[2:3], 4, v0
	s_and_saveexec_b64 s[36:37], s[2:3]
	s_cbranch_execz .LBB72_53
; %bb.46:
	v_add_u32_e32 v1, 4, v0
	v_cmp_eq_u32_e64 s[2:3], 1, v1
	v_cndmask_b32_e64 v22, v3, v5, s[2:3]
	v_cmp_eq_u32_e64 s[4:5], 2, v1
	v_cmp_eq_u32_e64 s[8:9], 3, v1
	;; [unrolled: 1-line block ×7, first 2 shown]
	v_cndmask_b32_e64 v1, v2, v4, s[2:3]
	v_cndmask_b32_e64 v22, v22, v7, s[4:5]
	v_cndmask_b32_e64 v1, v1, v6, s[4:5]
	v_cndmask_b32_e64 v22, v22, v9, s[8:9]
	v_cndmask_b32_e64 v1, v1, v8, s[8:9]
	v_cndmask_b32_e64 v22, v22, v11, s[10:11]
	v_cndmask_b32_e64 v1, v1, v10, s[10:11]
	ds_read_b64 v[25:26], v24 offset:32
	v_cndmask_b32_e64 v22, v22, v13, s[12:13]
	v_cndmask_b32_e64 v1, v1, v12, s[12:13]
	;; [unrolled: 1-line block ×8, first 2 shown]
	s_waitcnt lgkmcnt(0)
	v_fma_f64 v[20:21], v[22:23], v[25:26], v[20:21]
	s_and_saveexec_b64 s[18:19], vcc
	s_cbranch_execz .LBB72_52
; %bb.47:
	v_add_u32_e32 v1, 5, v0
	v_cmp_eq_u32_e32 vcc, 1, v1
	v_cndmask_b32_e32 v22, v3, v5, vcc
	v_cmp_eq_u32_e64 s[2:3], 2, v1
	v_cmp_eq_u32_e64 s[4:5], 3, v1
	;; [unrolled: 1-line block ×7, first 2 shown]
	v_cndmask_b32_e32 v1, v2, v4, vcc
	v_cndmask_b32_e64 v22, v22, v7, s[2:3]
	v_cndmask_b32_e64 v1, v1, v6, s[2:3]
	;; [unrolled: 1-line block ×6, first 2 shown]
	ds_read_b64 v[25:26], v24 offset:40
	v_cndmask_b32_e64 v22, v22, v13, s[10:11]
	v_cndmask_b32_e64 v1, v1, v12, s[10:11]
	;; [unrolled: 1-line block ×8, first 2 shown]
	s_waitcnt lgkmcnt(0)
	v_fma_f64 v[20:21], v[22:23], v[25:26], v[20:21]
	v_cmp_ne_u32_e32 vcc, 2, v0
	s_and_saveexec_b64 s[38:39], vcc
	s_cbranch_execz .LBB72_51
; %bb.48:
	v_add_u32_e32 v1, 6, v0
	v_cmp_eq_u32_e32 vcc, 1, v1
	v_cndmask_b32_e32 v22, v3, v5, vcc
	v_cmp_eq_u32_e64 s[2:3], 2, v1
	v_cndmask_b32_e64 v22, v22, v7, s[2:3]
	v_cmp_eq_u32_e64 s[4:5], 3, v1
	v_cndmask_b32_e64 v22, v22, v9, s[4:5]
	;; [unrolled: 2-line block ×4, first 2 shown]
	v_cmp_eq_u32_e64 s[12:13], 6, v1
	v_cmp_eq_u32_e64 s[14:15], 7, v1
	;; [unrolled: 1-line block ×3, first 2 shown]
	v_cndmask_b32_e32 v1, v2, v4, vcc
	v_cndmask_b32_e64 v22, v22, v15, s[12:13]
	v_cndmask_b32_e64 v1, v1, v6, s[2:3]
	;; [unrolled: 1-line block ×6, first 2 shown]
	ds_read_b64 v[22:23], v24 offset:48
	v_cndmask_b32_e64 v1, v1, v12, s[10:11]
	v_cndmask_b32_e64 v1, v1, v14, s[12:13]
	;; [unrolled: 1-line block ×4, first 2 shown]
	s_waitcnt lgkmcnt(0)
	v_fma_f64 v[20:21], v[18:19], v[22:23], v[20:21]
	s_and_saveexec_b64 s[2:3], s[0:1]
	s_cbranch_execz .LBB72_50
; %bb.49:
	ds_read_b64 v[18:19], v24 offset:56
	s_waitcnt lgkmcnt(0)
	v_fma_f64 v[20:21], v[16:17], v[18:19], v[20:21]
.LBB72_50:
	s_or_b64 exec, exec, s[2:3]
.LBB72_51:
	s_or_b64 exec, exec, s[38:39]
.LBB72_52:
	s_or_b64 exec, exec, s[18:19]
.LBB72_53:
	s_or_b64 exec, exec, s[36:37]
.LBB72_54:
	s_or_b64 exec, exec, s[20:21]
.LBB72_55:
	s_or_b64 exec, exec, s[34:35]
.LBB72_56:
	s_or_b64 exec, exec, s[22:23]
	v_mov_b32_e32 v1, 0
	ds_read_b64 v[18:19], v1 offset:64
	s_waitcnt lgkmcnt(0)
	v_mul_f64 v[18:19], v[20:21], v[18:19]
.LBB72_57:
	s_or_b64 exec, exec, s[24:25]
	; wave barrier
	s_cbranch_execnz .LBB72_15
	s_branch .LBB72_16
.LBB72_58:
	v_mov_b32_e32 v1, 0x50
	v_lshl_add_u32 v1, v0, 3, v1
	v_cmp_eq_u32_e32 vcc, 8, v0
	s_and_saveexec_b64 s[0:1], vcc
	s_cbranch_execz .LBB72_60
; %bb.59:
	s_waitcnt lgkmcnt(0)
	ds_write_b64 v1, v[16:17]
	v_mov_b32_e32 v16, 0
	v_mov_b32_e32 v17, v16
.LBB72_60:
	s_or_b64 exec, exec, s[0:1]
	v_mov_b32_e32 v34, 0
	s_waitcnt lgkmcnt(0)
	; wave barrier
	ds_read_b64 v[20:21], v34 offset:144
	v_cmp_lt_u32_e32 vcc, 6, v0
	s_waitcnt lgkmcnt(0)
	v_fma_f64 v[20:21], v[18:19], v[20:21], 0
	v_add_f64 v[16:17], v[16:17], -v[20:21]
	s_and_saveexec_b64 s[0:1], vcc
	s_cbranch_execz .LBB72_62
; %bb.61:
	v_mov_b32_e32 v22, v2
	v_mov_b32_e32 v23, v3
	;; [unrolled: 1-line block ×17, first 2 shown]
	ds_write_b64 v1, v[14:15]
	v_mov_b32_e32 v2, v22
	v_mov_b32_e32 v3, v23
	;; [unrolled: 1-line block ×32, first 2 shown]
.LBB72_62:
	s_or_b64 exec, exec, s[0:1]
	s_waitcnt lgkmcnt(0)
	; wave barrier
	ds_read2_b64 v[20:23], v34 offset0:17 offset1:18
	v_cmp_lt_u32_e32 vcc, 5, v0
	s_waitcnt lgkmcnt(0)
	v_fma_f64 v[20:21], v[16:17], v[20:21], 0
	v_fma_f64 v[20:21], v[18:19], v[22:23], v[20:21]
	v_add_f64 v[14:15], v[14:15], -v[20:21]
	s_and_saveexec_b64 s[0:1], vcc
	s_cbranch_execz .LBB72_64
; %bb.63:
	v_mov_b32_e32 v30, 0
	v_mov_b32_e32 v20, v2
	;; [unrolled: 1-line block ×18, first 2 shown]
	ds_write_b64 v1, v[12:13]
	v_mov_b32_e32 v2, v20
	v_mov_b32_e32 v3, v21
	;; [unrolled: 1-line block ×32, first 2 shown]
.LBB72_64:
	s_or_b64 exec, exec, s[0:1]
	v_mov_b32_e32 v34, 0
	s_waitcnt lgkmcnt(0)
	; wave barrier
	ds_read_b128 v[20:23], v34 offset:128
	ds_read_b64 v[24:25], v34 offset:144
	v_cmp_lt_u32_e32 vcc, 4, v0
	s_waitcnt lgkmcnt(1)
	v_fma_f64 v[20:21], v[14:15], v[20:21], 0
	v_fma_f64 v[20:21], v[16:17], v[22:23], v[20:21]
	s_waitcnt lgkmcnt(0)
	v_fma_f64 v[20:21], v[18:19], v[24:25], v[20:21]
	v_add_f64 v[12:13], v[12:13], -v[20:21]
	s_and_saveexec_b64 s[0:1], vcc
	s_cbranch_execz .LBB72_66
; %bb.65:
	v_mov_b32_e32 v26, v2
	v_mov_b32_e32 v27, v3
	;; [unrolled: 1-line block ×17, first 2 shown]
	ds_write_b64 v1, v[10:11]
	v_mov_b32_e32 v2, v26
	v_mov_b32_e32 v3, v27
	;; [unrolled: 1-line block ×32, first 2 shown]
.LBB72_66:
	s_or_b64 exec, exec, s[0:1]
	s_waitcnt lgkmcnt(0)
	; wave barrier
	ds_read2_b64 v[20:23], v34 offset0:15 offset1:16
	ds_read2_b64 v[24:27], v34 offset0:17 offset1:18
	v_cmp_lt_u32_e32 vcc, 3, v0
	s_waitcnt lgkmcnt(1)
	v_fma_f64 v[20:21], v[12:13], v[20:21], 0
	v_fma_f64 v[20:21], v[14:15], v[22:23], v[20:21]
	s_waitcnt lgkmcnt(0)
	v_fma_f64 v[20:21], v[16:17], v[24:25], v[20:21]
	v_fma_f64 v[20:21], v[18:19], v[26:27], v[20:21]
	v_add_f64 v[10:11], v[10:11], -v[20:21]
	s_and_saveexec_b64 s[0:1], vcc
	s_cbranch_execz .LBB72_68
; %bb.67:
	v_mov_b32_e32 v26, 0
	v_mov_b32_e32 v20, v2
	;; [unrolled: 1-line block ×18, first 2 shown]
	ds_write_b64 v1, v[8:9]
	v_mov_b32_e32 v2, v20
	v_mov_b32_e32 v3, v21
	;; [unrolled: 1-line block ×32, first 2 shown]
.LBB72_68:
	s_or_b64 exec, exec, s[0:1]
	v_mov_b32_e32 v34, 0
	s_waitcnt lgkmcnt(0)
	; wave barrier
	ds_read_b128 v[20:23], v34 offset:112
	ds_read_b128 v[24:27], v34 offset:128
	v_cmp_lt_u32_e32 vcc, 2, v0
	s_waitcnt lgkmcnt(1)
	v_fma_f64 v[20:21], v[10:11], v[20:21], 0
	v_fma_f64 v[20:21], v[12:13], v[22:23], v[20:21]
	ds_read_b64 v[22:23], v34 offset:144
	s_waitcnt lgkmcnt(1)
	v_fma_f64 v[20:21], v[14:15], v[24:25], v[20:21]
	v_fma_f64 v[20:21], v[16:17], v[26:27], v[20:21]
	s_waitcnt lgkmcnt(0)
	v_fma_f64 v[20:21], v[18:19], v[22:23], v[20:21]
	v_add_f64 v[8:9], v[8:9], -v[20:21]
	s_and_saveexec_b64 s[0:1], vcc
	s_cbranch_execz .LBB72_70
; %bb.69:
	v_mov_b32_e32 v30, v2
	v_mov_b32_e32 v31, v3
	;; [unrolled: 1-line block ×17, first 2 shown]
	ds_write_b64 v1, v[6:7]
	v_mov_b32_e32 v2, v30
	v_mov_b32_e32 v3, v31
	v_mov_b32_e32 v4, v32
	v_mov_b32_e32 v5, v33
	v_mov_b32_e32 v6, v34
	v_mov_b32_e32 v7, v35
	v_mov_b32_e32 v8, v36
	v_mov_b32_e32 v9, v37
	v_mov_b32_e32 v10, v38
	v_mov_b32_e32 v11, v39
	v_mov_b32_e32 v12, v40
	v_mov_b32_e32 v13, v41
	v_mov_b32_e32 v14, v42
	v_mov_b32_e32 v15, v43
	v_mov_b32_e32 v16, v44
	v_mov_b32_e32 v17, v45
	v_mov_b32_e32 v18, v46
	v_mov_b32_e32 v19, v47
	v_mov_b32_e32 v20, v48
	v_mov_b32_e32 v21, v49
	v_mov_b32_e32 v22, v50
	v_mov_b32_e32 v23, v51
	v_mov_b32_e32 v24, v52
	v_mov_b32_e32 v25, v53
	v_mov_b32_e32 v26, v54
	v_mov_b32_e32 v27, v55
	v_mov_b32_e32 v28, v56
	v_mov_b32_e32 v29, v57
	v_mov_b32_e32 v30, v58
	v_mov_b32_e32 v31, v59
	v_mov_b32_e32 v32, v60
	v_mov_b32_e32 v33, v61
.LBB72_70:
	s_or_b64 exec, exec, s[0:1]
	s_waitcnt lgkmcnt(0)
	; wave barrier
	ds_read2_b64 v[20:23], v34 offset0:13 offset1:14
	ds_read2_b64 v[24:27], v34 offset0:15 offset1:16
	v_cmp_lt_u32_e32 vcc, 1, v0
	s_waitcnt lgkmcnt(1)
	v_fma_f64 v[20:21], v[8:9], v[20:21], 0
	v_fma_f64 v[20:21], v[10:11], v[22:23], v[20:21]
	s_waitcnt lgkmcnt(0)
	v_fma_f64 v[20:21], v[12:13], v[24:25], v[20:21]
	v_fma_f64 v[24:25], v[14:15], v[26:27], v[20:21]
	ds_read2_b64 v[20:23], v34 offset0:17 offset1:18
	s_waitcnt lgkmcnt(0)
	v_fma_f64 v[20:21], v[16:17], v[20:21], v[24:25]
	v_fma_f64 v[20:21], v[18:19], v[22:23], v[20:21]
	v_add_f64 v[6:7], v[6:7], -v[20:21]
	s_and_saveexec_b64 s[0:1], vcc
	s_cbranch_execz .LBB72_72
; %bb.71:
	v_mov_b32_e32 v22, 0
	v_mov_b32_e32 v20, v2
	;; [unrolled: 1-line block ×18, first 2 shown]
	ds_write_b64 v1, v[4:5]
	v_mov_b32_e32 v2, v20
	v_mov_b32_e32 v3, v21
	;; [unrolled: 1-line block ×32, first 2 shown]
.LBB72_72:
	s_or_b64 exec, exec, s[0:1]
	v_mov_b32_e32 v34, 0
	s_waitcnt lgkmcnt(0)
	; wave barrier
	ds_read_b128 v[20:23], v34 offset:96
	ds_read_b128 v[24:27], v34 offset:112
	v_cmp_ne_u32_e32 vcc, 0, v0
	s_waitcnt lgkmcnt(1)
	v_fma_f64 v[20:21], v[6:7], v[20:21], 0
	v_fma_f64 v[20:21], v[8:9], v[22:23], v[20:21]
	s_waitcnt lgkmcnt(0)
	v_fma_f64 v[20:21], v[10:11], v[24:25], v[20:21]
	v_fma_f64 v[24:25], v[12:13], v[26:27], v[20:21]
	ds_read_b128 v[20:23], v34 offset:128
	ds_read_b64 v[26:27], v34 offset:144
	s_waitcnt lgkmcnt(1)
	v_fma_f64 v[20:21], v[14:15], v[20:21], v[24:25]
	v_fma_f64 v[20:21], v[16:17], v[22:23], v[20:21]
	s_waitcnt lgkmcnt(0)
	v_fma_f64 v[20:21], v[18:19], v[26:27], v[20:21]
	v_add_f64 v[4:5], v[4:5], -v[20:21]
	s_and_saveexec_b64 s[0:1], vcc
	s_cbranch_execz .LBB72_74
; %bb.73:
	v_mov_b32_e32 v35, v34
	v_mov_b32_e32 v36, v4
	;; [unrolled: 1-line block ×17, first 2 shown]
	ds_write_b64 v1, v[2:3]
	v_mov_b32_e32 v2, v34
	v_mov_b32_e32 v3, v35
	;; [unrolled: 1-line block ×32, first 2 shown]
.LBB72_74:
	s_or_b64 exec, exec, s[0:1]
	s_waitcnt lgkmcnt(0)
	; wave barrier
	ds_read2_b64 v[20:23], v34 offset0:11 offset1:12
	ds_read2_b64 v[24:27], v34 offset0:13 offset1:14
	s_and_b64 vcc, exec, s[30:31]
	s_waitcnt lgkmcnt(1)
	v_fma_f64 v[0:1], v[4:5], v[20:21], 0
	v_fma_f64 v[0:1], v[6:7], v[22:23], v[0:1]
	s_waitcnt lgkmcnt(0)
	v_fma_f64 v[0:1], v[8:9], v[24:25], v[0:1]
	v_fma_f64 v[0:1], v[10:11], v[26:27], v[0:1]
	ds_read2_b64 v[20:23], v34 offset0:15 offset1:16
	ds_read2_b64 v[24:27], v34 offset0:17 offset1:18
	s_waitcnt lgkmcnt(1)
	v_fma_f64 v[0:1], v[12:13], v[20:21], v[0:1]
	v_fma_f64 v[0:1], v[14:15], v[22:23], v[0:1]
	s_waitcnt lgkmcnt(0)
	v_fma_f64 v[0:1], v[16:17], v[24:25], v[0:1]
	v_fma_f64 v[0:1], v[18:19], v[26:27], v[0:1]
	v_add_f64 v[2:3], v[2:3], -v[0:1]
	s_cbranch_vccz .LBB72_91
; %bb.75:
	v_mov_b32_e32 v0, 0
	global_load_dword v1, v0, s[28:29] offset:28
	s_waitcnt vmcnt(0)
	v_readfirstlane_b32 s0, v1
	s_add_i32 s0, s0, -1
	s_cmp_lg_u32 s0, 7
	s_cbranch_scc0 .LBB72_77
; %bb.76:
	s_lshl_b32 s0, s0, 1
	s_set_gpr_idx_on s0, gpr_idx(SRC0)
	v_mov_b32_e32 v1, v3
	v_mov_b32_e32 v50, v2
	s_set_gpr_idx_off
	v_mov_b32_e32 v49, v33
	v_mov_b32_e32 v48, v32
	;; [unrolled: 1-line block ×34, first 2 shown]
	s_set_gpr_idx_on s0, gpr_idx(DST)
	v_mov_b32_e32 v18, v16
	v_mov_b32_e32 v19, v17
	s_set_gpr_idx_off
	v_mov_b32_e32 v2, v18
	v_mov_b32_e32 v3, v19
	;; [unrolled: 1-line block ×32, first 2 shown]
.LBB72_77:
	global_load_dword v0, v0, s[28:29] offset:24
	s_waitcnt vmcnt(0)
	v_readfirstlane_b32 s0, v0
	s_add_i32 s0, s0, -1
	s_cmp_eq_u32 s0, 6
	s_cbranch_scc1 .LBB72_79
; %bb.78:
	s_lshl_b32 s0, s0, 1
	s_set_gpr_idx_on s0, gpr_idx(SRC0)
	v_mov_b32_e32 v0, v3
	v_mov_b32_e32 v1, v2
	s_set_gpr_idx_off
	v_mov_b32_e32 v47, v33
	v_mov_b32_e32 v46, v32
	;; [unrolled: 1-line block ×34, first 2 shown]
	s_set_gpr_idx_on s0, gpr_idx(DST)
	v_mov_b32_e32 v16, v14
	v_mov_b32_e32 v17, v15
	s_set_gpr_idx_off
	v_mov_b32_e32 v2, v16
	v_mov_b32_e32 v3, v17
	;; [unrolled: 1-line block ×32, first 2 shown]
.LBB72_79:
	v_mov_b32_e32 v0, 0
	global_load_dword v1, v0, s[28:29] offset:20
	s_waitcnt vmcnt(0)
	v_readfirstlane_b32 s0, v1
	s_add_i32 s0, s0, -1
	s_cmp_eq_u32 s0, 5
	s_cbranch_scc1 .LBB72_81
; %bb.80:
	s_lshl_b32 s0, s0, 1
	s_set_gpr_idx_on s0, gpr_idx(SRC0)
	v_mov_b32_e32 v1, v3
	v_mov_b32_e32 v46, v2
	s_set_gpr_idx_off
	v_mov_b32_e32 v45, v33
	v_mov_b32_e32 v44, v32
	;; [unrolled: 1-line block ×34, first 2 shown]
	s_set_gpr_idx_on s0, gpr_idx(DST)
	v_mov_b32_e32 v14, v12
	v_mov_b32_e32 v15, v13
	s_set_gpr_idx_off
	v_mov_b32_e32 v2, v14
	v_mov_b32_e32 v3, v15
	;; [unrolled: 1-line block ×32, first 2 shown]
.LBB72_81:
	global_load_dword v0, v0, s[28:29] offset:16
	s_waitcnt vmcnt(0)
	v_readfirstlane_b32 s0, v0
	s_add_i32 s0, s0, -1
	s_cmp_eq_u32 s0, 4
	s_cbranch_scc1 .LBB72_83
; %bb.82:
	s_lshl_b32 s0, s0, 1
	s_set_gpr_idx_on s0, gpr_idx(SRC0)
	v_mov_b32_e32 v0, v3
	v_mov_b32_e32 v1, v2
	s_set_gpr_idx_off
	v_mov_b32_e32 v43, v33
	v_mov_b32_e32 v42, v32
	;; [unrolled: 1-line block ×34, first 2 shown]
	s_set_gpr_idx_on s0, gpr_idx(DST)
	v_mov_b32_e32 v12, v10
	v_mov_b32_e32 v13, v11
	s_set_gpr_idx_off
	v_mov_b32_e32 v2, v12
	v_mov_b32_e32 v3, v13
	v_mov_b32_e32 v4, v14
	v_mov_b32_e32 v5, v15
	v_mov_b32_e32 v6, v16
	v_mov_b32_e32 v7, v17
	v_mov_b32_e32 v8, v18
	v_mov_b32_e32 v9, v19
	v_mov_b32_e32 v10, v20
	v_mov_b32_e32 v11, v21
	v_mov_b32_e32 v12, v22
	v_mov_b32_e32 v13, v23
	v_mov_b32_e32 v14, v24
	v_mov_b32_e32 v15, v25
	v_mov_b32_e32 v16, v26
	v_mov_b32_e32 v17, v27
	v_mov_b32_e32 v18, v28
	v_mov_b32_e32 v19, v29
	v_mov_b32_e32 v20, v30
	v_mov_b32_e32 v21, v31
	v_mov_b32_e32 v22, v32
	v_mov_b32_e32 v23, v33
	v_mov_b32_e32 v24, v34
	v_mov_b32_e32 v25, v35
	v_mov_b32_e32 v26, v36
	v_mov_b32_e32 v27, v37
	v_mov_b32_e32 v28, v38
	v_mov_b32_e32 v29, v39
	v_mov_b32_e32 v30, v40
	v_mov_b32_e32 v31, v41
	v_mov_b32_e32 v32, v42
	v_mov_b32_e32 v33, v43
.LBB72_83:
	v_mov_b32_e32 v0, 0
	global_load_dword v1, v0, s[28:29] offset:12
	s_waitcnt vmcnt(0)
	v_readfirstlane_b32 s0, v1
	s_add_i32 s0, s0, -1
	s_cmp_eq_u32 s0, 3
	s_cbranch_scc1 .LBB72_85
; %bb.84:
	s_lshl_b32 s0, s0, 1
	s_set_gpr_idx_on s0, gpr_idx(SRC0)
	v_mov_b32_e32 v1, v3
	v_mov_b32_e32 v42, v2
	s_set_gpr_idx_off
	v_mov_b32_e32 v41, v33
	v_mov_b32_e32 v40, v32
	;; [unrolled: 1-line block ×34, first 2 shown]
	s_set_gpr_idx_on s0, gpr_idx(DST)
	v_mov_b32_e32 v10, v8
	v_mov_b32_e32 v11, v9
	s_set_gpr_idx_off
	v_mov_b32_e32 v2, v10
	v_mov_b32_e32 v3, v11
	;; [unrolled: 1-line block ×32, first 2 shown]
.LBB72_85:
	global_load_dword v0, v0, s[28:29] offset:8
	s_waitcnt vmcnt(0)
	v_readfirstlane_b32 s0, v0
	s_add_i32 s0, s0, -1
	s_cmp_eq_u32 s0, 2
	s_cbranch_scc1 .LBB72_87
; %bb.86:
	s_lshl_b32 s0, s0, 1
	s_set_gpr_idx_on s0, gpr_idx(SRC0)
	v_mov_b32_e32 v0, v3
	v_mov_b32_e32 v1, v2
	s_set_gpr_idx_off
	v_mov_b32_e32 v39, v33
	v_mov_b32_e32 v38, v32
	v_mov_b32_e32 v37, v31
	v_mov_b32_e32 v36, v30
	v_mov_b32_e32 v35, v29
	v_mov_b32_e32 v34, v28
	v_mov_b32_e32 v33, v27
	v_mov_b32_e32 v32, v26
	v_mov_b32_e32 v31, v25
	v_mov_b32_e32 v30, v24
	v_mov_b32_e32 v29, v23
	v_mov_b32_e32 v28, v22
	v_mov_b32_e32 v27, v21
	v_mov_b32_e32 v26, v20
	v_mov_b32_e32 v25, v19
	v_mov_b32_e32 v24, v18
	v_mov_b32_e32 v23, v17
	v_mov_b32_e32 v22, v16
	v_mov_b32_e32 v21, v15
	v_mov_b32_e32 v20, v14
	v_mov_b32_e32 v19, v13
	v_mov_b32_e32 v18, v12
	v_mov_b32_e32 v17, v11
	v_mov_b32_e32 v16, v10
	v_mov_b32_e32 v15, v9
	v_mov_b32_e32 v14, v8
	v_mov_b32_e32 v13, v7
	v_mov_b32_e32 v12, v6
	v_mov_b32_e32 v11, v5
	v_mov_b32_e32 v10, v4
	v_mov_b32_e32 v9, v3
	v_mov_b32_e32 v8, v2
	v_mov_b32_e32 v12, v1
	v_mov_b32_e32 v13, v0
	s_set_gpr_idx_on s0, gpr_idx(DST)
	v_mov_b32_e32 v8, v6
	v_mov_b32_e32 v9, v7
	s_set_gpr_idx_off
	v_mov_b32_e32 v2, v8
	v_mov_b32_e32 v3, v9
	;; [unrolled: 1-line block ×32, first 2 shown]
.LBB72_87:
	v_mov_b32_e32 v0, 0
	global_load_dword v1, v0, s[28:29] offset:4
	s_waitcnt vmcnt(0)
	v_readfirstlane_b32 s0, v1
	s_add_i32 s0, s0, -1
	s_cmp_eq_u32 s0, 1
	s_cbranch_scc1 .LBB72_89
; %bb.88:
	s_lshl_b32 s0, s0, 1
	s_set_gpr_idx_on s0, gpr_idx(SRC0)
	v_mov_b32_e32 v1, v3
	v_mov_b32_e32 v38, v2
	s_set_gpr_idx_off
	v_mov_b32_e32 v37, v33
	v_mov_b32_e32 v36, v32
	;; [unrolled: 1-line block ×34, first 2 shown]
	s_set_gpr_idx_on s0, gpr_idx(DST)
	v_mov_b32_e32 v6, v4
	v_mov_b32_e32 v7, v5
	s_set_gpr_idx_off
	v_mov_b32_e32 v2, v6
	v_mov_b32_e32 v3, v7
	;; [unrolled: 1-line block ×32, first 2 shown]
.LBB72_89:
	global_load_dword v0, v0, s[28:29]
	s_waitcnt vmcnt(0)
	v_readfirstlane_b32 s0, v0
	s_add_i32 s0, s0, -1
	s_cmp_eq_u32 s0, 0
	s_cbranch_scc1 .LBB72_91
; %bb.90:
	s_lshl_b32 s0, s0, 1
	s_set_gpr_idx_on s0, gpr_idx(SRC0)
	v_mov_b32_e32 v0, v3
	v_mov_b32_e32 v1, v2
	s_set_gpr_idx_off
	v_mov_b32_e32 v35, v33
	v_mov_b32_e32 v34, v32
	;; [unrolled: 1-line block ×34, first 2 shown]
	s_set_gpr_idx_on s0, gpr_idx(DST)
	v_mov_b32_e32 v4, v2
	v_mov_b32_e32 v5, v3
	s_set_gpr_idx_off
	v_mov_b32_e32 v2, v4
	v_mov_b32_e32 v3, v5
	;; [unrolled: 1-line block ×32, first 2 shown]
.LBB72_91:
	flat_store_dwordx2 v[66:67], v[2:3]
	flat_store_dwordx2 v[68:69], v[4:5]
	;; [unrolled: 1-line block ×9, first 2 shown]
	s_endpgm
	.section	.rodata,"a",@progbits
	.p2align	6, 0x0
	.amdhsa_kernel _ZN9rocsolver6v33100L18getri_kernel_smallILi9EdPKPdEEvT1_iilPiilS6_bb
		.amdhsa_group_segment_fixed_size 152
		.amdhsa_private_segment_fixed_size 0
		.amdhsa_kernarg_size 60
		.amdhsa_user_sgpr_count 6
		.amdhsa_user_sgpr_private_segment_buffer 1
		.amdhsa_user_sgpr_dispatch_ptr 0
		.amdhsa_user_sgpr_queue_ptr 0
		.amdhsa_user_sgpr_kernarg_segment_ptr 1
		.amdhsa_user_sgpr_dispatch_id 0
		.amdhsa_user_sgpr_flat_scratch_init 0
		.amdhsa_user_sgpr_private_segment_size 0
		.amdhsa_uses_dynamic_stack 0
		.amdhsa_system_sgpr_private_segment_wavefront_offset 0
		.amdhsa_system_sgpr_workgroup_id_x 1
		.amdhsa_system_sgpr_workgroup_id_y 0
		.amdhsa_system_sgpr_workgroup_id_z 0
		.amdhsa_system_sgpr_workgroup_info 0
		.amdhsa_system_vgpr_workitem_id 0
		.amdhsa_next_free_vgpr 70
		.amdhsa_next_free_sgpr 40
		.amdhsa_reserve_vcc 1
		.amdhsa_reserve_flat_scratch 0
		.amdhsa_float_round_mode_32 0
		.amdhsa_float_round_mode_16_64 0
		.amdhsa_float_denorm_mode_32 3
		.amdhsa_float_denorm_mode_16_64 3
		.amdhsa_dx10_clamp 1
		.amdhsa_ieee_mode 1
		.amdhsa_fp16_overflow 0
		.amdhsa_exception_fp_ieee_invalid_op 0
		.amdhsa_exception_fp_denorm_src 0
		.amdhsa_exception_fp_ieee_div_zero 0
		.amdhsa_exception_fp_ieee_overflow 0
		.amdhsa_exception_fp_ieee_underflow 0
		.amdhsa_exception_fp_ieee_inexact 0
		.amdhsa_exception_int_div_zero 0
	.end_amdhsa_kernel
	.section	.text._ZN9rocsolver6v33100L18getri_kernel_smallILi9EdPKPdEEvT1_iilPiilS6_bb,"axG",@progbits,_ZN9rocsolver6v33100L18getri_kernel_smallILi9EdPKPdEEvT1_iilPiilS6_bb,comdat
.Lfunc_end72:
	.size	_ZN9rocsolver6v33100L18getri_kernel_smallILi9EdPKPdEEvT1_iilPiilS6_bb, .Lfunc_end72-_ZN9rocsolver6v33100L18getri_kernel_smallILi9EdPKPdEEvT1_iilPiilS6_bb
                                        ; -- End function
	.set _ZN9rocsolver6v33100L18getri_kernel_smallILi9EdPKPdEEvT1_iilPiilS6_bb.num_vgpr, 70
	.set _ZN9rocsolver6v33100L18getri_kernel_smallILi9EdPKPdEEvT1_iilPiilS6_bb.num_agpr, 0
	.set _ZN9rocsolver6v33100L18getri_kernel_smallILi9EdPKPdEEvT1_iilPiilS6_bb.numbered_sgpr, 40
	.set _ZN9rocsolver6v33100L18getri_kernel_smallILi9EdPKPdEEvT1_iilPiilS6_bb.num_named_barrier, 0
	.set _ZN9rocsolver6v33100L18getri_kernel_smallILi9EdPKPdEEvT1_iilPiilS6_bb.private_seg_size, 0
	.set _ZN9rocsolver6v33100L18getri_kernel_smallILi9EdPKPdEEvT1_iilPiilS6_bb.uses_vcc, 1
	.set _ZN9rocsolver6v33100L18getri_kernel_smallILi9EdPKPdEEvT1_iilPiilS6_bb.uses_flat_scratch, 0
	.set _ZN9rocsolver6v33100L18getri_kernel_smallILi9EdPKPdEEvT1_iilPiilS6_bb.has_dyn_sized_stack, 0
	.set _ZN9rocsolver6v33100L18getri_kernel_smallILi9EdPKPdEEvT1_iilPiilS6_bb.has_recursion, 0
	.set _ZN9rocsolver6v33100L18getri_kernel_smallILi9EdPKPdEEvT1_iilPiilS6_bb.has_indirect_call, 0
	.section	.AMDGPU.csdata,"",@progbits
; Kernel info:
; codeLenInByte = 9888
; TotalNumSgprs: 44
; NumVgprs: 70
; ScratchSize: 0
; MemoryBound: 0
; FloatMode: 240
; IeeeMode: 1
; LDSByteSize: 152 bytes/workgroup (compile time only)
; SGPRBlocks: 5
; VGPRBlocks: 17
; NumSGPRsForWavesPerEU: 44
; NumVGPRsForWavesPerEU: 70
; Occupancy: 3
; WaveLimiterHint : 1
; COMPUTE_PGM_RSRC2:SCRATCH_EN: 0
; COMPUTE_PGM_RSRC2:USER_SGPR: 6
; COMPUTE_PGM_RSRC2:TRAP_HANDLER: 0
; COMPUTE_PGM_RSRC2:TGID_X_EN: 1
; COMPUTE_PGM_RSRC2:TGID_Y_EN: 0
; COMPUTE_PGM_RSRC2:TGID_Z_EN: 0
; COMPUTE_PGM_RSRC2:TIDIG_COMP_CNT: 0
	.section	.text._ZN9rocsolver6v33100L18getri_kernel_smallILi10EdPKPdEEvT1_iilPiilS6_bb,"axG",@progbits,_ZN9rocsolver6v33100L18getri_kernel_smallILi10EdPKPdEEvT1_iilPiilS6_bb,comdat
	.globl	_ZN9rocsolver6v33100L18getri_kernel_smallILi10EdPKPdEEvT1_iilPiilS6_bb ; -- Begin function _ZN9rocsolver6v33100L18getri_kernel_smallILi10EdPKPdEEvT1_iilPiilS6_bb
	.p2align	8
	.type	_ZN9rocsolver6v33100L18getri_kernel_smallILi10EdPKPdEEvT1_iilPiilS6_bb,@function
_ZN9rocsolver6v33100L18getri_kernel_smallILi10EdPKPdEEvT1_iilPiilS6_bb: ; @_ZN9rocsolver6v33100L18getri_kernel_smallILi10EdPKPdEEvT1_iilPiilS6_bb
; %bb.0:
	v_cmp_gt_u32_e32 vcc, 10, v0
	s_and_saveexec_b64 s[0:1], vcc
	s_cbranch_execz .LBB73_16
; %bb.1:
	s_load_dword s8, s[4:5], 0x38
	s_load_dwordx2 s[0:1], s[4:5], 0x0
	s_load_dwordx4 s[24:27], s[4:5], 0x28
                                        ; implicit-def: $sgpr28_sgpr29
	s_waitcnt lgkmcnt(0)
	s_bitcmp1_b32 s8, 8
	s_cselect_b64 s[30:31], -1, 0
	s_ashr_i32 s7, s6, 31
	s_lshl_b64 s[2:3], s[6:7], 3
	s_add_u32 s0, s0, s2
	s_addc_u32 s1, s1, s3
	s_load_dwordx2 s[2:3], s[0:1], 0x0
	s_bfe_u32 s0, s8, 0x10008
	s_cmp_eq_u32 s0, 0
	s_cbranch_scc1 .LBB73_3
; %bb.2:
	s_load_dword s0, s[4:5], 0x20
	s_load_dwordx2 s[8:9], s[4:5], 0x18
	s_mul_i32 s1, s24, s7
	s_mul_hi_u32 s10, s24, s6
	s_add_i32 s10, s10, s1
	s_mul_i32 s11, s25, s6
	s_add_i32 s11, s10, s11
	s_mul_i32 s10, s24, s6
	s_waitcnt lgkmcnt(0)
	s_ashr_i32 s1, s0, 31
	s_lshl_b64 s[10:11], s[10:11], 2
	s_add_u32 s8, s8, s10
	s_addc_u32 s9, s9, s11
	s_lshl_b64 s[0:1], s[0:1], 2
	s_add_u32 s28, s8, s0
	s_addc_u32 s29, s9, s1
.LBB73_3:
	s_load_dwordx2 s[0:1], s[4:5], 0x8
	s_load_dword s8, s[4:5], 0x38
	v_lshlrev_b32_e32 v24, 3, v0
	s_waitcnt lgkmcnt(0)
	s_ashr_i32 s5, s0, 31
	s_mov_b32 s4, s0
	s_lshl_b64 s[4:5], s[4:5], 3
	s_add_u32 s0, s2, s4
	s_addc_u32 s2, s3, s5
	s_add_i32 s3, s1, s1
	v_add_u32_e32 v1, s3, v0
	v_ashrrev_i32_e32 v2, 31, v1
	v_lshlrev_b64 v[2:3], 3, v[1:2]
	v_add_u32_e32 v1, s1, v1
	v_mov_b32_e32 v4, s2
	v_add_co_u32_e32 v52, vcc, s0, v2
	v_ashrrev_i32_e32 v2, 31, v1
	v_addc_co_u32_e32 v53, vcc, v4, v3, vcc
	v_lshlrev_b64 v[2:3], 3, v[1:2]
	v_add_u32_e32 v1, s1, v1
	v_add_co_u32_e32 v54, vcc, s0, v2
	v_ashrrev_i32_e32 v2, 31, v1
	v_addc_co_u32_e32 v55, vcc, v4, v3, vcc
	v_lshlrev_b64 v[2:3], 3, v[1:2]
	v_add_u32_e32 v1, s1, v1
	;; [unrolled: 5-line block ×6, first 2 shown]
	v_add_co_u32_e32 v64, vcc, s0, v2
	v_ashrrev_i32_e32 v2, 31, v1
	v_lshlrev_b64 v[1:2], 3, v[1:2]
	v_addc_co_u32_e32 v65, vcc, v4, v3, vcc
	v_mov_b32_e32 v3, s2
	v_add_co_u32_e32 v66, vcc, s0, v1
	v_addc_co_u32_e32 v67, vcc, v3, v2, vcc
	v_mov_b32_e32 v1, s2
	v_add_co_u32_e32 v68, vcc, s0, v24
	s_ashr_i32 s3, s1, 31
	s_mov_b32 s2, s1
	v_addc_co_u32_e32 v69, vcc, 0, v1, vcc
	s_lshl_b64 s[0:1], s[2:3], 3
	v_mov_b32_e32 v1, s1
	v_add_co_u32_e32 v70, vcc, s0, v68
	v_addc_co_u32_e32 v71, vcc, v69, v1, vcc
	flat_load_dwordx2 v[2:3], v[68:69]
	flat_load_dwordx2 v[4:5], v[70:71]
	;; [unrolled: 1-line block ×10, first 2 shown]
	v_mov_b32_e32 v1, 0
	s_bitcmp0_b32 s8, 0
	s_mov_b64 s[0:1], -1
	s_cbranch_scc1 .LBB73_14
; %bb.4:
	v_cmp_eq_u32_e64 s[0:1], 0, v0
	s_and_saveexec_b64 s[2:3], s[0:1]
; %bb.5:
	v_mov_b32_e32 v22, 0
	ds_write_b32 v22, v22 offset:160
; %bb.6:
	s_or_b64 exec, exec, s[2:3]
	v_cmp_eq_u32_e32 vcc, 1, v0
	s_waitcnt vmcnt(0) lgkmcnt(0)
	v_cndmask_b32_e32 v22, v3, v5, vcc
	v_cmp_eq_u32_e64 s[2:3], 2, v0
	v_cndmask_b32_e64 v22, v22, v7, s[2:3]
	v_cmp_eq_u32_e64 s[4:5], 3, v0
	v_cndmask_b32_e64 v22, v22, v9, s[4:5]
	;; [unrolled: 2-line block ×8, first 2 shown]
	v_cndmask_b32_e32 v22, v2, v4, vcc
	v_cndmask_b32_e64 v22, v22, v6, s[2:3]
	v_cndmask_b32_e64 v22, v22, v8, s[4:5]
	;; [unrolled: 1-line block ×8, first 2 shown]
	v_cmp_eq_f64_e32 vcc, 0, v[22:23]
	; wave barrier
	s_and_saveexec_b64 s[4:5], vcc
	s_cbranch_execz .LBB73_10
; %bb.7:
	v_mov_b32_e32 v25, 0
	ds_read_b32 v27, v25 offset:160
	v_add_u32_e32 v26, 1, v0
	s_waitcnt lgkmcnt(0)
	v_readfirstlane_b32 s2, v27
	s_cmp_eq_u32 s2, 0
	s_cselect_b64 s[8:9], -1, 0
	v_cmp_gt_i32_e32 vcc, s2, v26
	s_or_b64 s[8:9], s[8:9], vcc
	s_and_b64 exec, exec, s[8:9]
	s_cbranch_execz .LBB73_10
; %bb.8:
	s_mov_b64 s[8:9], 0
	v_mov_b32_e32 v27, s2
.LBB73_9:                               ; =>This Inner Loop Header: Depth=1
	ds_cmpst_rtn_b32 v27, v25, v27, v26 offset:160
	s_waitcnt lgkmcnt(0)
	v_cmp_ne_u32_e32 vcc, 0, v27
	v_cmp_le_i32_e64 s[2:3], v27, v26
	s_and_b64 s[2:3], vcc, s[2:3]
	s_and_b64 s[2:3], exec, s[2:3]
	s_or_b64 s[8:9], s[2:3], s[8:9]
	s_andn2_b64 exec, exec, s[8:9]
	s_cbranch_execnz .LBB73_9
.LBB73_10:
	s_or_b64 exec, exec, s[4:5]
	v_mov_b32_e32 v26, 0
	; wave barrier
	ds_read_b32 v25, v26 offset:160
	s_and_saveexec_b64 s[2:3], s[0:1]
	s_cbranch_execz .LBB73_12
; %bb.11:
	s_lshl_b64 s[4:5], s[6:7], 2
	s_add_u32 s4, s26, s4
	s_addc_u32 s5, s27, s5
	s_waitcnt lgkmcnt(0)
	global_store_dword v26, v25, s[4:5]
.LBB73_12:
	s_or_b64 exec, exec, s[2:3]
	s_waitcnt lgkmcnt(0)
	v_cmp_ne_u32_e32 vcc, 0, v25
	s_cbranch_vccz .LBB73_17
; %bb.13:
	s_mov_b64 s[0:1], 0
                                        ; implicit-def: $vgpr2_vgpr3_vgpr4_vgpr5_vgpr6_vgpr7_vgpr8_vgpr9_vgpr10_vgpr11_vgpr12_vgpr13_vgpr14_vgpr15_vgpr16_vgpr17_vgpr18_vgpr19_vgpr20_vgpr21_vgpr22_vgpr23_vgpr24_vgpr25_vgpr26_vgpr27_vgpr28_vgpr29_vgpr30_vgpr31_vgpr32_vgpr33
.LBB73_14:
	s_and_b64 vcc, exec, s[0:1]
	s_cbranch_vccz .LBB73_16
.LBB73_15:
	s_lshl_b64 s[0:1], s[6:7], 2
	s_add_u32 s0, s26, s0
	s_addc_u32 s1, s27, s1
	v_mov_b32_e32 v1, 0
	global_load_dword v1, v1, s[0:1]
	s_waitcnt vmcnt(0)
	v_cmp_ne_u32_e32 vcc, 0, v1
	s_cbranch_vccz .LBB73_62
.LBB73_16:
	s_endpgm
.LBB73_17:
	v_div_scale_f64 v[25:26], s[2:3], v[22:23], v[22:23], 1.0
	v_rcp_f64_e32 v[27:28], v[25:26]
	v_fma_f64 v[29:30], -v[25:26], v[27:28], 1.0
	v_fma_f64 v[27:28], v[27:28], v[29:30], v[27:28]
	v_div_scale_f64 v[29:30], vcc, 1.0, v[22:23], 1.0
	v_fma_f64 v[31:32], -v[25:26], v[27:28], 1.0
	v_fma_f64 v[27:28], v[27:28], v[31:32], v[27:28]
	v_mul_f64 v[31:32], v[29:30], v[27:28]
	v_fma_f64 v[25:26], -v[25:26], v[31:32], v[29:30]
	v_div_fmas_f64 v[25:26], v[25:26], v[27:28], v[31:32]
	v_cmp_eq_u32_e32 vcc, 9, v0
	v_div_fixup_f64 v[22:23], v[25:26], v[22:23], 1.0
	v_add_u32_e32 v26, 0x50, v24
	v_cndmask_b32_e32 v21, v21, v23, vcc
	v_cndmask_b32_e32 v20, v20, v22, vcc
	v_cmp_eq_u32_e32 vcc, 8, v0
	v_cndmask_b32_e32 v19, v19, v23, vcc
	v_cndmask_b32_e32 v18, v18, v22, vcc
	v_cmp_eq_u32_e32 vcc, 7, v0
	;; [unrolled: 3-line block ×9, first 2 shown]
	v_cndmask_b32_e32 v3, v3, v23, vcc
	v_cndmask_b32_e32 v2, v2, v22, vcc
	v_xor_b32_e32 v28, 0x80000000, v23
	v_mov_b32_e32 v27, v22
	ds_write2_b64 v24, v[27:28], v[4:5] offset1:10
	s_waitcnt lgkmcnt(0)
	; wave barrier
	s_and_saveexec_b64 s[2:3], s[0:1]
	s_cbranch_execz .LBB73_19
; %bb.18:
	ds_read_b64 v[4:5], v26
	v_mov_b32_e32 v24, 0
	ds_read_b64 v[24:25], v24 offset:8
	s_waitcnt lgkmcnt(1)
	v_fma_f64 v[4:5], v[22:23], v[4:5], 0
	s_waitcnt lgkmcnt(0)
	v_mul_f64 v[4:5], v[4:5], v[24:25]
.LBB73_19:
	s_or_b64 exec, exec, s[2:3]
	v_cmp_gt_u32_e32 vcc, 2, v0
	; wave barrier
	ds_write_b64 v26, v[6:7]
	s_waitcnt lgkmcnt(0)
	; wave barrier
	s_and_saveexec_b64 s[22:23], vcc
	s_cbranch_execz .LBB73_21
; %bb.20:
	v_cmp_eq_u32_e64 s[2:3], 1, v0
	v_cndmask_b32_e64 v22, v3, v5, s[2:3]
	v_cmp_eq_u32_e64 s[4:5], 2, v0
	v_cndmask_b32_e64 v7, v22, v7, s[4:5]
	v_cndmask_b32_e64 v22, v2, v4, s[2:3]
	v_cmp_eq_u32_e64 s[8:9], 3, v0
	v_cndmask_b32_e64 v6, v22, v6, s[4:5]
	;; [unrolled: 3-line block ×5, first 2 shown]
	ds_read_b64 v[22:23], v26
	v_cndmask_b32_e64 v7, v7, v15, s[14:15]
	v_cmp_eq_u32_e64 s[16:17], 7, v0
	v_cndmask_b32_e64 v6, v6, v14, s[14:15]
	v_cndmask_b32_e64 v7, v7, v17, s[16:17]
	v_cmp_eq_u32_e64 s[18:19], 8, v0
	v_cndmask_b32_e64 v6, v6, v16, s[16:17]
	;; [unrolled: 3-line block ×3, first 2 shown]
	v_cndmask_b32_e64 v7, v7, v21, s[20:21]
	v_cndmask_b32_e64 v6, v6, v20, s[20:21]
	s_waitcnt lgkmcnt(0)
	v_fma_f64 v[6:7], v[6:7], v[22:23], 0
	v_mov_b32_e32 v22, 0
	ds_read2_b64 v[22:25], v22 offset0:2 offset1:11
	s_waitcnt lgkmcnt(0)
	v_fma_f64 v[24:25], v[4:5], v[24:25], v[6:7]
	v_cndmask_b32_e64 v7, v7, v25, s[0:1]
	v_cndmask_b32_e64 v6, v6, v24, s[0:1]
	v_mul_f64 v[6:7], v[6:7], v[22:23]
.LBB73_21:
	s_or_b64 exec, exec, s[22:23]
	v_cmp_gt_u32_e64 s[2:3], 3, v0
	; wave barrier
	ds_write_b64 v26, v[8:9]
	s_waitcnt lgkmcnt(0)
	; wave barrier
	s_and_saveexec_b64 s[8:9], s[2:3]
	s_cbranch_execz .LBB73_25
; %bb.22:
	v_mov_b32_e32 v22, 0x50
	v_lshl_add_u32 v27, v0, 3, v22
	v_mov_b32_e32 v22, 0
	v_mov_b32_e32 v25, v1
	v_mov_b32_e32 v23, 0
	s_mov_b64 s[10:11], 0
	v_mov_b32_e32 v24, v0
.LBB73_23:                              ; =>This Inner Loop Header: Depth=1
	v_cmp_eq_u32_e64 s[2:3], 1, v24
	v_cndmask_b32_e64 v30, v3, v5, s[2:3]
	v_cmp_eq_u32_e64 s[4:5], 2, v24
	v_cndmask_b32_e64 v30, v30, v7, s[4:5]
	v_cndmask_b32_e64 v31, v2, v4, s[2:3]
	v_cmp_eq_u32_e64 s[2:3], 3, v24
	v_cndmask_b32_e64 v30, v30, v9, s[2:3]
	v_cndmask_b32_e64 v31, v31, v6, s[4:5]
	v_cmp_eq_u32_e64 s[4:5], 4, v24
	v_cndmask_b32_e64 v30, v30, v11, s[4:5]
	v_cndmask_b32_e64 v31, v31, v8, s[2:3]
	v_cmp_eq_u32_e64 s[2:3], 5, v24
	v_cndmask_b32_e64 v30, v30, v13, s[2:3]
	v_cndmask_b32_e64 v31, v31, v10, s[4:5]
	v_cmp_eq_u32_e64 s[4:5], 6, v24
	ds_read_b64 v[28:29], v27
	v_cndmask_b32_e64 v30, v30, v15, s[4:5]
	v_cndmask_b32_e64 v31, v31, v12, s[2:3]
	v_cmp_eq_u32_e64 s[2:3], 7, v24
	v_cndmask_b32_e64 v30, v30, v17, s[2:3]
	v_cndmask_b32_e64 v31, v31, v14, s[4:5]
	v_cmp_eq_u32_e64 s[4:5], 8, v24
	v_cndmask_b32_e64 v30, v30, v19, s[4:5]
	v_cndmask_b32_e64 v32, v31, v16, s[2:3]
	v_cmp_eq_u32_e64 s[2:3], 9, v24
	v_cndmask_b32_e64 v31, v30, v21, s[2:3]
	v_cndmask_b32_e64 v30, v32, v18, s[4:5]
	v_cndmask_b32_e64 v30, v30, v20, s[2:3]
	s_waitcnt lgkmcnt(0)
	v_fma_f64 v[22:23], v[30:31], v[28:29], v[22:23]
	v_add_co_u32_e64 v24, s[2:3], 1, v24
	v_addc_co_u32_e64 v25, s[2:3], 0, v25, s[2:3]
	v_add_u32_e32 v28, -1, v24
	v_cmp_lt_u32_e64 s[2:3], 1, v28
	s_or_b64 s[10:11], s[2:3], s[10:11]
	v_add_u32_e32 v27, 8, v27
	s_andn2_b64 exec, exec, s[10:11]
	s_cbranch_execnz .LBB73_23
; %bb.24:
	s_or_b64 exec, exec, s[10:11]
	v_mov_b32_e32 v8, 0
	ds_read_b64 v[8:9], v8 offset:24
	s_waitcnt lgkmcnt(0)
	v_mul_f64 v[8:9], v[22:23], v[8:9]
.LBB73_25:
	s_or_b64 exec, exec, s[8:9]
	v_cmp_gt_u32_e64 s[2:3], 4, v0
	; wave barrier
	ds_write_b64 v26, v[10:11]
	s_waitcnt lgkmcnt(0)
	; wave barrier
	s_and_saveexec_b64 s[10:11], s[2:3]
	s_cbranch_execz .LBB73_29
; %bb.26:
	v_mov_b32_e32 v22, 0x50
	v_lshl_add_u32 v27, v0, 3, v22
	v_mov_b32_e32 v22, 0
	v_mov_b32_e32 v25, v1
	v_mov_b32_e32 v23, 0
	s_mov_b64 s[12:13], 0
	v_mov_b32_e32 v24, v0
.LBB73_27:                              ; =>This Inner Loop Header: Depth=1
	v_cmp_eq_u32_e64 s[4:5], 1, v24
	v_cndmask_b32_e64 v30, v3, v5, s[4:5]
	v_cmp_eq_u32_e64 s[8:9], 2, v24
	v_cndmask_b32_e64 v30, v30, v7, s[8:9]
	v_cndmask_b32_e64 v31, v2, v4, s[4:5]
	v_cmp_eq_u32_e64 s[4:5], 3, v24
	v_cndmask_b32_e64 v30, v30, v9, s[4:5]
	v_cndmask_b32_e64 v31, v31, v6, s[8:9]
	v_cmp_eq_u32_e64 s[8:9], 4, v24
	v_cndmask_b32_e64 v30, v30, v11, s[8:9]
	v_cndmask_b32_e64 v31, v31, v8, s[4:5]
	v_cmp_eq_u32_e64 s[4:5], 5, v24
	v_cndmask_b32_e64 v30, v30, v13, s[4:5]
	v_cndmask_b32_e64 v31, v31, v10, s[8:9]
	v_cmp_eq_u32_e64 s[8:9], 6, v24
	ds_read_b64 v[28:29], v27
	v_cndmask_b32_e64 v30, v30, v15, s[8:9]
	v_cndmask_b32_e64 v31, v31, v12, s[4:5]
	v_cmp_eq_u32_e64 s[4:5], 7, v24
	v_cndmask_b32_e64 v30, v30, v17, s[4:5]
	v_cndmask_b32_e64 v31, v31, v14, s[8:9]
	v_cmp_eq_u32_e64 s[8:9], 8, v24
	v_cndmask_b32_e64 v30, v30, v19, s[8:9]
	v_cndmask_b32_e64 v32, v31, v16, s[4:5]
	v_cmp_eq_u32_e64 s[4:5], 9, v24
	v_cndmask_b32_e64 v31, v30, v21, s[4:5]
	v_cndmask_b32_e64 v30, v32, v18, s[8:9]
	v_cndmask_b32_e64 v30, v30, v20, s[4:5]
	s_waitcnt lgkmcnt(0)
	v_fma_f64 v[22:23], v[30:31], v[28:29], v[22:23]
	v_add_co_u32_e64 v24, s[4:5], 1, v24
	v_addc_co_u32_e64 v25, s[4:5], 0, v25, s[4:5]
	v_add_u32_e32 v28, -1, v24
	v_cmp_lt_u32_e64 s[4:5], 2, v28
	s_or_b64 s[12:13], s[4:5], s[12:13]
	v_add_u32_e32 v27, 8, v27
	s_andn2_b64 exec, exec, s[12:13]
	s_cbranch_execnz .LBB73_27
; %bb.28:
	s_or_b64 exec, exec, s[12:13]
	v_mov_b32_e32 v10, 0
	ds_read_b64 v[10:11], v10 offset:32
	s_waitcnt lgkmcnt(0)
	v_mul_f64 v[10:11], v[22:23], v[10:11]
.LBB73_29:
	s_or_b64 exec, exec, s[10:11]
	v_cmp_gt_u32_e64 s[4:5], 5, v0
	; wave barrier
	ds_write_b64 v26, v[12:13]
	s_waitcnt lgkmcnt(0)
	; wave barrier
	s_and_saveexec_b64 s[10:11], s[4:5]
	s_cbranch_execz .LBB73_33
; %bb.30:
	v_mov_b32_e32 v22, 0x50
	v_lshl_add_u32 v27, v0, 3, v22
	v_mov_b32_e32 v22, 0
	v_mov_b32_e32 v25, v1
	v_mov_b32_e32 v23, 0
	s_mov_b64 s[12:13], 0
	v_mov_b32_e32 v24, v0
.LBB73_31:                              ; =>This Inner Loop Header: Depth=1
	v_cmp_eq_u32_e64 s[4:5], 1, v24
	v_cndmask_b32_e64 v30, v3, v5, s[4:5]
	v_cmp_eq_u32_e64 s[8:9], 2, v24
	v_cndmask_b32_e64 v30, v30, v7, s[8:9]
	v_cndmask_b32_e64 v31, v2, v4, s[4:5]
	v_cmp_eq_u32_e64 s[4:5], 3, v24
	v_cndmask_b32_e64 v30, v30, v9, s[4:5]
	v_cndmask_b32_e64 v31, v31, v6, s[8:9]
	v_cmp_eq_u32_e64 s[8:9], 4, v24
	v_cndmask_b32_e64 v30, v30, v11, s[8:9]
	v_cndmask_b32_e64 v31, v31, v8, s[4:5]
	v_cmp_eq_u32_e64 s[4:5], 5, v24
	v_cndmask_b32_e64 v30, v30, v13, s[4:5]
	v_cndmask_b32_e64 v31, v31, v10, s[8:9]
	v_cmp_eq_u32_e64 s[8:9], 6, v24
	ds_read_b64 v[28:29], v27
	v_cndmask_b32_e64 v30, v30, v15, s[8:9]
	v_cndmask_b32_e64 v31, v31, v12, s[4:5]
	v_cmp_eq_u32_e64 s[4:5], 7, v24
	v_cndmask_b32_e64 v30, v30, v17, s[4:5]
	v_cndmask_b32_e64 v31, v31, v14, s[8:9]
	v_cmp_eq_u32_e64 s[8:9], 8, v24
	v_cndmask_b32_e64 v30, v30, v19, s[8:9]
	v_cndmask_b32_e64 v32, v31, v16, s[4:5]
	v_cmp_eq_u32_e64 s[4:5], 9, v24
	v_cndmask_b32_e64 v31, v30, v21, s[4:5]
	v_cndmask_b32_e64 v30, v32, v18, s[8:9]
	v_cndmask_b32_e64 v30, v30, v20, s[4:5]
	s_waitcnt lgkmcnt(0)
	v_fma_f64 v[22:23], v[30:31], v[28:29], v[22:23]
	v_add_co_u32_e64 v24, s[4:5], 1, v24
	v_addc_co_u32_e64 v25, s[4:5], 0, v25, s[4:5]
	v_add_u32_e32 v28, -1, v24
	v_cmp_lt_u32_e64 s[4:5], 3, v28
	s_or_b64 s[12:13], s[4:5], s[12:13]
	v_add_u32_e32 v27, 8, v27
	s_andn2_b64 exec, exec, s[12:13]
	s_cbranch_execnz .LBB73_31
; %bb.32:
	s_or_b64 exec, exec, s[12:13]
	v_mov_b32_e32 v12, 0
	ds_read_b64 v[12:13], v12 offset:40
	s_waitcnt lgkmcnt(0)
	v_mul_f64 v[12:13], v[22:23], v[12:13]
.LBB73_33:
	s_or_b64 exec, exec, s[10:11]
	v_cmp_gt_u32_e64 s[4:5], 6, v0
	; wave barrier
	ds_write_b64 v26, v[14:15]
	s_waitcnt lgkmcnt(0)
	; wave barrier
	s_and_saveexec_b64 s[12:13], s[4:5]
	s_cbranch_execz .LBB73_37
; %bb.34:
	v_mov_b32_e32 v22, 0x50
	v_lshl_add_u32 v27, v0, 3, v22
	v_mov_b32_e32 v22, 0
	v_mov_b32_e32 v25, v1
	v_mov_b32_e32 v23, 0
	s_mov_b64 s[14:15], 0
	v_mov_b32_e32 v24, v0
.LBB73_35:                              ; =>This Inner Loop Header: Depth=1
	v_cmp_eq_u32_e64 s[8:9], 1, v24
	v_cndmask_b32_e64 v30, v3, v5, s[8:9]
	v_cmp_eq_u32_e64 s[10:11], 2, v24
	v_cndmask_b32_e64 v30, v30, v7, s[10:11]
	v_cndmask_b32_e64 v31, v2, v4, s[8:9]
	v_cmp_eq_u32_e64 s[8:9], 3, v24
	v_cndmask_b32_e64 v30, v30, v9, s[8:9]
	v_cndmask_b32_e64 v31, v31, v6, s[10:11]
	v_cmp_eq_u32_e64 s[10:11], 4, v24
	v_cndmask_b32_e64 v30, v30, v11, s[10:11]
	v_cndmask_b32_e64 v31, v31, v8, s[8:9]
	v_cmp_eq_u32_e64 s[8:9], 5, v24
	v_cndmask_b32_e64 v30, v30, v13, s[8:9]
	v_cndmask_b32_e64 v31, v31, v10, s[10:11]
	v_cmp_eq_u32_e64 s[10:11], 6, v24
	ds_read_b64 v[28:29], v27
	v_cndmask_b32_e64 v30, v30, v15, s[10:11]
	v_cndmask_b32_e64 v31, v31, v12, s[8:9]
	v_cmp_eq_u32_e64 s[8:9], 7, v24
	v_cndmask_b32_e64 v30, v30, v17, s[8:9]
	v_cndmask_b32_e64 v31, v31, v14, s[10:11]
	v_cmp_eq_u32_e64 s[10:11], 8, v24
	v_cndmask_b32_e64 v30, v30, v19, s[10:11]
	v_cndmask_b32_e64 v32, v31, v16, s[8:9]
	v_cmp_eq_u32_e64 s[8:9], 9, v24
	v_cndmask_b32_e64 v31, v30, v21, s[8:9]
	v_cndmask_b32_e64 v30, v32, v18, s[10:11]
	v_cndmask_b32_e64 v30, v30, v20, s[8:9]
	s_waitcnt lgkmcnt(0)
	v_fma_f64 v[22:23], v[30:31], v[28:29], v[22:23]
	v_add_co_u32_e64 v24, s[8:9], 1, v24
	v_addc_co_u32_e64 v25, s[8:9], 0, v25, s[8:9]
	v_add_u32_e32 v28, -1, v24
	v_cmp_lt_u32_e64 s[8:9], 4, v28
	s_or_b64 s[14:15], s[8:9], s[14:15]
	v_add_u32_e32 v27, 8, v27
	s_andn2_b64 exec, exec, s[14:15]
	s_cbranch_execnz .LBB73_35
; %bb.36:
	s_or_b64 exec, exec, s[14:15]
	v_mov_b32_e32 v14, 0
	ds_read_b64 v[14:15], v14 offset:48
	s_waitcnt lgkmcnt(0)
	v_mul_f64 v[14:15], v[22:23], v[14:15]
.LBB73_37:
	s_or_b64 exec, exec, s[12:13]
	v_cmp_gt_u32_e64 s[8:9], 7, v0
	; wave barrier
	ds_write_b64 v26, v[16:17]
	s_waitcnt lgkmcnt(0)
	; wave barrier
	s_and_saveexec_b64 s[12:13], s[8:9]
	s_cbranch_execz .LBB73_41
; %bb.38:
	v_mov_b32_e32 v22, 0x50
	v_lshl_add_u32 v27, v0, 3, v22
	v_mov_b32_e32 v22, 0
	v_mov_b32_e32 v25, v1
	v_mov_b32_e32 v23, 0
	s_mov_b64 s[14:15], 0
	v_mov_b32_e32 v24, v0
.LBB73_39:                              ; =>This Inner Loop Header: Depth=1
	v_cmp_eq_u32_e64 s[8:9], 1, v24
	v_cndmask_b32_e64 v30, v3, v5, s[8:9]
	v_cmp_eq_u32_e64 s[10:11], 2, v24
	v_cndmask_b32_e64 v30, v30, v7, s[10:11]
	v_cndmask_b32_e64 v31, v2, v4, s[8:9]
	v_cmp_eq_u32_e64 s[8:9], 3, v24
	v_cndmask_b32_e64 v30, v30, v9, s[8:9]
	v_cndmask_b32_e64 v31, v31, v6, s[10:11]
	v_cmp_eq_u32_e64 s[10:11], 4, v24
	v_cndmask_b32_e64 v30, v30, v11, s[10:11]
	v_cndmask_b32_e64 v31, v31, v8, s[8:9]
	v_cmp_eq_u32_e64 s[8:9], 5, v24
	v_cndmask_b32_e64 v30, v30, v13, s[8:9]
	v_cndmask_b32_e64 v31, v31, v10, s[10:11]
	v_cmp_eq_u32_e64 s[10:11], 6, v24
	ds_read_b64 v[28:29], v27
	v_cndmask_b32_e64 v30, v30, v15, s[10:11]
	v_cndmask_b32_e64 v31, v31, v12, s[8:9]
	v_cmp_eq_u32_e64 s[8:9], 7, v24
	v_cndmask_b32_e64 v30, v30, v17, s[8:9]
	v_cndmask_b32_e64 v31, v31, v14, s[10:11]
	v_cmp_eq_u32_e64 s[10:11], 8, v24
	v_cndmask_b32_e64 v30, v30, v19, s[10:11]
	v_cndmask_b32_e64 v32, v31, v16, s[8:9]
	v_cmp_eq_u32_e64 s[8:9], 9, v24
	v_cndmask_b32_e64 v31, v30, v21, s[8:9]
	v_cndmask_b32_e64 v30, v32, v18, s[10:11]
	v_cndmask_b32_e64 v30, v30, v20, s[8:9]
	s_waitcnt lgkmcnt(0)
	v_fma_f64 v[22:23], v[30:31], v[28:29], v[22:23]
	v_add_co_u32_e64 v24, s[8:9], 1, v24
	v_addc_co_u32_e64 v25, s[8:9], 0, v25, s[8:9]
	v_add_u32_e32 v28, -1, v24
	v_cmp_lt_u32_e64 s[8:9], 5, v28
	s_or_b64 s[14:15], s[8:9], s[14:15]
	v_add_u32_e32 v27, 8, v27
	s_andn2_b64 exec, exec, s[14:15]
	s_cbranch_execnz .LBB73_39
; %bb.40:
	s_or_b64 exec, exec, s[14:15]
	v_mov_b32_e32 v16, 0
	ds_read_b64 v[16:17], v16 offset:56
	s_waitcnt lgkmcnt(0)
	v_mul_f64 v[16:17], v[22:23], v[16:17]
.LBB73_41:
	s_or_b64 exec, exec, s[12:13]
	v_cmp_gt_u32_e64 s[8:9], 8, v0
	; wave barrier
	ds_write_b64 v26, v[18:19]
	s_waitcnt lgkmcnt(0)
	; wave barrier
	s_and_saveexec_b64 s[34:35], s[8:9]
	s_cbranch_execz .LBB73_57
; %bb.42:
	v_cmp_eq_u32_e64 s[8:9], 1, v0
	v_cndmask_b32_e64 v22, v3, v5, s[8:9]
	v_cmp_eq_u32_e64 s[10:11], 2, v0
	v_cndmask_b32_e64 v22, v22, v7, s[10:11]
	;; [unrolled: 2-line block ×9, first 2 shown]
	v_cndmask_b32_e64 v22, v2, v4, s[8:9]
	v_cndmask_b32_e64 v22, v22, v6, s[10:11]
	v_cndmask_b32_e64 v22, v22, v8, s[12:13]
	v_cndmask_b32_e64 v22, v22, v10, s[14:15]
	v_cndmask_b32_e64 v22, v22, v12, s[16:17]
	ds_read_b64 v[24:25], v26
	v_cndmask_b32_e64 v22, v22, v14, s[18:19]
	v_cndmask_b32_e64 v22, v22, v16, s[20:21]
	;; [unrolled: 1-line block ×4, first 2 shown]
	s_waitcnt lgkmcnt(0)
	v_fma_f64 v[22:23], v[22:23], v[24:25], 0
	v_cmp_ne_u32_e64 s[8:9], 7, v0
	s_and_saveexec_b64 s[36:37], s[8:9]
	s_cbranch_execz .LBB73_56
; %bb.43:
	v_add_u32_e32 v24, 1, v0
	v_cmp_eq_u32_e64 s[8:9], 1, v24
	v_cndmask_b32_e64 v25, v3, v5, s[8:9]
	v_cmp_eq_u32_e64 s[10:11], 2, v24
	v_cmp_eq_u32_e64 s[12:13], 3, v24
	;; [unrolled: 1-line block ×8, first 2 shown]
	v_cndmask_b32_e64 v24, v2, v4, s[8:9]
	v_cndmask_b32_e64 v25, v25, v7, s[10:11]
	;; [unrolled: 1-line block ×9, first 2 shown]
	ds_read_b64 v[27:28], v26 offset:8
	v_cndmask_b32_e64 v25, v25, v15, s[18:19]
	v_cndmask_b32_e64 v24, v24, v14, s[18:19]
	;; [unrolled: 1-line block ×8, first 2 shown]
	s_waitcnt lgkmcnt(0)
	v_fma_f64 v[22:23], v[24:25], v[27:28], v[22:23]
	s_and_saveexec_b64 s[24:25], s[4:5]
	s_cbranch_execz .LBB73_55
; %bb.44:
	v_add_u32_e32 v24, 2, v0
	v_cmp_eq_u32_e64 s[4:5], 1, v24
	v_cndmask_b32_e64 v25, v3, v5, s[4:5]
	v_cmp_eq_u32_e64 s[8:9], 2, v24
	v_cmp_eq_u32_e64 s[10:11], 3, v24
	;; [unrolled: 1-line block ×8, first 2 shown]
	v_cndmask_b32_e64 v24, v2, v4, s[4:5]
	v_cndmask_b32_e64 v25, v25, v7, s[8:9]
	;; [unrolled: 1-line block ×9, first 2 shown]
	ds_read_b64 v[27:28], v26 offset:16
	v_cndmask_b32_e64 v25, v25, v15, s[16:17]
	v_cndmask_b32_e64 v24, v24, v14, s[16:17]
	;; [unrolled: 1-line block ×8, first 2 shown]
	s_waitcnt lgkmcnt(0)
	v_fma_f64 v[22:23], v[24:25], v[27:28], v[22:23]
	v_cmp_ne_u32_e64 s[4:5], 5, v0
	s_and_saveexec_b64 s[38:39], s[4:5]
	s_cbranch_execz .LBB73_54
; %bb.45:
	v_add_u32_e32 v24, 3, v0
	v_cmp_eq_u32_e64 s[4:5], 1, v24
	v_cndmask_b32_e64 v25, v3, v5, s[4:5]
	v_cmp_eq_u32_e64 s[8:9], 2, v24
	v_cmp_eq_u32_e64 s[10:11], 3, v24
	;; [unrolled: 1-line block ×8, first 2 shown]
	v_cndmask_b32_e64 v24, v2, v4, s[4:5]
	v_cndmask_b32_e64 v25, v25, v7, s[8:9]
	;; [unrolled: 1-line block ×9, first 2 shown]
	ds_read_b64 v[27:28], v26 offset:24
	v_cndmask_b32_e64 v25, v25, v15, s[16:17]
	v_cndmask_b32_e64 v24, v24, v14, s[16:17]
	;; [unrolled: 1-line block ×8, first 2 shown]
	s_waitcnt lgkmcnt(0)
	v_fma_f64 v[22:23], v[24:25], v[27:28], v[22:23]
	s_and_saveexec_b64 s[22:23], s[2:3]
	s_cbranch_execz .LBB73_53
; %bb.46:
	v_or_b32_e32 v24, 4, v0
	v_cmp_eq_u32_e64 s[2:3], 1, v24
	v_cndmask_b32_e64 v25, v3, v5, s[2:3]
	v_cmp_eq_u32_e64 s[4:5], 2, v24
	v_cmp_eq_u32_e64 s[8:9], 3, v24
	;; [unrolled: 1-line block ×8, first 2 shown]
	v_cndmask_b32_e64 v24, v2, v4, s[2:3]
	v_cndmask_b32_e64 v25, v25, v7, s[4:5]
	;; [unrolled: 1-line block ×9, first 2 shown]
	ds_read_b64 v[27:28], v26 offset:32
	v_cndmask_b32_e64 v25, v25, v15, s[14:15]
	v_cndmask_b32_e64 v24, v24, v14, s[14:15]
	;; [unrolled: 1-line block ×8, first 2 shown]
	s_waitcnt lgkmcnt(0)
	v_fma_f64 v[22:23], v[24:25], v[27:28], v[22:23]
	v_cmp_ne_u32_e64 s[2:3], 3, v0
	s_and_saveexec_b64 s[40:41], s[2:3]
	s_cbranch_execz .LBB73_52
; %bb.47:
	v_add_u32_e32 v24, 5, v0
	v_cmp_eq_u32_e64 s[2:3], 1, v24
	v_cndmask_b32_e64 v25, v3, v5, s[2:3]
	v_cmp_eq_u32_e64 s[4:5], 2, v24
	v_cmp_eq_u32_e64 s[8:9], 3, v24
	;; [unrolled: 1-line block ×8, first 2 shown]
	v_cndmask_b32_e64 v24, v2, v4, s[2:3]
	v_cndmask_b32_e64 v25, v25, v7, s[4:5]
	;; [unrolled: 1-line block ×9, first 2 shown]
	ds_read_b64 v[27:28], v26 offset:40
	v_cndmask_b32_e64 v25, v25, v15, s[14:15]
	v_cndmask_b32_e64 v24, v24, v14, s[14:15]
	;; [unrolled: 1-line block ×8, first 2 shown]
	s_waitcnt lgkmcnt(0)
	v_fma_f64 v[22:23], v[24:25], v[27:28], v[22:23]
	s_and_saveexec_b64 s[20:21], vcc
	s_cbranch_execz .LBB73_51
; %bb.48:
	v_or_b32_e32 v24, 6, v0
	v_cmp_eq_u32_e32 vcc, 1, v24
	v_cndmask_b32_e32 v25, v3, v5, vcc
	v_cmp_eq_u32_e64 s[2:3], 2, v24
	v_cndmask_b32_e64 v25, v25, v7, s[2:3]
	v_cmp_eq_u32_e64 s[4:5], 3, v24
	v_cndmask_b32_e64 v25, v25, v9, s[4:5]
	;; [unrolled: 2-line block ×3, first 2 shown]
	v_cmp_eq_u32_e64 s[10:11], 5, v24
	v_cmp_eq_u32_e64 s[12:13], 6, v24
	;; [unrolled: 1-line block ×5, first 2 shown]
	v_cndmask_b32_e32 v24, v2, v4, vcc
	v_cndmask_b32_e64 v25, v25, v13, s[10:11]
	v_cndmask_b32_e64 v24, v24, v6, s[2:3]
	;; [unrolled: 1-line block ×8, first 2 shown]
	ds_read_b64 v[24:25], v26 offset:48
	v_cndmask_b32_e64 v27, v27, v14, s[12:13]
	v_cndmask_b32_e64 v27, v27, v16, s[14:15]
	;; [unrolled: 1-line block ×5, first 2 shown]
	s_waitcnt lgkmcnt(0)
	v_fma_f64 v[22:23], v[18:19], v[24:25], v[22:23]
	s_and_saveexec_b64 s[2:3], s[0:1]
	s_cbranch_execz .LBB73_50
; %bb.49:
	ds_read_b64 v[18:19], v26 offset:56
	s_waitcnt lgkmcnt(0)
	v_fma_f64 v[22:23], v[16:17], v[18:19], v[22:23]
.LBB73_50:
	s_or_b64 exec, exec, s[2:3]
.LBB73_51:
	s_or_b64 exec, exec, s[20:21]
.LBB73_52:
	s_or_b64 exec, exec, s[40:41]
.LBB73_53:
	s_or_b64 exec, exec, s[22:23]
.LBB73_54:
	s_or_b64 exec, exec, s[38:39]
.LBB73_55:
	s_or_b64 exec, exec, s[24:25]
.LBB73_56:
	s_or_b64 exec, exec, s[36:37]
	v_mov_b32_e32 v18, 0
	ds_read_b64 v[18:19], v18 offset:64
	s_waitcnt lgkmcnt(0)
	v_mul_f64 v[18:19], v[22:23], v[18:19]
.LBB73_57:
	s_or_b64 exec, exec, s[34:35]
	v_cmp_ne_u32_e32 vcc, 9, v0
	; wave barrier
	ds_write_b64 v26, v[20:21]
	s_waitcnt lgkmcnt(0)
	; wave barrier
	s_and_saveexec_b64 s[2:3], vcc
	s_cbranch_execz .LBB73_61
; %bb.58:
	v_mov_b32_e32 v22, 0x50
	v_lshl_add_u32 v26, v0, 3, v22
	v_mov_b32_e32 v22, 0
	v_mov_b32_e32 v25, v1
	;; [unrolled: 1-line block ×3, first 2 shown]
	s_mov_b64 s[4:5], 0
	v_mov_b32_e32 v24, v0
.LBB73_59:                              ; =>This Inner Loop Header: Depth=1
	v_cmp_eq_u32_e32 vcc, 1, v24
	v_cndmask_b32_e32 v1, v3, v5, vcc
	v_cmp_eq_u32_e64 s[0:1], 2, v24
	v_cndmask_b32_e64 v1, v1, v7, s[0:1]
	v_cndmask_b32_e32 v29, v2, v4, vcc
	v_cmp_eq_u32_e32 vcc, 3, v24
	v_cndmask_b32_e32 v1, v1, v9, vcc
	v_cndmask_b32_e64 v29, v29, v6, s[0:1]
	v_cmp_eq_u32_e64 s[0:1], 4, v24
	v_cndmask_b32_e64 v1, v1, v11, s[0:1]
	v_cndmask_b32_e32 v29, v29, v8, vcc
	v_cmp_eq_u32_e32 vcc, 5, v24
	v_cndmask_b32_e32 v1, v1, v13, vcc
	v_cndmask_b32_e64 v29, v29, v10, s[0:1]
	v_cmp_eq_u32_e64 s[0:1], 6, v24
	ds_read_b64 v[27:28], v26
	v_cndmask_b32_e64 v1, v1, v15, s[0:1]
	v_cndmask_b32_e32 v29, v29, v12, vcc
	v_cmp_eq_u32_e32 vcc, 7, v24
	v_cndmask_b32_e32 v1, v1, v17, vcc
	v_cndmask_b32_e64 v29, v29, v14, s[0:1]
	v_cmp_eq_u32_e64 s[0:1], 8, v24
	v_cndmask_b32_e64 v1, v1, v19, s[0:1]
	v_cndmask_b32_e32 v29, v29, v16, vcc
	v_cmp_eq_u32_e32 vcc, 9, v24
	v_cndmask_b32_e32 v30, v1, v21, vcc
	v_cndmask_b32_e64 v1, v29, v18, s[0:1]
	v_cndmask_b32_e32 v29, v1, v20, vcc
	s_waitcnt lgkmcnt(0)
	v_fma_f64 v[22:23], v[29:30], v[27:28], v[22:23]
	v_add_co_u32_e32 v24, vcc, 1, v24
	v_addc_co_u32_e32 v25, vcc, 0, v25, vcc
	v_add_u32_e32 v1, -1, v24
	v_cmp_lt_u32_e32 vcc, 7, v1
	s_or_b64 s[4:5], vcc, s[4:5]
	v_add_u32_e32 v26, 8, v26
	s_andn2_b64 exec, exec, s[4:5]
	s_cbranch_execnz .LBB73_59
; %bb.60:
	s_or_b64 exec, exec, s[4:5]
	v_mov_b32_e32 v1, 0
	ds_read_b64 v[20:21], v1 offset:72
	s_waitcnt lgkmcnt(0)
	v_mul_f64 v[20:21], v[22:23], v[20:21]
.LBB73_61:
	s_or_b64 exec, exec, s[2:3]
	; wave barrier
	s_cbranch_execnz .LBB73_15
	s_branch .LBB73_16
.LBB73_62:
	v_mov_b32_e32 v1, 0x50
	v_lshl_add_u32 v1, v0, 3, v1
	v_cmp_eq_u32_e32 vcc, 9, v0
	s_and_saveexec_b64 s[0:1], vcc
	s_cbranch_execz .LBB73_64
; %bb.63:
	s_waitcnt lgkmcnt(0)
	ds_write_b64 v1, v[18:19]
	v_mov_b32_e32 v18, 0
	v_mov_b32_e32 v19, v18
.LBB73_64:
	s_or_b64 exec, exec, s[0:1]
	v_mov_b32_e32 v36, 0
	s_waitcnt lgkmcnt(0)
	; wave barrier
	ds_read_b64 v[22:23], v36 offset:152
	v_cmp_lt_u32_e32 vcc, 7, v0
	s_waitcnt lgkmcnt(0)
	v_fma_f64 v[22:23], v[20:21], v[22:23], 0
	v_add_f64 v[18:19], v[18:19], -v[22:23]
	s_and_saveexec_b64 s[0:1], vcc
	s_cbranch_execz .LBB73_66
; %bb.65:
	v_mov_b32_e32 v22, v2
	v_mov_b32_e32 v23, v3
	;; [unrolled: 1-line block ×19, first 2 shown]
	ds_write_b64 v1, v[16:17]
	v_mov_b32_e32 v2, v22
	v_mov_b32_e32 v3, v23
	;; [unrolled: 1-line block ×32, first 2 shown]
.LBB73_66:
	s_or_b64 exec, exec, s[0:1]
	s_waitcnt lgkmcnt(0)
	; wave barrier
	ds_read_b128 v[22:25], v36 offset:144
	v_cmp_lt_u32_e32 vcc, 6, v0
	s_waitcnt lgkmcnt(0)
	v_fma_f64 v[22:23], v[18:19], v[22:23], 0
	v_fma_f64 v[22:23], v[20:21], v[24:25], v[22:23]
	v_add_f64 v[16:17], v[16:17], -v[22:23]
	s_and_saveexec_b64 s[0:1], vcc
	s_cbranch_execz .LBB73_68
; %bb.67:
	v_mov_b32_e32 v34, 0
	v_mov_b32_e32 v22, v2
	;; [unrolled: 1-line block ×20, first 2 shown]
	ds_write_b64 v1, v[14:15]
	v_mov_b32_e32 v2, v22
	v_mov_b32_e32 v3, v23
	;; [unrolled: 1-line block ×32, first 2 shown]
.LBB73_68:
	s_or_b64 exec, exec, s[0:1]
	v_mov_b32_e32 v34, 0
	s_waitcnt lgkmcnt(0)
	; wave barrier
	ds_read2_b64 v[22:25], v34 offset0:17 offset1:18
	ds_read_b64 v[26:27], v34 offset:152
	v_cmp_lt_u32_e32 vcc, 5, v0
	s_waitcnt lgkmcnt(1)
	v_fma_f64 v[22:23], v[16:17], v[22:23], 0
	v_fma_f64 v[22:23], v[18:19], v[24:25], v[22:23]
	s_waitcnt lgkmcnt(0)
	v_fma_f64 v[22:23], v[20:21], v[26:27], v[22:23]
	v_add_f64 v[14:15], v[14:15], -v[22:23]
	s_and_saveexec_b64 s[0:1], vcc
	s_cbranch_execz .LBB73_70
; %bb.69:
	v_mov_b32_e32 v24, v2
	v_mov_b32_e32 v25, v3
	;; [unrolled: 1-line block ×19, first 2 shown]
	ds_write_b64 v1, v[12:13]
	v_mov_b32_e32 v2, v24
	v_mov_b32_e32 v3, v25
	;; [unrolled: 1-line block ×32, first 2 shown]
.LBB73_70:
	s_or_b64 exec, exec, s[0:1]
	s_waitcnt lgkmcnt(0)
	; wave barrier
	ds_read_b128 v[22:25], v34 offset:128
	ds_read_b128 v[26:29], v34 offset:144
	v_cmp_lt_u32_e32 vcc, 4, v0
	s_waitcnt lgkmcnt(1)
	v_fma_f64 v[22:23], v[14:15], v[22:23], 0
	v_fma_f64 v[22:23], v[16:17], v[24:25], v[22:23]
	s_waitcnt lgkmcnt(0)
	v_fma_f64 v[22:23], v[18:19], v[26:27], v[22:23]
	v_fma_f64 v[22:23], v[20:21], v[28:29], v[22:23]
	v_add_f64 v[12:13], v[12:13], -v[22:23]
	s_and_saveexec_b64 s[0:1], vcc
	s_cbranch_execz .LBB73_72
; %bb.71:
	v_mov_b32_e32 v30, 0
	v_mov_b32_e32 v22, v2
	;; [unrolled: 1-line block ×20, first 2 shown]
	ds_write_b64 v1, v[10:11]
	v_mov_b32_e32 v2, v22
	v_mov_b32_e32 v3, v23
	v_mov_b32_e32 v4, v24
	v_mov_b32_e32 v5, v25
	v_mov_b32_e32 v6, v26
	v_mov_b32_e32 v7, v27
	v_mov_b32_e32 v8, v28
	v_mov_b32_e32 v9, v29
	v_mov_b32_e32 v10, v30
	v_mov_b32_e32 v11, v31
	v_mov_b32_e32 v12, v32
	v_mov_b32_e32 v13, v33
	v_mov_b32_e32 v14, v34
	v_mov_b32_e32 v15, v35
	v_mov_b32_e32 v16, v36
	v_mov_b32_e32 v17, v37
	v_mov_b32_e32 v18, v38
	v_mov_b32_e32 v19, v39
	v_mov_b32_e32 v20, v40
	v_mov_b32_e32 v21, v41
	v_mov_b32_e32 v22, v42
	v_mov_b32_e32 v23, v43
	v_mov_b32_e32 v24, v44
	v_mov_b32_e32 v25, v45
	v_mov_b32_e32 v26, v46
	v_mov_b32_e32 v27, v47
	v_mov_b32_e32 v28, v48
	v_mov_b32_e32 v29, v49
	v_mov_b32_e32 v30, v50
	v_mov_b32_e32 v31, v51
	v_mov_b32_e32 v32, v52
	v_mov_b32_e32 v33, v53
.LBB73_72:
	s_or_b64 exec, exec, s[0:1]
	v_mov_b32_e32 v34, 0
	s_waitcnt lgkmcnt(0)
	; wave barrier
	ds_read2_b64 v[22:25], v34 offset0:15 offset1:16
	ds_read2_b64 v[26:29], v34 offset0:17 offset1:18
	v_cmp_lt_u32_e32 vcc, 3, v0
	s_waitcnt lgkmcnt(1)
	v_fma_f64 v[22:23], v[12:13], v[22:23], 0
	v_fma_f64 v[22:23], v[14:15], v[24:25], v[22:23]
	ds_read_b64 v[24:25], v34 offset:152
	s_waitcnt lgkmcnt(1)
	v_fma_f64 v[22:23], v[16:17], v[26:27], v[22:23]
	v_fma_f64 v[22:23], v[18:19], v[28:29], v[22:23]
	s_waitcnt lgkmcnt(0)
	v_fma_f64 v[22:23], v[20:21], v[24:25], v[22:23]
	v_add_f64 v[10:11], v[10:11], -v[22:23]
	s_and_saveexec_b64 s[0:1], vcc
	s_cbranch_execz .LBB73_74
; %bb.73:
	v_mov_b32_e32 v28, v2
	v_mov_b32_e32 v29, v3
	;; [unrolled: 1-line block ×19, first 2 shown]
	ds_write_b64 v1, v[8:9]
	v_mov_b32_e32 v2, v28
	v_mov_b32_e32 v3, v29
	v_mov_b32_e32 v4, v30
	v_mov_b32_e32 v5, v31
	v_mov_b32_e32 v6, v32
	v_mov_b32_e32 v7, v33
	v_mov_b32_e32 v8, v34
	v_mov_b32_e32 v9, v35
	v_mov_b32_e32 v10, v36
	v_mov_b32_e32 v11, v37
	v_mov_b32_e32 v12, v38
	v_mov_b32_e32 v13, v39
	v_mov_b32_e32 v14, v40
	v_mov_b32_e32 v15, v41
	v_mov_b32_e32 v16, v42
	v_mov_b32_e32 v17, v43
	v_mov_b32_e32 v18, v44
	v_mov_b32_e32 v19, v45
	v_mov_b32_e32 v20, v46
	v_mov_b32_e32 v21, v47
	v_mov_b32_e32 v22, v48
	v_mov_b32_e32 v23, v49
	v_mov_b32_e32 v24, v50
	v_mov_b32_e32 v25, v51
	v_mov_b32_e32 v26, v52
	v_mov_b32_e32 v27, v53
	v_mov_b32_e32 v28, v54
	v_mov_b32_e32 v29, v55
	v_mov_b32_e32 v30, v56
	v_mov_b32_e32 v31, v57
	v_mov_b32_e32 v32, v58
	v_mov_b32_e32 v33, v59
.LBB73_74:
	s_or_b64 exec, exec, s[0:1]
	s_waitcnt lgkmcnt(0)
	; wave barrier
	ds_read_b128 v[22:25], v34 offset:112
	ds_read_b128 v[26:29], v34 offset:128
	v_cmp_lt_u32_e32 vcc, 2, v0
	s_waitcnt lgkmcnt(1)
	v_fma_f64 v[22:23], v[10:11], v[22:23], 0
	v_fma_f64 v[22:23], v[12:13], v[24:25], v[22:23]
	s_waitcnt lgkmcnt(0)
	v_fma_f64 v[22:23], v[14:15], v[26:27], v[22:23]
	v_fma_f64 v[26:27], v[16:17], v[28:29], v[22:23]
	ds_read_b128 v[22:25], v34 offset:144
	s_waitcnt lgkmcnt(0)
	v_fma_f64 v[22:23], v[18:19], v[22:23], v[26:27]
	v_fma_f64 v[22:23], v[20:21], v[24:25], v[22:23]
	v_add_f64 v[8:9], v[8:9], -v[22:23]
	s_and_saveexec_b64 s[0:1], vcc
	s_cbranch_execz .LBB73_76
; %bb.75:
	v_mov_b32_e32 v26, 0
	v_mov_b32_e32 v22, v2
	;; [unrolled: 1-line block ×20, first 2 shown]
	ds_write_b64 v1, v[6:7]
	v_mov_b32_e32 v2, v22
	v_mov_b32_e32 v3, v23
	;; [unrolled: 1-line block ×32, first 2 shown]
.LBB73_76:
	s_or_b64 exec, exec, s[0:1]
	v_mov_b32_e32 v34, 0
	s_waitcnt lgkmcnt(0)
	; wave barrier
	ds_read2_b64 v[22:25], v34 offset0:13 offset1:14
	ds_read2_b64 v[26:29], v34 offset0:15 offset1:16
	v_cmp_lt_u32_e32 vcc, 1, v0
	s_waitcnt lgkmcnt(1)
	v_fma_f64 v[22:23], v[8:9], v[22:23], 0
	v_fma_f64 v[22:23], v[10:11], v[24:25], v[22:23]
	s_waitcnt lgkmcnt(0)
	v_fma_f64 v[22:23], v[12:13], v[26:27], v[22:23]
	v_fma_f64 v[26:27], v[14:15], v[28:29], v[22:23]
	ds_read2_b64 v[22:25], v34 offset0:17 offset1:18
	ds_read_b64 v[28:29], v34 offset:152
	s_waitcnt lgkmcnt(1)
	v_fma_f64 v[22:23], v[16:17], v[22:23], v[26:27]
	v_fma_f64 v[22:23], v[18:19], v[24:25], v[22:23]
	s_waitcnt lgkmcnt(0)
	v_fma_f64 v[22:23], v[20:21], v[28:29], v[22:23]
	v_add_f64 v[6:7], v[6:7], -v[22:23]
	s_and_saveexec_b64 s[0:1], vcc
	s_cbranch_execz .LBB73_78
; %bb.77:
	v_mov_b32_e32 v32, v2
	v_mov_b32_e32 v33, v3
	;; [unrolled: 1-line block ×19, first 2 shown]
	ds_write_b64 v1, v[4:5]
	v_mov_b32_e32 v2, v32
	v_mov_b32_e32 v3, v33
	;; [unrolled: 1-line block ×32, first 2 shown]
.LBB73_78:
	s_or_b64 exec, exec, s[0:1]
	s_waitcnt lgkmcnt(0)
	; wave barrier
	ds_read_b128 v[22:25], v34 offset:96
	ds_read_b128 v[26:29], v34 offset:112
	v_cmp_ne_u32_e32 vcc, 0, v0
	s_waitcnt lgkmcnt(1)
	v_fma_f64 v[22:23], v[6:7], v[22:23], 0
	v_fma_f64 v[22:23], v[8:9], v[24:25], v[22:23]
	s_waitcnt lgkmcnt(0)
	v_fma_f64 v[22:23], v[10:11], v[26:27], v[22:23]
	v_fma_f64 v[30:31], v[12:13], v[28:29], v[22:23]
	ds_read_b128 v[22:25], v34 offset:128
	ds_read_b128 v[26:29], v34 offset:144
	s_waitcnt lgkmcnt(1)
	v_fma_f64 v[22:23], v[14:15], v[22:23], v[30:31]
	v_fma_f64 v[22:23], v[16:17], v[24:25], v[22:23]
	s_waitcnt lgkmcnt(0)
	v_fma_f64 v[22:23], v[18:19], v[26:27], v[22:23]
	v_fma_f64 v[22:23], v[20:21], v[28:29], v[22:23]
	v_add_f64 v[4:5], v[4:5], -v[22:23]
	s_and_saveexec_b64 s[0:1], vcc
	s_cbranch_execz .LBB73_80
; %bb.79:
	v_mov_b32_e32 v22, 0
	v_mov_b32_e32 v23, v22
	;; [unrolled: 1-line block ×20, first 2 shown]
	ds_write_b64 v1, v[2:3]
	v_mov_b32_e32 v2, v22
	v_mov_b32_e32 v3, v23
	;; [unrolled: 1-line block ×32, first 2 shown]
.LBB73_80:
	s_or_b64 exec, exec, s[0:1]
	v_mov_b32_e32 v0, 0
	s_waitcnt lgkmcnt(0)
	; wave barrier
	ds_read2_b64 v[22:25], v0 offset0:11 offset1:12
	ds_read2_b64 v[26:29], v0 offset0:13 offset1:14
	s_and_b64 vcc, exec, s[30:31]
	s_waitcnt lgkmcnt(1)
	v_fma_f64 v[22:23], v[4:5], v[22:23], 0
	v_fma_f64 v[22:23], v[6:7], v[24:25], v[22:23]
	s_waitcnt lgkmcnt(0)
	v_fma_f64 v[22:23], v[8:9], v[26:27], v[22:23]
	v_fma_f64 v[30:31], v[10:11], v[28:29], v[22:23]
	ds_read2_b64 v[22:25], v0 offset0:15 offset1:16
	ds_read2_b64 v[26:29], v0 offset0:17 offset1:18
	s_waitcnt lgkmcnt(1)
	v_fma_f64 v[22:23], v[12:13], v[22:23], v[30:31]
	v_fma_f64 v[22:23], v[14:15], v[24:25], v[22:23]
	ds_read_b64 v[24:25], v0 offset:152
	s_waitcnt lgkmcnt(1)
	v_fma_f64 v[22:23], v[16:17], v[26:27], v[22:23]
	v_fma_f64 v[22:23], v[18:19], v[28:29], v[22:23]
	s_waitcnt lgkmcnt(0)
	v_fma_f64 v[22:23], v[20:21], v[24:25], v[22:23]
	v_add_f64 v[2:3], v[2:3], -v[22:23]
	s_cbranch_vccz .LBB73_99
; %bb.81:
	global_load_dword v0, v0, s[28:29] offset:32
	s_waitcnt vmcnt(0)
	v_readfirstlane_b32 s0, v0
	s_add_i32 s0, s0, -1
	s_cmp_lg_u32 s0, 8
	s_cbranch_scc0 .LBB73_83
; %bb.82:
	s_lshl_b32 s0, s0, 1
	s_set_gpr_idx_on s0, gpr_idx(SRC0)
	v_mov_b32_e32 v0, v3
	v_mov_b32_e32 v1, v2
	s_set_gpr_idx_off
	v_mov_b32_e32 v51, v33
	v_mov_b32_e32 v37, v19
	;; [unrolled: 1-line block ×34, first 2 shown]
	s_set_gpr_idx_on s0, gpr_idx(DST)
	v_mov_b32_e32 v20, v18
	v_mov_b32_e32 v21, v19
	s_set_gpr_idx_off
	v_mov_b32_e32 v2, v20
	v_mov_b32_e32 v3, v21
	;; [unrolled: 1-line block ×32, first 2 shown]
.LBB73_83:
	v_mov_b32_e32 v0, 0
	global_load_dword v1, v0, s[28:29] offset:28
	s_waitcnt vmcnt(0)
	v_readfirstlane_b32 s0, v1
	s_add_i32 s0, s0, -1
	s_cmp_eq_u32 s0, 7
	s_cbranch_scc1 .LBB73_85
; %bb.84:
	s_lshl_b32 s0, s0, 1
	s_set_gpr_idx_on s0, gpr_idx(SRC0)
	v_mov_b32_e32 v1, v3
	v_mov_b32_e32 v50, v2
	s_set_gpr_idx_off
	v_mov_b32_e32 v49, v33
	v_mov_b32_e32 v48, v32
	;; [unrolled: 1-line block ×34, first 2 shown]
	s_set_gpr_idx_on s0, gpr_idx(DST)
	v_mov_b32_e32 v18, v16
	v_mov_b32_e32 v19, v17
	s_set_gpr_idx_off
	v_mov_b32_e32 v2, v18
	v_mov_b32_e32 v3, v19
	;; [unrolled: 1-line block ×32, first 2 shown]
.LBB73_85:
	global_load_dword v0, v0, s[28:29] offset:24
	s_waitcnt vmcnt(0)
	v_readfirstlane_b32 s0, v0
	s_add_i32 s0, s0, -1
	s_cmp_eq_u32 s0, 6
	s_cbranch_scc1 .LBB73_87
; %bb.86:
	s_lshl_b32 s0, s0, 1
	s_set_gpr_idx_on s0, gpr_idx(SRC0)
	v_mov_b32_e32 v0, v3
	v_mov_b32_e32 v1, v2
	s_set_gpr_idx_off
	v_mov_b32_e32 v47, v33
	v_mov_b32_e32 v46, v32
	;; [unrolled: 1-line block ×34, first 2 shown]
	s_set_gpr_idx_on s0, gpr_idx(DST)
	v_mov_b32_e32 v16, v14
	v_mov_b32_e32 v17, v15
	s_set_gpr_idx_off
	v_mov_b32_e32 v2, v16
	v_mov_b32_e32 v3, v17
	;; [unrolled: 1-line block ×32, first 2 shown]
.LBB73_87:
	v_mov_b32_e32 v0, 0
	global_load_dword v1, v0, s[28:29] offset:20
	s_waitcnt vmcnt(0)
	v_readfirstlane_b32 s0, v1
	s_add_i32 s0, s0, -1
	s_cmp_eq_u32 s0, 5
	s_cbranch_scc1 .LBB73_89
; %bb.88:
	s_lshl_b32 s0, s0, 1
	s_set_gpr_idx_on s0, gpr_idx(SRC0)
	v_mov_b32_e32 v1, v3
	v_mov_b32_e32 v46, v2
	s_set_gpr_idx_off
	v_mov_b32_e32 v45, v33
	v_mov_b32_e32 v44, v32
	;; [unrolled: 1-line block ×34, first 2 shown]
	s_set_gpr_idx_on s0, gpr_idx(DST)
	v_mov_b32_e32 v14, v12
	v_mov_b32_e32 v15, v13
	s_set_gpr_idx_off
	v_mov_b32_e32 v2, v14
	v_mov_b32_e32 v3, v15
	v_mov_b32_e32 v4, v16
	v_mov_b32_e32 v5, v17
	v_mov_b32_e32 v6, v18
	v_mov_b32_e32 v7, v19
	v_mov_b32_e32 v8, v20
	v_mov_b32_e32 v9, v21
	v_mov_b32_e32 v10, v22
	v_mov_b32_e32 v11, v23
	v_mov_b32_e32 v12, v24
	v_mov_b32_e32 v13, v25
	v_mov_b32_e32 v14, v26
	v_mov_b32_e32 v15, v27
	v_mov_b32_e32 v16, v28
	v_mov_b32_e32 v17, v29
	v_mov_b32_e32 v18, v30
	v_mov_b32_e32 v19, v31
	v_mov_b32_e32 v20, v32
	v_mov_b32_e32 v21, v33
	v_mov_b32_e32 v22, v34
	v_mov_b32_e32 v23, v35
	v_mov_b32_e32 v24, v36
	v_mov_b32_e32 v25, v37
	v_mov_b32_e32 v26, v38
	v_mov_b32_e32 v27, v39
	v_mov_b32_e32 v28, v40
	v_mov_b32_e32 v29, v41
	v_mov_b32_e32 v30, v42
	v_mov_b32_e32 v31, v43
	v_mov_b32_e32 v32, v44
	v_mov_b32_e32 v33, v45
.LBB73_89:
	global_load_dword v0, v0, s[28:29] offset:16
	s_waitcnt vmcnt(0)
	v_readfirstlane_b32 s0, v0
	s_add_i32 s0, s0, -1
	s_cmp_eq_u32 s0, 4
	s_cbranch_scc1 .LBB73_91
; %bb.90:
	s_lshl_b32 s0, s0, 1
	s_set_gpr_idx_on s0, gpr_idx(SRC0)
	v_mov_b32_e32 v0, v3
	v_mov_b32_e32 v1, v2
	s_set_gpr_idx_off
	v_mov_b32_e32 v43, v33
	v_mov_b32_e32 v42, v32
	;; [unrolled: 1-line block ×34, first 2 shown]
	s_set_gpr_idx_on s0, gpr_idx(DST)
	v_mov_b32_e32 v12, v10
	v_mov_b32_e32 v13, v11
	s_set_gpr_idx_off
	v_mov_b32_e32 v2, v12
	v_mov_b32_e32 v3, v13
	;; [unrolled: 1-line block ×32, first 2 shown]
.LBB73_91:
	v_mov_b32_e32 v0, 0
	global_load_dword v1, v0, s[28:29] offset:12
	s_waitcnt vmcnt(0)
	v_readfirstlane_b32 s0, v1
	s_add_i32 s0, s0, -1
	s_cmp_eq_u32 s0, 3
	s_cbranch_scc1 .LBB73_93
; %bb.92:
	s_lshl_b32 s0, s0, 1
	s_set_gpr_idx_on s0, gpr_idx(SRC0)
	v_mov_b32_e32 v1, v3
	v_mov_b32_e32 v42, v2
	s_set_gpr_idx_off
	v_mov_b32_e32 v41, v33
	v_mov_b32_e32 v40, v32
	;; [unrolled: 1-line block ×34, first 2 shown]
	s_set_gpr_idx_on s0, gpr_idx(DST)
	v_mov_b32_e32 v10, v8
	v_mov_b32_e32 v11, v9
	s_set_gpr_idx_off
	v_mov_b32_e32 v2, v10
	v_mov_b32_e32 v3, v11
	;; [unrolled: 1-line block ×32, first 2 shown]
.LBB73_93:
	global_load_dword v0, v0, s[28:29] offset:8
	s_waitcnt vmcnt(0)
	v_readfirstlane_b32 s0, v0
	s_add_i32 s0, s0, -1
	s_cmp_eq_u32 s0, 2
	s_cbranch_scc1 .LBB73_95
; %bb.94:
	s_lshl_b32 s0, s0, 1
	s_set_gpr_idx_on s0, gpr_idx(SRC0)
	v_mov_b32_e32 v0, v3
	v_mov_b32_e32 v1, v2
	s_set_gpr_idx_off
	v_mov_b32_e32 v39, v33
	v_mov_b32_e32 v38, v32
	;; [unrolled: 1-line block ×34, first 2 shown]
	s_set_gpr_idx_on s0, gpr_idx(DST)
	v_mov_b32_e32 v8, v6
	v_mov_b32_e32 v9, v7
	s_set_gpr_idx_off
	v_mov_b32_e32 v2, v8
	v_mov_b32_e32 v3, v9
	;; [unrolled: 1-line block ×32, first 2 shown]
.LBB73_95:
	v_mov_b32_e32 v0, 0
	global_load_dword v1, v0, s[28:29] offset:4
	s_waitcnt vmcnt(0)
	v_readfirstlane_b32 s0, v1
	s_add_i32 s0, s0, -1
	s_cmp_eq_u32 s0, 1
	s_cbranch_scc1 .LBB73_97
; %bb.96:
	s_lshl_b32 s0, s0, 1
	s_set_gpr_idx_on s0, gpr_idx(SRC0)
	v_mov_b32_e32 v1, v3
	v_mov_b32_e32 v38, v2
	s_set_gpr_idx_off
	v_mov_b32_e32 v37, v33
	v_mov_b32_e32 v36, v32
	;; [unrolled: 1-line block ×34, first 2 shown]
	s_set_gpr_idx_on s0, gpr_idx(DST)
	v_mov_b32_e32 v6, v4
	v_mov_b32_e32 v7, v5
	s_set_gpr_idx_off
	v_mov_b32_e32 v2, v6
	v_mov_b32_e32 v3, v7
	;; [unrolled: 1-line block ×32, first 2 shown]
.LBB73_97:
	global_load_dword v0, v0, s[28:29]
	s_waitcnt vmcnt(0)
	v_readfirstlane_b32 s0, v0
	s_add_i32 s0, s0, -1
	s_cmp_eq_u32 s0, 0
	s_cbranch_scc1 .LBB73_99
; %bb.98:
	s_lshl_b32 s0, s0, 1
	s_set_gpr_idx_on s0, gpr_idx(SRC0)
	v_mov_b32_e32 v0, v3
	v_mov_b32_e32 v1, v2
	s_set_gpr_idx_off
	v_mov_b32_e32 v35, v33
	v_mov_b32_e32 v34, v32
	v_mov_b32_e32 v33, v31
	v_mov_b32_e32 v32, v30
	v_mov_b32_e32 v31, v29
	v_mov_b32_e32 v30, v28
	v_mov_b32_e32 v29, v27
	v_mov_b32_e32 v28, v26
	v_mov_b32_e32 v27, v25
	v_mov_b32_e32 v26, v24
	v_mov_b32_e32 v25, v23
	v_mov_b32_e32 v24, v22
	v_mov_b32_e32 v23, v21
	v_mov_b32_e32 v22, v20
	v_mov_b32_e32 v21, v19
	v_mov_b32_e32 v20, v18
	v_mov_b32_e32 v19, v17
	v_mov_b32_e32 v18, v16
	v_mov_b32_e32 v17, v15
	v_mov_b32_e32 v16, v14
	v_mov_b32_e32 v15, v13
	v_mov_b32_e32 v14, v12
	v_mov_b32_e32 v13, v11
	v_mov_b32_e32 v12, v10
	v_mov_b32_e32 v11, v9
	v_mov_b32_e32 v10, v8
	v_mov_b32_e32 v9, v7
	v_mov_b32_e32 v8, v6
	v_mov_b32_e32 v7, v5
	v_mov_b32_e32 v6, v4
	v_mov_b32_e32 v5, v3
	v_mov_b32_e32 v4, v2
	v_mov_b32_e32 v4, v1
	v_mov_b32_e32 v5, v0
	s_set_gpr_idx_on s0, gpr_idx(DST)
	v_mov_b32_e32 v4, v2
	v_mov_b32_e32 v5, v3
	s_set_gpr_idx_off
	v_mov_b32_e32 v2, v4
	v_mov_b32_e32 v3, v5
	v_mov_b32_e32 v4, v6
	v_mov_b32_e32 v5, v7
	v_mov_b32_e32 v6, v8
	v_mov_b32_e32 v7, v9
	v_mov_b32_e32 v8, v10
	v_mov_b32_e32 v9, v11
	v_mov_b32_e32 v10, v12
	v_mov_b32_e32 v11, v13
	v_mov_b32_e32 v12, v14
	v_mov_b32_e32 v13, v15
	v_mov_b32_e32 v14, v16
	v_mov_b32_e32 v15, v17
	v_mov_b32_e32 v16, v18
	v_mov_b32_e32 v17, v19
	v_mov_b32_e32 v18, v20
	v_mov_b32_e32 v19, v21
	v_mov_b32_e32 v20, v22
	v_mov_b32_e32 v21, v23
	v_mov_b32_e32 v22, v24
	v_mov_b32_e32 v23, v25
	v_mov_b32_e32 v24, v26
	v_mov_b32_e32 v25, v27
	v_mov_b32_e32 v26, v28
	v_mov_b32_e32 v27, v29
	v_mov_b32_e32 v28, v30
	v_mov_b32_e32 v29, v31
	v_mov_b32_e32 v30, v32
	v_mov_b32_e32 v31, v33
	v_mov_b32_e32 v32, v34
	v_mov_b32_e32 v33, v35
.LBB73_99:
	flat_store_dwordx2 v[68:69], v[2:3]
	flat_store_dwordx2 v[70:71], v[4:5]
	;; [unrolled: 1-line block ×10, first 2 shown]
	s_endpgm
	.section	.rodata,"a",@progbits
	.p2align	6, 0x0
	.amdhsa_kernel _ZN9rocsolver6v33100L18getri_kernel_smallILi10EdPKPdEEvT1_iilPiilS6_bb
		.amdhsa_group_segment_fixed_size 168
		.amdhsa_private_segment_fixed_size 0
		.amdhsa_kernarg_size 60
		.amdhsa_user_sgpr_count 6
		.amdhsa_user_sgpr_private_segment_buffer 1
		.amdhsa_user_sgpr_dispatch_ptr 0
		.amdhsa_user_sgpr_queue_ptr 0
		.amdhsa_user_sgpr_kernarg_segment_ptr 1
		.amdhsa_user_sgpr_dispatch_id 0
		.amdhsa_user_sgpr_flat_scratch_init 0
		.amdhsa_user_sgpr_private_segment_size 0
		.amdhsa_uses_dynamic_stack 0
		.amdhsa_system_sgpr_private_segment_wavefront_offset 0
		.amdhsa_system_sgpr_workgroup_id_x 1
		.amdhsa_system_sgpr_workgroup_id_y 0
		.amdhsa_system_sgpr_workgroup_id_z 0
		.amdhsa_system_sgpr_workgroup_info 0
		.amdhsa_system_vgpr_workitem_id 0
		.amdhsa_next_free_vgpr 72
		.amdhsa_next_free_sgpr 42
		.amdhsa_reserve_vcc 1
		.amdhsa_reserve_flat_scratch 0
		.amdhsa_float_round_mode_32 0
		.amdhsa_float_round_mode_16_64 0
		.amdhsa_float_denorm_mode_32 3
		.amdhsa_float_denorm_mode_16_64 3
		.amdhsa_dx10_clamp 1
		.amdhsa_ieee_mode 1
		.amdhsa_fp16_overflow 0
		.amdhsa_exception_fp_ieee_invalid_op 0
		.amdhsa_exception_fp_denorm_src 0
		.amdhsa_exception_fp_ieee_div_zero 0
		.amdhsa_exception_fp_ieee_overflow 0
		.amdhsa_exception_fp_ieee_underflow 0
		.amdhsa_exception_fp_ieee_inexact 0
		.amdhsa_exception_int_div_zero 0
	.end_amdhsa_kernel
	.section	.text._ZN9rocsolver6v33100L18getri_kernel_smallILi10EdPKPdEEvT1_iilPiilS6_bb,"axG",@progbits,_ZN9rocsolver6v33100L18getri_kernel_smallILi10EdPKPdEEvT1_iilPiilS6_bb,comdat
.Lfunc_end73:
	.size	_ZN9rocsolver6v33100L18getri_kernel_smallILi10EdPKPdEEvT1_iilPiilS6_bb, .Lfunc_end73-_ZN9rocsolver6v33100L18getri_kernel_smallILi10EdPKPdEEvT1_iilPiilS6_bb
                                        ; -- End function
	.set _ZN9rocsolver6v33100L18getri_kernel_smallILi10EdPKPdEEvT1_iilPiilS6_bb.num_vgpr, 72
	.set _ZN9rocsolver6v33100L18getri_kernel_smallILi10EdPKPdEEvT1_iilPiilS6_bb.num_agpr, 0
	.set _ZN9rocsolver6v33100L18getri_kernel_smallILi10EdPKPdEEvT1_iilPiilS6_bb.numbered_sgpr, 42
	.set _ZN9rocsolver6v33100L18getri_kernel_smallILi10EdPKPdEEvT1_iilPiilS6_bb.num_named_barrier, 0
	.set _ZN9rocsolver6v33100L18getri_kernel_smallILi10EdPKPdEEvT1_iilPiilS6_bb.private_seg_size, 0
	.set _ZN9rocsolver6v33100L18getri_kernel_smallILi10EdPKPdEEvT1_iilPiilS6_bb.uses_vcc, 1
	.set _ZN9rocsolver6v33100L18getri_kernel_smallILi10EdPKPdEEvT1_iilPiilS6_bb.uses_flat_scratch, 0
	.set _ZN9rocsolver6v33100L18getri_kernel_smallILi10EdPKPdEEvT1_iilPiilS6_bb.has_dyn_sized_stack, 0
	.set _ZN9rocsolver6v33100L18getri_kernel_smallILi10EdPKPdEEvT1_iilPiilS6_bb.has_recursion, 0
	.set _ZN9rocsolver6v33100L18getri_kernel_smallILi10EdPKPdEEvT1_iilPiilS6_bb.has_indirect_call, 0
	.section	.AMDGPU.csdata,"",@progbits
; Kernel info:
; codeLenInByte = 11384
; TotalNumSgprs: 46
; NumVgprs: 72
; ScratchSize: 0
; MemoryBound: 0
; FloatMode: 240
; IeeeMode: 1
; LDSByteSize: 168 bytes/workgroup (compile time only)
; SGPRBlocks: 5
; VGPRBlocks: 17
; NumSGPRsForWavesPerEU: 46
; NumVGPRsForWavesPerEU: 72
; Occupancy: 3
; WaveLimiterHint : 1
; COMPUTE_PGM_RSRC2:SCRATCH_EN: 0
; COMPUTE_PGM_RSRC2:USER_SGPR: 6
; COMPUTE_PGM_RSRC2:TRAP_HANDLER: 0
; COMPUTE_PGM_RSRC2:TGID_X_EN: 1
; COMPUTE_PGM_RSRC2:TGID_Y_EN: 0
; COMPUTE_PGM_RSRC2:TGID_Z_EN: 0
; COMPUTE_PGM_RSRC2:TIDIG_COMP_CNT: 0
	.section	.text._ZN9rocsolver6v33100L18getri_kernel_smallILi11EdPKPdEEvT1_iilPiilS6_bb,"axG",@progbits,_ZN9rocsolver6v33100L18getri_kernel_smallILi11EdPKPdEEvT1_iilPiilS6_bb,comdat
	.globl	_ZN9rocsolver6v33100L18getri_kernel_smallILi11EdPKPdEEvT1_iilPiilS6_bb ; -- Begin function _ZN9rocsolver6v33100L18getri_kernel_smallILi11EdPKPdEEvT1_iilPiilS6_bb
	.p2align	8
	.type	_ZN9rocsolver6v33100L18getri_kernel_smallILi11EdPKPdEEvT1_iilPiilS6_bb,@function
_ZN9rocsolver6v33100L18getri_kernel_smallILi11EdPKPdEEvT1_iilPiilS6_bb: ; @_ZN9rocsolver6v33100L18getri_kernel_smallILi11EdPKPdEEvT1_iilPiilS6_bb
; %bb.0:
	v_cmp_gt_u32_e32 vcc, 11, v0
	s_and_saveexec_b64 s[0:1], vcc
	s_cbranch_execz .LBB74_16
; %bb.1:
	s_load_dword s8, s[4:5], 0x38
	s_load_dwordx2 s[0:1], s[4:5], 0x0
	s_load_dwordx4 s[28:31], s[4:5], 0x28
                                        ; implicit-def: $sgpr34_sgpr35
	s_waitcnt lgkmcnt(0)
	s_bitcmp1_b32 s8, 8
	s_cselect_b64 s[36:37], -1, 0
	s_ashr_i32 s7, s6, 31
	s_lshl_b64 s[2:3], s[6:7], 3
	s_add_u32 s0, s0, s2
	s_addc_u32 s1, s1, s3
	s_load_dwordx2 s[2:3], s[0:1], 0x0
	s_bfe_u32 s0, s8, 0x10008
	s_cmp_eq_u32 s0, 0
	s_cbranch_scc1 .LBB74_3
; %bb.2:
	s_load_dword s0, s[4:5], 0x20
	s_load_dwordx2 s[8:9], s[4:5], 0x18
	s_mul_i32 s1, s28, s7
	s_mul_hi_u32 s10, s28, s6
	s_add_i32 s10, s10, s1
	s_mul_i32 s11, s29, s6
	s_add_i32 s11, s10, s11
	s_mul_i32 s10, s28, s6
	s_waitcnt lgkmcnt(0)
	s_ashr_i32 s1, s0, 31
	s_lshl_b64 s[10:11], s[10:11], 2
	s_add_u32 s8, s8, s10
	s_addc_u32 s9, s9, s11
	s_lshl_b64 s[0:1], s[0:1], 2
	s_add_u32 s34, s8, s0
	s_addc_u32 s35, s9, s1
.LBB74_3:
	s_load_dwordx2 s[0:1], s[4:5], 0x8
	s_load_dword s8, s[4:5], 0x38
	v_lshlrev_b32_e32 v26, 3, v0
	s_waitcnt lgkmcnt(0)
	s_ashr_i32 s5, s0, 31
	s_mov_b32 s4, s0
	s_lshl_b64 s[4:5], s[4:5], 3
	s_add_u32 s0, s2, s4
	s_addc_u32 s2, s3, s5
	s_add_i32 s3, s1, s1
	v_add_u32_e32 v1, s3, v0
	v_ashrrev_i32_e32 v2, 31, v1
	v_lshlrev_b64 v[2:3], 3, v[1:2]
	v_add_u32_e32 v1, s1, v1
	v_mov_b32_e32 v4, s2
	v_add_co_u32_e32 v56, vcc, s0, v2
	v_ashrrev_i32_e32 v2, 31, v1
	v_addc_co_u32_e32 v57, vcc, v4, v3, vcc
	v_lshlrev_b64 v[2:3], 3, v[1:2]
	v_add_u32_e32 v1, s1, v1
	v_add_co_u32_e32 v58, vcc, s0, v2
	v_ashrrev_i32_e32 v2, 31, v1
	v_addc_co_u32_e32 v59, vcc, v4, v3, vcc
	v_lshlrev_b64 v[2:3], 3, v[1:2]
	v_add_u32_e32 v1, s1, v1
	;; [unrolled: 5-line block ×7, first 2 shown]
	v_add_co_u32_e32 v70, vcc, s0, v2
	v_ashrrev_i32_e32 v2, 31, v1
	v_lshlrev_b64 v[1:2], 3, v[1:2]
	v_addc_co_u32_e32 v71, vcc, v4, v3, vcc
	v_mov_b32_e32 v3, s2
	v_add_co_u32_e32 v72, vcc, s0, v1
	v_addc_co_u32_e32 v73, vcc, v3, v2, vcc
	v_mov_b32_e32 v1, s2
	v_add_co_u32_e32 v74, vcc, s0, v26
	s_ashr_i32 s3, s1, 31
	s_mov_b32 s2, s1
	v_addc_co_u32_e32 v75, vcc, 0, v1, vcc
	s_lshl_b64 s[0:1], s[2:3], 3
	v_mov_b32_e32 v1, s1
	v_add_co_u32_e32 v76, vcc, s0, v74
	v_addc_co_u32_e32 v77, vcc, v75, v1, vcc
	flat_load_dwordx2 v[2:3], v[74:75]
	flat_load_dwordx2 v[4:5], v[76:77]
	;; [unrolled: 1-line block ×11, first 2 shown]
	v_mov_b32_e32 v1, 0
	s_bitcmp0_b32 s8, 0
	s_mov_b64 s[0:1], -1
	s_cbranch_scc1 .LBB74_14
; %bb.4:
	v_cmp_eq_u32_e64 s[0:1], 0, v0
	s_and_saveexec_b64 s[2:3], s[0:1]
; %bb.5:
	v_mov_b32_e32 v24, 0
	ds_write_b32 v24, v24 offset:88
; %bb.6:
	s_or_b64 exec, exec, s[2:3]
	v_cmp_eq_u32_e32 vcc, 1, v0
	s_waitcnt vmcnt(0) lgkmcnt(0)
	v_cndmask_b32_e32 v24, v3, v5, vcc
	v_cmp_eq_u32_e64 s[2:3], 2, v0
	v_cndmask_b32_e64 v24, v24, v7, s[2:3]
	v_cmp_eq_u32_e64 s[4:5], 3, v0
	v_cndmask_b32_e64 v24, v24, v9, s[4:5]
	;; [unrolled: 2-line block ×9, first 2 shown]
	v_cndmask_b32_e32 v24, v2, v4, vcc
	v_cndmask_b32_e64 v24, v24, v6, s[2:3]
	v_cndmask_b32_e64 v24, v24, v8, s[4:5]
	;; [unrolled: 1-line block ×9, first 2 shown]
	v_cmp_eq_f64_e32 vcc, 0, v[24:25]
	; wave barrier
	s_and_saveexec_b64 s[4:5], vcc
	s_cbranch_execz .LBB74_10
; %bb.7:
	v_mov_b32_e32 v27, 0
	ds_read_b32 v29, v27 offset:88
	v_add_u32_e32 v28, 1, v0
	s_waitcnt lgkmcnt(0)
	v_readfirstlane_b32 s2, v29
	s_cmp_eq_u32 s2, 0
	s_cselect_b64 s[8:9], -1, 0
	v_cmp_gt_i32_e32 vcc, s2, v28
	s_or_b64 s[8:9], s[8:9], vcc
	s_and_b64 exec, exec, s[8:9]
	s_cbranch_execz .LBB74_10
; %bb.8:
	s_mov_b64 s[8:9], 0
	v_mov_b32_e32 v29, s2
.LBB74_9:                               ; =>This Inner Loop Header: Depth=1
	ds_cmpst_rtn_b32 v29, v27, v29, v28 offset:88
	s_waitcnt lgkmcnt(0)
	v_cmp_ne_u32_e32 vcc, 0, v29
	v_cmp_le_i32_e64 s[2:3], v29, v28
	s_and_b64 s[2:3], vcc, s[2:3]
	s_and_b64 s[2:3], exec, s[2:3]
	s_or_b64 s[8:9], s[2:3], s[8:9]
	s_andn2_b64 exec, exec, s[8:9]
	s_cbranch_execnz .LBB74_9
.LBB74_10:
	s_or_b64 exec, exec, s[4:5]
	v_mov_b32_e32 v28, 0
	; wave barrier
	ds_read_b32 v27, v28 offset:88
	s_and_saveexec_b64 s[2:3], s[0:1]
	s_cbranch_execz .LBB74_12
; %bb.11:
	s_lshl_b64 s[4:5], s[6:7], 2
	s_add_u32 s4, s30, s4
	s_addc_u32 s5, s31, s5
	s_waitcnt lgkmcnt(0)
	global_store_dword v28, v27, s[4:5]
.LBB74_12:
	s_or_b64 exec, exec, s[2:3]
	s_waitcnt lgkmcnt(0)
	v_cmp_ne_u32_e32 vcc, 0, v27
	s_cbranch_vccz .LBB74_17
; %bb.13:
	s_mov_b64 s[0:1], 0
                                        ; implicit-def: $vgpr2_vgpr3_vgpr4_vgpr5_vgpr6_vgpr7_vgpr8_vgpr9_vgpr10_vgpr11_vgpr12_vgpr13_vgpr14_vgpr15_vgpr16_vgpr17_vgpr18_vgpr19_vgpr20_vgpr21_vgpr22_vgpr23_vgpr24_vgpr25_vgpr26_vgpr27_vgpr28_vgpr29_vgpr30_vgpr31_vgpr32_vgpr33
.LBB74_14:
	s_and_b64 vcc, exec, s[0:1]
	s_cbranch_vccz .LBB74_16
.LBB74_15:
	s_lshl_b64 s[0:1], s[6:7], 2
	s_add_u32 s0, s30, s0
	s_addc_u32 s1, s31, s1
	v_mov_b32_e32 v1, 0
	global_load_dword v1, v1, s[0:1]
	s_waitcnt vmcnt(0)
	v_cmp_ne_u32_e32 vcc, 0, v1
	s_cbranch_vccz .LBB74_66
.LBB74_16:
	s_endpgm
.LBB74_17:
	v_div_scale_f64 v[27:28], s[2:3], v[24:25], v[24:25], 1.0
	v_rcp_f64_e32 v[29:30], v[27:28]
	v_fma_f64 v[31:32], -v[27:28], v[29:30], 1.0
	v_fma_f64 v[29:30], v[29:30], v[31:32], v[29:30]
	v_div_scale_f64 v[31:32], vcc, 1.0, v[24:25], 1.0
	v_fma_f64 v[33:34], -v[27:28], v[29:30], 1.0
	v_fma_f64 v[29:30], v[29:30], v[33:34], v[29:30]
	v_mul_f64 v[33:34], v[31:32], v[29:30]
	v_fma_f64 v[27:28], -v[27:28], v[33:34], v[31:32]
	v_div_fmas_f64 v[27:28], v[27:28], v[29:30], v[33:34]
	v_cmp_eq_u32_e32 vcc, 10, v0
	v_div_fixup_f64 v[24:25], v[27:28], v[24:25], 1.0
	v_add_u32_e32 v28, 0x60, v26
	v_cndmask_b32_e32 v23, v23, v25, vcc
	v_cndmask_b32_e32 v22, v22, v24, vcc
	v_cmp_eq_u32_e32 vcc, 9, v0
	v_cndmask_b32_e32 v21, v21, v25, vcc
	v_cndmask_b32_e32 v20, v20, v24, vcc
	v_cmp_eq_u32_e32 vcc, 8, v0
	;; [unrolled: 3-line block ×10, first 2 shown]
	v_cndmask_b32_e32 v3, v3, v25, vcc
	v_cndmask_b32_e32 v2, v2, v24, vcc
	v_xor_b32_e32 v30, 0x80000000, v25
	v_mov_b32_e32 v29, v24
	ds_write2_b64 v26, v[29:30], v[4:5] offset1:12
	s_waitcnt lgkmcnt(0)
	; wave barrier
	s_and_saveexec_b64 s[2:3], s[0:1]
	s_cbranch_execz .LBB74_19
; %bb.18:
	ds_read_b64 v[4:5], v28
	v_mov_b32_e32 v26, 0
	ds_read_b64 v[26:27], v26 offset:8
	s_waitcnt lgkmcnt(1)
	v_fma_f64 v[4:5], v[24:25], v[4:5], 0
	s_waitcnt lgkmcnt(0)
	v_mul_f64 v[4:5], v[4:5], v[26:27]
.LBB74_19:
	s_or_b64 exec, exec, s[2:3]
	v_cmp_gt_u32_e32 vcc, 2, v0
	; wave barrier
	ds_write_b64 v28, v[6:7]
	s_waitcnt lgkmcnt(0)
	; wave barrier
	s_and_saveexec_b64 s[24:25], vcc
	s_cbranch_execz .LBB74_21
; %bb.20:
	v_cmp_eq_u32_e64 s[2:3], 1, v0
	v_cndmask_b32_e64 v24, v3, v5, s[2:3]
	v_cmp_eq_u32_e64 s[4:5], 2, v0
	v_cndmask_b32_e64 v7, v24, v7, s[4:5]
	v_cndmask_b32_e64 v24, v2, v4, s[2:3]
	v_cmp_eq_u32_e64 s[8:9], 3, v0
	v_cndmask_b32_e64 v6, v24, v6, s[4:5]
	;; [unrolled: 3-line block ×6, first 2 shown]
	ds_read_b64 v[24:25], v28
	v_cndmask_b32_e64 v7, v7, v17, s[16:17]
	v_cmp_eq_u32_e64 s[18:19], 8, v0
	v_cndmask_b32_e64 v6, v6, v16, s[16:17]
	v_cndmask_b32_e64 v7, v7, v19, s[18:19]
	v_cmp_eq_u32_e64 s[20:21], 9, v0
	v_cndmask_b32_e64 v6, v6, v18, s[18:19]
	;; [unrolled: 3-line block ×3, first 2 shown]
	v_cndmask_b32_e64 v7, v7, v23, s[22:23]
	v_cndmask_b32_e64 v6, v6, v22, s[22:23]
	s_waitcnt lgkmcnt(0)
	v_fma_f64 v[6:7], v[6:7], v[24:25], 0
	v_mov_b32_e32 v24, 0
	ds_read2_b64 v[24:27], v24 offset0:2 offset1:13
	s_waitcnt lgkmcnt(0)
	v_fma_f64 v[26:27], v[4:5], v[26:27], v[6:7]
	v_cndmask_b32_e64 v7, v7, v27, s[0:1]
	v_cndmask_b32_e64 v6, v6, v26, s[0:1]
	v_mul_f64 v[6:7], v[6:7], v[24:25]
.LBB74_21:
	s_or_b64 exec, exec, s[24:25]
	v_cmp_gt_u32_e64 s[2:3], 3, v0
	; wave barrier
	ds_write_b64 v28, v[8:9]
	s_waitcnt lgkmcnt(0)
	; wave barrier
	s_and_saveexec_b64 s[8:9], s[2:3]
	s_cbranch_execz .LBB74_25
; %bb.22:
	v_mov_b32_e32 v24, 0x60
	v_lshl_add_u32 v29, v0, 3, v24
	v_mov_b32_e32 v24, 0
	v_mov_b32_e32 v27, v1
	;; [unrolled: 1-line block ×3, first 2 shown]
	s_mov_b64 s[10:11], 0
	v_mov_b32_e32 v26, v0
.LBB74_23:                              ; =>This Inner Loop Header: Depth=1
	v_cmp_eq_u32_e64 s[2:3], 1, v26
	v_cndmask_b32_e64 v32, v3, v5, s[2:3]
	v_cmp_eq_u32_e64 s[4:5], 2, v26
	v_cndmask_b32_e64 v32, v32, v7, s[4:5]
	v_cndmask_b32_e64 v33, v2, v4, s[2:3]
	v_cmp_eq_u32_e64 s[2:3], 3, v26
	v_cndmask_b32_e64 v32, v32, v9, s[2:3]
	;; [unrolled: 3-line block ×5, first 2 shown]
	v_cndmask_b32_e64 v33, v33, v12, s[2:3]
	v_cmp_eq_u32_e64 s[2:3], 7, v26
	ds_read_b64 v[30:31], v29
	v_cndmask_b32_e64 v32, v32, v17, s[2:3]
	v_cndmask_b32_e64 v33, v33, v14, s[4:5]
	v_cmp_eq_u32_e64 s[4:5], 8, v26
	v_cndmask_b32_e64 v32, v32, v19, s[4:5]
	v_cndmask_b32_e64 v33, v33, v16, s[2:3]
	v_cmp_eq_u32_e64 s[2:3], 9, v26
	;; [unrolled: 3-line block ×3, first 2 shown]
	v_cndmask_b32_e64 v33, v32, v23, s[4:5]
	v_cndmask_b32_e64 v32, v34, v20, s[2:3]
	;; [unrolled: 1-line block ×3, first 2 shown]
	s_waitcnt lgkmcnt(0)
	v_fma_f64 v[24:25], v[32:33], v[30:31], v[24:25]
	v_add_co_u32_e64 v26, s[2:3], 1, v26
	v_addc_co_u32_e64 v27, s[2:3], 0, v27, s[2:3]
	v_add_u32_e32 v30, -1, v26
	v_cmp_lt_u32_e64 s[2:3], 1, v30
	s_or_b64 s[10:11], s[2:3], s[10:11]
	v_add_u32_e32 v29, 8, v29
	s_andn2_b64 exec, exec, s[10:11]
	s_cbranch_execnz .LBB74_23
; %bb.24:
	s_or_b64 exec, exec, s[10:11]
	v_mov_b32_e32 v8, 0
	ds_read_b64 v[8:9], v8 offset:24
	s_waitcnt lgkmcnt(0)
	v_mul_f64 v[8:9], v[24:25], v[8:9]
.LBB74_25:
	s_or_b64 exec, exec, s[8:9]
	v_cmp_gt_u32_e64 s[2:3], 4, v0
	; wave barrier
	ds_write_b64 v28, v[10:11]
	s_waitcnt lgkmcnt(0)
	; wave barrier
	s_and_saveexec_b64 s[10:11], s[2:3]
	s_cbranch_execz .LBB74_29
; %bb.26:
	v_mov_b32_e32 v24, 0x60
	v_lshl_add_u32 v29, v0, 3, v24
	v_mov_b32_e32 v24, 0
	v_mov_b32_e32 v27, v1
	;; [unrolled: 1-line block ×3, first 2 shown]
	s_mov_b64 s[12:13], 0
	v_mov_b32_e32 v26, v0
.LBB74_27:                              ; =>This Inner Loop Header: Depth=1
	v_cmp_eq_u32_e64 s[4:5], 1, v26
	v_cndmask_b32_e64 v32, v3, v5, s[4:5]
	v_cmp_eq_u32_e64 s[8:9], 2, v26
	v_cndmask_b32_e64 v32, v32, v7, s[8:9]
	v_cndmask_b32_e64 v33, v2, v4, s[4:5]
	v_cmp_eq_u32_e64 s[4:5], 3, v26
	v_cndmask_b32_e64 v32, v32, v9, s[4:5]
	;; [unrolled: 3-line block ×5, first 2 shown]
	v_cndmask_b32_e64 v33, v33, v12, s[4:5]
	v_cmp_eq_u32_e64 s[4:5], 7, v26
	ds_read_b64 v[30:31], v29
	v_cndmask_b32_e64 v32, v32, v17, s[4:5]
	v_cndmask_b32_e64 v33, v33, v14, s[8:9]
	v_cmp_eq_u32_e64 s[8:9], 8, v26
	v_cndmask_b32_e64 v32, v32, v19, s[8:9]
	v_cndmask_b32_e64 v33, v33, v16, s[4:5]
	v_cmp_eq_u32_e64 s[4:5], 9, v26
	;; [unrolled: 3-line block ×3, first 2 shown]
	v_cndmask_b32_e64 v33, v32, v23, s[8:9]
	v_cndmask_b32_e64 v32, v34, v20, s[4:5]
	;; [unrolled: 1-line block ×3, first 2 shown]
	s_waitcnt lgkmcnt(0)
	v_fma_f64 v[24:25], v[32:33], v[30:31], v[24:25]
	v_add_co_u32_e64 v26, s[4:5], 1, v26
	v_addc_co_u32_e64 v27, s[4:5], 0, v27, s[4:5]
	v_add_u32_e32 v30, -1, v26
	v_cmp_lt_u32_e64 s[4:5], 2, v30
	s_or_b64 s[12:13], s[4:5], s[12:13]
	v_add_u32_e32 v29, 8, v29
	s_andn2_b64 exec, exec, s[12:13]
	s_cbranch_execnz .LBB74_27
; %bb.28:
	s_or_b64 exec, exec, s[12:13]
	v_mov_b32_e32 v10, 0
	ds_read_b64 v[10:11], v10 offset:32
	s_waitcnt lgkmcnt(0)
	v_mul_f64 v[10:11], v[24:25], v[10:11]
.LBB74_29:
	s_or_b64 exec, exec, s[10:11]
	v_cmp_gt_u32_e64 s[4:5], 5, v0
	; wave barrier
	ds_write_b64 v28, v[12:13]
	s_waitcnt lgkmcnt(0)
	; wave barrier
	s_and_saveexec_b64 s[10:11], s[4:5]
	s_cbranch_execz .LBB74_33
; %bb.30:
	v_mov_b32_e32 v24, 0x60
	v_lshl_add_u32 v29, v0, 3, v24
	v_mov_b32_e32 v24, 0
	v_mov_b32_e32 v27, v1
	;; [unrolled: 1-line block ×3, first 2 shown]
	s_mov_b64 s[12:13], 0
	v_mov_b32_e32 v26, v0
.LBB74_31:                              ; =>This Inner Loop Header: Depth=1
	v_cmp_eq_u32_e64 s[4:5], 1, v26
	v_cndmask_b32_e64 v32, v3, v5, s[4:5]
	v_cmp_eq_u32_e64 s[8:9], 2, v26
	v_cndmask_b32_e64 v32, v32, v7, s[8:9]
	v_cndmask_b32_e64 v33, v2, v4, s[4:5]
	v_cmp_eq_u32_e64 s[4:5], 3, v26
	v_cndmask_b32_e64 v32, v32, v9, s[4:5]
	;; [unrolled: 3-line block ×5, first 2 shown]
	v_cndmask_b32_e64 v33, v33, v12, s[4:5]
	v_cmp_eq_u32_e64 s[4:5], 7, v26
	ds_read_b64 v[30:31], v29
	v_cndmask_b32_e64 v32, v32, v17, s[4:5]
	v_cndmask_b32_e64 v33, v33, v14, s[8:9]
	v_cmp_eq_u32_e64 s[8:9], 8, v26
	v_cndmask_b32_e64 v32, v32, v19, s[8:9]
	v_cndmask_b32_e64 v33, v33, v16, s[4:5]
	v_cmp_eq_u32_e64 s[4:5], 9, v26
	;; [unrolled: 3-line block ×3, first 2 shown]
	v_cndmask_b32_e64 v33, v32, v23, s[8:9]
	v_cndmask_b32_e64 v32, v34, v20, s[4:5]
	;; [unrolled: 1-line block ×3, first 2 shown]
	s_waitcnt lgkmcnt(0)
	v_fma_f64 v[24:25], v[32:33], v[30:31], v[24:25]
	v_add_co_u32_e64 v26, s[4:5], 1, v26
	v_addc_co_u32_e64 v27, s[4:5], 0, v27, s[4:5]
	v_add_u32_e32 v30, -1, v26
	v_cmp_lt_u32_e64 s[4:5], 3, v30
	s_or_b64 s[12:13], s[4:5], s[12:13]
	v_add_u32_e32 v29, 8, v29
	s_andn2_b64 exec, exec, s[12:13]
	s_cbranch_execnz .LBB74_31
; %bb.32:
	s_or_b64 exec, exec, s[12:13]
	v_mov_b32_e32 v12, 0
	ds_read_b64 v[12:13], v12 offset:40
	s_waitcnt lgkmcnt(0)
	v_mul_f64 v[12:13], v[24:25], v[12:13]
.LBB74_33:
	s_or_b64 exec, exec, s[10:11]
	v_cmp_gt_u32_e64 s[4:5], 6, v0
	; wave barrier
	ds_write_b64 v28, v[14:15]
	s_waitcnt lgkmcnt(0)
	; wave barrier
	s_and_saveexec_b64 s[12:13], s[4:5]
	s_cbranch_execz .LBB74_37
; %bb.34:
	v_mov_b32_e32 v24, 0x60
	v_lshl_add_u32 v29, v0, 3, v24
	v_mov_b32_e32 v24, 0
	v_mov_b32_e32 v27, v1
	;; [unrolled: 1-line block ×3, first 2 shown]
	s_mov_b64 s[14:15], 0
	v_mov_b32_e32 v26, v0
.LBB74_35:                              ; =>This Inner Loop Header: Depth=1
	v_cmp_eq_u32_e64 s[8:9], 1, v26
	v_cndmask_b32_e64 v32, v3, v5, s[8:9]
	v_cmp_eq_u32_e64 s[10:11], 2, v26
	v_cndmask_b32_e64 v32, v32, v7, s[10:11]
	v_cndmask_b32_e64 v33, v2, v4, s[8:9]
	v_cmp_eq_u32_e64 s[8:9], 3, v26
	v_cndmask_b32_e64 v32, v32, v9, s[8:9]
	;; [unrolled: 3-line block ×5, first 2 shown]
	v_cndmask_b32_e64 v33, v33, v12, s[8:9]
	v_cmp_eq_u32_e64 s[8:9], 7, v26
	ds_read_b64 v[30:31], v29
	v_cndmask_b32_e64 v32, v32, v17, s[8:9]
	v_cndmask_b32_e64 v33, v33, v14, s[10:11]
	v_cmp_eq_u32_e64 s[10:11], 8, v26
	v_cndmask_b32_e64 v32, v32, v19, s[10:11]
	v_cndmask_b32_e64 v33, v33, v16, s[8:9]
	v_cmp_eq_u32_e64 s[8:9], 9, v26
	;; [unrolled: 3-line block ×3, first 2 shown]
	v_cndmask_b32_e64 v33, v32, v23, s[10:11]
	v_cndmask_b32_e64 v32, v34, v20, s[8:9]
	;; [unrolled: 1-line block ×3, first 2 shown]
	s_waitcnt lgkmcnt(0)
	v_fma_f64 v[24:25], v[32:33], v[30:31], v[24:25]
	v_add_co_u32_e64 v26, s[8:9], 1, v26
	v_addc_co_u32_e64 v27, s[8:9], 0, v27, s[8:9]
	v_add_u32_e32 v30, -1, v26
	v_cmp_lt_u32_e64 s[8:9], 4, v30
	s_or_b64 s[14:15], s[8:9], s[14:15]
	v_add_u32_e32 v29, 8, v29
	s_andn2_b64 exec, exec, s[14:15]
	s_cbranch_execnz .LBB74_35
; %bb.36:
	s_or_b64 exec, exec, s[14:15]
	v_mov_b32_e32 v14, 0
	ds_read_b64 v[14:15], v14 offset:48
	s_waitcnt lgkmcnt(0)
	v_mul_f64 v[14:15], v[24:25], v[14:15]
.LBB74_37:
	s_or_b64 exec, exec, s[12:13]
	v_cmp_gt_u32_e64 s[8:9], 7, v0
	; wave barrier
	ds_write_b64 v28, v[16:17]
	s_waitcnt lgkmcnt(0)
	; wave barrier
	s_and_saveexec_b64 s[12:13], s[8:9]
	s_cbranch_execz .LBB74_41
; %bb.38:
	v_mov_b32_e32 v24, 0x60
	v_lshl_add_u32 v29, v0, 3, v24
	v_mov_b32_e32 v24, 0
	v_mov_b32_e32 v27, v1
	;; [unrolled: 1-line block ×3, first 2 shown]
	s_mov_b64 s[14:15], 0
	v_mov_b32_e32 v26, v0
.LBB74_39:                              ; =>This Inner Loop Header: Depth=1
	v_cmp_eq_u32_e64 s[8:9], 1, v26
	v_cndmask_b32_e64 v32, v3, v5, s[8:9]
	v_cmp_eq_u32_e64 s[10:11], 2, v26
	v_cndmask_b32_e64 v32, v32, v7, s[10:11]
	v_cndmask_b32_e64 v33, v2, v4, s[8:9]
	v_cmp_eq_u32_e64 s[8:9], 3, v26
	v_cndmask_b32_e64 v32, v32, v9, s[8:9]
	;; [unrolled: 3-line block ×5, first 2 shown]
	v_cndmask_b32_e64 v33, v33, v12, s[8:9]
	v_cmp_eq_u32_e64 s[8:9], 7, v26
	ds_read_b64 v[30:31], v29
	v_cndmask_b32_e64 v32, v32, v17, s[8:9]
	v_cndmask_b32_e64 v33, v33, v14, s[10:11]
	v_cmp_eq_u32_e64 s[10:11], 8, v26
	v_cndmask_b32_e64 v32, v32, v19, s[10:11]
	v_cndmask_b32_e64 v33, v33, v16, s[8:9]
	v_cmp_eq_u32_e64 s[8:9], 9, v26
	;; [unrolled: 3-line block ×3, first 2 shown]
	v_cndmask_b32_e64 v33, v32, v23, s[10:11]
	v_cndmask_b32_e64 v32, v34, v20, s[8:9]
	;; [unrolled: 1-line block ×3, first 2 shown]
	s_waitcnt lgkmcnt(0)
	v_fma_f64 v[24:25], v[32:33], v[30:31], v[24:25]
	v_add_co_u32_e64 v26, s[8:9], 1, v26
	v_addc_co_u32_e64 v27, s[8:9], 0, v27, s[8:9]
	v_add_u32_e32 v30, -1, v26
	v_cmp_lt_u32_e64 s[8:9], 5, v30
	s_or_b64 s[14:15], s[8:9], s[14:15]
	v_add_u32_e32 v29, 8, v29
	s_andn2_b64 exec, exec, s[14:15]
	s_cbranch_execnz .LBB74_39
; %bb.40:
	s_or_b64 exec, exec, s[14:15]
	v_mov_b32_e32 v16, 0
	ds_read_b64 v[16:17], v16 offset:56
	s_waitcnt lgkmcnt(0)
	v_mul_f64 v[16:17], v[24:25], v[16:17]
.LBB74_41:
	s_or_b64 exec, exec, s[12:13]
	v_cmp_gt_u32_e64 s[8:9], 8, v0
	; wave barrier
	ds_write_b64 v28, v[18:19]
	s_waitcnt lgkmcnt(0)
	; wave barrier
	s_and_saveexec_b64 s[28:29], s[8:9]
	s_cbranch_execz .LBB74_57
; %bb.42:
	v_cmp_eq_u32_e64 s[8:9], 1, v0
	v_cndmask_b32_e64 v24, v3, v5, s[8:9]
	v_cmp_eq_u32_e64 s[10:11], 2, v0
	v_cndmask_b32_e64 v24, v24, v7, s[10:11]
	;; [unrolled: 2-line block ×10, first 2 shown]
	v_cndmask_b32_e64 v24, v2, v4, s[8:9]
	v_cndmask_b32_e64 v24, v24, v6, s[10:11]
	;; [unrolled: 1-line block ×6, first 2 shown]
	ds_read_b64 v[26:27], v28
	v_cndmask_b32_e64 v24, v24, v16, s[20:21]
	v_cndmask_b32_e64 v24, v24, v18, s[22:23]
	v_cndmask_b32_e64 v24, v24, v20, s[24:25]
	v_cndmask_b32_e64 v24, v24, v22, s[26:27]
	s_waitcnt lgkmcnt(0)
	v_fma_f64 v[24:25], v[24:25], v[26:27], 0
	v_cmp_ne_u32_e64 s[8:9], 7, v0
	s_and_saveexec_b64 s[38:39], s[8:9]
	s_cbranch_execz .LBB74_56
; %bb.43:
	v_add_u32_e32 v26, 1, v0
	v_cmp_eq_u32_e64 s[8:9], 1, v26
	v_cndmask_b32_e64 v27, v3, v5, s[8:9]
	v_cmp_eq_u32_e64 s[10:11], 2, v26
	v_cmp_eq_u32_e64 s[12:13], 3, v26
	;; [unrolled: 1-line block ×9, first 2 shown]
	v_cndmask_b32_e64 v26, v2, v4, s[8:9]
	v_cndmask_b32_e64 v27, v27, v7, s[10:11]
	;; [unrolled: 1-line block ×11, first 2 shown]
	ds_read_b64 v[29:30], v28 offset:8
	v_cndmask_b32_e64 v27, v27, v17, s[20:21]
	v_cndmask_b32_e64 v26, v26, v16, s[20:21]
	;; [unrolled: 1-line block ×8, first 2 shown]
	s_waitcnt lgkmcnt(0)
	v_fma_f64 v[24:25], v[26:27], v[29:30], v[24:25]
	s_and_saveexec_b64 s[26:27], s[4:5]
	s_cbranch_execz .LBB74_55
; %bb.44:
	v_add_u32_e32 v26, 2, v0
	v_cmp_eq_u32_e64 s[4:5], 1, v26
	v_cndmask_b32_e64 v27, v3, v5, s[4:5]
	v_cmp_eq_u32_e64 s[8:9], 2, v26
	v_cmp_eq_u32_e64 s[10:11], 3, v26
	;; [unrolled: 1-line block ×9, first 2 shown]
	v_cndmask_b32_e64 v26, v2, v4, s[4:5]
	v_cndmask_b32_e64 v27, v27, v7, s[8:9]
	;; [unrolled: 1-line block ×11, first 2 shown]
	ds_read_b64 v[29:30], v28 offset:16
	v_cndmask_b32_e64 v27, v27, v17, s[18:19]
	v_cndmask_b32_e64 v26, v26, v16, s[18:19]
	;; [unrolled: 1-line block ×8, first 2 shown]
	s_waitcnt lgkmcnt(0)
	v_fma_f64 v[24:25], v[26:27], v[29:30], v[24:25]
	v_cmp_ne_u32_e64 s[4:5], 5, v0
	s_and_saveexec_b64 s[40:41], s[4:5]
	s_cbranch_execz .LBB74_54
; %bb.45:
	v_add_u32_e32 v26, 3, v0
	v_cmp_eq_u32_e64 s[4:5], 1, v26
	v_cndmask_b32_e64 v27, v3, v5, s[4:5]
	v_cmp_eq_u32_e64 s[8:9], 2, v26
	v_cmp_eq_u32_e64 s[10:11], 3, v26
	;; [unrolled: 1-line block ×9, first 2 shown]
	v_cndmask_b32_e64 v26, v2, v4, s[4:5]
	v_cndmask_b32_e64 v27, v27, v7, s[8:9]
	;; [unrolled: 1-line block ×11, first 2 shown]
	ds_read_b64 v[29:30], v28 offset:24
	v_cndmask_b32_e64 v27, v27, v17, s[18:19]
	v_cndmask_b32_e64 v26, v26, v16, s[18:19]
	;; [unrolled: 1-line block ×8, first 2 shown]
	s_waitcnt lgkmcnt(0)
	v_fma_f64 v[24:25], v[26:27], v[29:30], v[24:25]
	s_and_saveexec_b64 s[24:25], s[2:3]
	s_cbranch_execz .LBB74_53
; %bb.46:
	v_or_b32_e32 v26, 4, v0
	v_cmp_eq_u32_e64 s[2:3], 1, v26
	v_cndmask_b32_e64 v27, v3, v5, s[2:3]
	v_cmp_eq_u32_e64 s[4:5], 2, v26
	v_cmp_eq_u32_e64 s[8:9], 3, v26
	v_cmp_eq_u32_e64 s[10:11], 4, v26
	v_cmp_eq_u32_e64 s[12:13], 5, v26
	v_cmp_eq_u32_e64 s[14:15], 6, v26
	v_cmp_eq_u32_e64 s[16:17], 7, v26
	v_cmp_eq_u32_e64 s[18:19], 8, v26
	v_cmp_eq_u32_e64 s[20:21], 9, v26
	v_cmp_eq_u32_e64 s[22:23], 10, v26
	v_cndmask_b32_e64 v26, v2, v4, s[2:3]
	v_cndmask_b32_e64 v27, v27, v7, s[4:5]
	;; [unrolled: 1-line block ×11, first 2 shown]
	ds_read_b64 v[29:30], v28 offset:32
	v_cndmask_b32_e64 v27, v27, v17, s[16:17]
	v_cndmask_b32_e64 v26, v26, v16, s[16:17]
	;; [unrolled: 1-line block ×8, first 2 shown]
	s_waitcnt lgkmcnt(0)
	v_fma_f64 v[24:25], v[26:27], v[29:30], v[24:25]
	v_cmp_ne_u32_e64 s[2:3], 3, v0
	s_and_saveexec_b64 s[42:43], s[2:3]
	s_cbranch_execz .LBB74_52
; %bb.47:
	v_add_u32_e32 v26, 5, v0
	v_cmp_eq_u32_e64 s[2:3], 1, v26
	v_cndmask_b32_e64 v27, v3, v5, s[2:3]
	v_cmp_eq_u32_e64 s[4:5], 2, v26
	v_cmp_eq_u32_e64 s[8:9], 3, v26
	;; [unrolled: 1-line block ×9, first 2 shown]
	v_cndmask_b32_e64 v26, v2, v4, s[2:3]
	v_cndmask_b32_e64 v27, v27, v7, s[4:5]
	;; [unrolled: 1-line block ×11, first 2 shown]
	ds_read_b64 v[29:30], v28 offset:40
	v_cndmask_b32_e64 v27, v27, v17, s[16:17]
	v_cndmask_b32_e64 v26, v26, v16, s[16:17]
	;; [unrolled: 1-line block ×8, first 2 shown]
	s_waitcnt lgkmcnt(0)
	v_fma_f64 v[24:25], v[26:27], v[29:30], v[24:25]
	s_and_saveexec_b64 s[22:23], vcc
	s_cbranch_execz .LBB74_51
; %bb.48:
	v_or_b32_e32 v26, 6, v0
	v_cmp_eq_u32_e32 vcc, 1, v26
	v_cndmask_b32_e32 v27, v3, v5, vcc
	v_cmp_eq_u32_e64 s[2:3], 2, v26
	v_cndmask_b32_e64 v27, v27, v7, s[2:3]
	v_cmp_eq_u32_e64 s[4:5], 3, v26
	v_cndmask_b32_e64 v27, v27, v9, s[4:5]
	v_cmp_eq_u32_e64 s[8:9], 4, v26
	v_cmp_eq_u32_e64 s[10:11], 5, v26
	;; [unrolled: 1-line block ×7, first 2 shown]
	v_cndmask_b32_e32 v26, v2, v4, vcc
	v_cndmask_b32_e64 v27, v27, v11, s[8:9]
	v_cndmask_b32_e64 v26, v26, v6, s[2:3]
	;; [unrolled: 1-line block ×10, first 2 shown]
	ds_read_b64 v[26:27], v28 offset:48
	v_cndmask_b32_e64 v29, v29, v16, s[14:15]
	v_cndmask_b32_e64 v18, v29, v18, s[16:17]
	;; [unrolled: 1-line block ×6, first 2 shown]
	s_waitcnt lgkmcnt(0)
	v_fma_f64 v[24:25], v[18:19], v[26:27], v[24:25]
	s_and_saveexec_b64 s[2:3], s[0:1]
	s_cbranch_execz .LBB74_50
; %bb.49:
	ds_read_b64 v[18:19], v28 offset:56
	s_waitcnt lgkmcnt(0)
	v_fma_f64 v[24:25], v[16:17], v[18:19], v[24:25]
.LBB74_50:
	s_or_b64 exec, exec, s[2:3]
.LBB74_51:
	s_or_b64 exec, exec, s[22:23]
.LBB74_52:
	s_or_b64 exec, exec, s[42:43]
.LBB74_53:
	s_or_b64 exec, exec, s[24:25]
.LBB74_54:
	s_or_b64 exec, exec, s[40:41]
.LBB74_55:
	s_or_b64 exec, exec, s[26:27]
.LBB74_56:
	s_or_b64 exec, exec, s[38:39]
	v_mov_b32_e32 v18, 0
	ds_read_b64 v[18:19], v18 offset:64
	s_waitcnt lgkmcnt(0)
	v_mul_f64 v[18:19], v[24:25], v[18:19]
.LBB74_57:
	s_or_b64 exec, exec, s[28:29]
	v_cmp_gt_u32_e32 vcc, 9, v0
	; wave barrier
	ds_write_b64 v28, v[20:21]
	s_waitcnt lgkmcnt(0)
	; wave barrier
	s_and_saveexec_b64 s[2:3], vcc
	s_cbranch_execz .LBB74_61
; %bb.58:
	v_mov_b32_e32 v24, 0x60
	v_lshl_add_u32 v29, v0, 3, v24
	v_mov_b32_e32 v24, 0
	v_mov_b32_e32 v27, v1
	;; [unrolled: 1-line block ×3, first 2 shown]
	s_mov_b64 s[4:5], 0
	v_mov_b32_e32 v26, v0
.LBB74_59:                              ; =>This Inner Loop Header: Depth=1
	v_cmp_eq_u32_e32 vcc, 1, v26
	v_cndmask_b32_e32 v32, v3, v5, vcc
	v_cmp_eq_u32_e64 s[0:1], 2, v26
	v_cndmask_b32_e64 v32, v32, v7, s[0:1]
	v_cndmask_b32_e32 v33, v2, v4, vcc
	v_cmp_eq_u32_e32 vcc, 3, v26
	v_cndmask_b32_e32 v32, v32, v9, vcc
	v_cndmask_b32_e64 v33, v33, v6, s[0:1]
	v_cmp_eq_u32_e64 s[0:1], 4, v26
	v_cndmask_b32_e64 v32, v32, v11, s[0:1]
	v_cndmask_b32_e32 v33, v33, v8, vcc
	v_cmp_eq_u32_e32 vcc, 5, v26
	v_cndmask_b32_e32 v32, v32, v13, vcc
	v_cndmask_b32_e64 v33, v33, v10, s[0:1]
	v_cmp_eq_u32_e64 s[0:1], 6, v26
	v_cndmask_b32_e64 v32, v32, v15, s[0:1]
	v_cndmask_b32_e32 v33, v33, v12, vcc
	v_cmp_eq_u32_e32 vcc, 7, v26
	ds_read_b64 v[30:31], v29
	v_cndmask_b32_e32 v32, v32, v17, vcc
	v_cndmask_b32_e64 v33, v33, v14, s[0:1]
	v_cmp_eq_u32_e64 s[0:1], 8, v26
	v_cndmask_b32_e64 v32, v32, v19, s[0:1]
	v_cndmask_b32_e32 v33, v33, v16, vcc
	v_cmp_eq_u32_e32 vcc, 9, v26
	v_cndmask_b32_e32 v32, v32, v21, vcc
	v_cndmask_b32_e64 v34, v33, v18, s[0:1]
	v_cmp_eq_u32_e64 s[0:1], 10, v26
	v_cndmask_b32_e64 v33, v32, v23, s[0:1]
	v_cndmask_b32_e32 v32, v34, v20, vcc
	v_cndmask_b32_e64 v32, v32, v22, s[0:1]
	s_waitcnt lgkmcnt(0)
	v_fma_f64 v[24:25], v[32:33], v[30:31], v[24:25]
	v_add_co_u32_e32 v26, vcc, 1, v26
	v_addc_co_u32_e32 v27, vcc, 0, v27, vcc
	v_add_u32_e32 v30, -1, v26
	v_cmp_lt_u32_e32 vcc, 7, v30
	s_or_b64 s[4:5], vcc, s[4:5]
	v_add_u32_e32 v29, 8, v29
	s_andn2_b64 exec, exec, s[4:5]
	s_cbranch_execnz .LBB74_59
; %bb.60:
	s_or_b64 exec, exec, s[4:5]
	v_mov_b32_e32 v20, 0
	ds_read_b64 v[20:21], v20 offset:72
	s_waitcnt lgkmcnt(0)
	v_mul_f64 v[20:21], v[24:25], v[20:21]
.LBB74_61:
	s_or_b64 exec, exec, s[2:3]
	v_cmp_ne_u32_e32 vcc, 10, v0
	; wave barrier
	ds_write_b64 v28, v[22:23]
	s_waitcnt lgkmcnt(0)
	; wave barrier
	s_and_saveexec_b64 s[2:3], vcc
	s_cbranch_execz .LBB74_65
; %bb.62:
	v_mov_b32_e32 v24, 0x60
	v_lshl_add_u32 v28, v0, 3, v24
	v_mov_b32_e32 v24, 0
	v_mov_b32_e32 v27, v1
	;; [unrolled: 1-line block ×3, first 2 shown]
	s_mov_b64 s[4:5], 0
	v_mov_b32_e32 v26, v0
.LBB74_63:                              ; =>This Inner Loop Header: Depth=1
	v_cmp_eq_u32_e32 vcc, 1, v26
	v_cndmask_b32_e32 v1, v3, v5, vcc
	v_cmp_eq_u32_e64 s[0:1], 2, v26
	v_cndmask_b32_e64 v1, v1, v7, s[0:1]
	v_cndmask_b32_e32 v31, v2, v4, vcc
	v_cmp_eq_u32_e32 vcc, 3, v26
	v_cndmask_b32_e32 v1, v1, v9, vcc
	v_cndmask_b32_e64 v31, v31, v6, s[0:1]
	v_cmp_eq_u32_e64 s[0:1], 4, v26
	v_cndmask_b32_e64 v1, v1, v11, s[0:1]
	v_cndmask_b32_e32 v31, v31, v8, vcc
	v_cmp_eq_u32_e32 vcc, 5, v26
	v_cndmask_b32_e32 v1, v1, v13, vcc
	v_cndmask_b32_e64 v31, v31, v10, s[0:1]
	v_cmp_eq_u32_e64 s[0:1], 6, v26
	v_cndmask_b32_e64 v1, v1, v15, s[0:1]
	v_cndmask_b32_e32 v31, v31, v12, vcc
	v_cmp_eq_u32_e32 vcc, 7, v26
	ds_read_b64 v[29:30], v28
	v_cndmask_b32_e32 v1, v1, v17, vcc
	v_cndmask_b32_e64 v31, v31, v14, s[0:1]
	v_cmp_eq_u32_e64 s[0:1], 8, v26
	v_cndmask_b32_e64 v1, v1, v19, s[0:1]
	v_cndmask_b32_e32 v31, v31, v16, vcc
	v_cmp_eq_u32_e32 vcc, 9, v26
	v_cndmask_b32_e32 v1, v1, v21, vcc
	v_cndmask_b32_e64 v31, v31, v18, s[0:1]
	v_cmp_eq_u32_e64 s[0:1], 10, v26
	v_cndmask_b32_e64 v32, v1, v23, s[0:1]
	v_cndmask_b32_e32 v1, v31, v20, vcc
	v_cndmask_b32_e64 v31, v1, v22, s[0:1]
	s_waitcnt lgkmcnt(0)
	v_fma_f64 v[24:25], v[31:32], v[29:30], v[24:25]
	v_add_co_u32_e32 v26, vcc, 1, v26
	v_addc_co_u32_e32 v27, vcc, 0, v27, vcc
	v_add_u32_e32 v1, -1, v26
	v_cmp_lt_u32_e32 vcc, 8, v1
	s_or_b64 s[4:5], vcc, s[4:5]
	v_add_u32_e32 v28, 8, v28
	s_andn2_b64 exec, exec, s[4:5]
	s_cbranch_execnz .LBB74_63
; %bb.64:
	s_or_b64 exec, exec, s[4:5]
	v_mov_b32_e32 v1, 0
	ds_read_b64 v[22:23], v1 offset:80
	s_waitcnt lgkmcnt(0)
	v_mul_f64 v[22:23], v[24:25], v[22:23]
.LBB74_65:
	s_or_b64 exec, exec, s[2:3]
	; wave barrier
	s_cbranch_execnz .LBB74_15
	s_branch .LBB74_16
.LBB74_66:
	v_mov_b32_e32 v1, 0x60
	v_lshl_add_u32 v1, v0, 3, v1
	v_cmp_eq_u32_e32 vcc, 10, v0
	s_and_saveexec_b64 s[0:1], vcc
	s_cbranch_execz .LBB74_68
; %bb.67:
	s_waitcnt lgkmcnt(0)
	ds_write_b64 v1, v[20:21]
	v_mov_b32_e32 v20, 0
	v_mov_b32_e32 v21, v20
.LBB74_68:
	s_or_b64 exec, exec, s[0:1]
	v_mov_b32_e32 v40, 0
	s_waitcnt lgkmcnt(0)
	; wave barrier
	ds_read_b64 v[24:25], v40 offset:176
	v_cmp_lt_u32_e32 vcc, 8, v0
	s_waitcnt lgkmcnt(0)
	v_fma_f64 v[24:25], v[22:23], v[24:25], 0
	v_add_f64 v[20:21], v[20:21], -v[24:25]
	s_and_saveexec_b64 s[0:1], vcc
	s_cbranch_execz .LBB74_70
; %bb.69:
	v_mov_b32_e32 v24, v2
	v_mov_b32_e32 v25, v3
	;; [unrolled: 1-line block ×21, first 2 shown]
	ds_write_b64 v1, v[18:19]
	v_mov_b32_e32 v2, v24
	v_mov_b32_e32 v3, v25
	;; [unrolled: 1-line block ×32, first 2 shown]
.LBB74_70:
	s_or_b64 exec, exec, s[0:1]
	s_waitcnt lgkmcnt(0)
	; wave barrier
	ds_read2_b64 v[24:27], v40 offset0:21 offset1:22
	v_cmp_lt_u32_e32 vcc, 7, v0
	s_waitcnt lgkmcnt(0)
	v_fma_f64 v[24:25], v[20:21], v[24:25], 0
	v_fma_f64 v[24:25], v[22:23], v[26:27], v[24:25]
	v_add_f64 v[18:19], v[18:19], -v[24:25]
	s_and_saveexec_b64 s[0:1], vcc
	s_cbranch_execz .LBB74_72
; %bb.71:
	v_mov_b32_e32 v38, 0
	v_mov_b32_e32 v24, v2
	;; [unrolled: 1-line block ×22, first 2 shown]
	ds_write_b64 v1, v[16:17]
	v_mov_b32_e32 v2, v24
	v_mov_b32_e32 v3, v25
	;; [unrolled: 1-line block ×32, first 2 shown]
.LBB74_72:
	s_or_b64 exec, exec, s[0:1]
	v_mov_b32_e32 v36, 0
	s_waitcnt lgkmcnt(0)
	; wave barrier
	ds_read_b128 v[24:27], v36 offset:160
	ds_read_b64 v[28:29], v36 offset:176
	v_cmp_lt_u32_e32 vcc, 6, v0
	s_waitcnt lgkmcnt(1)
	v_fma_f64 v[24:25], v[18:19], v[24:25], 0
	v_fma_f64 v[24:25], v[20:21], v[26:27], v[24:25]
	s_waitcnt lgkmcnt(0)
	v_fma_f64 v[24:25], v[22:23], v[28:29], v[24:25]
	v_add_f64 v[16:17], v[16:17], -v[24:25]
	s_and_saveexec_b64 s[0:1], vcc
	s_cbranch_execz .LBB74_74
; %bb.73:
	v_mov_b32_e32 v24, v2
	v_mov_b32_e32 v25, v3
	v_mov_b32_e32 v26, v4
	v_mov_b32_e32 v27, v5
	v_mov_b32_e32 v28, v6
	v_mov_b32_e32 v29, v7
	v_mov_b32_e32 v30, v8
	v_mov_b32_e32 v31, v9
	v_mov_b32_e32 v32, v10
	v_mov_b32_e32 v33, v11
	v_mov_b32_e32 v34, v12
	v_mov_b32_e32 v35, v13
	v_mov_b32_e32 v37, v36
	v_mov_b32_e32 v38, v16
	v_mov_b32_e32 v39, v17
	v_mov_b32_e32 v40, v18
	v_mov_b32_e32 v41, v19
	v_mov_b32_e32 v42, v20
	v_mov_b32_e32 v43, v21
	v_mov_b32_e32 v44, v22
	v_mov_b32_e32 v45, v23
	ds_write_b64 v1, v[14:15]
	v_mov_b32_e32 v2, v24
	v_mov_b32_e32 v3, v25
	;; [unrolled: 1-line block ×32, first 2 shown]
.LBB74_74:
	s_or_b64 exec, exec, s[0:1]
	s_waitcnt lgkmcnt(0)
	; wave barrier
	ds_read2_b64 v[24:27], v36 offset0:19 offset1:20
	ds_read2_b64 v[28:31], v36 offset0:21 offset1:22
	v_cmp_lt_u32_e32 vcc, 5, v0
	s_waitcnt lgkmcnt(1)
	v_fma_f64 v[24:25], v[16:17], v[24:25], 0
	v_fma_f64 v[24:25], v[18:19], v[26:27], v[24:25]
	s_waitcnt lgkmcnt(0)
	v_fma_f64 v[24:25], v[20:21], v[28:29], v[24:25]
	v_fma_f64 v[24:25], v[22:23], v[30:31], v[24:25]
	v_add_f64 v[14:15], v[14:15], -v[24:25]
	s_and_saveexec_b64 s[0:1], vcc
	s_cbranch_execz .LBB74_76
; %bb.75:
	v_mov_b32_e32 v34, 0
	v_mov_b32_e32 v24, v2
	;; [unrolled: 1-line block ×22, first 2 shown]
	ds_write_b64 v1, v[12:13]
	v_mov_b32_e32 v2, v24
	v_mov_b32_e32 v3, v25
	;; [unrolled: 1-line block ×32, first 2 shown]
.LBB74_76:
	s_or_b64 exec, exec, s[0:1]
	v_mov_b32_e32 v34, 0
	s_waitcnt lgkmcnt(0)
	; wave barrier
	ds_read_b128 v[24:27], v34 offset:144
	ds_read_b128 v[28:31], v34 offset:160
	v_cmp_lt_u32_e32 vcc, 4, v0
	s_waitcnt lgkmcnt(1)
	v_fma_f64 v[24:25], v[14:15], v[24:25], 0
	v_fma_f64 v[24:25], v[16:17], v[26:27], v[24:25]
	ds_read_b64 v[26:27], v34 offset:176
	s_waitcnt lgkmcnt(1)
	v_fma_f64 v[24:25], v[18:19], v[28:29], v[24:25]
	v_fma_f64 v[24:25], v[20:21], v[30:31], v[24:25]
	s_waitcnt lgkmcnt(0)
	v_fma_f64 v[24:25], v[22:23], v[26:27], v[24:25]
	v_add_f64 v[12:13], v[12:13], -v[24:25]
	s_and_saveexec_b64 s[0:1], vcc
	s_cbranch_execz .LBB74_78
; %bb.77:
	v_mov_b32_e32 v26, v2
	v_mov_b32_e32 v27, v3
	;; [unrolled: 1-line block ×21, first 2 shown]
	ds_write_b64 v1, v[10:11]
	v_mov_b32_e32 v2, v26
	v_mov_b32_e32 v3, v27
	;; [unrolled: 1-line block ×32, first 2 shown]
.LBB74_78:
	s_or_b64 exec, exec, s[0:1]
	s_waitcnt lgkmcnt(0)
	; wave barrier
	ds_read2_b64 v[24:27], v34 offset0:17 offset1:18
	ds_read2_b64 v[28:31], v34 offset0:19 offset1:20
	v_cmp_lt_u32_e32 vcc, 3, v0
	s_waitcnt lgkmcnt(1)
	v_fma_f64 v[24:25], v[12:13], v[24:25], 0
	v_fma_f64 v[24:25], v[14:15], v[26:27], v[24:25]
	s_waitcnt lgkmcnt(0)
	v_fma_f64 v[24:25], v[16:17], v[28:29], v[24:25]
	v_fma_f64 v[28:29], v[18:19], v[30:31], v[24:25]
	ds_read2_b64 v[24:27], v34 offset0:21 offset1:22
	s_waitcnt lgkmcnt(0)
	v_fma_f64 v[24:25], v[20:21], v[24:25], v[28:29]
	v_fma_f64 v[24:25], v[22:23], v[26:27], v[24:25]
	v_add_f64 v[10:11], v[10:11], -v[24:25]
	s_and_saveexec_b64 s[0:1], vcc
	s_cbranch_execz .LBB74_80
; %bb.79:
	v_mov_b32_e32 v30, 0
	v_mov_b32_e32 v24, v2
	;; [unrolled: 1-line block ×22, first 2 shown]
	ds_write_b64 v1, v[8:9]
	v_mov_b32_e32 v2, v24
	v_mov_b32_e32 v3, v25
	;; [unrolled: 1-line block ×32, first 2 shown]
.LBB74_80:
	s_or_b64 exec, exec, s[0:1]
	v_mov_b32_e32 v34, 0
	s_waitcnt lgkmcnt(0)
	; wave barrier
	ds_read_b128 v[24:27], v34 offset:128
	ds_read_b128 v[28:31], v34 offset:144
	v_cmp_lt_u32_e32 vcc, 2, v0
	s_waitcnt lgkmcnt(1)
	v_fma_f64 v[24:25], v[10:11], v[24:25], 0
	v_fma_f64 v[24:25], v[12:13], v[26:27], v[24:25]
	s_waitcnt lgkmcnt(0)
	v_fma_f64 v[24:25], v[14:15], v[28:29], v[24:25]
	v_fma_f64 v[28:29], v[16:17], v[30:31], v[24:25]
	ds_read_b128 v[24:27], v34 offset:160
	ds_read_b64 v[30:31], v34 offset:176
	s_waitcnt lgkmcnt(1)
	v_fma_f64 v[24:25], v[18:19], v[24:25], v[28:29]
	v_fma_f64 v[24:25], v[20:21], v[26:27], v[24:25]
	s_waitcnt lgkmcnt(0)
	v_fma_f64 v[24:25], v[22:23], v[30:31], v[24:25]
	v_add_f64 v[8:9], v[8:9], -v[24:25]
	s_and_saveexec_b64 s[0:1], vcc
	s_cbranch_execz .LBB74_82
; %bb.81:
	v_mov_b32_e32 v30, v2
	v_mov_b32_e32 v31, v3
	;; [unrolled: 1-line block ×21, first 2 shown]
	ds_write_b64 v1, v[6:7]
	v_mov_b32_e32 v2, v30
	v_mov_b32_e32 v3, v31
	;; [unrolled: 1-line block ×32, first 2 shown]
.LBB74_82:
	s_or_b64 exec, exec, s[0:1]
	s_waitcnt lgkmcnt(0)
	; wave barrier
	ds_read2_b64 v[24:27], v34 offset0:15 offset1:16
	ds_read2_b64 v[28:31], v34 offset0:17 offset1:18
	v_cmp_lt_u32_e32 vcc, 1, v0
	s_waitcnt lgkmcnt(1)
	v_fma_f64 v[24:25], v[8:9], v[24:25], 0
	v_fma_f64 v[24:25], v[10:11], v[26:27], v[24:25]
	s_waitcnt lgkmcnt(0)
	v_fma_f64 v[24:25], v[12:13], v[28:29], v[24:25]
	v_fma_f64 v[32:33], v[14:15], v[30:31], v[24:25]
	ds_read2_b64 v[24:27], v34 offset0:19 offset1:20
	ds_read2_b64 v[28:31], v34 offset0:21 offset1:22
	s_waitcnt lgkmcnt(1)
	v_fma_f64 v[24:25], v[16:17], v[24:25], v[32:33]
	v_fma_f64 v[24:25], v[18:19], v[26:27], v[24:25]
	s_waitcnt lgkmcnt(0)
	v_fma_f64 v[24:25], v[20:21], v[28:29], v[24:25]
	v_fma_f64 v[24:25], v[22:23], v[30:31], v[24:25]
	v_add_f64 v[6:7], v[6:7], -v[24:25]
	s_and_saveexec_b64 s[0:1], vcc
	s_cbranch_execz .LBB74_84
; %bb.83:
	v_mov_b32_e32 v26, 0
	v_mov_b32_e32 v24, v2
	;; [unrolled: 1-line block ×22, first 2 shown]
	ds_write_b64 v1, v[4:5]
	v_mov_b32_e32 v2, v24
	v_mov_b32_e32 v3, v25
	;; [unrolled: 1-line block ×32, first 2 shown]
.LBB74_84:
	s_or_b64 exec, exec, s[0:1]
	v_mov_b32_e32 v34, 0
	s_waitcnt lgkmcnt(0)
	; wave barrier
	ds_read_b128 v[24:27], v34 offset:112
	ds_read_b128 v[28:31], v34 offset:128
	v_cmp_ne_u32_e32 vcc, 0, v0
	s_waitcnt lgkmcnt(1)
	v_fma_f64 v[24:25], v[6:7], v[24:25], 0
	v_fma_f64 v[24:25], v[8:9], v[26:27], v[24:25]
	s_waitcnt lgkmcnt(0)
	v_fma_f64 v[24:25], v[10:11], v[28:29], v[24:25]
	v_fma_f64 v[32:33], v[12:13], v[30:31], v[24:25]
	ds_read_b128 v[24:27], v34 offset:144
	ds_read_b128 v[28:31], v34 offset:160
	s_waitcnt lgkmcnt(1)
	v_fma_f64 v[24:25], v[14:15], v[24:25], v[32:33]
	v_fma_f64 v[24:25], v[16:17], v[26:27], v[24:25]
	ds_read_b64 v[26:27], v34 offset:176
	s_waitcnt lgkmcnt(1)
	v_fma_f64 v[24:25], v[18:19], v[28:29], v[24:25]
	v_fma_f64 v[24:25], v[20:21], v[30:31], v[24:25]
	s_waitcnt lgkmcnt(0)
	v_fma_f64 v[24:25], v[22:23], v[26:27], v[24:25]
	v_add_f64 v[4:5], v[4:5], -v[24:25]
	s_and_saveexec_b64 s[0:1], vcc
	s_cbranch_execz .LBB74_86
; %bb.85:
	v_mov_b32_e32 v35, v34
	v_mov_b32_e32 v36, v4
	;; [unrolled: 1-line block ×21, first 2 shown]
	ds_write_b64 v1, v[2:3]
	v_mov_b32_e32 v2, v34
	v_mov_b32_e32 v3, v35
	;; [unrolled: 1-line block ×32, first 2 shown]
.LBB74_86:
	s_or_b64 exec, exec, s[0:1]
	s_waitcnt lgkmcnt(0)
	; wave barrier
	ds_read2_b64 v[24:27], v34 offset0:13 offset1:14
	ds_read2_b64 v[28:31], v34 offset0:15 offset1:16
	s_and_b64 vcc, exec, s[36:37]
	s_waitcnt lgkmcnt(1)
	v_fma_f64 v[0:1], v[4:5], v[24:25], 0
	v_fma_f64 v[0:1], v[6:7], v[26:27], v[0:1]
	s_waitcnt lgkmcnt(0)
	v_fma_f64 v[0:1], v[8:9], v[28:29], v[0:1]
	v_fma_f64 v[0:1], v[10:11], v[30:31], v[0:1]
	ds_read2_b64 v[24:27], v34 offset0:17 offset1:18
	ds_read2_b64 v[28:31], v34 offset0:19 offset1:20
	s_waitcnt lgkmcnt(1)
	v_fma_f64 v[0:1], v[12:13], v[24:25], v[0:1]
	v_fma_f64 v[0:1], v[14:15], v[26:27], v[0:1]
	ds_read2_b64 v[24:27], v34 offset0:21 offset1:22
	s_waitcnt lgkmcnt(1)
	v_fma_f64 v[0:1], v[16:17], v[28:29], v[0:1]
	v_fma_f64 v[0:1], v[18:19], v[30:31], v[0:1]
	s_waitcnt lgkmcnt(0)
	v_fma_f64 v[0:1], v[20:21], v[24:25], v[0:1]
	v_fma_f64 v[0:1], v[22:23], v[26:27], v[0:1]
	v_add_f64 v[2:3], v[2:3], -v[0:1]
	s_cbranch_vccz .LBB74_107
; %bb.87:
	v_mov_b32_e32 v0, 0
	global_load_dword v1, v0, s[34:35] offset:36
	s_waitcnt vmcnt(0)
	v_readfirstlane_b32 s0, v1
	s_add_i32 s0, s0, -1
	s_cmp_lg_u32 s0, 9
	s_cbranch_scc0 .LBB74_89
; %bb.88:
	s_lshl_b32 s0, s0, 1
	s_set_gpr_idx_on s0, gpr_idx(SRC0)
	v_mov_b32_e32 v1, v3
	v_mov_b32_e32 v54, v2
	s_set_gpr_idx_off
	v_mov_b32_e32 v53, v33
	v_mov_b32_e32 v41, v21
	;; [unrolled: 1-line block ×34, first 2 shown]
	s_set_gpr_idx_on s0, gpr_idx(DST)
	v_mov_b32_e32 v22, v20
	v_mov_b32_e32 v23, v21
	s_set_gpr_idx_off
	v_mov_b32_e32 v2, v22
	v_mov_b32_e32 v3, v23
	;; [unrolled: 1-line block ×32, first 2 shown]
.LBB74_89:
	global_load_dword v0, v0, s[34:35] offset:32
	s_waitcnt vmcnt(0)
	v_readfirstlane_b32 s0, v0
	s_add_i32 s0, s0, -1
	s_cmp_eq_u32 s0, 8
	s_cbranch_scc1 .LBB74_91
; %bb.90:
	s_lshl_b32 s0, s0, 1
	s_set_gpr_idx_on s0, gpr_idx(SRC0)
	v_mov_b32_e32 v0, v3
	v_mov_b32_e32 v1, v2
	s_set_gpr_idx_off
	v_mov_b32_e32 v51, v33
	v_mov_b32_e32 v37, v19
	;; [unrolled: 1-line block ×34, first 2 shown]
	s_set_gpr_idx_on s0, gpr_idx(DST)
	v_mov_b32_e32 v20, v18
	v_mov_b32_e32 v21, v19
	s_set_gpr_idx_off
	v_mov_b32_e32 v2, v20
	v_mov_b32_e32 v3, v21
	;; [unrolled: 1-line block ×32, first 2 shown]
.LBB74_91:
	v_mov_b32_e32 v0, 0
	global_load_dword v1, v0, s[34:35] offset:28
	s_waitcnt vmcnt(0)
	v_readfirstlane_b32 s0, v1
	s_add_i32 s0, s0, -1
	s_cmp_eq_u32 s0, 7
	s_cbranch_scc1 .LBB74_93
; %bb.92:
	s_lshl_b32 s0, s0, 1
	s_set_gpr_idx_on s0, gpr_idx(SRC0)
	v_mov_b32_e32 v1, v3
	v_mov_b32_e32 v50, v2
	s_set_gpr_idx_off
	v_mov_b32_e32 v49, v33
	v_mov_b32_e32 v48, v32
	;; [unrolled: 1-line block ×34, first 2 shown]
	s_set_gpr_idx_on s0, gpr_idx(DST)
	v_mov_b32_e32 v18, v16
	v_mov_b32_e32 v19, v17
	s_set_gpr_idx_off
	v_mov_b32_e32 v2, v18
	v_mov_b32_e32 v3, v19
	;; [unrolled: 1-line block ×32, first 2 shown]
.LBB74_93:
	global_load_dword v0, v0, s[34:35] offset:24
	s_waitcnt vmcnt(0)
	v_readfirstlane_b32 s0, v0
	s_add_i32 s0, s0, -1
	s_cmp_eq_u32 s0, 6
	s_cbranch_scc1 .LBB74_95
; %bb.94:
	s_lshl_b32 s0, s0, 1
	s_set_gpr_idx_on s0, gpr_idx(SRC0)
	v_mov_b32_e32 v0, v3
	v_mov_b32_e32 v1, v2
	s_set_gpr_idx_off
	v_mov_b32_e32 v47, v33
	v_mov_b32_e32 v46, v32
	;; [unrolled: 1-line block ×34, first 2 shown]
	s_set_gpr_idx_on s0, gpr_idx(DST)
	v_mov_b32_e32 v16, v14
	v_mov_b32_e32 v17, v15
	s_set_gpr_idx_off
	v_mov_b32_e32 v2, v16
	v_mov_b32_e32 v3, v17
	;; [unrolled: 1-line block ×32, first 2 shown]
.LBB74_95:
	v_mov_b32_e32 v0, 0
	global_load_dword v1, v0, s[34:35] offset:20
	s_waitcnt vmcnt(0)
	v_readfirstlane_b32 s0, v1
	s_add_i32 s0, s0, -1
	s_cmp_eq_u32 s0, 5
	s_cbranch_scc1 .LBB74_97
; %bb.96:
	s_lshl_b32 s0, s0, 1
	s_set_gpr_idx_on s0, gpr_idx(SRC0)
	v_mov_b32_e32 v1, v3
	v_mov_b32_e32 v46, v2
	s_set_gpr_idx_off
	v_mov_b32_e32 v45, v33
	v_mov_b32_e32 v44, v32
	;; [unrolled: 1-line block ×34, first 2 shown]
	s_set_gpr_idx_on s0, gpr_idx(DST)
	v_mov_b32_e32 v14, v12
	v_mov_b32_e32 v15, v13
	s_set_gpr_idx_off
	v_mov_b32_e32 v2, v14
	v_mov_b32_e32 v3, v15
	;; [unrolled: 1-line block ×32, first 2 shown]
.LBB74_97:
	global_load_dword v0, v0, s[34:35] offset:16
	s_waitcnt vmcnt(0)
	v_readfirstlane_b32 s0, v0
	s_add_i32 s0, s0, -1
	s_cmp_eq_u32 s0, 4
	s_cbranch_scc1 .LBB74_99
; %bb.98:
	s_lshl_b32 s0, s0, 1
	s_set_gpr_idx_on s0, gpr_idx(SRC0)
	v_mov_b32_e32 v0, v3
	v_mov_b32_e32 v1, v2
	s_set_gpr_idx_off
	v_mov_b32_e32 v43, v33
	v_mov_b32_e32 v42, v32
	v_mov_b32_e32 v41, v31
	v_mov_b32_e32 v40, v30
	v_mov_b32_e32 v39, v29
	v_mov_b32_e32 v38, v28
	v_mov_b32_e32 v37, v27
	v_mov_b32_e32 v36, v26
	v_mov_b32_e32 v35, v25
	v_mov_b32_e32 v34, v24
	v_mov_b32_e32 v33, v23
	v_mov_b32_e32 v32, v22
	v_mov_b32_e32 v31, v21
	v_mov_b32_e32 v30, v20
	v_mov_b32_e32 v29, v19
	v_mov_b32_e32 v28, v18
	v_mov_b32_e32 v27, v17
	v_mov_b32_e32 v26, v16
	v_mov_b32_e32 v25, v15
	v_mov_b32_e32 v24, v14
	v_mov_b32_e32 v23, v13
	v_mov_b32_e32 v22, v12
	v_mov_b32_e32 v21, v11
	v_mov_b32_e32 v20, v10
	v_mov_b32_e32 v19, v9
	v_mov_b32_e32 v18, v8
	v_mov_b32_e32 v17, v7
	v_mov_b32_e32 v16, v6
	v_mov_b32_e32 v15, v5
	v_mov_b32_e32 v14, v4
	v_mov_b32_e32 v13, v3
	v_mov_b32_e32 v12, v2
	v_mov_b32_e32 v20, v1
	v_mov_b32_e32 v21, v0
	s_set_gpr_idx_on s0, gpr_idx(DST)
	v_mov_b32_e32 v12, v10
	v_mov_b32_e32 v13, v11
	s_set_gpr_idx_off
	v_mov_b32_e32 v2, v12
	v_mov_b32_e32 v3, v13
	;; [unrolled: 1-line block ×32, first 2 shown]
.LBB74_99:
	v_mov_b32_e32 v0, 0
	global_load_dword v1, v0, s[34:35] offset:12
	s_waitcnt vmcnt(0)
	v_readfirstlane_b32 s0, v1
	s_add_i32 s0, s0, -1
	s_cmp_eq_u32 s0, 3
	s_cbranch_scc1 .LBB74_101
; %bb.100:
	s_lshl_b32 s0, s0, 1
	s_set_gpr_idx_on s0, gpr_idx(SRC0)
	v_mov_b32_e32 v1, v3
	v_mov_b32_e32 v42, v2
	s_set_gpr_idx_off
	v_mov_b32_e32 v41, v33
	v_mov_b32_e32 v40, v32
	v_mov_b32_e32 v39, v31
	v_mov_b32_e32 v38, v30
	v_mov_b32_e32 v37, v29
	v_mov_b32_e32 v36, v28
	v_mov_b32_e32 v35, v27
	v_mov_b32_e32 v34, v26
	v_mov_b32_e32 v33, v25
	v_mov_b32_e32 v32, v24
	v_mov_b32_e32 v31, v23
	v_mov_b32_e32 v30, v22
	v_mov_b32_e32 v29, v21
	v_mov_b32_e32 v28, v20
	v_mov_b32_e32 v27, v19
	v_mov_b32_e32 v26, v18
	v_mov_b32_e32 v25, v17
	v_mov_b32_e32 v24, v16
	v_mov_b32_e32 v23, v15
	v_mov_b32_e32 v22, v14
	v_mov_b32_e32 v21, v13
	v_mov_b32_e32 v20, v12
	v_mov_b32_e32 v19, v11
	v_mov_b32_e32 v18, v10
	v_mov_b32_e32 v17, v9
	v_mov_b32_e32 v16, v8
	v_mov_b32_e32 v15, v7
	v_mov_b32_e32 v14, v6
	v_mov_b32_e32 v13, v5
	v_mov_b32_e32 v12, v4
	v_mov_b32_e32 v11, v3
	v_mov_b32_e32 v10, v2
	v_mov_b32_e32 v16, v42
	v_mov_b32_e32 v17, v1
	s_set_gpr_idx_on s0, gpr_idx(DST)
	v_mov_b32_e32 v10, v8
	v_mov_b32_e32 v11, v9
	s_set_gpr_idx_off
	v_mov_b32_e32 v2, v10
	v_mov_b32_e32 v3, v11
	;; [unrolled: 1-line block ×32, first 2 shown]
.LBB74_101:
	global_load_dword v0, v0, s[34:35] offset:8
	s_waitcnt vmcnt(0)
	v_readfirstlane_b32 s0, v0
	s_add_i32 s0, s0, -1
	s_cmp_eq_u32 s0, 2
	s_cbranch_scc1 .LBB74_103
; %bb.102:
	s_lshl_b32 s0, s0, 1
	s_set_gpr_idx_on s0, gpr_idx(SRC0)
	v_mov_b32_e32 v0, v3
	v_mov_b32_e32 v1, v2
	s_set_gpr_idx_off
	v_mov_b32_e32 v39, v33
	v_mov_b32_e32 v38, v32
	v_mov_b32_e32 v37, v31
	v_mov_b32_e32 v36, v30
	v_mov_b32_e32 v35, v29
	v_mov_b32_e32 v34, v28
	v_mov_b32_e32 v33, v27
	v_mov_b32_e32 v32, v26
	v_mov_b32_e32 v31, v25
	v_mov_b32_e32 v30, v24
	v_mov_b32_e32 v29, v23
	v_mov_b32_e32 v28, v22
	v_mov_b32_e32 v27, v21
	v_mov_b32_e32 v26, v20
	v_mov_b32_e32 v25, v19
	v_mov_b32_e32 v24, v18
	v_mov_b32_e32 v23, v17
	v_mov_b32_e32 v22, v16
	v_mov_b32_e32 v21, v15
	v_mov_b32_e32 v20, v14
	v_mov_b32_e32 v19, v13
	v_mov_b32_e32 v18, v12
	v_mov_b32_e32 v17, v11
	v_mov_b32_e32 v16, v10
	v_mov_b32_e32 v15, v9
	v_mov_b32_e32 v14, v8
	v_mov_b32_e32 v13, v7
	v_mov_b32_e32 v12, v6
	v_mov_b32_e32 v11, v5
	v_mov_b32_e32 v10, v4
	v_mov_b32_e32 v9, v3
	v_mov_b32_e32 v8, v2
	v_mov_b32_e32 v12, v1
	v_mov_b32_e32 v13, v0
	s_set_gpr_idx_on s0, gpr_idx(DST)
	v_mov_b32_e32 v8, v6
	v_mov_b32_e32 v9, v7
	s_set_gpr_idx_off
	v_mov_b32_e32 v2, v8
	v_mov_b32_e32 v3, v9
	;; [unrolled: 1-line block ×32, first 2 shown]
.LBB74_103:
	v_mov_b32_e32 v0, 0
	global_load_dword v1, v0, s[34:35] offset:4
	s_waitcnt vmcnt(0)
	v_readfirstlane_b32 s0, v1
	s_add_i32 s0, s0, -1
	s_cmp_eq_u32 s0, 1
	s_cbranch_scc1 .LBB74_105
; %bb.104:
	s_lshl_b32 s0, s0, 1
	s_set_gpr_idx_on s0, gpr_idx(SRC0)
	v_mov_b32_e32 v1, v3
	v_mov_b32_e32 v38, v2
	s_set_gpr_idx_off
	v_mov_b32_e32 v37, v33
	v_mov_b32_e32 v36, v32
	;; [unrolled: 1-line block ×34, first 2 shown]
	s_set_gpr_idx_on s0, gpr_idx(DST)
	v_mov_b32_e32 v6, v4
	v_mov_b32_e32 v7, v5
	s_set_gpr_idx_off
	v_mov_b32_e32 v2, v6
	v_mov_b32_e32 v3, v7
	;; [unrolled: 1-line block ×32, first 2 shown]
.LBB74_105:
	global_load_dword v0, v0, s[34:35]
	s_waitcnt vmcnt(0)
	v_readfirstlane_b32 s0, v0
	s_add_i32 s0, s0, -1
	s_cmp_eq_u32 s0, 0
	s_cbranch_scc1 .LBB74_107
; %bb.106:
	s_lshl_b32 s0, s0, 1
	s_set_gpr_idx_on s0, gpr_idx(SRC0)
	v_mov_b32_e32 v0, v3
	v_mov_b32_e32 v1, v2
	s_set_gpr_idx_off
	v_mov_b32_e32 v35, v33
	v_mov_b32_e32 v34, v32
	;; [unrolled: 1-line block ×34, first 2 shown]
	s_set_gpr_idx_on s0, gpr_idx(DST)
	v_mov_b32_e32 v4, v2
	v_mov_b32_e32 v5, v3
	s_set_gpr_idx_off
	v_mov_b32_e32 v2, v4
	v_mov_b32_e32 v3, v5
	;; [unrolled: 1-line block ×32, first 2 shown]
.LBB74_107:
	flat_store_dwordx2 v[74:75], v[2:3]
	flat_store_dwordx2 v[76:77], v[4:5]
	;; [unrolled: 1-line block ×11, first 2 shown]
	s_endpgm
	.section	.rodata,"a",@progbits
	.p2align	6, 0x0
	.amdhsa_kernel _ZN9rocsolver6v33100L18getri_kernel_smallILi11EdPKPdEEvT1_iilPiilS6_bb
		.amdhsa_group_segment_fixed_size 184
		.amdhsa_private_segment_fixed_size 0
		.amdhsa_kernarg_size 60
		.amdhsa_user_sgpr_count 6
		.amdhsa_user_sgpr_private_segment_buffer 1
		.amdhsa_user_sgpr_dispatch_ptr 0
		.amdhsa_user_sgpr_queue_ptr 0
		.amdhsa_user_sgpr_kernarg_segment_ptr 1
		.amdhsa_user_sgpr_dispatch_id 0
		.amdhsa_user_sgpr_flat_scratch_init 0
		.amdhsa_user_sgpr_private_segment_size 0
		.amdhsa_uses_dynamic_stack 0
		.amdhsa_system_sgpr_private_segment_wavefront_offset 0
		.amdhsa_system_sgpr_workgroup_id_x 1
		.amdhsa_system_sgpr_workgroup_id_y 0
		.amdhsa_system_sgpr_workgroup_id_z 0
		.amdhsa_system_sgpr_workgroup_info 0
		.amdhsa_system_vgpr_workitem_id 0
		.amdhsa_next_free_vgpr 78
		.amdhsa_next_free_sgpr 44
		.amdhsa_reserve_vcc 1
		.amdhsa_reserve_flat_scratch 0
		.amdhsa_float_round_mode_32 0
		.amdhsa_float_round_mode_16_64 0
		.amdhsa_float_denorm_mode_32 3
		.amdhsa_float_denorm_mode_16_64 3
		.amdhsa_dx10_clamp 1
		.amdhsa_ieee_mode 1
		.amdhsa_fp16_overflow 0
		.amdhsa_exception_fp_ieee_invalid_op 0
		.amdhsa_exception_fp_denorm_src 0
		.amdhsa_exception_fp_ieee_div_zero 0
		.amdhsa_exception_fp_ieee_overflow 0
		.amdhsa_exception_fp_ieee_underflow 0
		.amdhsa_exception_fp_ieee_inexact 0
		.amdhsa_exception_int_div_zero 0
	.end_amdhsa_kernel
	.section	.text._ZN9rocsolver6v33100L18getri_kernel_smallILi11EdPKPdEEvT1_iilPiilS6_bb,"axG",@progbits,_ZN9rocsolver6v33100L18getri_kernel_smallILi11EdPKPdEEvT1_iilPiilS6_bb,comdat
.Lfunc_end74:
	.size	_ZN9rocsolver6v33100L18getri_kernel_smallILi11EdPKPdEEvT1_iilPiilS6_bb, .Lfunc_end74-_ZN9rocsolver6v33100L18getri_kernel_smallILi11EdPKPdEEvT1_iilPiilS6_bb
                                        ; -- End function
	.set _ZN9rocsolver6v33100L18getri_kernel_smallILi11EdPKPdEEvT1_iilPiilS6_bb.num_vgpr, 78
	.set _ZN9rocsolver6v33100L18getri_kernel_smallILi11EdPKPdEEvT1_iilPiilS6_bb.num_agpr, 0
	.set _ZN9rocsolver6v33100L18getri_kernel_smallILi11EdPKPdEEvT1_iilPiilS6_bb.numbered_sgpr, 44
	.set _ZN9rocsolver6v33100L18getri_kernel_smallILi11EdPKPdEEvT1_iilPiilS6_bb.num_named_barrier, 0
	.set _ZN9rocsolver6v33100L18getri_kernel_smallILi11EdPKPdEEvT1_iilPiilS6_bb.private_seg_size, 0
	.set _ZN9rocsolver6v33100L18getri_kernel_smallILi11EdPKPdEEvT1_iilPiilS6_bb.uses_vcc, 1
	.set _ZN9rocsolver6v33100L18getri_kernel_smallILi11EdPKPdEEvT1_iilPiilS6_bb.uses_flat_scratch, 0
	.set _ZN9rocsolver6v33100L18getri_kernel_smallILi11EdPKPdEEvT1_iilPiilS6_bb.has_dyn_sized_stack, 0
	.set _ZN9rocsolver6v33100L18getri_kernel_smallILi11EdPKPdEEvT1_iilPiilS6_bb.has_recursion, 0
	.set _ZN9rocsolver6v33100L18getri_kernel_smallILi11EdPKPdEEvT1_iilPiilS6_bb.has_indirect_call, 0
	.section	.AMDGPU.csdata,"",@progbits
; Kernel info:
; codeLenInByte = 12904
; TotalNumSgprs: 48
; NumVgprs: 78
; ScratchSize: 0
; MemoryBound: 0
; FloatMode: 240
; IeeeMode: 1
; LDSByteSize: 184 bytes/workgroup (compile time only)
; SGPRBlocks: 5
; VGPRBlocks: 19
; NumSGPRsForWavesPerEU: 48
; NumVGPRsForWavesPerEU: 78
; Occupancy: 3
; WaveLimiterHint : 1
; COMPUTE_PGM_RSRC2:SCRATCH_EN: 0
; COMPUTE_PGM_RSRC2:USER_SGPR: 6
; COMPUTE_PGM_RSRC2:TRAP_HANDLER: 0
; COMPUTE_PGM_RSRC2:TGID_X_EN: 1
; COMPUTE_PGM_RSRC2:TGID_Y_EN: 0
; COMPUTE_PGM_RSRC2:TGID_Z_EN: 0
; COMPUTE_PGM_RSRC2:TIDIG_COMP_CNT: 0
	.section	.text._ZN9rocsolver6v33100L18getri_kernel_smallILi12EdPKPdEEvT1_iilPiilS6_bb,"axG",@progbits,_ZN9rocsolver6v33100L18getri_kernel_smallILi12EdPKPdEEvT1_iilPiilS6_bb,comdat
	.globl	_ZN9rocsolver6v33100L18getri_kernel_smallILi12EdPKPdEEvT1_iilPiilS6_bb ; -- Begin function _ZN9rocsolver6v33100L18getri_kernel_smallILi12EdPKPdEEvT1_iilPiilS6_bb
	.p2align	8
	.type	_ZN9rocsolver6v33100L18getri_kernel_smallILi12EdPKPdEEvT1_iilPiilS6_bb,@function
_ZN9rocsolver6v33100L18getri_kernel_smallILi12EdPKPdEEvT1_iilPiilS6_bb: ; @_ZN9rocsolver6v33100L18getri_kernel_smallILi12EdPKPdEEvT1_iilPiilS6_bb
; %bb.0:
	v_cmp_gt_u32_e32 vcc, 12, v0
	s_and_saveexec_b64 s[0:1], vcc
	s_cbranch_execz .LBB75_16
; %bb.1:
	s_load_dword s8, s[4:5], 0x38
	s_load_dwordx2 s[0:1], s[4:5], 0x0
	s_load_dwordx4 s[28:31], s[4:5], 0x28
                                        ; implicit-def: $sgpr34_sgpr35
	s_waitcnt lgkmcnt(0)
	s_bitcmp1_b32 s8, 8
	s_cselect_b64 s[36:37], -1, 0
	s_ashr_i32 s7, s6, 31
	s_lshl_b64 s[2:3], s[6:7], 3
	s_add_u32 s0, s0, s2
	s_addc_u32 s1, s1, s3
	s_load_dwordx2 s[2:3], s[0:1], 0x0
	s_bfe_u32 s0, s8, 0x10008
	s_cmp_eq_u32 s0, 0
	s_cbranch_scc1 .LBB75_3
; %bb.2:
	s_load_dword s0, s[4:5], 0x20
	s_load_dwordx2 s[8:9], s[4:5], 0x18
	s_mul_i32 s1, s28, s7
	s_mul_hi_u32 s10, s28, s6
	s_add_i32 s10, s10, s1
	s_mul_i32 s11, s29, s6
	s_add_i32 s11, s10, s11
	s_mul_i32 s10, s28, s6
	s_waitcnt lgkmcnt(0)
	s_ashr_i32 s1, s0, 31
	s_lshl_b64 s[10:11], s[10:11], 2
	s_add_u32 s8, s8, s10
	s_addc_u32 s9, s9, s11
	s_lshl_b64 s[0:1], s[0:1], 2
	s_add_u32 s34, s8, s0
	s_addc_u32 s35, s9, s1
.LBB75_3:
	s_load_dwordx2 s[0:1], s[4:5], 0x8
	s_load_dword s8, s[4:5], 0x38
	v_lshlrev_b32_e32 v28, 3, v0
	s_waitcnt lgkmcnt(0)
	s_ashr_i32 s5, s0, 31
	s_mov_b32 s4, s0
	s_lshl_b64 s[4:5], s[4:5], 3
	s_add_u32 s0, s2, s4
	s_addc_u32 s2, s3, s5
	s_add_i32 s3, s1, s1
	v_add_u32_e32 v1, s3, v0
	v_ashrrev_i32_e32 v2, 31, v1
	v_lshlrev_b64 v[2:3], 3, v[1:2]
	v_add_u32_e32 v1, s1, v1
	v_mov_b32_e32 v4, s2
	v_add_co_u32_e32 v56, vcc, s0, v2
	v_ashrrev_i32_e32 v2, 31, v1
	v_addc_co_u32_e32 v57, vcc, v4, v3, vcc
	v_lshlrev_b64 v[2:3], 3, v[1:2]
	v_add_u32_e32 v1, s1, v1
	v_add_co_u32_e32 v58, vcc, s0, v2
	v_ashrrev_i32_e32 v2, 31, v1
	v_addc_co_u32_e32 v59, vcc, v4, v3, vcc
	v_lshlrev_b64 v[2:3], 3, v[1:2]
	v_add_u32_e32 v1, s1, v1
	;; [unrolled: 5-line block ×8, first 2 shown]
	v_add_co_u32_e32 v72, vcc, s0, v2
	v_ashrrev_i32_e32 v2, 31, v1
	v_lshlrev_b64 v[1:2], 3, v[1:2]
	v_addc_co_u32_e32 v73, vcc, v4, v3, vcc
	v_mov_b32_e32 v3, s2
	v_add_co_u32_e32 v74, vcc, s0, v1
	v_addc_co_u32_e32 v75, vcc, v3, v2, vcc
	v_mov_b32_e32 v1, s2
	v_add_co_u32_e32 v76, vcc, s0, v28
	s_ashr_i32 s3, s1, 31
	s_mov_b32 s2, s1
	v_addc_co_u32_e32 v77, vcc, 0, v1, vcc
	s_lshl_b64 s[0:1], s[2:3], 3
	v_mov_b32_e32 v1, s1
	v_add_co_u32_e32 v78, vcc, s0, v76
	v_addc_co_u32_e32 v79, vcc, v77, v1, vcc
	flat_load_dwordx2 v[2:3], v[76:77]
	flat_load_dwordx2 v[4:5], v[78:79]
	;; [unrolled: 1-line block ×12, first 2 shown]
	v_mov_b32_e32 v1, 0
	s_bitcmp0_b32 s8, 0
	s_mov_b64 s[0:1], -1
	s_cbranch_scc1 .LBB75_14
; %bb.4:
	v_cmp_eq_u32_e64 s[0:1], 0, v0
	s_and_saveexec_b64 s[2:3], s[0:1]
; %bb.5:
	v_mov_b32_e32 v26, 0
	ds_write_b32 v26, v26 offset:192
; %bb.6:
	s_or_b64 exec, exec, s[2:3]
	v_cmp_eq_u32_e32 vcc, 1, v0
	s_waitcnt vmcnt(0) lgkmcnt(0)
	v_cndmask_b32_e32 v26, v3, v5, vcc
	v_cmp_eq_u32_e64 s[2:3], 2, v0
	v_cndmask_b32_e64 v26, v26, v7, s[2:3]
	v_cmp_eq_u32_e64 s[4:5], 3, v0
	v_cndmask_b32_e64 v26, v26, v9, s[4:5]
	;; [unrolled: 2-line block ×10, first 2 shown]
	v_cndmask_b32_e32 v26, v2, v4, vcc
	v_cndmask_b32_e64 v26, v26, v6, s[2:3]
	v_cndmask_b32_e64 v26, v26, v8, s[4:5]
	;; [unrolled: 1-line block ×10, first 2 shown]
	v_cmp_eq_f64_e32 vcc, 0, v[26:27]
	; wave barrier
	s_and_saveexec_b64 s[4:5], vcc
	s_cbranch_execz .LBB75_10
; %bb.7:
	v_mov_b32_e32 v29, 0
	ds_read_b32 v31, v29 offset:192
	v_add_u32_e32 v30, 1, v0
	s_waitcnt lgkmcnt(0)
	v_readfirstlane_b32 s2, v31
	s_cmp_eq_u32 s2, 0
	s_cselect_b64 s[8:9], -1, 0
	v_cmp_gt_i32_e32 vcc, s2, v30
	s_or_b64 s[8:9], s[8:9], vcc
	s_and_b64 exec, exec, s[8:9]
	s_cbranch_execz .LBB75_10
; %bb.8:
	s_mov_b64 s[8:9], 0
	v_mov_b32_e32 v31, s2
.LBB75_9:                               ; =>This Inner Loop Header: Depth=1
	ds_cmpst_rtn_b32 v31, v29, v31, v30 offset:192
	s_waitcnt lgkmcnt(0)
	v_cmp_ne_u32_e32 vcc, 0, v31
	v_cmp_le_i32_e64 s[2:3], v31, v30
	s_and_b64 s[2:3], vcc, s[2:3]
	s_and_b64 s[2:3], exec, s[2:3]
	s_or_b64 s[8:9], s[2:3], s[8:9]
	s_andn2_b64 exec, exec, s[8:9]
	s_cbranch_execnz .LBB75_9
.LBB75_10:
	s_or_b64 exec, exec, s[4:5]
	v_mov_b32_e32 v30, 0
	; wave barrier
	ds_read_b32 v29, v30 offset:192
	s_and_saveexec_b64 s[2:3], s[0:1]
	s_cbranch_execz .LBB75_12
; %bb.11:
	s_lshl_b64 s[4:5], s[6:7], 2
	s_add_u32 s4, s30, s4
	s_addc_u32 s5, s31, s5
	s_waitcnt lgkmcnt(0)
	global_store_dword v30, v29, s[4:5]
.LBB75_12:
	s_or_b64 exec, exec, s[2:3]
	s_waitcnt lgkmcnt(0)
	v_cmp_ne_u32_e32 vcc, 0, v29
	s_cbranch_vccz .LBB75_17
; %bb.13:
	s_mov_b64 s[0:1], 0
                                        ; implicit-def: $vgpr2_vgpr3_vgpr4_vgpr5_vgpr6_vgpr7_vgpr8_vgpr9_vgpr10_vgpr11_vgpr12_vgpr13_vgpr14_vgpr15_vgpr16_vgpr17_vgpr18_vgpr19_vgpr20_vgpr21_vgpr22_vgpr23_vgpr24_vgpr25_vgpr26_vgpr27_vgpr28_vgpr29_vgpr30_vgpr31_vgpr32_vgpr33
.LBB75_14:
	s_and_b64 vcc, exec, s[0:1]
	s_cbranch_vccz .LBB75_16
.LBB75_15:
	s_lshl_b64 s[0:1], s[6:7], 2
	s_add_u32 s0, s30, s0
	s_addc_u32 s1, s31, s1
	v_mov_b32_e32 v1, 0
	global_load_dword v1, v1, s[0:1]
	s_waitcnt vmcnt(0)
	v_cmp_ne_u32_e32 vcc, 0, v1
	s_cbranch_vccz .LBB75_70
.LBB75_16:
	s_endpgm
.LBB75_17:
	v_div_scale_f64 v[29:30], s[2:3], v[26:27], v[26:27], 1.0
	v_rcp_f64_e32 v[31:32], v[29:30]
	v_fma_f64 v[33:34], -v[29:30], v[31:32], 1.0
	v_fma_f64 v[31:32], v[31:32], v[33:34], v[31:32]
	v_div_scale_f64 v[33:34], vcc, 1.0, v[26:27], 1.0
	v_fma_f64 v[35:36], -v[29:30], v[31:32], 1.0
	v_fma_f64 v[31:32], v[31:32], v[35:36], v[31:32]
	v_mul_f64 v[35:36], v[33:34], v[31:32]
	v_fma_f64 v[29:30], -v[29:30], v[35:36], v[33:34]
	v_div_fmas_f64 v[29:30], v[29:30], v[31:32], v[35:36]
	v_cmp_eq_u32_e32 vcc, 11, v0
	v_div_fixup_f64 v[26:27], v[29:30], v[26:27], 1.0
	v_add_u32_e32 v30, 0x60, v28
	v_cndmask_b32_e32 v25, v25, v27, vcc
	v_cndmask_b32_e32 v24, v24, v26, vcc
	v_cmp_eq_u32_e32 vcc, 10, v0
	v_cndmask_b32_e32 v23, v23, v27, vcc
	v_cndmask_b32_e32 v22, v22, v26, vcc
	v_cmp_eq_u32_e32 vcc, 9, v0
	;; [unrolled: 3-line block ×11, first 2 shown]
	v_cndmask_b32_e32 v3, v3, v27, vcc
	v_cndmask_b32_e32 v2, v2, v26, vcc
	v_xor_b32_e32 v32, 0x80000000, v27
	v_mov_b32_e32 v31, v26
	ds_write2_b64 v28, v[31:32], v[4:5] offset1:12
	s_waitcnt lgkmcnt(0)
	; wave barrier
	s_and_saveexec_b64 s[2:3], s[0:1]
	s_cbranch_execz .LBB75_19
; %bb.18:
	ds_read_b64 v[4:5], v30
	v_mov_b32_e32 v28, 0
	ds_read_b64 v[28:29], v28 offset:8
	s_waitcnt lgkmcnt(1)
	v_fma_f64 v[4:5], v[26:27], v[4:5], 0
	s_waitcnt lgkmcnt(0)
	v_mul_f64 v[4:5], v[4:5], v[28:29]
.LBB75_19:
	s_or_b64 exec, exec, s[2:3]
	v_cmp_gt_u32_e32 vcc, 2, v0
	; wave barrier
	ds_write_b64 v30, v[6:7]
	s_waitcnt lgkmcnt(0)
	; wave barrier
	s_and_saveexec_b64 s[26:27], vcc
	s_cbranch_execz .LBB75_21
; %bb.20:
	v_cmp_eq_u32_e64 s[2:3], 1, v0
	v_cndmask_b32_e64 v26, v3, v5, s[2:3]
	v_cmp_eq_u32_e64 s[4:5], 2, v0
	v_cndmask_b32_e64 v7, v26, v7, s[4:5]
	v_cndmask_b32_e64 v26, v2, v4, s[2:3]
	v_cmp_eq_u32_e64 s[8:9], 3, v0
	v_cndmask_b32_e64 v6, v26, v6, s[4:5]
	;; [unrolled: 3-line block ×7, first 2 shown]
	ds_read_b64 v[26:27], v30
	v_cndmask_b32_e64 v7, v7, v19, s[18:19]
	v_cmp_eq_u32_e64 s[20:21], 9, v0
	v_cndmask_b32_e64 v6, v6, v18, s[18:19]
	v_cndmask_b32_e64 v7, v7, v21, s[20:21]
	v_cmp_eq_u32_e64 s[22:23], 10, v0
	v_cndmask_b32_e64 v6, v6, v20, s[20:21]
	;; [unrolled: 3-line block ×3, first 2 shown]
	v_cndmask_b32_e64 v7, v7, v25, s[24:25]
	v_cndmask_b32_e64 v6, v6, v24, s[24:25]
	s_waitcnt lgkmcnt(0)
	v_fma_f64 v[6:7], v[6:7], v[26:27], 0
	v_mov_b32_e32 v26, 0
	ds_read2_b64 v[26:29], v26 offset0:2 offset1:13
	s_waitcnt lgkmcnt(0)
	v_fma_f64 v[28:29], v[4:5], v[28:29], v[6:7]
	v_cndmask_b32_e64 v7, v7, v29, s[0:1]
	v_cndmask_b32_e64 v6, v6, v28, s[0:1]
	v_mul_f64 v[6:7], v[6:7], v[26:27]
.LBB75_21:
	s_or_b64 exec, exec, s[26:27]
	v_cmp_gt_u32_e64 s[2:3], 3, v0
	; wave barrier
	ds_write_b64 v30, v[8:9]
	s_waitcnt lgkmcnt(0)
	; wave barrier
	s_and_saveexec_b64 s[8:9], s[2:3]
	s_cbranch_execz .LBB75_25
; %bb.22:
	v_mov_b32_e32 v26, 0x60
	v_lshl_add_u32 v31, v0, 3, v26
	v_mov_b32_e32 v26, 0
	v_mov_b32_e32 v29, v1
	;; [unrolled: 1-line block ×3, first 2 shown]
	s_mov_b64 s[10:11], 0
	v_mov_b32_e32 v28, v0
.LBB75_23:                              ; =>This Inner Loop Header: Depth=1
	v_cmp_eq_u32_e64 s[2:3], 1, v28
	v_cndmask_b32_e64 v34, v3, v5, s[2:3]
	v_cmp_eq_u32_e64 s[4:5], 2, v28
	v_cndmask_b32_e64 v34, v34, v7, s[4:5]
	v_cndmask_b32_e64 v35, v2, v4, s[2:3]
	v_cmp_eq_u32_e64 s[2:3], 3, v28
	v_cndmask_b32_e64 v34, v34, v9, s[2:3]
	;; [unrolled: 3-line block ×6, first 2 shown]
	v_cndmask_b32_e64 v35, v35, v14, s[4:5]
	v_cmp_eq_u32_e64 s[4:5], 8, v28
	ds_read_b64 v[32:33], v31
	v_cndmask_b32_e64 v34, v34, v19, s[4:5]
	v_cndmask_b32_e64 v35, v35, v16, s[2:3]
	v_cmp_eq_u32_e64 s[2:3], 9, v28
	v_cndmask_b32_e64 v34, v34, v21, s[2:3]
	v_cndmask_b32_e64 v35, v35, v18, s[4:5]
	v_cmp_eq_u32_e64 s[4:5], 10, v28
	;; [unrolled: 3-line block ×3, first 2 shown]
	v_cndmask_b32_e64 v35, v34, v25, s[2:3]
	v_cndmask_b32_e64 v34, v36, v22, s[4:5]
	;; [unrolled: 1-line block ×3, first 2 shown]
	s_waitcnt lgkmcnt(0)
	v_fma_f64 v[26:27], v[34:35], v[32:33], v[26:27]
	v_add_co_u32_e64 v28, s[2:3], 1, v28
	v_addc_co_u32_e64 v29, s[2:3], 0, v29, s[2:3]
	v_add_u32_e32 v32, -1, v28
	v_cmp_lt_u32_e64 s[2:3], 1, v32
	s_or_b64 s[10:11], s[2:3], s[10:11]
	v_add_u32_e32 v31, 8, v31
	s_andn2_b64 exec, exec, s[10:11]
	s_cbranch_execnz .LBB75_23
; %bb.24:
	s_or_b64 exec, exec, s[10:11]
	v_mov_b32_e32 v8, 0
	ds_read_b64 v[8:9], v8 offset:24
	s_waitcnt lgkmcnt(0)
	v_mul_f64 v[8:9], v[26:27], v[8:9]
.LBB75_25:
	s_or_b64 exec, exec, s[8:9]
	v_cmp_gt_u32_e64 s[2:3], 4, v0
	; wave barrier
	ds_write_b64 v30, v[10:11]
	s_waitcnt lgkmcnt(0)
	; wave barrier
	s_and_saveexec_b64 s[10:11], s[2:3]
	s_cbranch_execz .LBB75_29
; %bb.26:
	v_mov_b32_e32 v26, 0x60
	v_lshl_add_u32 v31, v0, 3, v26
	v_mov_b32_e32 v26, 0
	v_mov_b32_e32 v29, v1
	;; [unrolled: 1-line block ×3, first 2 shown]
	s_mov_b64 s[12:13], 0
	v_mov_b32_e32 v28, v0
.LBB75_27:                              ; =>This Inner Loop Header: Depth=1
	v_cmp_eq_u32_e64 s[4:5], 1, v28
	v_cndmask_b32_e64 v34, v3, v5, s[4:5]
	v_cmp_eq_u32_e64 s[8:9], 2, v28
	v_cndmask_b32_e64 v34, v34, v7, s[8:9]
	v_cndmask_b32_e64 v35, v2, v4, s[4:5]
	v_cmp_eq_u32_e64 s[4:5], 3, v28
	v_cndmask_b32_e64 v34, v34, v9, s[4:5]
	;; [unrolled: 3-line block ×6, first 2 shown]
	v_cndmask_b32_e64 v35, v35, v14, s[8:9]
	v_cmp_eq_u32_e64 s[8:9], 8, v28
	ds_read_b64 v[32:33], v31
	v_cndmask_b32_e64 v34, v34, v19, s[8:9]
	v_cndmask_b32_e64 v35, v35, v16, s[4:5]
	v_cmp_eq_u32_e64 s[4:5], 9, v28
	v_cndmask_b32_e64 v34, v34, v21, s[4:5]
	v_cndmask_b32_e64 v35, v35, v18, s[8:9]
	v_cmp_eq_u32_e64 s[8:9], 10, v28
	;; [unrolled: 3-line block ×3, first 2 shown]
	v_cndmask_b32_e64 v35, v34, v25, s[4:5]
	v_cndmask_b32_e64 v34, v36, v22, s[8:9]
	;; [unrolled: 1-line block ×3, first 2 shown]
	s_waitcnt lgkmcnt(0)
	v_fma_f64 v[26:27], v[34:35], v[32:33], v[26:27]
	v_add_co_u32_e64 v28, s[4:5], 1, v28
	v_addc_co_u32_e64 v29, s[4:5], 0, v29, s[4:5]
	v_add_u32_e32 v32, -1, v28
	v_cmp_lt_u32_e64 s[4:5], 2, v32
	s_or_b64 s[12:13], s[4:5], s[12:13]
	v_add_u32_e32 v31, 8, v31
	s_andn2_b64 exec, exec, s[12:13]
	s_cbranch_execnz .LBB75_27
; %bb.28:
	s_or_b64 exec, exec, s[12:13]
	v_mov_b32_e32 v10, 0
	ds_read_b64 v[10:11], v10 offset:32
	s_waitcnt lgkmcnt(0)
	v_mul_f64 v[10:11], v[26:27], v[10:11]
.LBB75_29:
	s_or_b64 exec, exec, s[10:11]
	v_cmp_gt_u32_e64 s[4:5], 5, v0
	; wave barrier
	ds_write_b64 v30, v[12:13]
	s_waitcnt lgkmcnt(0)
	; wave barrier
	s_and_saveexec_b64 s[10:11], s[4:5]
	s_cbranch_execz .LBB75_33
; %bb.30:
	v_mov_b32_e32 v26, 0x60
	v_lshl_add_u32 v31, v0, 3, v26
	v_mov_b32_e32 v26, 0
	v_mov_b32_e32 v29, v1
	;; [unrolled: 1-line block ×3, first 2 shown]
	s_mov_b64 s[12:13], 0
	v_mov_b32_e32 v28, v0
.LBB75_31:                              ; =>This Inner Loop Header: Depth=1
	v_cmp_eq_u32_e64 s[4:5], 1, v28
	v_cndmask_b32_e64 v34, v3, v5, s[4:5]
	v_cmp_eq_u32_e64 s[8:9], 2, v28
	v_cndmask_b32_e64 v34, v34, v7, s[8:9]
	v_cndmask_b32_e64 v35, v2, v4, s[4:5]
	v_cmp_eq_u32_e64 s[4:5], 3, v28
	v_cndmask_b32_e64 v34, v34, v9, s[4:5]
	;; [unrolled: 3-line block ×6, first 2 shown]
	v_cndmask_b32_e64 v35, v35, v14, s[8:9]
	v_cmp_eq_u32_e64 s[8:9], 8, v28
	ds_read_b64 v[32:33], v31
	v_cndmask_b32_e64 v34, v34, v19, s[8:9]
	v_cndmask_b32_e64 v35, v35, v16, s[4:5]
	v_cmp_eq_u32_e64 s[4:5], 9, v28
	v_cndmask_b32_e64 v34, v34, v21, s[4:5]
	v_cndmask_b32_e64 v35, v35, v18, s[8:9]
	v_cmp_eq_u32_e64 s[8:9], 10, v28
	;; [unrolled: 3-line block ×3, first 2 shown]
	v_cndmask_b32_e64 v35, v34, v25, s[4:5]
	v_cndmask_b32_e64 v34, v36, v22, s[8:9]
	;; [unrolled: 1-line block ×3, first 2 shown]
	s_waitcnt lgkmcnt(0)
	v_fma_f64 v[26:27], v[34:35], v[32:33], v[26:27]
	v_add_co_u32_e64 v28, s[4:5], 1, v28
	v_addc_co_u32_e64 v29, s[4:5], 0, v29, s[4:5]
	v_add_u32_e32 v32, -1, v28
	v_cmp_lt_u32_e64 s[4:5], 3, v32
	s_or_b64 s[12:13], s[4:5], s[12:13]
	v_add_u32_e32 v31, 8, v31
	s_andn2_b64 exec, exec, s[12:13]
	s_cbranch_execnz .LBB75_31
; %bb.32:
	s_or_b64 exec, exec, s[12:13]
	v_mov_b32_e32 v12, 0
	ds_read_b64 v[12:13], v12 offset:40
	s_waitcnt lgkmcnt(0)
	v_mul_f64 v[12:13], v[26:27], v[12:13]
.LBB75_33:
	s_or_b64 exec, exec, s[10:11]
	v_cmp_gt_u32_e64 s[4:5], 6, v0
	; wave barrier
	ds_write_b64 v30, v[14:15]
	s_waitcnt lgkmcnt(0)
	; wave barrier
	s_and_saveexec_b64 s[12:13], s[4:5]
	s_cbranch_execz .LBB75_37
; %bb.34:
	v_mov_b32_e32 v26, 0x60
	v_lshl_add_u32 v31, v0, 3, v26
	v_mov_b32_e32 v26, 0
	v_mov_b32_e32 v29, v1
	v_mov_b32_e32 v27, 0
	s_mov_b64 s[14:15], 0
	v_mov_b32_e32 v28, v0
.LBB75_35:                              ; =>This Inner Loop Header: Depth=1
	v_cmp_eq_u32_e64 s[8:9], 1, v28
	v_cndmask_b32_e64 v34, v3, v5, s[8:9]
	v_cmp_eq_u32_e64 s[10:11], 2, v28
	v_cndmask_b32_e64 v34, v34, v7, s[10:11]
	v_cndmask_b32_e64 v35, v2, v4, s[8:9]
	v_cmp_eq_u32_e64 s[8:9], 3, v28
	v_cndmask_b32_e64 v34, v34, v9, s[8:9]
	;; [unrolled: 3-line block ×6, first 2 shown]
	v_cndmask_b32_e64 v35, v35, v14, s[10:11]
	v_cmp_eq_u32_e64 s[10:11], 8, v28
	ds_read_b64 v[32:33], v31
	v_cndmask_b32_e64 v34, v34, v19, s[10:11]
	v_cndmask_b32_e64 v35, v35, v16, s[8:9]
	v_cmp_eq_u32_e64 s[8:9], 9, v28
	v_cndmask_b32_e64 v34, v34, v21, s[8:9]
	v_cndmask_b32_e64 v35, v35, v18, s[10:11]
	v_cmp_eq_u32_e64 s[10:11], 10, v28
	;; [unrolled: 3-line block ×3, first 2 shown]
	v_cndmask_b32_e64 v35, v34, v25, s[8:9]
	v_cndmask_b32_e64 v34, v36, v22, s[10:11]
	;; [unrolled: 1-line block ×3, first 2 shown]
	s_waitcnt lgkmcnt(0)
	v_fma_f64 v[26:27], v[34:35], v[32:33], v[26:27]
	v_add_co_u32_e64 v28, s[8:9], 1, v28
	v_addc_co_u32_e64 v29, s[8:9], 0, v29, s[8:9]
	v_add_u32_e32 v32, -1, v28
	v_cmp_lt_u32_e64 s[8:9], 4, v32
	s_or_b64 s[14:15], s[8:9], s[14:15]
	v_add_u32_e32 v31, 8, v31
	s_andn2_b64 exec, exec, s[14:15]
	s_cbranch_execnz .LBB75_35
; %bb.36:
	s_or_b64 exec, exec, s[14:15]
	v_mov_b32_e32 v14, 0
	ds_read_b64 v[14:15], v14 offset:48
	s_waitcnt lgkmcnt(0)
	v_mul_f64 v[14:15], v[26:27], v[14:15]
.LBB75_37:
	s_or_b64 exec, exec, s[12:13]
	v_cmp_gt_u32_e64 s[8:9], 7, v0
	; wave barrier
	ds_write_b64 v30, v[16:17]
	s_waitcnt lgkmcnt(0)
	; wave barrier
	s_and_saveexec_b64 s[12:13], s[8:9]
	s_cbranch_execz .LBB75_41
; %bb.38:
	v_mov_b32_e32 v26, 0x60
	v_lshl_add_u32 v31, v0, 3, v26
	v_mov_b32_e32 v26, 0
	v_mov_b32_e32 v29, v1
	;; [unrolled: 1-line block ×3, first 2 shown]
	s_mov_b64 s[14:15], 0
	v_mov_b32_e32 v28, v0
.LBB75_39:                              ; =>This Inner Loop Header: Depth=1
	v_cmp_eq_u32_e64 s[8:9], 1, v28
	v_cndmask_b32_e64 v34, v3, v5, s[8:9]
	v_cmp_eq_u32_e64 s[10:11], 2, v28
	v_cndmask_b32_e64 v34, v34, v7, s[10:11]
	v_cndmask_b32_e64 v35, v2, v4, s[8:9]
	v_cmp_eq_u32_e64 s[8:9], 3, v28
	v_cndmask_b32_e64 v34, v34, v9, s[8:9]
	;; [unrolled: 3-line block ×6, first 2 shown]
	v_cndmask_b32_e64 v35, v35, v14, s[10:11]
	v_cmp_eq_u32_e64 s[10:11], 8, v28
	ds_read_b64 v[32:33], v31
	v_cndmask_b32_e64 v34, v34, v19, s[10:11]
	v_cndmask_b32_e64 v35, v35, v16, s[8:9]
	v_cmp_eq_u32_e64 s[8:9], 9, v28
	v_cndmask_b32_e64 v34, v34, v21, s[8:9]
	v_cndmask_b32_e64 v35, v35, v18, s[10:11]
	v_cmp_eq_u32_e64 s[10:11], 10, v28
	;; [unrolled: 3-line block ×3, first 2 shown]
	v_cndmask_b32_e64 v35, v34, v25, s[8:9]
	v_cndmask_b32_e64 v34, v36, v22, s[10:11]
	;; [unrolled: 1-line block ×3, first 2 shown]
	s_waitcnt lgkmcnt(0)
	v_fma_f64 v[26:27], v[34:35], v[32:33], v[26:27]
	v_add_co_u32_e64 v28, s[8:9], 1, v28
	v_addc_co_u32_e64 v29, s[8:9], 0, v29, s[8:9]
	v_add_u32_e32 v32, -1, v28
	v_cmp_lt_u32_e64 s[8:9], 5, v32
	s_or_b64 s[14:15], s[8:9], s[14:15]
	v_add_u32_e32 v31, 8, v31
	s_andn2_b64 exec, exec, s[14:15]
	s_cbranch_execnz .LBB75_39
; %bb.40:
	s_or_b64 exec, exec, s[14:15]
	v_mov_b32_e32 v16, 0
	ds_read_b64 v[16:17], v16 offset:56
	s_waitcnt lgkmcnt(0)
	v_mul_f64 v[16:17], v[26:27], v[16:17]
.LBB75_41:
	s_or_b64 exec, exec, s[12:13]
	v_cmp_gt_u32_e64 s[8:9], 8, v0
	; wave barrier
	ds_write_b64 v30, v[18:19]
	s_waitcnt lgkmcnt(0)
	; wave barrier
	s_and_saveexec_b64 s[38:39], s[8:9]
	s_cbranch_execz .LBB75_57
; %bb.42:
	v_cmp_eq_u32_e64 s[8:9], 1, v0
	v_cndmask_b32_e64 v26, v3, v5, s[8:9]
	v_cmp_eq_u32_e64 s[10:11], 2, v0
	v_cndmask_b32_e64 v26, v26, v7, s[10:11]
	v_cmp_eq_u32_e64 s[12:13], 3, v0
	v_cndmask_b32_e64 v26, v26, v9, s[12:13]
	v_cmp_eq_u32_e64 s[14:15], 4, v0
	v_cndmask_b32_e64 v26, v26, v11, s[14:15]
	v_cmp_eq_u32_e64 s[16:17], 5, v0
	v_cndmask_b32_e64 v26, v26, v13, s[16:17]
	v_cmp_eq_u32_e64 s[18:19], 6, v0
	v_cndmask_b32_e64 v26, v26, v15, s[18:19]
	v_cmp_eq_u32_e64 s[20:21], 7, v0
	v_cndmask_b32_e64 v26, v26, v17, s[20:21]
	v_cmp_eq_u32_e64 s[22:23], 8, v0
	v_cndmask_b32_e64 v26, v26, v19, s[22:23]
	v_cmp_eq_u32_e64 s[24:25], 9, v0
	v_cndmask_b32_e64 v26, v26, v21, s[24:25]
	v_cmp_eq_u32_e64 s[26:27], 10, v0
	v_cndmask_b32_e64 v26, v26, v23, s[26:27]
	v_cmp_eq_u32_e64 s[28:29], 11, v0
	v_cndmask_b32_e64 v27, v26, v25, s[28:29]
	v_cndmask_b32_e64 v26, v2, v4, s[8:9]
	v_cndmask_b32_e64 v26, v26, v6, s[10:11]
	;; [unrolled: 1-line block ×7, first 2 shown]
	ds_read_b64 v[28:29], v30
	v_cndmask_b32_e64 v26, v26, v18, s[22:23]
	v_cndmask_b32_e64 v26, v26, v20, s[24:25]
	;; [unrolled: 1-line block ×4, first 2 shown]
	s_waitcnt lgkmcnt(0)
	v_fma_f64 v[26:27], v[26:27], v[28:29], 0
	v_cmp_ne_u32_e64 s[8:9], 7, v0
	s_and_saveexec_b64 s[40:41], s[8:9]
	s_cbranch_execz .LBB75_56
; %bb.43:
	v_add_u32_e32 v28, 1, v0
	v_cmp_eq_u32_e64 s[8:9], 1, v28
	v_cndmask_b32_e64 v29, v3, v5, s[8:9]
	v_cmp_eq_u32_e64 s[10:11], 2, v28
	v_cmp_eq_u32_e64 s[12:13], 3, v28
	;; [unrolled: 1-line block ×10, first 2 shown]
	v_cndmask_b32_e64 v28, v2, v4, s[8:9]
	v_cndmask_b32_e64 v29, v29, v7, s[10:11]
	;; [unrolled: 1-line block ×13, first 2 shown]
	ds_read_b64 v[31:32], v30 offset:8
	v_cndmask_b32_e64 v29, v29, v19, s[22:23]
	v_cndmask_b32_e64 v28, v28, v18, s[22:23]
	;; [unrolled: 1-line block ×8, first 2 shown]
	s_waitcnt lgkmcnt(0)
	v_fma_f64 v[26:27], v[28:29], v[31:32], v[26:27]
	s_and_saveexec_b64 s[28:29], s[4:5]
	s_cbranch_execz .LBB75_55
; %bb.44:
	v_add_u32_e32 v28, 2, v0
	v_cmp_eq_u32_e64 s[4:5], 1, v28
	v_cndmask_b32_e64 v29, v3, v5, s[4:5]
	v_cmp_eq_u32_e64 s[8:9], 2, v28
	v_cmp_eq_u32_e64 s[10:11], 3, v28
	;; [unrolled: 1-line block ×10, first 2 shown]
	v_cndmask_b32_e64 v28, v2, v4, s[4:5]
	v_cndmask_b32_e64 v29, v29, v7, s[8:9]
	;; [unrolled: 1-line block ×13, first 2 shown]
	ds_read_b64 v[31:32], v30 offset:16
	v_cndmask_b32_e64 v29, v29, v19, s[20:21]
	v_cndmask_b32_e64 v28, v28, v18, s[20:21]
	v_cndmask_b32_e64 v29, v29, v21, s[22:23]
	v_cndmask_b32_e64 v28, v28, v20, s[22:23]
	v_cndmask_b32_e64 v29, v29, v23, s[24:25]
	v_cndmask_b32_e64 v28, v28, v22, s[24:25]
	v_cndmask_b32_e64 v29, v29, v25, s[26:27]
	v_cndmask_b32_e64 v28, v28, v24, s[26:27]
	s_waitcnt lgkmcnt(0)
	v_fma_f64 v[26:27], v[28:29], v[31:32], v[26:27]
	v_cmp_ne_u32_e64 s[4:5], 5, v0
	s_and_saveexec_b64 s[42:43], s[4:5]
	s_cbranch_execz .LBB75_54
; %bb.45:
	v_add_u32_e32 v28, 3, v0
	v_cmp_eq_u32_e64 s[4:5], 1, v28
	v_cndmask_b32_e64 v29, v3, v5, s[4:5]
	v_cmp_eq_u32_e64 s[8:9], 2, v28
	v_cmp_eq_u32_e64 s[10:11], 3, v28
	;; [unrolled: 1-line block ×10, first 2 shown]
	v_cndmask_b32_e64 v28, v2, v4, s[4:5]
	v_cndmask_b32_e64 v29, v29, v7, s[8:9]
	;; [unrolled: 1-line block ×13, first 2 shown]
	ds_read_b64 v[31:32], v30 offset:24
	v_cndmask_b32_e64 v29, v29, v19, s[20:21]
	v_cndmask_b32_e64 v28, v28, v18, s[20:21]
	;; [unrolled: 1-line block ×8, first 2 shown]
	s_waitcnt lgkmcnt(0)
	v_fma_f64 v[26:27], v[28:29], v[31:32], v[26:27]
	s_and_saveexec_b64 s[26:27], s[2:3]
	s_cbranch_execz .LBB75_53
; %bb.46:
	v_or_b32_e32 v28, 4, v0
	v_cmp_eq_u32_e64 s[2:3], 1, v28
	v_cndmask_b32_e64 v29, v3, v5, s[2:3]
	v_cmp_eq_u32_e64 s[4:5], 2, v28
	v_cmp_eq_u32_e64 s[8:9], 3, v28
	;; [unrolled: 1-line block ×10, first 2 shown]
	v_cndmask_b32_e64 v28, v2, v4, s[2:3]
	v_cndmask_b32_e64 v29, v29, v7, s[4:5]
	;; [unrolled: 1-line block ×13, first 2 shown]
	ds_read_b64 v[31:32], v30 offset:32
	v_cndmask_b32_e64 v29, v29, v19, s[18:19]
	v_cndmask_b32_e64 v28, v28, v18, s[18:19]
	;; [unrolled: 1-line block ×8, first 2 shown]
	s_waitcnt lgkmcnt(0)
	v_fma_f64 v[26:27], v[28:29], v[31:32], v[26:27]
	v_cmp_ne_u32_e64 s[2:3], 3, v0
	s_and_saveexec_b64 s[44:45], s[2:3]
	s_cbranch_execz .LBB75_52
; %bb.47:
	v_add_u32_e32 v28, 5, v0
	v_cmp_eq_u32_e64 s[2:3], 1, v28
	v_cndmask_b32_e64 v29, v3, v5, s[2:3]
	v_cmp_eq_u32_e64 s[4:5], 2, v28
	v_cmp_eq_u32_e64 s[8:9], 3, v28
	;; [unrolled: 1-line block ×10, first 2 shown]
	v_cndmask_b32_e64 v28, v2, v4, s[2:3]
	v_cndmask_b32_e64 v29, v29, v7, s[4:5]
	;; [unrolled: 1-line block ×13, first 2 shown]
	ds_read_b64 v[31:32], v30 offset:40
	v_cndmask_b32_e64 v29, v29, v19, s[18:19]
	v_cndmask_b32_e64 v28, v28, v18, s[18:19]
	;; [unrolled: 1-line block ×8, first 2 shown]
	s_waitcnt lgkmcnt(0)
	v_fma_f64 v[26:27], v[28:29], v[31:32], v[26:27]
	s_and_saveexec_b64 s[24:25], vcc
	s_cbranch_execz .LBB75_51
; %bb.48:
	v_or_b32_e32 v28, 6, v0
	v_cmp_eq_u32_e32 vcc, 1, v28
	v_cndmask_b32_e32 v29, v3, v5, vcc
	v_cmp_eq_u32_e64 s[2:3], 2, v28
	v_cndmask_b32_e64 v29, v29, v7, s[2:3]
	v_cmp_eq_u32_e64 s[4:5], 3, v28
	v_cmp_eq_u32_e64 s[8:9], 4, v28
	;; [unrolled: 1-line block ×9, first 2 shown]
	v_cndmask_b32_e32 v28, v2, v4, vcc
	v_cndmask_b32_e64 v29, v29, v9, s[4:5]
	v_cndmask_b32_e64 v28, v28, v6, s[2:3]
	;; [unrolled: 1-line block ×12, first 2 shown]
	ds_read_b64 v[28:29], v30 offset:48
	v_cndmask_b32_e64 v18, v31, v18, s[16:17]
	v_cndmask_b32_e64 v19, v19, v21, s[18:19]
	;; [unrolled: 1-line block ×7, first 2 shown]
	s_waitcnt lgkmcnt(0)
	v_fma_f64 v[26:27], v[18:19], v[28:29], v[26:27]
	s_and_saveexec_b64 s[2:3], s[0:1]
	s_cbranch_execz .LBB75_50
; %bb.49:
	ds_read_b64 v[18:19], v30 offset:56
	s_waitcnt lgkmcnt(0)
	v_fma_f64 v[26:27], v[16:17], v[18:19], v[26:27]
.LBB75_50:
	s_or_b64 exec, exec, s[2:3]
.LBB75_51:
	s_or_b64 exec, exec, s[24:25]
.LBB75_52:
	s_or_b64 exec, exec, s[44:45]
.LBB75_53:
	s_or_b64 exec, exec, s[26:27]
.LBB75_54:
	s_or_b64 exec, exec, s[42:43]
.LBB75_55:
	s_or_b64 exec, exec, s[28:29]
.LBB75_56:
	s_or_b64 exec, exec, s[40:41]
	v_mov_b32_e32 v18, 0
	ds_read_b64 v[18:19], v18 offset:64
	s_waitcnt lgkmcnt(0)
	v_mul_f64 v[18:19], v[26:27], v[18:19]
.LBB75_57:
	s_or_b64 exec, exec, s[38:39]
	v_cmp_gt_u32_e32 vcc, 9, v0
	; wave barrier
	ds_write_b64 v30, v[20:21]
	s_waitcnt lgkmcnt(0)
	; wave barrier
	s_and_saveexec_b64 s[2:3], vcc
	s_cbranch_execz .LBB75_61
; %bb.58:
	v_mov_b32_e32 v26, 0x60
	v_lshl_add_u32 v31, v0, 3, v26
	v_mov_b32_e32 v26, 0
	v_mov_b32_e32 v29, v1
	;; [unrolled: 1-line block ×3, first 2 shown]
	s_mov_b64 s[4:5], 0
	v_mov_b32_e32 v28, v0
.LBB75_59:                              ; =>This Inner Loop Header: Depth=1
	v_cmp_eq_u32_e32 vcc, 1, v28
	v_cndmask_b32_e32 v34, v3, v5, vcc
	v_cmp_eq_u32_e64 s[0:1], 2, v28
	v_cndmask_b32_e64 v34, v34, v7, s[0:1]
	v_cndmask_b32_e32 v35, v2, v4, vcc
	v_cmp_eq_u32_e32 vcc, 3, v28
	v_cndmask_b32_e32 v34, v34, v9, vcc
	v_cndmask_b32_e64 v35, v35, v6, s[0:1]
	v_cmp_eq_u32_e64 s[0:1], 4, v28
	v_cndmask_b32_e64 v34, v34, v11, s[0:1]
	v_cndmask_b32_e32 v35, v35, v8, vcc
	v_cmp_eq_u32_e32 vcc, 5, v28
	v_cndmask_b32_e32 v34, v34, v13, vcc
	v_cndmask_b32_e64 v35, v35, v10, s[0:1]
	;; [unrolled: 6-line block ×3, first 2 shown]
	v_cmp_eq_u32_e64 s[0:1], 8, v28
	ds_read_b64 v[32:33], v31
	v_cndmask_b32_e64 v34, v34, v19, s[0:1]
	v_cndmask_b32_e32 v35, v35, v16, vcc
	v_cmp_eq_u32_e32 vcc, 9, v28
	v_cndmask_b32_e32 v34, v34, v21, vcc
	v_cndmask_b32_e64 v35, v35, v18, s[0:1]
	v_cmp_eq_u32_e64 s[0:1], 10, v28
	v_cndmask_b32_e64 v34, v34, v23, s[0:1]
	v_cndmask_b32_e32 v36, v35, v20, vcc
	v_cmp_eq_u32_e32 vcc, 11, v28
	v_cndmask_b32_e32 v35, v34, v25, vcc
	v_cndmask_b32_e64 v34, v36, v22, s[0:1]
	v_cndmask_b32_e32 v34, v34, v24, vcc
	s_waitcnt lgkmcnt(0)
	v_fma_f64 v[26:27], v[34:35], v[32:33], v[26:27]
	v_add_co_u32_e32 v28, vcc, 1, v28
	v_addc_co_u32_e32 v29, vcc, 0, v29, vcc
	v_add_u32_e32 v32, -1, v28
	v_cmp_lt_u32_e32 vcc, 7, v32
	s_or_b64 s[4:5], vcc, s[4:5]
	v_add_u32_e32 v31, 8, v31
	s_andn2_b64 exec, exec, s[4:5]
	s_cbranch_execnz .LBB75_59
; %bb.60:
	s_or_b64 exec, exec, s[4:5]
	v_mov_b32_e32 v20, 0
	ds_read_b64 v[20:21], v20 offset:72
	s_waitcnt lgkmcnt(0)
	v_mul_f64 v[20:21], v[26:27], v[20:21]
.LBB75_61:
	s_or_b64 exec, exec, s[2:3]
	v_cmp_gt_u32_e32 vcc, 10, v0
	; wave barrier
	ds_write_b64 v30, v[22:23]
	s_waitcnt lgkmcnt(0)
	; wave barrier
	s_and_saveexec_b64 s[2:3], vcc
	s_cbranch_execz .LBB75_65
; %bb.62:
	v_mov_b32_e32 v26, 0x60
	v_lshl_add_u32 v31, v0, 3, v26
	v_mov_b32_e32 v26, 0
	v_mov_b32_e32 v29, v1
	v_mov_b32_e32 v27, 0
	s_mov_b64 s[4:5], 0
	v_mov_b32_e32 v28, v0
.LBB75_63:                              ; =>This Inner Loop Header: Depth=1
	v_cmp_eq_u32_e32 vcc, 1, v28
	v_cndmask_b32_e32 v34, v3, v5, vcc
	v_cmp_eq_u32_e64 s[0:1], 2, v28
	v_cndmask_b32_e64 v34, v34, v7, s[0:1]
	v_cndmask_b32_e32 v35, v2, v4, vcc
	v_cmp_eq_u32_e32 vcc, 3, v28
	v_cndmask_b32_e32 v34, v34, v9, vcc
	v_cndmask_b32_e64 v35, v35, v6, s[0:1]
	v_cmp_eq_u32_e64 s[0:1], 4, v28
	v_cndmask_b32_e64 v34, v34, v11, s[0:1]
	v_cndmask_b32_e32 v35, v35, v8, vcc
	v_cmp_eq_u32_e32 vcc, 5, v28
	v_cndmask_b32_e32 v34, v34, v13, vcc
	v_cndmask_b32_e64 v35, v35, v10, s[0:1]
	;; [unrolled: 6-line block ×3, first 2 shown]
	v_cmp_eq_u32_e64 s[0:1], 8, v28
	ds_read_b64 v[32:33], v31
	v_cndmask_b32_e64 v34, v34, v19, s[0:1]
	v_cndmask_b32_e32 v35, v35, v16, vcc
	v_cmp_eq_u32_e32 vcc, 9, v28
	v_cndmask_b32_e32 v34, v34, v21, vcc
	v_cndmask_b32_e64 v35, v35, v18, s[0:1]
	v_cmp_eq_u32_e64 s[0:1], 10, v28
	v_cndmask_b32_e64 v34, v34, v23, s[0:1]
	v_cndmask_b32_e32 v36, v35, v20, vcc
	v_cmp_eq_u32_e32 vcc, 11, v28
	v_cndmask_b32_e32 v35, v34, v25, vcc
	v_cndmask_b32_e64 v34, v36, v22, s[0:1]
	v_cndmask_b32_e32 v34, v34, v24, vcc
	s_waitcnt lgkmcnt(0)
	v_fma_f64 v[26:27], v[34:35], v[32:33], v[26:27]
	v_add_co_u32_e32 v28, vcc, 1, v28
	v_addc_co_u32_e32 v29, vcc, 0, v29, vcc
	v_add_u32_e32 v32, -1, v28
	v_cmp_lt_u32_e32 vcc, 8, v32
	s_or_b64 s[4:5], vcc, s[4:5]
	v_add_u32_e32 v31, 8, v31
	s_andn2_b64 exec, exec, s[4:5]
	s_cbranch_execnz .LBB75_63
; %bb.64:
	s_or_b64 exec, exec, s[4:5]
	v_mov_b32_e32 v22, 0
	ds_read_b64 v[22:23], v22 offset:80
	s_waitcnt lgkmcnt(0)
	v_mul_f64 v[22:23], v[26:27], v[22:23]
.LBB75_65:
	s_or_b64 exec, exec, s[2:3]
	v_cmp_ne_u32_e32 vcc, 11, v0
	; wave barrier
	ds_write_b64 v30, v[24:25]
	s_waitcnt lgkmcnt(0)
	; wave barrier
	s_and_saveexec_b64 s[2:3], vcc
	s_cbranch_execz .LBB75_69
; %bb.66:
	v_mov_b32_e32 v26, 0x60
	v_lshl_add_u32 v30, v0, 3, v26
	v_mov_b32_e32 v26, 0
	v_mov_b32_e32 v29, v1
	;; [unrolled: 1-line block ×3, first 2 shown]
	s_mov_b64 s[4:5], 0
	v_mov_b32_e32 v28, v0
.LBB75_67:                              ; =>This Inner Loop Header: Depth=1
	v_cmp_eq_u32_e32 vcc, 1, v28
	v_cndmask_b32_e32 v1, v3, v5, vcc
	v_cmp_eq_u32_e64 s[0:1], 2, v28
	v_cndmask_b32_e64 v1, v1, v7, s[0:1]
	v_cndmask_b32_e32 v33, v2, v4, vcc
	v_cmp_eq_u32_e32 vcc, 3, v28
	v_cndmask_b32_e32 v1, v1, v9, vcc
	v_cndmask_b32_e64 v33, v33, v6, s[0:1]
	v_cmp_eq_u32_e64 s[0:1], 4, v28
	v_cndmask_b32_e64 v1, v1, v11, s[0:1]
	v_cndmask_b32_e32 v33, v33, v8, vcc
	v_cmp_eq_u32_e32 vcc, 5, v28
	v_cndmask_b32_e32 v1, v1, v13, vcc
	v_cndmask_b32_e64 v33, v33, v10, s[0:1]
	;; [unrolled: 6-line block ×3, first 2 shown]
	v_cmp_eq_u32_e64 s[0:1], 8, v28
	ds_read_b64 v[31:32], v30
	v_cndmask_b32_e64 v1, v1, v19, s[0:1]
	v_cndmask_b32_e32 v33, v33, v16, vcc
	v_cmp_eq_u32_e32 vcc, 9, v28
	v_cndmask_b32_e32 v1, v1, v21, vcc
	v_cndmask_b32_e64 v33, v33, v18, s[0:1]
	v_cmp_eq_u32_e64 s[0:1], 10, v28
	v_cndmask_b32_e64 v1, v1, v23, s[0:1]
	v_cndmask_b32_e32 v33, v33, v20, vcc
	v_cmp_eq_u32_e32 vcc, 11, v28
	v_cndmask_b32_e32 v34, v1, v25, vcc
	v_cndmask_b32_e64 v1, v33, v22, s[0:1]
	v_cndmask_b32_e32 v33, v1, v24, vcc
	s_waitcnt lgkmcnt(0)
	v_fma_f64 v[26:27], v[33:34], v[31:32], v[26:27]
	v_add_co_u32_e32 v28, vcc, 1, v28
	v_addc_co_u32_e32 v29, vcc, 0, v29, vcc
	v_add_u32_e32 v1, -1, v28
	v_cmp_lt_u32_e32 vcc, 9, v1
	s_or_b64 s[4:5], vcc, s[4:5]
	v_add_u32_e32 v30, 8, v30
	s_andn2_b64 exec, exec, s[4:5]
	s_cbranch_execnz .LBB75_67
; %bb.68:
	s_or_b64 exec, exec, s[4:5]
	v_mov_b32_e32 v1, 0
	ds_read_b64 v[24:25], v1 offset:88
	s_waitcnt lgkmcnt(0)
	v_mul_f64 v[24:25], v[26:27], v[24:25]
.LBB75_69:
	s_or_b64 exec, exec, s[2:3]
	; wave barrier
	s_cbranch_execnz .LBB75_15
	s_branch .LBB75_16
.LBB75_70:
	v_mov_b32_e32 v1, 0x60
	v_lshl_add_u32 v1, v0, 3, v1
	v_cmp_eq_u32_e32 vcc, 11, v0
	s_and_saveexec_b64 s[0:1], vcc
	s_cbranch_execz .LBB75_72
; %bb.71:
	s_waitcnt lgkmcnt(0)
	ds_write_b64 v1, v[22:23]
	v_mov_b32_e32 v22, 0
	v_mov_b32_e32 v23, v22
.LBB75_72:
	s_or_b64 exec, exec, s[0:1]
	v_mov_b32_e32 v44, 0
	s_waitcnt lgkmcnt(0)
	; wave barrier
	ds_read_b64 v[26:27], v44 offset:184
	v_cmp_lt_u32_e32 vcc, 9, v0
	s_waitcnt lgkmcnt(0)
	v_fma_f64 v[26:27], v[24:25], v[26:27], 0
	v_add_f64 v[22:23], v[22:23], -v[26:27]
	s_and_saveexec_b64 s[0:1], vcc
	s_cbranch_execz .LBB75_74
; %bb.73:
	v_mov_b32_e32 v26, v2
	v_mov_b32_e32 v27, v3
	;; [unrolled: 1-line block ×23, first 2 shown]
	ds_write_b64 v1, v[20:21]
	v_mov_b32_e32 v2, v26
	v_mov_b32_e32 v3, v27
	;; [unrolled: 1-line block ×32, first 2 shown]
.LBB75_74:
	s_or_b64 exec, exec, s[0:1]
	s_waitcnt lgkmcnt(0)
	; wave barrier
	ds_read_b128 v[26:29], v44 offset:176
	v_cmp_lt_u32_e32 vcc, 8, v0
	s_waitcnt lgkmcnt(0)
	v_fma_f64 v[26:27], v[22:23], v[26:27], 0
	v_fma_f64 v[26:27], v[24:25], v[28:29], v[26:27]
	v_add_f64 v[20:21], v[20:21], -v[26:27]
	s_and_saveexec_b64 s[0:1], vcc
	s_cbranch_execz .LBB75_76
; %bb.75:
	v_mov_b32_e32 v42, 0
	v_mov_b32_e32 v26, v2
	;; [unrolled: 1-line block ×24, first 2 shown]
	ds_write_b64 v1, v[18:19]
	v_mov_b32_e32 v2, v26
	v_mov_b32_e32 v3, v27
	;; [unrolled: 1-line block ×32, first 2 shown]
.LBB75_76:
	s_or_b64 exec, exec, s[0:1]
	v_mov_b32_e32 v40, 0
	s_waitcnt lgkmcnt(0)
	; wave barrier
	ds_read2_b64 v[26:29], v40 offset0:21 offset1:22
	ds_read_b64 v[30:31], v40 offset:184
	v_cmp_lt_u32_e32 vcc, 7, v0
	s_waitcnt lgkmcnt(1)
	v_fma_f64 v[26:27], v[20:21], v[26:27], 0
	v_fma_f64 v[26:27], v[22:23], v[28:29], v[26:27]
	s_waitcnt lgkmcnt(0)
	v_fma_f64 v[26:27], v[24:25], v[30:31], v[26:27]
	v_add_f64 v[18:19], v[18:19], -v[26:27]
	s_and_saveexec_b64 s[0:1], vcc
	s_cbranch_execz .LBB75_78
; %bb.77:
	v_mov_b32_e32 v26, v2
	v_mov_b32_e32 v27, v3
	;; [unrolled: 1-line block ×23, first 2 shown]
	ds_write_b64 v1, v[16:17]
	v_mov_b32_e32 v2, v26
	v_mov_b32_e32 v3, v27
	;; [unrolled: 1-line block ×32, first 2 shown]
.LBB75_78:
	s_or_b64 exec, exec, s[0:1]
	s_waitcnt lgkmcnt(0)
	; wave barrier
	ds_read_b128 v[26:29], v40 offset:160
	ds_read_b128 v[30:33], v40 offset:176
	v_cmp_lt_u32_e32 vcc, 6, v0
	s_waitcnt lgkmcnt(1)
	v_fma_f64 v[26:27], v[18:19], v[26:27], 0
	v_fma_f64 v[26:27], v[20:21], v[28:29], v[26:27]
	s_waitcnt lgkmcnt(0)
	v_fma_f64 v[26:27], v[22:23], v[30:31], v[26:27]
	v_fma_f64 v[26:27], v[24:25], v[32:33], v[26:27]
	v_add_f64 v[16:17], v[16:17], -v[26:27]
	s_and_saveexec_b64 s[0:1], vcc
	s_cbranch_execz .LBB75_80
; %bb.79:
	v_mov_b32_e32 v38, 0
	v_mov_b32_e32 v26, v2
	;; [unrolled: 1-line block ×24, first 2 shown]
	ds_write_b64 v1, v[14:15]
	v_mov_b32_e32 v2, v26
	v_mov_b32_e32 v3, v27
	;; [unrolled: 1-line block ×32, first 2 shown]
.LBB75_80:
	s_or_b64 exec, exec, s[0:1]
	v_mov_b32_e32 v36, 0
	s_waitcnt lgkmcnt(0)
	; wave barrier
	ds_read2_b64 v[26:29], v36 offset0:19 offset1:20
	ds_read2_b64 v[30:33], v36 offset0:21 offset1:22
	v_cmp_lt_u32_e32 vcc, 5, v0
	s_waitcnt lgkmcnt(1)
	v_fma_f64 v[26:27], v[16:17], v[26:27], 0
	v_fma_f64 v[26:27], v[18:19], v[28:29], v[26:27]
	ds_read_b64 v[28:29], v36 offset:184
	s_waitcnt lgkmcnt(1)
	v_fma_f64 v[26:27], v[20:21], v[30:31], v[26:27]
	v_fma_f64 v[26:27], v[22:23], v[32:33], v[26:27]
	s_waitcnt lgkmcnt(0)
	v_fma_f64 v[26:27], v[24:25], v[28:29], v[26:27]
	v_add_f64 v[14:15], v[14:15], -v[26:27]
	s_and_saveexec_b64 s[0:1], vcc
	s_cbranch_execz .LBB75_82
; %bb.81:
	v_mov_b32_e32 v26, v2
	v_mov_b32_e32 v27, v3
	;; [unrolled: 1-line block ×23, first 2 shown]
	ds_write_b64 v1, v[12:13]
	v_mov_b32_e32 v2, v26
	v_mov_b32_e32 v3, v27
	;; [unrolled: 1-line block ×32, first 2 shown]
.LBB75_82:
	s_or_b64 exec, exec, s[0:1]
	s_waitcnt lgkmcnt(0)
	; wave barrier
	ds_read_b128 v[26:29], v36 offset:144
	ds_read_b128 v[30:33], v36 offset:160
	v_cmp_lt_u32_e32 vcc, 4, v0
	s_waitcnt lgkmcnt(1)
	v_fma_f64 v[26:27], v[14:15], v[26:27], 0
	v_fma_f64 v[26:27], v[16:17], v[28:29], v[26:27]
	s_waitcnt lgkmcnt(0)
	v_fma_f64 v[26:27], v[18:19], v[30:31], v[26:27]
	v_fma_f64 v[30:31], v[20:21], v[32:33], v[26:27]
	ds_read_b128 v[26:29], v36 offset:176
	s_waitcnt lgkmcnt(0)
	v_fma_f64 v[26:27], v[22:23], v[26:27], v[30:31]
	v_fma_f64 v[26:27], v[24:25], v[28:29], v[26:27]
	v_add_f64 v[12:13], v[12:13], -v[26:27]
	s_and_saveexec_b64 s[0:1], vcc
	s_cbranch_execz .LBB75_84
; %bb.83:
	v_mov_b32_e32 v34, 0
	v_mov_b32_e32 v26, v2
	;; [unrolled: 1-line block ×24, first 2 shown]
	ds_write_b64 v1, v[10:11]
	v_mov_b32_e32 v2, v26
	v_mov_b32_e32 v3, v27
	;; [unrolled: 1-line block ×32, first 2 shown]
.LBB75_84:
	s_or_b64 exec, exec, s[0:1]
	v_mov_b32_e32 v34, 0
	s_waitcnt lgkmcnt(0)
	; wave barrier
	ds_read2_b64 v[26:29], v34 offset0:17 offset1:18
	ds_read2_b64 v[30:33], v34 offset0:19 offset1:20
	v_cmp_lt_u32_e32 vcc, 3, v0
	s_waitcnt lgkmcnt(1)
	v_fma_f64 v[26:27], v[12:13], v[26:27], 0
	v_fma_f64 v[26:27], v[14:15], v[28:29], v[26:27]
	s_waitcnt lgkmcnt(0)
	v_fma_f64 v[26:27], v[16:17], v[30:31], v[26:27]
	v_fma_f64 v[30:31], v[18:19], v[32:33], v[26:27]
	ds_read2_b64 v[26:29], v34 offset0:21 offset1:22
	ds_read_b64 v[32:33], v34 offset:184
	s_waitcnt lgkmcnt(1)
	v_fma_f64 v[26:27], v[20:21], v[26:27], v[30:31]
	v_fma_f64 v[26:27], v[22:23], v[28:29], v[26:27]
	s_waitcnt lgkmcnt(0)
	v_fma_f64 v[26:27], v[24:25], v[32:33], v[26:27]
	v_add_f64 v[10:11], v[10:11], -v[26:27]
	s_and_saveexec_b64 s[0:1], vcc
	s_cbranch_execz .LBB75_86
; %bb.85:
	v_mov_b32_e32 v28, v2
	v_mov_b32_e32 v29, v3
	;; [unrolled: 1-line block ×23, first 2 shown]
	ds_write_b64 v1, v[8:9]
	v_mov_b32_e32 v2, v28
	v_mov_b32_e32 v3, v29
	;; [unrolled: 1-line block ×32, first 2 shown]
.LBB75_86:
	s_or_b64 exec, exec, s[0:1]
	s_waitcnt lgkmcnt(0)
	; wave barrier
	ds_read_b128 v[26:29], v34 offset:128
	ds_read_b128 v[30:33], v34 offset:144
	v_cmp_lt_u32_e32 vcc, 2, v0
	s_waitcnt lgkmcnt(1)
	v_fma_f64 v[26:27], v[10:11], v[26:27], 0
	v_fma_f64 v[26:27], v[12:13], v[28:29], v[26:27]
	s_waitcnt lgkmcnt(0)
	v_fma_f64 v[26:27], v[14:15], v[30:31], v[26:27]
	v_fma_f64 v[35:36], v[16:17], v[32:33], v[26:27]
	ds_read_b128 v[26:29], v34 offset:160
	ds_read_b128 v[30:33], v34 offset:176
	s_waitcnt lgkmcnt(1)
	v_fma_f64 v[26:27], v[18:19], v[26:27], v[35:36]
	v_fma_f64 v[26:27], v[20:21], v[28:29], v[26:27]
	s_waitcnt lgkmcnt(0)
	v_fma_f64 v[26:27], v[22:23], v[30:31], v[26:27]
	v_fma_f64 v[26:27], v[24:25], v[32:33], v[26:27]
	v_add_f64 v[8:9], v[8:9], -v[26:27]
	s_and_saveexec_b64 s[0:1], vcc
	s_cbranch_execz .LBB75_88
; %bb.87:
	v_mov_b32_e32 v30, 0
	v_mov_b32_e32 v26, v2
	;; [unrolled: 1-line block ×24, first 2 shown]
	ds_write_b64 v1, v[6:7]
	v_mov_b32_e32 v2, v26
	v_mov_b32_e32 v3, v27
	;; [unrolled: 1-line block ×32, first 2 shown]
.LBB75_88:
	s_or_b64 exec, exec, s[0:1]
	v_mov_b32_e32 v34, 0
	s_waitcnt lgkmcnt(0)
	; wave barrier
	ds_read2_b64 v[26:29], v34 offset0:15 offset1:16
	ds_read2_b64 v[30:33], v34 offset0:17 offset1:18
	v_cmp_lt_u32_e32 vcc, 1, v0
	s_waitcnt lgkmcnt(1)
	v_fma_f64 v[26:27], v[8:9], v[26:27], 0
	v_fma_f64 v[26:27], v[10:11], v[28:29], v[26:27]
	s_waitcnt lgkmcnt(0)
	v_fma_f64 v[26:27], v[12:13], v[30:31], v[26:27]
	v_fma_f64 v[35:36], v[14:15], v[32:33], v[26:27]
	ds_read2_b64 v[26:29], v34 offset0:19 offset1:20
	ds_read2_b64 v[30:33], v34 offset0:21 offset1:22
	s_waitcnt lgkmcnt(1)
	v_fma_f64 v[26:27], v[16:17], v[26:27], v[35:36]
	v_fma_f64 v[26:27], v[18:19], v[28:29], v[26:27]
	ds_read_b64 v[28:29], v34 offset:184
	s_waitcnt lgkmcnt(1)
	v_fma_f64 v[26:27], v[20:21], v[30:31], v[26:27]
	v_fma_f64 v[26:27], v[22:23], v[32:33], v[26:27]
	s_waitcnt lgkmcnt(0)
	v_fma_f64 v[26:27], v[24:25], v[28:29], v[26:27]
	v_add_f64 v[6:7], v[6:7], -v[26:27]
	s_and_saveexec_b64 s[0:1], vcc
	s_cbranch_execz .LBB75_90
; %bb.89:
	v_mov_b32_e32 v32, v2
	v_mov_b32_e32 v33, v3
	;; [unrolled: 1-line block ×23, first 2 shown]
	ds_write_b64 v1, v[4:5]
	v_mov_b32_e32 v2, v32
	v_mov_b32_e32 v3, v33
	;; [unrolled: 1-line block ×32, first 2 shown]
.LBB75_90:
	s_or_b64 exec, exec, s[0:1]
	s_waitcnt lgkmcnt(0)
	; wave barrier
	ds_read_b128 v[26:29], v34 offset:112
	ds_read_b128 v[30:33], v34 offset:128
	v_cmp_ne_u32_e32 vcc, 0, v0
	s_waitcnt lgkmcnt(1)
	v_fma_f64 v[26:27], v[6:7], v[26:27], 0
	v_fma_f64 v[26:27], v[8:9], v[28:29], v[26:27]
	s_waitcnt lgkmcnt(0)
	v_fma_f64 v[26:27], v[10:11], v[30:31], v[26:27]
	v_fma_f64 v[35:36], v[12:13], v[32:33], v[26:27]
	ds_read_b128 v[26:29], v34 offset:144
	ds_read_b128 v[30:33], v34 offset:160
	s_waitcnt lgkmcnt(1)
	v_fma_f64 v[26:27], v[14:15], v[26:27], v[35:36]
	v_fma_f64 v[26:27], v[16:17], v[28:29], v[26:27]
	s_waitcnt lgkmcnt(0)
	v_fma_f64 v[26:27], v[18:19], v[30:31], v[26:27]
	v_fma_f64 v[30:31], v[20:21], v[32:33], v[26:27]
	ds_read_b128 v[26:29], v34 offset:176
	s_waitcnt lgkmcnt(0)
	v_fma_f64 v[26:27], v[22:23], v[26:27], v[30:31]
	v_fma_f64 v[26:27], v[24:25], v[28:29], v[26:27]
	v_add_f64 v[4:5], v[4:5], -v[26:27]
	s_and_saveexec_b64 s[0:1], vcc
	s_cbranch_execz .LBB75_92
; %bb.91:
	v_mov_b32_e32 v26, 0
	v_mov_b32_e32 v27, v26
	;; [unrolled: 1-line block ×58, first 2 shown]
	ds_write_b64 v1, v[50:51]
.LBB75_92:
	s_or_b64 exec, exec, s[0:1]
	v_mov_b32_e32 v0, 0
	s_waitcnt lgkmcnt(0)
	; wave barrier
	ds_read2_b64 v[26:29], v0 offset0:13 offset1:14
	ds_read2_b64 v[30:33], v0 offset0:15 offset1:16
	s_and_b64 vcc, exec, s[36:37]
	s_waitcnt lgkmcnt(1)
	v_fma_f64 v[26:27], v[4:5], v[26:27], 0
	v_fma_f64 v[26:27], v[6:7], v[28:29], v[26:27]
	s_waitcnt lgkmcnt(0)
	v_fma_f64 v[26:27], v[8:9], v[30:31], v[26:27]
	v_fma_f64 v[34:35], v[10:11], v[32:33], v[26:27]
	ds_read2_b64 v[26:29], v0 offset0:17 offset1:18
	ds_read2_b64 v[30:33], v0 offset0:19 offset1:20
	s_waitcnt lgkmcnt(1)
	v_fma_f64 v[26:27], v[12:13], v[26:27], v[34:35]
	v_fma_f64 v[26:27], v[14:15], v[28:29], v[26:27]
	s_waitcnt lgkmcnt(0)
	v_fma_f64 v[26:27], v[16:17], v[30:31], v[26:27]
	v_fma_f64 v[30:31], v[18:19], v[32:33], v[26:27]
	ds_read2_b64 v[26:29], v0 offset0:21 offset1:22
	ds_read_b64 v[32:33], v0 offset:184
	s_waitcnt lgkmcnt(1)
	v_fma_f64 v[26:27], v[20:21], v[26:27], v[30:31]
	v_fma_f64 v[26:27], v[22:23], v[28:29], v[26:27]
	s_waitcnt lgkmcnt(0)
	v_fma_f64 v[26:27], v[24:25], v[32:33], v[26:27]
	v_add_f64 v[2:3], v[2:3], -v[26:27]
	s_cbranch_vccz .LBB75_115
; %bb.93:
	global_load_dword v0, v0, s[34:35] offset:40
	s_waitcnt vmcnt(0)
	v_readfirstlane_b32 s0, v0
	s_add_i32 s0, s0, -1
	s_cmp_lg_u32 s0, 10
	s_cbranch_scc0 .LBB75_95
; %bb.94:
	s_lshl_b32 s0, s0, 1
	s_set_gpr_idx_on s0, gpr_idx(SRC0)
	v_mov_b32_e32 v0, v3
	v_mov_b32_e32 v1, v2
	s_set_gpr_idx_off
	v_mov_b32_e32 v55, v33
	v_mov_b32_e32 v45, v23
	;; [unrolled: 1-line block ×34, first 2 shown]
	s_set_gpr_idx_on s0, gpr_idx(DST)
	v_mov_b32_e32 v24, v22
	v_mov_b32_e32 v25, v23
	s_set_gpr_idx_off
	v_mov_b32_e32 v2, v24
	v_mov_b32_e32 v3, v25
	;; [unrolled: 1-line block ×32, first 2 shown]
.LBB75_95:
	v_mov_b32_e32 v0, 0
	global_load_dword v1, v0, s[34:35] offset:36
	s_waitcnt vmcnt(0)
	v_readfirstlane_b32 s0, v1
	s_add_i32 s0, s0, -1
	s_cmp_eq_u32 s0, 9
	s_cbranch_scc1 .LBB75_97
; %bb.96:
	s_lshl_b32 s0, s0, 1
	s_set_gpr_idx_on s0, gpr_idx(SRC0)
	v_mov_b32_e32 v1, v3
	v_mov_b32_e32 v54, v2
	s_set_gpr_idx_off
	v_mov_b32_e32 v53, v33
	v_mov_b32_e32 v41, v21
	;; [unrolled: 1-line block ×34, first 2 shown]
	s_set_gpr_idx_on s0, gpr_idx(DST)
	v_mov_b32_e32 v22, v20
	v_mov_b32_e32 v23, v21
	s_set_gpr_idx_off
	v_mov_b32_e32 v2, v22
	v_mov_b32_e32 v3, v23
	;; [unrolled: 1-line block ×32, first 2 shown]
.LBB75_97:
	global_load_dword v0, v0, s[34:35] offset:32
	s_waitcnt vmcnt(0)
	v_readfirstlane_b32 s0, v0
	s_add_i32 s0, s0, -1
	s_cmp_eq_u32 s0, 8
	s_cbranch_scc1 .LBB75_99
; %bb.98:
	s_lshl_b32 s0, s0, 1
	s_set_gpr_idx_on s0, gpr_idx(SRC0)
	v_mov_b32_e32 v0, v3
	v_mov_b32_e32 v1, v2
	s_set_gpr_idx_off
	v_mov_b32_e32 v51, v33
	v_mov_b32_e32 v37, v19
	v_mov_b32_e32 v36, v18
	v_mov_b32_e32 v50, v32
	v_mov_b32_e32 v49, v31
	v_mov_b32_e32 v48, v30
	v_mov_b32_e32 v47, v29
	v_mov_b32_e32 v46, v28
	v_mov_b32_e32 v45, v27
	v_mov_b32_e32 v44, v26
	v_mov_b32_e32 v43, v25
	v_mov_b32_e32 v42, v24
	v_mov_b32_e32 v41, v23
	v_mov_b32_e32 v40, v22
	v_mov_b32_e32 v39, v21
	v_mov_b32_e32 v38, v20
	v_mov_b32_e32 v35, v17
	v_mov_b32_e32 v34, v16
	v_mov_b32_e32 v33, v15
	v_mov_b32_e32 v32, v14
	v_mov_b32_e32 v31, v13
	v_mov_b32_e32 v30, v12
	v_mov_b32_e32 v29, v11
	v_mov_b32_e32 v28, v10
	v_mov_b32_e32 v27, v9
	v_mov_b32_e32 v26, v8
	v_mov_b32_e32 v25, v7
	v_mov_b32_e32 v24, v6
	v_mov_b32_e32 v23, v5
	v_mov_b32_e32 v22, v4
	v_mov_b32_e32 v21, v3
	v_mov_b32_e32 v20, v2
	v_mov_b32_e32 v36, v1
	v_mov_b32_e32 v37, v0
	s_set_gpr_idx_on s0, gpr_idx(DST)
	v_mov_b32_e32 v20, v18
	v_mov_b32_e32 v21, v19
	s_set_gpr_idx_off
	v_mov_b32_e32 v2, v20
	v_mov_b32_e32 v3, v21
	;; [unrolled: 1-line block ×32, first 2 shown]
.LBB75_99:
	v_mov_b32_e32 v0, 0
	global_load_dword v1, v0, s[34:35] offset:28
	s_waitcnt vmcnt(0)
	v_readfirstlane_b32 s0, v1
	s_add_i32 s0, s0, -1
	s_cmp_eq_u32 s0, 7
	s_cbranch_scc1 .LBB75_101
; %bb.100:
	s_lshl_b32 s0, s0, 1
	s_set_gpr_idx_on s0, gpr_idx(SRC0)
	v_mov_b32_e32 v1, v3
	v_mov_b32_e32 v50, v2
	s_set_gpr_idx_off
	v_mov_b32_e32 v49, v33
	v_mov_b32_e32 v48, v32
	v_mov_b32_e32 v47, v31
	v_mov_b32_e32 v46, v30
	v_mov_b32_e32 v45, v29
	v_mov_b32_e32 v44, v28
	v_mov_b32_e32 v43, v27
	v_mov_b32_e32 v42, v26
	v_mov_b32_e32 v41, v25
	v_mov_b32_e32 v40, v24
	v_mov_b32_e32 v39, v23
	v_mov_b32_e32 v38, v22
	v_mov_b32_e32 v37, v21
	v_mov_b32_e32 v36, v20
	v_mov_b32_e32 v35, v19
	v_mov_b32_e32 v34, v18
	v_mov_b32_e32 v33, v17
	v_mov_b32_e32 v32, v16
	v_mov_b32_e32 v31, v15
	v_mov_b32_e32 v30, v14
	v_mov_b32_e32 v29, v13
	v_mov_b32_e32 v28, v12
	v_mov_b32_e32 v27, v11
	v_mov_b32_e32 v26, v10
	v_mov_b32_e32 v25, v9
	v_mov_b32_e32 v24, v8
	v_mov_b32_e32 v23, v7
	v_mov_b32_e32 v22, v6
	v_mov_b32_e32 v21, v5
	v_mov_b32_e32 v20, v4
	v_mov_b32_e32 v19, v3
	v_mov_b32_e32 v18, v2
	v_mov_b32_e32 v32, v50
	v_mov_b32_e32 v33, v1
	s_set_gpr_idx_on s0, gpr_idx(DST)
	v_mov_b32_e32 v18, v16
	v_mov_b32_e32 v19, v17
	s_set_gpr_idx_off
	v_mov_b32_e32 v2, v18
	v_mov_b32_e32 v3, v19
	;; [unrolled: 1-line block ×32, first 2 shown]
.LBB75_101:
	global_load_dword v0, v0, s[34:35] offset:24
	s_waitcnt vmcnt(0)
	v_readfirstlane_b32 s0, v0
	s_add_i32 s0, s0, -1
	s_cmp_eq_u32 s0, 6
	s_cbranch_scc1 .LBB75_103
; %bb.102:
	s_lshl_b32 s0, s0, 1
	s_set_gpr_idx_on s0, gpr_idx(SRC0)
	v_mov_b32_e32 v0, v3
	v_mov_b32_e32 v1, v2
	s_set_gpr_idx_off
	v_mov_b32_e32 v47, v33
	v_mov_b32_e32 v46, v32
	;; [unrolled: 1-line block ×34, first 2 shown]
	s_set_gpr_idx_on s0, gpr_idx(DST)
	v_mov_b32_e32 v16, v14
	v_mov_b32_e32 v17, v15
	s_set_gpr_idx_off
	v_mov_b32_e32 v2, v16
	v_mov_b32_e32 v3, v17
	;; [unrolled: 1-line block ×32, first 2 shown]
.LBB75_103:
	v_mov_b32_e32 v0, 0
	global_load_dword v1, v0, s[34:35] offset:20
	s_waitcnt vmcnt(0)
	v_readfirstlane_b32 s0, v1
	s_add_i32 s0, s0, -1
	s_cmp_eq_u32 s0, 5
	s_cbranch_scc1 .LBB75_105
; %bb.104:
	s_lshl_b32 s0, s0, 1
	s_set_gpr_idx_on s0, gpr_idx(SRC0)
	v_mov_b32_e32 v1, v3
	v_mov_b32_e32 v46, v2
	s_set_gpr_idx_off
	v_mov_b32_e32 v45, v33
	v_mov_b32_e32 v44, v32
	;; [unrolled: 1-line block ×34, first 2 shown]
	s_set_gpr_idx_on s0, gpr_idx(DST)
	v_mov_b32_e32 v14, v12
	v_mov_b32_e32 v15, v13
	s_set_gpr_idx_off
	v_mov_b32_e32 v2, v14
	v_mov_b32_e32 v3, v15
	;; [unrolled: 1-line block ×32, first 2 shown]
.LBB75_105:
	global_load_dword v0, v0, s[34:35] offset:16
	s_waitcnt vmcnt(0)
	v_readfirstlane_b32 s0, v0
	s_add_i32 s0, s0, -1
	s_cmp_eq_u32 s0, 4
	s_cbranch_scc1 .LBB75_107
; %bb.106:
	s_lshl_b32 s0, s0, 1
	s_set_gpr_idx_on s0, gpr_idx(SRC0)
	v_mov_b32_e32 v0, v3
	v_mov_b32_e32 v1, v2
	s_set_gpr_idx_off
	v_mov_b32_e32 v43, v33
	v_mov_b32_e32 v42, v32
	v_mov_b32_e32 v41, v31
	v_mov_b32_e32 v40, v30
	v_mov_b32_e32 v39, v29
	v_mov_b32_e32 v38, v28
	v_mov_b32_e32 v37, v27
	v_mov_b32_e32 v36, v26
	v_mov_b32_e32 v35, v25
	v_mov_b32_e32 v34, v24
	v_mov_b32_e32 v33, v23
	v_mov_b32_e32 v32, v22
	v_mov_b32_e32 v31, v21
	v_mov_b32_e32 v30, v20
	v_mov_b32_e32 v29, v19
	v_mov_b32_e32 v28, v18
	v_mov_b32_e32 v27, v17
	v_mov_b32_e32 v26, v16
	v_mov_b32_e32 v25, v15
	v_mov_b32_e32 v24, v14
	v_mov_b32_e32 v23, v13
	v_mov_b32_e32 v22, v12
	v_mov_b32_e32 v21, v11
	v_mov_b32_e32 v20, v10
	v_mov_b32_e32 v19, v9
	v_mov_b32_e32 v18, v8
	v_mov_b32_e32 v17, v7
	v_mov_b32_e32 v16, v6
	v_mov_b32_e32 v15, v5
	v_mov_b32_e32 v14, v4
	v_mov_b32_e32 v13, v3
	v_mov_b32_e32 v12, v2
	v_mov_b32_e32 v20, v1
	v_mov_b32_e32 v21, v0
	s_set_gpr_idx_on s0, gpr_idx(DST)
	v_mov_b32_e32 v12, v10
	v_mov_b32_e32 v13, v11
	s_set_gpr_idx_off
	v_mov_b32_e32 v2, v12
	v_mov_b32_e32 v3, v13
	;; [unrolled: 1-line block ×32, first 2 shown]
.LBB75_107:
	v_mov_b32_e32 v0, 0
	global_load_dword v1, v0, s[34:35] offset:12
	s_waitcnt vmcnt(0)
	v_readfirstlane_b32 s0, v1
	s_add_i32 s0, s0, -1
	s_cmp_eq_u32 s0, 3
	s_cbranch_scc1 .LBB75_109
; %bb.108:
	s_lshl_b32 s0, s0, 1
	s_set_gpr_idx_on s0, gpr_idx(SRC0)
	v_mov_b32_e32 v1, v3
	v_mov_b32_e32 v42, v2
	s_set_gpr_idx_off
	v_mov_b32_e32 v41, v33
	v_mov_b32_e32 v40, v32
	;; [unrolled: 1-line block ×34, first 2 shown]
	s_set_gpr_idx_on s0, gpr_idx(DST)
	v_mov_b32_e32 v10, v8
	v_mov_b32_e32 v11, v9
	s_set_gpr_idx_off
	v_mov_b32_e32 v2, v10
	v_mov_b32_e32 v3, v11
	;; [unrolled: 1-line block ×32, first 2 shown]
.LBB75_109:
	global_load_dword v0, v0, s[34:35] offset:8
	s_waitcnt vmcnt(0)
	v_readfirstlane_b32 s0, v0
	s_add_i32 s0, s0, -1
	s_cmp_eq_u32 s0, 2
	s_cbranch_scc1 .LBB75_111
; %bb.110:
	s_lshl_b32 s0, s0, 1
	s_set_gpr_idx_on s0, gpr_idx(SRC0)
	v_mov_b32_e32 v0, v3
	v_mov_b32_e32 v1, v2
	s_set_gpr_idx_off
	v_mov_b32_e32 v39, v33
	v_mov_b32_e32 v38, v32
	;; [unrolled: 1-line block ×34, first 2 shown]
	s_set_gpr_idx_on s0, gpr_idx(DST)
	v_mov_b32_e32 v8, v6
	v_mov_b32_e32 v9, v7
	s_set_gpr_idx_off
	v_mov_b32_e32 v2, v8
	v_mov_b32_e32 v3, v9
	;; [unrolled: 1-line block ×32, first 2 shown]
.LBB75_111:
	v_mov_b32_e32 v0, 0
	global_load_dword v1, v0, s[34:35] offset:4
	s_waitcnt vmcnt(0)
	v_readfirstlane_b32 s0, v1
	s_add_i32 s0, s0, -1
	s_cmp_eq_u32 s0, 1
	s_cbranch_scc1 .LBB75_113
; %bb.112:
	s_lshl_b32 s0, s0, 1
	s_set_gpr_idx_on s0, gpr_idx(SRC0)
	v_mov_b32_e32 v1, v3
	v_mov_b32_e32 v38, v2
	s_set_gpr_idx_off
	v_mov_b32_e32 v37, v33
	v_mov_b32_e32 v36, v32
	v_mov_b32_e32 v35, v31
	v_mov_b32_e32 v34, v30
	v_mov_b32_e32 v33, v29
	v_mov_b32_e32 v32, v28
	v_mov_b32_e32 v31, v27
	v_mov_b32_e32 v30, v26
	v_mov_b32_e32 v29, v25
	v_mov_b32_e32 v28, v24
	v_mov_b32_e32 v27, v23
	v_mov_b32_e32 v26, v22
	v_mov_b32_e32 v25, v21
	v_mov_b32_e32 v24, v20
	v_mov_b32_e32 v23, v19
	v_mov_b32_e32 v22, v18
	v_mov_b32_e32 v21, v17
	v_mov_b32_e32 v20, v16
	v_mov_b32_e32 v19, v15
	v_mov_b32_e32 v18, v14
	v_mov_b32_e32 v17, v13
	v_mov_b32_e32 v16, v12
	v_mov_b32_e32 v15, v11
	v_mov_b32_e32 v14, v10
	v_mov_b32_e32 v13, v9
	v_mov_b32_e32 v12, v8
	v_mov_b32_e32 v11, v7
	v_mov_b32_e32 v10, v6
	v_mov_b32_e32 v9, v5
	v_mov_b32_e32 v8, v4
	v_mov_b32_e32 v7, v3
	v_mov_b32_e32 v6, v2
	v_mov_b32_e32 v8, v38
	v_mov_b32_e32 v9, v1
	s_set_gpr_idx_on s0, gpr_idx(DST)
	v_mov_b32_e32 v6, v4
	v_mov_b32_e32 v7, v5
	s_set_gpr_idx_off
	v_mov_b32_e32 v2, v6
	v_mov_b32_e32 v3, v7
	;; [unrolled: 1-line block ×32, first 2 shown]
.LBB75_113:
	global_load_dword v0, v0, s[34:35]
	s_waitcnt vmcnt(0)
	v_readfirstlane_b32 s0, v0
	s_add_i32 s0, s0, -1
	s_cmp_eq_u32 s0, 0
	s_cbranch_scc1 .LBB75_115
; %bb.114:
	s_lshl_b32 s0, s0, 1
	s_set_gpr_idx_on s0, gpr_idx(SRC0)
	v_mov_b32_e32 v0, v3
	v_mov_b32_e32 v1, v2
	s_set_gpr_idx_off
	v_mov_b32_e32 v35, v33
	v_mov_b32_e32 v34, v32
	;; [unrolled: 1-line block ×34, first 2 shown]
	s_set_gpr_idx_on s0, gpr_idx(DST)
	v_mov_b32_e32 v4, v2
	v_mov_b32_e32 v5, v3
	s_set_gpr_idx_off
	v_mov_b32_e32 v2, v4
	v_mov_b32_e32 v3, v5
	;; [unrolled: 1-line block ×32, first 2 shown]
.LBB75_115:
	v_mov_b32_e32 v0, v2
	v_mov_b32_e32 v1, v3
	flat_store_dwordx2 v[76:77], v[0:1]
	v_mov_b32_e32 v0, v4
	v_mov_b32_e32 v1, v5
	flat_store_dwordx2 v[78:79], v[0:1]
	;; [unrolled: 3-line block ×12, first 2 shown]
	s_endpgm
	.section	.rodata,"a",@progbits
	.p2align	6, 0x0
	.amdhsa_kernel _ZN9rocsolver6v33100L18getri_kernel_smallILi12EdPKPdEEvT1_iilPiilS6_bb
		.amdhsa_group_segment_fixed_size 200
		.amdhsa_private_segment_fixed_size 0
		.amdhsa_kernarg_size 60
		.amdhsa_user_sgpr_count 6
		.amdhsa_user_sgpr_private_segment_buffer 1
		.amdhsa_user_sgpr_dispatch_ptr 0
		.amdhsa_user_sgpr_queue_ptr 0
		.amdhsa_user_sgpr_kernarg_segment_ptr 1
		.amdhsa_user_sgpr_dispatch_id 0
		.amdhsa_user_sgpr_flat_scratch_init 0
		.amdhsa_user_sgpr_private_segment_size 0
		.amdhsa_uses_dynamic_stack 0
		.amdhsa_system_sgpr_private_segment_wavefront_offset 0
		.amdhsa_system_sgpr_workgroup_id_x 1
		.amdhsa_system_sgpr_workgroup_id_y 0
		.amdhsa_system_sgpr_workgroup_id_z 0
		.amdhsa_system_sgpr_workgroup_info 0
		.amdhsa_system_vgpr_workitem_id 0
		.amdhsa_next_free_vgpr 80
		.amdhsa_next_free_sgpr 46
		.amdhsa_reserve_vcc 1
		.amdhsa_reserve_flat_scratch 0
		.amdhsa_float_round_mode_32 0
		.amdhsa_float_round_mode_16_64 0
		.amdhsa_float_denorm_mode_32 3
		.amdhsa_float_denorm_mode_16_64 3
		.amdhsa_dx10_clamp 1
		.amdhsa_ieee_mode 1
		.amdhsa_fp16_overflow 0
		.amdhsa_exception_fp_ieee_invalid_op 0
		.amdhsa_exception_fp_denorm_src 0
		.amdhsa_exception_fp_ieee_div_zero 0
		.amdhsa_exception_fp_ieee_overflow 0
		.amdhsa_exception_fp_ieee_underflow 0
		.amdhsa_exception_fp_ieee_inexact 0
		.amdhsa_exception_int_div_zero 0
	.end_amdhsa_kernel
	.section	.text._ZN9rocsolver6v33100L18getri_kernel_smallILi12EdPKPdEEvT1_iilPiilS6_bb,"axG",@progbits,_ZN9rocsolver6v33100L18getri_kernel_smallILi12EdPKPdEEvT1_iilPiilS6_bb,comdat
.Lfunc_end75:
	.size	_ZN9rocsolver6v33100L18getri_kernel_smallILi12EdPKPdEEvT1_iilPiilS6_bb, .Lfunc_end75-_ZN9rocsolver6v33100L18getri_kernel_smallILi12EdPKPdEEvT1_iilPiilS6_bb
                                        ; -- End function
	.set _ZN9rocsolver6v33100L18getri_kernel_smallILi12EdPKPdEEvT1_iilPiilS6_bb.num_vgpr, 80
	.set _ZN9rocsolver6v33100L18getri_kernel_smallILi12EdPKPdEEvT1_iilPiilS6_bb.num_agpr, 0
	.set _ZN9rocsolver6v33100L18getri_kernel_smallILi12EdPKPdEEvT1_iilPiilS6_bb.numbered_sgpr, 46
	.set _ZN9rocsolver6v33100L18getri_kernel_smallILi12EdPKPdEEvT1_iilPiilS6_bb.num_named_barrier, 0
	.set _ZN9rocsolver6v33100L18getri_kernel_smallILi12EdPKPdEEvT1_iilPiilS6_bb.private_seg_size, 0
	.set _ZN9rocsolver6v33100L18getri_kernel_smallILi12EdPKPdEEvT1_iilPiilS6_bb.uses_vcc, 1
	.set _ZN9rocsolver6v33100L18getri_kernel_smallILi12EdPKPdEEvT1_iilPiilS6_bb.uses_flat_scratch, 0
	.set _ZN9rocsolver6v33100L18getri_kernel_smallILi12EdPKPdEEvT1_iilPiilS6_bb.has_dyn_sized_stack, 0
	.set _ZN9rocsolver6v33100L18getri_kernel_smallILi12EdPKPdEEvT1_iilPiilS6_bb.has_recursion, 0
	.set _ZN9rocsolver6v33100L18getri_kernel_smallILi12EdPKPdEEvT1_iilPiilS6_bb.has_indirect_call, 0
	.section	.AMDGPU.csdata,"",@progbits
; Kernel info:
; codeLenInByte = 14580
; TotalNumSgprs: 50
; NumVgprs: 80
; ScratchSize: 0
; MemoryBound: 0
; FloatMode: 240
; IeeeMode: 1
; LDSByteSize: 200 bytes/workgroup (compile time only)
; SGPRBlocks: 6
; VGPRBlocks: 19
; NumSGPRsForWavesPerEU: 50
; NumVGPRsForWavesPerEU: 80
; Occupancy: 3
; WaveLimiterHint : 1
; COMPUTE_PGM_RSRC2:SCRATCH_EN: 0
; COMPUTE_PGM_RSRC2:USER_SGPR: 6
; COMPUTE_PGM_RSRC2:TRAP_HANDLER: 0
; COMPUTE_PGM_RSRC2:TGID_X_EN: 1
; COMPUTE_PGM_RSRC2:TGID_Y_EN: 0
; COMPUTE_PGM_RSRC2:TGID_Z_EN: 0
; COMPUTE_PGM_RSRC2:TIDIG_COMP_CNT: 0
	.section	.text._ZN9rocsolver6v33100L18getri_kernel_smallILi13EdPKPdEEvT1_iilPiilS6_bb,"axG",@progbits,_ZN9rocsolver6v33100L18getri_kernel_smallILi13EdPKPdEEvT1_iilPiilS6_bb,comdat
	.globl	_ZN9rocsolver6v33100L18getri_kernel_smallILi13EdPKPdEEvT1_iilPiilS6_bb ; -- Begin function _ZN9rocsolver6v33100L18getri_kernel_smallILi13EdPKPdEEvT1_iilPiilS6_bb
	.p2align	8
	.type	_ZN9rocsolver6v33100L18getri_kernel_smallILi13EdPKPdEEvT1_iilPiilS6_bb,@function
_ZN9rocsolver6v33100L18getri_kernel_smallILi13EdPKPdEEvT1_iilPiilS6_bb: ; @_ZN9rocsolver6v33100L18getri_kernel_smallILi13EdPKPdEEvT1_iilPiilS6_bb
; %bb.0:
	v_cmp_gt_u32_e32 vcc, 13, v0
	s_and_saveexec_b64 s[0:1], vcc
	s_cbranch_execz .LBB76_16
; %bb.1:
	s_load_dword s8, s[4:5], 0x38
	s_load_dwordx2 s[0:1], s[4:5], 0x0
	s_load_dwordx4 s[36:39], s[4:5], 0x28
                                        ; implicit-def: $sgpr34_sgpr35
	s_waitcnt lgkmcnt(0)
	s_bitcmp1_b32 s8, 8
	s_cselect_b64 s[40:41], -1, 0
	s_ashr_i32 s7, s6, 31
	s_lshl_b64 s[2:3], s[6:7], 3
	s_add_u32 s0, s0, s2
	s_addc_u32 s1, s1, s3
	s_load_dwordx2 s[2:3], s[0:1], 0x0
	s_bfe_u32 s0, s8, 0x10008
	s_cmp_eq_u32 s0, 0
	s_cbranch_scc1 .LBB76_3
; %bb.2:
	s_load_dword s0, s[4:5], 0x20
	s_load_dwordx2 s[8:9], s[4:5], 0x18
	s_mul_i32 s1, s36, s7
	s_mul_hi_u32 s10, s36, s6
	s_add_i32 s10, s10, s1
	s_mul_i32 s11, s37, s6
	s_add_i32 s11, s10, s11
	s_mul_i32 s10, s36, s6
	s_waitcnt lgkmcnt(0)
	s_ashr_i32 s1, s0, 31
	s_lshl_b64 s[10:11], s[10:11], 2
	s_add_u32 s8, s8, s10
	s_addc_u32 s9, s9, s11
	s_lshl_b64 s[0:1], s[0:1], 2
	s_add_u32 s34, s8, s0
	s_addc_u32 s35, s9, s1
.LBB76_3:
	s_load_dwordx2 s[0:1], s[4:5], 0x8
	s_load_dword s8, s[4:5], 0x38
	v_lshlrev_b32_e32 v30, 3, v0
	s_waitcnt lgkmcnt(0)
	s_ashr_i32 s5, s0, 31
	s_mov_b32 s4, s0
	s_lshl_b64 s[4:5], s[4:5], 3
	s_add_u32 s0, s2, s4
	s_addc_u32 s2, s3, s5
	s_add_i32 s3, s1, s1
	v_add_u32_e32 v1, s3, v0
	v_ashrrev_i32_e32 v2, 31, v1
	v_lshlrev_b64 v[2:3], 3, v[1:2]
	v_add_u32_e32 v1, s1, v1
	v_mov_b32_e32 v4, s2
	v_add_co_u32_e32 v60, vcc, s0, v2
	v_ashrrev_i32_e32 v2, 31, v1
	v_addc_co_u32_e32 v61, vcc, v4, v3, vcc
	v_lshlrev_b64 v[2:3], 3, v[1:2]
	v_add_u32_e32 v1, s1, v1
	v_add_co_u32_e32 v62, vcc, s0, v2
	v_ashrrev_i32_e32 v2, 31, v1
	v_addc_co_u32_e32 v63, vcc, v4, v3, vcc
	v_lshlrev_b64 v[2:3], 3, v[1:2]
	v_add_u32_e32 v1, s1, v1
	;; [unrolled: 5-line block ×9, first 2 shown]
	v_add_co_u32_e32 v78, vcc, s0, v2
	v_ashrrev_i32_e32 v2, 31, v1
	v_lshlrev_b64 v[1:2], 3, v[1:2]
	v_addc_co_u32_e32 v79, vcc, v4, v3, vcc
	v_mov_b32_e32 v3, s2
	v_add_co_u32_e32 v80, vcc, s0, v1
	v_addc_co_u32_e32 v81, vcc, v3, v2, vcc
	v_mov_b32_e32 v1, s2
	v_add_co_u32_e32 v82, vcc, s0, v30
	s_ashr_i32 s3, s1, 31
	s_mov_b32 s2, s1
	v_addc_co_u32_e32 v83, vcc, 0, v1, vcc
	s_lshl_b64 s[0:1], s[2:3], 3
	v_mov_b32_e32 v1, s1
	v_add_co_u32_e32 v84, vcc, s0, v82
	v_addc_co_u32_e32 v85, vcc, v83, v1, vcc
	flat_load_dwordx2 v[2:3], v[82:83]
	flat_load_dwordx2 v[4:5], v[84:85]
	;; [unrolled: 1-line block ×13, first 2 shown]
	v_mov_b32_e32 v1, 0
	s_bitcmp0_b32 s8, 0
	s_mov_b64 s[0:1], -1
	s_cbranch_scc1 .LBB76_14
; %bb.4:
	v_cmp_eq_u32_e64 s[0:1], 0, v0
	s_and_saveexec_b64 s[2:3], s[0:1]
; %bb.5:
	v_mov_b32_e32 v28, 0
	ds_write_b32 v28, v28 offset:104
; %bb.6:
	s_or_b64 exec, exec, s[2:3]
	v_cmp_eq_u32_e32 vcc, 1, v0
	s_waitcnt vmcnt(0) lgkmcnt(0)
	v_cndmask_b32_e32 v28, v3, v5, vcc
	v_cmp_eq_u32_e64 s[2:3], 2, v0
	v_cndmask_b32_e64 v28, v28, v7, s[2:3]
	v_cmp_eq_u32_e64 s[4:5], 3, v0
	v_cndmask_b32_e64 v28, v28, v9, s[4:5]
	v_cmp_eq_u32_e64 s[8:9], 4, v0
	v_cndmask_b32_e64 v28, v28, v11, s[8:9]
	v_cmp_eq_u32_e64 s[10:11], 5, v0
	v_cndmask_b32_e64 v28, v28, v13, s[10:11]
	v_cmp_eq_u32_e64 s[12:13], 6, v0
	v_cndmask_b32_e64 v28, v28, v15, s[12:13]
	v_cmp_eq_u32_e64 s[14:15], 7, v0
	v_cndmask_b32_e64 v28, v28, v17, s[14:15]
	v_cmp_eq_u32_e64 s[16:17], 8, v0
	v_cndmask_b32_e64 v28, v28, v19, s[16:17]
	v_cmp_eq_u32_e64 s[18:19], 9, v0
	v_cndmask_b32_e64 v28, v28, v21, s[18:19]
	v_cmp_eq_u32_e64 s[20:21], 10, v0
	v_cndmask_b32_e64 v28, v28, v23, s[20:21]
	v_cmp_eq_u32_e64 s[22:23], 11, v0
	v_cndmask_b32_e64 v28, v28, v25, s[22:23]
	v_cmp_eq_u32_e64 s[24:25], 12, v0
	v_cndmask_b32_e64 v29, v28, v27, s[24:25]
	v_cndmask_b32_e32 v28, v2, v4, vcc
	v_cndmask_b32_e64 v28, v28, v6, s[2:3]
	v_cndmask_b32_e64 v28, v28, v8, s[4:5]
	;; [unrolled: 1-line block ×11, first 2 shown]
	v_cmp_eq_f64_e32 vcc, 0, v[28:29]
	; wave barrier
	s_and_saveexec_b64 s[4:5], vcc
	s_cbranch_execz .LBB76_10
; %bb.7:
	v_mov_b32_e32 v31, 0
	ds_read_b32 v33, v31 offset:104
	v_add_u32_e32 v32, 1, v0
	s_waitcnt lgkmcnt(0)
	v_readfirstlane_b32 s2, v33
	s_cmp_eq_u32 s2, 0
	s_cselect_b64 s[8:9], -1, 0
	v_cmp_gt_i32_e32 vcc, s2, v32
	s_or_b64 s[8:9], s[8:9], vcc
	s_and_b64 exec, exec, s[8:9]
	s_cbranch_execz .LBB76_10
; %bb.8:
	s_mov_b64 s[8:9], 0
	v_mov_b32_e32 v33, s2
.LBB76_9:                               ; =>This Inner Loop Header: Depth=1
	ds_cmpst_rtn_b32 v33, v31, v33, v32 offset:104
	s_waitcnt lgkmcnt(0)
	v_cmp_ne_u32_e32 vcc, 0, v33
	v_cmp_le_i32_e64 s[2:3], v33, v32
	s_and_b64 s[2:3], vcc, s[2:3]
	s_and_b64 s[2:3], exec, s[2:3]
	s_or_b64 s[8:9], s[2:3], s[8:9]
	s_andn2_b64 exec, exec, s[8:9]
	s_cbranch_execnz .LBB76_9
.LBB76_10:
	s_or_b64 exec, exec, s[4:5]
	v_mov_b32_e32 v32, 0
	; wave barrier
	ds_read_b32 v31, v32 offset:104
	s_and_saveexec_b64 s[2:3], s[0:1]
	s_cbranch_execz .LBB76_12
; %bb.11:
	s_lshl_b64 s[4:5], s[6:7], 2
	s_add_u32 s4, s38, s4
	s_addc_u32 s5, s39, s5
	s_waitcnt lgkmcnt(0)
	global_store_dword v32, v31, s[4:5]
.LBB76_12:
	s_or_b64 exec, exec, s[2:3]
	s_waitcnt lgkmcnt(0)
	v_cmp_ne_u32_e32 vcc, 0, v31
	s_cbranch_vccz .LBB76_17
; %bb.13:
	s_mov_b64 s[0:1], 0
                                        ; implicit-def: $vgpr2_vgpr3_vgpr4_vgpr5_vgpr6_vgpr7_vgpr8_vgpr9_vgpr10_vgpr11_vgpr12_vgpr13_vgpr14_vgpr15_vgpr16_vgpr17_vgpr18_vgpr19_vgpr20_vgpr21_vgpr22_vgpr23_vgpr24_vgpr25_vgpr26_vgpr27_vgpr28_vgpr29_vgpr30_vgpr31_vgpr32_vgpr33
.LBB76_14:
	s_and_b64 vcc, exec, s[0:1]
	s_cbranch_vccz .LBB76_16
.LBB76_15:
	s_lshl_b64 s[0:1], s[6:7], 2
	s_add_u32 s0, s38, s0
	s_addc_u32 s1, s39, s1
	v_mov_b32_e32 v1, 0
	global_load_dword v1, v1, s[0:1]
	s_waitcnt vmcnt(0)
	v_cmp_ne_u32_e32 vcc, 0, v1
	s_cbranch_vccz .LBB76_74
.LBB76_16:
	s_endpgm
.LBB76_17:
	v_div_scale_f64 v[31:32], s[2:3], v[28:29], v[28:29], 1.0
	v_rcp_f64_e32 v[33:34], v[31:32]
	v_fma_f64 v[35:36], -v[31:32], v[33:34], 1.0
	v_fma_f64 v[33:34], v[33:34], v[35:36], v[33:34]
	v_div_scale_f64 v[35:36], vcc, 1.0, v[28:29], 1.0
	v_fma_f64 v[37:38], -v[31:32], v[33:34], 1.0
	v_fma_f64 v[33:34], v[33:34], v[37:38], v[33:34]
	v_mul_f64 v[37:38], v[35:36], v[33:34]
	v_fma_f64 v[31:32], -v[31:32], v[37:38], v[35:36]
	v_div_fmas_f64 v[31:32], v[31:32], v[33:34], v[37:38]
	v_cmp_eq_u32_e32 vcc, 12, v0
	v_div_fixup_f64 v[28:29], v[31:32], v[28:29], 1.0
	v_add_u32_e32 v32, 0x70, v30
	v_cndmask_b32_e32 v27, v27, v29, vcc
	v_cndmask_b32_e32 v26, v26, v28, vcc
	v_cmp_eq_u32_e32 vcc, 11, v0
	v_cndmask_b32_e32 v25, v25, v29, vcc
	v_cndmask_b32_e32 v24, v24, v28, vcc
	v_cmp_eq_u32_e32 vcc, 10, v0
	;; [unrolled: 3-line block ×12, first 2 shown]
	v_cndmask_b32_e32 v3, v3, v29, vcc
	v_cndmask_b32_e32 v2, v2, v28, vcc
	v_xor_b32_e32 v34, 0x80000000, v29
	v_mov_b32_e32 v33, v28
	ds_write2_b64 v30, v[33:34], v[4:5] offset1:14
	s_waitcnt lgkmcnt(0)
	; wave barrier
	s_and_saveexec_b64 s[2:3], s[0:1]
	s_cbranch_execz .LBB76_19
; %bb.18:
	ds_read_b64 v[4:5], v32
	v_mov_b32_e32 v30, 0
	ds_read_b64 v[30:31], v30 offset:8
	s_waitcnt lgkmcnt(1)
	v_fma_f64 v[4:5], v[28:29], v[4:5], 0
	s_waitcnt lgkmcnt(0)
	v_mul_f64 v[4:5], v[4:5], v[30:31]
.LBB76_19:
	s_or_b64 exec, exec, s[2:3]
	v_cmp_gt_u32_e32 vcc, 2, v0
	; wave barrier
	ds_write_b64 v32, v[6:7]
	s_waitcnt lgkmcnt(0)
	; wave barrier
	s_and_saveexec_b64 s[28:29], vcc
	s_cbranch_execz .LBB76_21
; %bb.20:
	v_cmp_eq_u32_e64 s[2:3], 1, v0
	v_cndmask_b32_e64 v28, v3, v5, s[2:3]
	v_cmp_eq_u32_e64 s[4:5], 2, v0
	v_cndmask_b32_e64 v7, v28, v7, s[4:5]
	v_cndmask_b32_e64 v28, v2, v4, s[2:3]
	v_cmp_eq_u32_e64 s[8:9], 3, v0
	v_cndmask_b32_e64 v6, v28, v6, s[4:5]
	;; [unrolled: 3-line block ×8, first 2 shown]
	ds_read_b64 v[28:29], v32
	v_cndmask_b32_e64 v7, v7, v21, s[20:21]
	v_cmp_eq_u32_e64 s[22:23], 10, v0
	v_cndmask_b32_e64 v6, v6, v20, s[20:21]
	v_cndmask_b32_e64 v7, v7, v23, s[22:23]
	v_cmp_eq_u32_e64 s[24:25], 11, v0
	v_cndmask_b32_e64 v6, v6, v22, s[22:23]
	v_cndmask_b32_e64 v7, v7, v25, s[24:25]
	v_cmp_eq_u32_e64 s[26:27], 12, v0
	v_cndmask_b32_e64 v6, v6, v24, s[24:25]
	v_cndmask_b32_e64 v7, v7, v27, s[26:27]
	v_cndmask_b32_e64 v6, v6, v26, s[26:27]
	s_waitcnt lgkmcnt(0)
	v_fma_f64 v[6:7], v[6:7], v[28:29], 0
	v_mov_b32_e32 v28, 0
	ds_read2_b64 v[28:31], v28 offset0:2 offset1:15
	s_waitcnt lgkmcnt(0)
	v_fma_f64 v[30:31], v[4:5], v[30:31], v[6:7]
	v_cndmask_b32_e64 v7, v7, v31, s[0:1]
	v_cndmask_b32_e64 v6, v6, v30, s[0:1]
	v_mul_f64 v[6:7], v[6:7], v[28:29]
.LBB76_21:
	s_or_b64 exec, exec, s[28:29]
	v_cmp_gt_u32_e64 s[2:3], 3, v0
	; wave barrier
	ds_write_b64 v32, v[8:9]
	s_waitcnt lgkmcnt(0)
	; wave barrier
	s_and_saveexec_b64 s[8:9], s[2:3]
	s_cbranch_execz .LBB76_25
; %bb.22:
	v_mov_b32_e32 v28, 0x70
	v_lshl_add_u32 v33, v0, 3, v28
	v_mov_b32_e32 v28, 0
	v_mov_b32_e32 v31, v1
	;; [unrolled: 1-line block ×3, first 2 shown]
	s_mov_b64 s[10:11], 0
	v_mov_b32_e32 v30, v0
.LBB76_23:                              ; =>This Inner Loop Header: Depth=1
	v_cmp_eq_u32_e64 s[2:3], 1, v30
	v_cndmask_b32_e64 v36, v3, v5, s[2:3]
	v_cmp_eq_u32_e64 s[4:5], 2, v30
	v_cndmask_b32_e64 v36, v36, v7, s[4:5]
	v_cndmask_b32_e64 v37, v2, v4, s[2:3]
	v_cmp_eq_u32_e64 s[2:3], 3, v30
	v_cndmask_b32_e64 v36, v36, v9, s[2:3]
	;; [unrolled: 3-line block ×7, first 2 shown]
	v_cndmask_b32_e64 v37, v37, v16, s[2:3]
	v_cmp_eq_u32_e64 s[2:3], 9, v30
	ds_read_b64 v[34:35], v33
	v_cndmask_b32_e64 v36, v36, v21, s[2:3]
	v_cndmask_b32_e64 v37, v37, v18, s[4:5]
	v_cmp_eq_u32_e64 s[4:5], 10, v30
	v_cndmask_b32_e64 v36, v36, v23, s[4:5]
	v_cndmask_b32_e64 v37, v37, v20, s[2:3]
	v_cmp_eq_u32_e64 s[2:3], 11, v30
	;; [unrolled: 3-line block ×3, first 2 shown]
	v_cndmask_b32_e64 v37, v36, v27, s[4:5]
	v_cndmask_b32_e64 v36, v38, v24, s[2:3]
	;; [unrolled: 1-line block ×3, first 2 shown]
	s_waitcnt lgkmcnt(0)
	v_fma_f64 v[28:29], v[36:37], v[34:35], v[28:29]
	v_add_co_u32_e64 v30, s[2:3], 1, v30
	v_addc_co_u32_e64 v31, s[2:3], 0, v31, s[2:3]
	v_add_u32_e32 v34, -1, v30
	v_cmp_lt_u32_e64 s[2:3], 1, v34
	s_or_b64 s[10:11], s[2:3], s[10:11]
	v_add_u32_e32 v33, 8, v33
	s_andn2_b64 exec, exec, s[10:11]
	s_cbranch_execnz .LBB76_23
; %bb.24:
	s_or_b64 exec, exec, s[10:11]
	v_mov_b32_e32 v8, 0
	ds_read_b64 v[8:9], v8 offset:24
	s_waitcnt lgkmcnt(0)
	v_mul_f64 v[8:9], v[28:29], v[8:9]
.LBB76_25:
	s_or_b64 exec, exec, s[8:9]
	v_cmp_gt_u32_e64 s[2:3], 4, v0
	; wave barrier
	ds_write_b64 v32, v[10:11]
	s_waitcnt lgkmcnt(0)
	; wave barrier
	s_and_saveexec_b64 s[10:11], s[2:3]
	s_cbranch_execz .LBB76_29
; %bb.26:
	v_mov_b32_e32 v28, 0x70
	v_lshl_add_u32 v33, v0, 3, v28
	v_mov_b32_e32 v28, 0
	v_mov_b32_e32 v31, v1
	;; [unrolled: 1-line block ×3, first 2 shown]
	s_mov_b64 s[12:13], 0
	v_mov_b32_e32 v30, v0
.LBB76_27:                              ; =>This Inner Loop Header: Depth=1
	v_cmp_eq_u32_e64 s[4:5], 1, v30
	v_cndmask_b32_e64 v36, v3, v5, s[4:5]
	v_cmp_eq_u32_e64 s[8:9], 2, v30
	v_cndmask_b32_e64 v36, v36, v7, s[8:9]
	v_cndmask_b32_e64 v37, v2, v4, s[4:5]
	v_cmp_eq_u32_e64 s[4:5], 3, v30
	v_cndmask_b32_e64 v36, v36, v9, s[4:5]
	;; [unrolled: 3-line block ×7, first 2 shown]
	v_cndmask_b32_e64 v37, v37, v16, s[4:5]
	v_cmp_eq_u32_e64 s[4:5], 9, v30
	ds_read_b64 v[34:35], v33
	v_cndmask_b32_e64 v36, v36, v21, s[4:5]
	v_cndmask_b32_e64 v37, v37, v18, s[8:9]
	v_cmp_eq_u32_e64 s[8:9], 10, v30
	v_cndmask_b32_e64 v36, v36, v23, s[8:9]
	v_cndmask_b32_e64 v37, v37, v20, s[4:5]
	v_cmp_eq_u32_e64 s[4:5], 11, v30
	;; [unrolled: 3-line block ×3, first 2 shown]
	v_cndmask_b32_e64 v37, v36, v27, s[8:9]
	v_cndmask_b32_e64 v36, v38, v24, s[4:5]
	;; [unrolled: 1-line block ×3, first 2 shown]
	s_waitcnt lgkmcnt(0)
	v_fma_f64 v[28:29], v[36:37], v[34:35], v[28:29]
	v_add_co_u32_e64 v30, s[4:5], 1, v30
	v_addc_co_u32_e64 v31, s[4:5], 0, v31, s[4:5]
	v_add_u32_e32 v34, -1, v30
	v_cmp_lt_u32_e64 s[4:5], 2, v34
	s_or_b64 s[12:13], s[4:5], s[12:13]
	v_add_u32_e32 v33, 8, v33
	s_andn2_b64 exec, exec, s[12:13]
	s_cbranch_execnz .LBB76_27
; %bb.28:
	s_or_b64 exec, exec, s[12:13]
	v_mov_b32_e32 v10, 0
	ds_read_b64 v[10:11], v10 offset:32
	s_waitcnt lgkmcnt(0)
	v_mul_f64 v[10:11], v[28:29], v[10:11]
.LBB76_29:
	s_or_b64 exec, exec, s[10:11]
	v_cmp_gt_u32_e64 s[4:5], 5, v0
	; wave barrier
	ds_write_b64 v32, v[12:13]
	s_waitcnt lgkmcnt(0)
	; wave barrier
	s_and_saveexec_b64 s[10:11], s[4:5]
	s_cbranch_execz .LBB76_33
; %bb.30:
	v_mov_b32_e32 v28, 0x70
	v_lshl_add_u32 v33, v0, 3, v28
	v_mov_b32_e32 v28, 0
	v_mov_b32_e32 v31, v1
	;; [unrolled: 1-line block ×3, first 2 shown]
	s_mov_b64 s[12:13], 0
	v_mov_b32_e32 v30, v0
.LBB76_31:                              ; =>This Inner Loop Header: Depth=1
	v_cmp_eq_u32_e64 s[4:5], 1, v30
	v_cndmask_b32_e64 v36, v3, v5, s[4:5]
	v_cmp_eq_u32_e64 s[8:9], 2, v30
	v_cndmask_b32_e64 v36, v36, v7, s[8:9]
	v_cndmask_b32_e64 v37, v2, v4, s[4:5]
	v_cmp_eq_u32_e64 s[4:5], 3, v30
	v_cndmask_b32_e64 v36, v36, v9, s[4:5]
	;; [unrolled: 3-line block ×7, first 2 shown]
	v_cndmask_b32_e64 v37, v37, v16, s[4:5]
	v_cmp_eq_u32_e64 s[4:5], 9, v30
	ds_read_b64 v[34:35], v33
	v_cndmask_b32_e64 v36, v36, v21, s[4:5]
	v_cndmask_b32_e64 v37, v37, v18, s[8:9]
	v_cmp_eq_u32_e64 s[8:9], 10, v30
	v_cndmask_b32_e64 v36, v36, v23, s[8:9]
	v_cndmask_b32_e64 v37, v37, v20, s[4:5]
	v_cmp_eq_u32_e64 s[4:5], 11, v30
	;; [unrolled: 3-line block ×3, first 2 shown]
	v_cndmask_b32_e64 v37, v36, v27, s[8:9]
	v_cndmask_b32_e64 v36, v38, v24, s[4:5]
	;; [unrolled: 1-line block ×3, first 2 shown]
	s_waitcnt lgkmcnt(0)
	v_fma_f64 v[28:29], v[36:37], v[34:35], v[28:29]
	v_add_co_u32_e64 v30, s[4:5], 1, v30
	v_addc_co_u32_e64 v31, s[4:5], 0, v31, s[4:5]
	v_add_u32_e32 v34, -1, v30
	v_cmp_lt_u32_e64 s[4:5], 3, v34
	s_or_b64 s[12:13], s[4:5], s[12:13]
	v_add_u32_e32 v33, 8, v33
	s_andn2_b64 exec, exec, s[12:13]
	s_cbranch_execnz .LBB76_31
; %bb.32:
	s_or_b64 exec, exec, s[12:13]
	v_mov_b32_e32 v12, 0
	ds_read_b64 v[12:13], v12 offset:40
	s_waitcnt lgkmcnt(0)
	v_mul_f64 v[12:13], v[28:29], v[12:13]
.LBB76_33:
	s_or_b64 exec, exec, s[10:11]
	v_cmp_gt_u32_e64 s[4:5], 6, v0
	; wave barrier
	ds_write_b64 v32, v[14:15]
	s_waitcnt lgkmcnt(0)
	; wave barrier
	s_and_saveexec_b64 s[12:13], s[4:5]
	s_cbranch_execz .LBB76_37
; %bb.34:
	v_mov_b32_e32 v28, 0x70
	v_lshl_add_u32 v33, v0, 3, v28
	v_mov_b32_e32 v28, 0
	v_mov_b32_e32 v31, v1
	;; [unrolled: 1-line block ×3, first 2 shown]
	s_mov_b64 s[14:15], 0
	v_mov_b32_e32 v30, v0
.LBB76_35:                              ; =>This Inner Loop Header: Depth=1
	v_cmp_eq_u32_e64 s[8:9], 1, v30
	v_cndmask_b32_e64 v36, v3, v5, s[8:9]
	v_cmp_eq_u32_e64 s[10:11], 2, v30
	v_cndmask_b32_e64 v36, v36, v7, s[10:11]
	v_cndmask_b32_e64 v37, v2, v4, s[8:9]
	v_cmp_eq_u32_e64 s[8:9], 3, v30
	v_cndmask_b32_e64 v36, v36, v9, s[8:9]
	;; [unrolled: 3-line block ×7, first 2 shown]
	v_cndmask_b32_e64 v37, v37, v16, s[8:9]
	v_cmp_eq_u32_e64 s[8:9], 9, v30
	ds_read_b64 v[34:35], v33
	v_cndmask_b32_e64 v36, v36, v21, s[8:9]
	v_cndmask_b32_e64 v37, v37, v18, s[10:11]
	v_cmp_eq_u32_e64 s[10:11], 10, v30
	v_cndmask_b32_e64 v36, v36, v23, s[10:11]
	v_cndmask_b32_e64 v37, v37, v20, s[8:9]
	v_cmp_eq_u32_e64 s[8:9], 11, v30
	;; [unrolled: 3-line block ×3, first 2 shown]
	v_cndmask_b32_e64 v37, v36, v27, s[10:11]
	v_cndmask_b32_e64 v36, v38, v24, s[8:9]
	v_cndmask_b32_e64 v36, v36, v26, s[10:11]
	s_waitcnt lgkmcnt(0)
	v_fma_f64 v[28:29], v[36:37], v[34:35], v[28:29]
	v_add_co_u32_e64 v30, s[8:9], 1, v30
	v_addc_co_u32_e64 v31, s[8:9], 0, v31, s[8:9]
	v_add_u32_e32 v34, -1, v30
	v_cmp_lt_u32_e64 s[8:9], 4, v34
	s_or_b64 s[14:15], s[8:9], s[14:15]
	v_add_u32_e32 v33, 8, v33
	s_andn2_b64 exec, exec, s[14:15]
	s_cbranch_execnz .LBB76_35
; %bb.36:
	s_or_b64 exec, exec, s[14:15]
	v_mov_b32_e32 v14, 0
	ds_read_b64 v[14:15], v14 offset:48
	s_waitcnt lgkmcnt(0)
	v_mul_f64 v[14:15], v[28:29], v[14:15]
.LBB76_37:
	s_or_b64 exec, exec, s[12:13]
	v_cmp_gt_u32_e64 s[8:9], 7, v0
	; wave barrier
	ds_write_b64 v32, v[16:17]
	s_waitcnt lgkmcnt(0)
	; wave barrier
	s_and_saveexec_b64 s[12:13], s[8:9]
	s_cbranch_execz .LBB76_41
; %bb.38:
	v_mov_b32_e32 v28, 0x70
	v_lshl_add_u32 v33, v0, 3, v28
	v_mov_b32_e32 v28, 0
	v_mov_b32_e32 v31, v1
	v_mov_b32_e32 v29, 0
	s_mov_b64 s[14:15], 0
	v_mov_b32_e32 v30, v0
.LBB76_39:                              ; =>This Inner Loop Header: Depth=1
	v_cmp_eq_u32_e64 s[8:9], 1, v30
	v_cndmask_b32_e64 v36, v3, v5, s[8:9]
	v_cmp_eq_u32_e64 s[10:11], 2, v30
	v_cndmask_b32_e64 v36, v36, v7, s[10:11]
	v_cndmask_b32_e64 v37, v2, v4, s[8:9]
	v_cmp_eq_u32_e64 s[8:9], 3, v30
	v_cndmask_b32_e64 v36, v36, v9, s[8:9]
	;; [unrolled: 3-line block ×7, first 2 shown]
	v_cndmask_b32_e64 v37, v37, v16, s[8:9]
	v_cmp_eq_u32_e64 s[8:9], 9, v30
	ds_read_b64 v[34:35], v33
	v_cndmask_b32_e64 v36, v36, v21, s[8:9]
	v_cndmask_b32_e64 v37, v37, v18, s[10:11]
	v_cmp_eq_u32_e64 s[10:11], 10, v30
	v_cndmask_b32_e64 v36, v36, v23, s[10:11]
	v_cndmask_b32_e64 v37, v37, v20, s[8:9]
	v_cmp_eq_u32_e64 s[8:9], 11, v30
	;; [unrolled: 3-line block ×3, first 2 shown]
	v_cndmask_b32_e64 v37, v36, v27, s[10:11]
	v_cndmask_b32_e64 v36, v38, v24, s[8:9]
	;; [unrolled: 1-line block ×3, first 2 shown]
	s_waitcnt lgkmcnt(0)
	v_fma_f64 v[28:29], v[36:37], v[34:35], v[28:29]
	v_add_co_u32_e64 v30, s[8:9], 1, v30
	v_addc_co_u32_e64 v31, s[8:9], 0, v31, s[8:9]
	v_add_u32_e32 v34, -1, v30
	v_cmp_lt_u32_e64 s[8:9], 5, v34
	s_or_b64 s[14:15], s[8:9], s[14:15]
	v_add_u32_e32 v33, 8, v33
	s_andn2_b64 exec, exec, s[14:15]
	s_cbranch_execnz .LBB76_39
; %bb.40:
	s_or_b64 exec, exec, s[14:15]
	v_mov_b32_e32 v16, 0
	ds_read_b64 v[16:17], v16 offset:56
	s_waitcnt lgkmcnt(0)
	v_mul_f64 v[16:17], v[28:29], v[16:17]
.LBB76_41:
	s_or_b64 exec, exec, s[12:13]
	v_cmp_gt_u32_e64 s[8:9], 8, v0
	; wave barrier
	ds_write_b64 v32, v[18:19]
	s_waitcnt lgkmcnt(0)
	; wave barrier
	s_and_saveexec_b64 s[36:37], s[8:9]
	s_cbranch_execz .LBB76_57
; %bb.42:
	v_cmp_eq_u32_e64 s[8:9], 1, v0
	v_cndmask_b32_e64 v28, v3, v5, s[8:9]
	v_cmp_eq_u32_e64 s[10:11], 2, v0
	v_cndmask_b32_e64 v28, v28, v7, s[10:11]
	v_cmp_eq_u32_e64 s[12:13], 3, v0
	v_cndmask_b32_e64 v28, v28, v9, s[12:13]
	v_cmp_eq_u32_e64 s[14:15], 4, v0
	v_cndmask_b32_e64 v28, v28, v11, s[14:15]
	v_cmp_eq_u32_e64 s[16:17], 5, v0
	v_cndmask_b32_e64 v28, v28, v13, s[16:17]
	v_cmp_eq_u32_e64 s[18:19], 6, v0
	v_cndmask_b32_e64 v28, v28, v15, s[18:19]
	v_cmp_eq_u32_e64 s[20:21], 7, v0
	v_cndmask_b32_e64 v28, v28, v17, s[20:21]
	v_cmp_eq_u32_e64 s[22:23], 8, v0
	v_cndmask_b32_e64 v28, v28, v19, s[22:23]
	v_cmp_eq_u32_e64 s[24:25], 9, v0
	v_cndmask_b32_e64 v28, v28, v21, s[24:25]
	v_cmp_eq_u32_e64 s[26:27], 10, v0
	v_cndmask_b32_e64 v28, v28, v23, s[26:27]
	v_cmp_eq_u32_e64 s[28:29], 11, v0
	v_cndmask_b32_e64 v28, v28, v25, s[28:29]
	v_cmp_eq_u32_e64 s[30:31], 12, v0
	v_cndmask_b32_e64 v29, v28, v27, s[30:31]
	v_cndmask_b32_e64 v28, v2, v4, s[8:9]
	v_cndmask_b32_e64 v28, v28, v6, s[10:11]
	;; [unrolled: 1-line block ×8, first 2 shown]
	ds_read_b64 v[30:31], v32
	v_cndmask_b32_e64 v28, v28, v20, s[24:25]
	v_cndmask_b32_e64 v28, v28, v22, s[26:27]
	;; [unrolled: 1-line block ×4, first 2 shown]
	s_waitcnt lgkmcnt(0)
	v_fma_f64 v[28:29], v[28:29], v[30:31], 0
	v_cmp_ne_u32_e64 s[8:9], 7, v0
	s_and_saveexec_b64 s[42:43], s[8:9]
	s_cbranch_execz .LBB76_56
; %bb.43:
	v_add_u32_e32 v30, 1, v0
	v_cmp_eq_u32_e64 s[8:9], 1, v30
	v_cndmask_b32_e64 v31, v3, v5, s[8:9]
	v_cmp_eq_u32_e64 s[10:11], 2, v30
	v_cmp_eq_u32_e64 s[12:13], 3, v30
	;; [unrolled: 1-line block ×11, first 2 shown]
	v_cndmask_b32_e64 v30, v2, v4, s[8:9]
	v_cndmask_b32_e64 v31, v31, v7, s[10:11]
	;; [unrolled: 1-line block ×15, first 2 shown]
	ds_read_b64 v[33:34], v32 offset:8
	v_cndmask_b32_e64 v31, v31, v21, s[24:25]
	v_cndmask_b32_e64 v30, v30, v20, s[24:25]
	v_cndmask_b32_e64 v31, v31, v23, s[26:27]
	v_cndmask_b32_e64 v30, v30, v22, s[26:27]
	v_cndmask_b32_e64 v31, v31, v25, s[28:29]
	v_cndmask_b32_e64 v30, v30, v24, s[28:29]
	v_cndmask_b32_e64 v31, v31, v27, s[30:31]
	v_cndmask_b32_e64 v30, v30, v26, s[30:31]
	s_waitcnt lgkmcnt(0)
	v_fma_f64 v[28:29], v[30:31], v[33:34], v[28:29]
	s_and_saveexec_b64 s[30:31], s[4:5]
	s_cbranch_execz .LBB76_55
; %bb.44:
	v_add_u32_e32 v30, 2, v0
	v_cmp_eq_u32_e64 s[4:5], 1, v30
	v_cndmask_b32_e64 v31, v3, v5, s[4:5]
	v_cmp_eq_u32_e64 s[8:9], 2, v30
	v_cmp_eq_u32_e64 s[10:11], 3, v30
	;; [unrolled: 1-line block ×11, first 2 shown]
	v_cndmask_b32_e64 v30, v2, v4, s[4:5]
	v_cndmask_b32_e64 v31, v31, v7, s[8:9]
	;; [unrolled: 1-line block ×15, first 2 shown]
	ds_read_b64 v[33:34], v32 offset:16
	v_cndmask_b32_e64 v31, v31, v21, s[22:23]
	v_cndmask_b32_e64 v30, v30, v20, s[22:23]
	;; [unrolled: 1-line block ×8, first 2 shown]
	s_waitcnt lgkmcnt(0)
	v_fma_f64 v[28:29], v[30:31], v[33:34], v[28:29]
	v_cmp_ne_u32_e64 s[4:5], 5, v0
	s_and_saveexec_b64 s[44:45], s[4:5]
	s_cbranch_execz .LBB76_54
; %bb.45:
	v_add_u32_e32 v30, 3, v0
	v_cmp_eq_u32_e64 s[4:5], 1, v30
	v_cndmask_b32_e64 v31, v3, v5, s[4:5]
	v_cmp_eq_u32_e64 s[8:9], 2, v30
	v_cmp_eq_u32_e64 s[10:11], 3, v30
	;; [unrolled: 1-line block ×11, first 2 shown]
	v_cndmask_b32_e64 v30, v2, v4, s[4:5]
	v_cndmask_b32_e64 v31, v31, v7, s[8:9]
	;; [unrolled: 1-line block ×15, first 2 shown]
	ds_read_b64 v[33:34], v32 offset:24
	v_cndmask_b32_e64 v31, v31, v21, s[22:23]
	v_cndmask_b32_e64 v30, v30, v20, s[22:23]
	v_cndmask_b32_e64 v31, v31, v23, s[24:25]
	v_cndmask_b32_e64 v30, v30, v22, s[24:25]
	v_cndmask_b32_e64 v31, v31, v25, s[26:27]
	v_cndmask_b32_e64 v30, v30, v24, s[26:27]
	v_cndmask_b32_e64 v31, v31, v27, s[28:29]
	v_cndmask_b32_e64 v30, v30, v26, s[28:29]
	s_waitcnt lgkmcnt(0)
	v_fma_f64 v[28:29], v[30:31], v[33:34], v[28:29]
	s_and_saveexec_b64 s[28:29], s[2:3]
	s_cbranch_execz .LBB76_53
; %bb.46:
	v_or_b32_e32 v30, 4, v0
	v_cmp_eq_u32_e64 s[2:3], 1, v30
	v_cndmask_b32_e64 v31, v3, v5, s[2:3]
	v_cmp_eq_u32_e64 s[4:5], 2, v30
	v_cmp_eq_u32_e64 s[8:9], 3, v30
	;; [unrolled: 1-line block ×11, first 2 shown]
	v_cndmask_b32_e64 v30, v2, v4, s[2:3]
	v_cndmask_b32_e64 v31, v31, v7, s[4:5]
	;; [unrolled: 1-line block ×15, first 2 shown]
	ds_read_b64 v[33:34], v32 offset:32
	v_cndmask_b32_e64 v31, v31, v21, s[20:21]
	v_cndmask_b32_e64 v30, v30, v20, s[20:21]
	v_cndmask_b32_e64 v31, v31, v23, s[22:23]
	v_cndmask_b32_e64 v30, v30, v22, s[22:23]
	v_cndmask_b32_e64 v31, v31, v25, s[24:25]
	v_cndmask_b32_e64 v30, v30, v24, s[24:25]
	v_cndmask_b32_e64 v31, v31, v27, s[26:27]
	v_cndmask_b32_e64 v30, v30, v26, s[26:27]
	s_waitcnt lgkmcnt(0)
	v_fma_f64 v[28:29], v[30:31], v[33:34], v[28:29]
	v_cmp_ne_u32_e64 s[2:3], 3, v0
	s_and_saveexec_b64 s[46:47], s[2:3]
	s_cbranch_execz .LBB76_52
; %bb.47:
	v_add_u32_e32 v30, 5, v0
	v_cmp_eq_u32_e64 s[2:3], 1, v30
	v_cndmask_b32_e64 v31, v3, v5, s[2:3]
	v_cmp_eq_u32_e64 s[4:5], 2, v30
	v_cmp_eq_u32_e64 s[8:9], 3, v30
	;; [unrolled: 1-line block ×11, first 2 shown]
	v_cndmask_b32_e64 v30, v2, v4, s[2:3]
	v_cndmask_b32_e64 v31, v31, v7, s[4:5]
	;; [unrolled: 1-line block ×15, first 2 shown]
	ds_read_b64 v[33:34], v32 offset:40
	v_cndmask_b32_e64 v31, v31, v21, s[20:21]
	v_cndmask_b32_e64 v30, v30, v20, s[20:21]
	v_cndmask_b32_e64 v31, v31, v23, s[22:23]
	v_cndmask_b32_e64 v30, v30, v22, s[22:23]
	v_cndmask_b32_e64 v31, v31, v25, s[24:25]
	v_cndmask_b32_e64 v30, v30, v24, s[24:25]
	v_cndmask_b32_e64 v31, v31, v27, s[26:27]
	v_cndmask_b32_e64 v30, v30, v26, s[26:27]
	s_waitcnt lgkmcnt(0)
	v_fma_f64 v[28:29], v[30:31], v[33:34], v[28:29]
	s_and_saveexec_b64 s[26:27], vcc
	s_cbranch_execz .LBB76_51
; %bb.48:
	v_or_b32_e32 v30, 6, v0
	v_cmp_eq_u32_e32 vcc, 1, v30
	v_cndmask_b32_e32 v31, v3, v5, vcc
	v_cmp_eq_u32_e64 s[2:3], 2, v30
	v_cmp_eq_u32_e64 s[4:5], 3, v30
	;; [unrolled: 1-line block ×11, first 2 shown]
	v_cndmask_b32_e32 v30, v2, v4, vcc
	v_cndmask_b32_e64 v31, v31, v7, s[2:3]
	v_cndmask_b32_e64 v30, v30, v6, s[2:3]
	;; [unrolled: 1-line block ×14, first 2 shown]
	ds_read_b64 v[30:31], v32 offset:48
	v_cndmask_b32_e64 v19, v19, v21, s[18:19]
	v_cndmask_b32_e64 v18, v18, v20, s[18:19]
	;; [unrolled: 1-line block ×8, first 2 shown]
	s_waitcnt lgkmcnt(0)
	v_fma_f64 v[28:29], v[18:19], v[30:31], v[28:29]
	s_and_saveexec_b64 s[2:3], s[0:1]
	s_cbranch_execz .LBB76_50
; %bb.49:
	ds_read_b64 v[18:19], v32 offset:56
	s_waitcnt lgkmcnt(0)
	v_fma_f64 v[28:29], v[16:17], v[18:19], v[28:29]
.LBB76_50:
	s_or_b64 exec, exec, s[2:3]
.LBB76_51:
	s_or_b64 exec, exec, s[26:27]
.LBB76_52:
	s_or_b64 exec, exec, s[46:47]
.LBB76_53:
	s_or_b64 exec, exec, s[28:29]
.LBB76_54:
	s_or_b64 exec, exec, s[44:45]
.LBB76_55:
	s_or_b64 exec, exec, s[30:31]
.LBB76_56:
	s_or_b64 exec, exec, s[42:43]
	v_mov_b32_e32 v18, 0
	ds_read_b64 v[18:19], v18 offset:64
	s_waitcnt lgkmcnt(0)
	v_mul_f64 v[18:19], v[28:29], v[18:19]
.LBB76_57:
	s_or_b64 exec, exec, s[36:37]
	v_cmp_gt_u32_e32 vcc, 9, v0
	; wave barrier
	ds_write_b64 v32, v[20:21]
	s_waitcnt lgkmcnt(0)
	; wave barrier
	s_and_saveexec_b64 s[2:3], vcc
	s_cbranch_execz .LBB76_61
; %bb.58:
	v_mov_b32_e32 v28, 0x70
	v_lshl_add_u32 v33, v0, 3, v28
	v_mov_b32_e32 v28, 0
	v_mov_b32_e32 v31, v1
	;; [unrolled: 1-line block ×3, first 2 shown]
	s_mov_b64 s[4:5], 0
	v_mov_b32_e32 v30, v0
.LBB76_59:                              ; =>This Inner Loop Header: Depth=1
	v_cmp_eq_u32_e32 vcc, 1, v30
	v_cndmask_b32_e32 v36, v3, v5, vcc
	v_cmp_eq_u32_e64 s[0:1], 2, v30
	v_cndmask_b32_e64 v36, v36, v7, s[0:1]
	v_cndmask_b32_e32 v37, v2, v4, vcc
	v_cmp_eq_u32_e32 vcc, 3, v30
	v_cndmask_b32_e32 v36, v36, v9, vcc
	v_cndmask_b32_e64 v37, v37, v6, s[0:1]
	v_cmp_eq_u32_e64 s[0:1], 4, v30
	v_cndmask_b32_e64 v36, v36, v11, s[0:1]
	v_cndmask_b32_e32 v37, v37, v8, vcc
	v_cmp_eq_u32_e32 vcc, 5, v30
	v_cndmask_b32_e32 v36, v36, v13, vcc
	v_cndmask_b32_e64 v37, v37, v10, s[0:1]
	;; [unrolled: 6-line block ×3, first 2 shown]
	v_cmp_eq_u32_e64 s[0:1], 8, v30
	v_cndmask_b32_e64 v36, v36, v19, s[0:1]
	v_cndmask_b32_e32 v37, v37, v16, vcc
	v_cmp_eq_u32_e32 vcc, 9, v30
	ds_read_b64 v[34:35], v33
	v_cndmask_b32_e32 v36, v36, v21, vcc
	v_cndmask_b32_e64 v37, v37, v18, s[0:1]
	v_cmp_eq_u32_e64 s[0:1], 10, v30
	v_cndmask_b32_e64 v36, v36, v23, s[0:1]
	v_cndmask_b32_e32 v37, v37, v20, vcc
	v_cmp_eq_u32_e32 vcc, 11, v30
	v_cndmask_b32_e32 v36, v36, v25, vcc
	v_cndmask_b32_e64 v38, v37, v22, s[0:1]
	v_cmp_eq_u32_e64 s[0:1], 12, v30
	v_cndmask_b32_e64 v37, v36, v27, s[0:1]
	v_cndmask_b32_e32 v36, v38, v24, vcc
	v_cndmask_b32_e64 v36, v36, v26, s[0:1]
	s_waitcnt lgkmcnt(0)
	v_fma_f64 v[28:29], v[36:37], v[34:35], v[28:29]
	v_add_co_u32_e32 v30, vcc, 1, v30
	v_addc_co_u32_e32 v31, vcc, 0, v31, vcc
	v_add_u32_e32 v34, -1, v30
	v_cmp_lt_u32_e32 vcc, 7, v34
	s_or_b64 s[4:5], vcc, s[4:5]
	v_add_u32_e32 v33, 8, v33
	s_andn2_b64 exec, exec, s[4:5]
	s_cbranch_execnz .LBB76_59
; %bb.60:
	s_or_b64 exec, exec, s[4:5]
	v_mov_b32_e32 v20, 0
	ds_read_b64 v[20:21], v20 offset:72
	s_waitcnt lgkmcnt(0)
	v_mul_f64 v[20:21], v[28:29], v[20:21]
.LBB76_61:
	s_or_b64 exec, exec, s[2:3]
	v_cmp_gt_u32_e32 vcc, 10, v0
	; wave barrier
	ds_write_b64 v32, v[22:23]
	s_waitcnt lgkmcnt(0)
	; wave barrier
	s_and_saveexec_b64 s[2:3], vcc
	s_cbranch_execz .LBB76_65
; %bb.62:
	v_mov_b32_e32 v28, 0x70
	v_lshl_add_u32 v33, v0, 3, v28
	v_mov_b32_e32 v28, 0
	v_mov_b32_e32 v31, v1
	v_mov_b32_e32 v29, 0
	s_mov_b64 s[4:5], 0
	v_mov_b32_e32 v30, v0
.LBB76_63:                              ; =>This Inner Loop Header: Depth=1
	v_cmp_eq_u32_e32 vcc, 1, v30
	v_cndmask_b32_e32 v36, v3, v5, vcc
	v_cmp_eq_u32_e64 s[0:1], 2, v30
	v_cndmask_b32_e64 v36, v36, v7, s[0:1]
	v_cndmask_b32_e32 v37, v2, v4, vcc
	v_cmp_eq_u32_e32 vcc, 3, v30
	v_cndmask_b32_e32 v36, v36, v9, vcc
	v_cndmask_b32_e64 v37, v37, v6, s[0:1]
	v_cmp_eq_u32_e64 s[0:1], 4, v30
	v_cndmask_b32_e64 v36, v36, v11, s[0:1]
	v_cndmask_b32_e32 v37, v37, v8, vcc
	v_cmp_eq_u32_e32 vcc, 5, v30
	v_cndmask_b32_e32 v36, v36, v13, vcc
	v_cndmask_b32_e64 v37, v37, v10, s[0:1]
	;; [unrolled: 6-line block ×3, first 2 shown]
	v_cmp_eq_u32_e64 s[0:1], 8, v30
	v_cndmask_b32_e64 v36, v36, v19, s[0:1]
	v_cndmask_b32_e32 v37, v37, v16, vcc
	v_cmp_eq_u32_e32 vcc, 9, v30
	ds_read_b64 v[34:35], v33
	v_cndmask_b32_e32 v36, v36, v21, vcc
	v_cndmask_b32_e64 v37, v37, v18, s[0:1]
	v_cmp_eq_u32_e64 s[0:1], 10, v30
	v_cndmask_b32_e64 v36, v36, v23, s[0:1]
	v_cndmask_b32_e32 v37, v37, v20, vcc
	v_cmp_eq_u32_e32 vcc, 11, v30
	v_cndmask_b32_e32 v36, v36, v25, vcc
	v_cndmask_b32_e64 v38, v37, v22, s[0:1]
	v_cmp_eq_u32_e64 s[0:1], 12, v30
	v_cndmask_b32_e64 v37, v36, v27, s[0:1]
	v_cndmask_b32_e32 v36, v38, v24, vcc
	v_cndmask_b32_e64 v36, v36, v26, s[0:1]
	s_waitcnt lgkmcnt(0)
	v_fma_f64 v[28:29], v[36:37], v[34:35], v[28:29]
	v_add_co_u32_e32 v30, vcc, 1, v30
	v_addc_co_u32_e32 v31, vcc, 0, v31, vcc
	v_add_u32_e32 v34, -1, v30
	v_cmp_lt_u32_e32 vcc, 8, v34
	s_or_b64 s[4:5], vcc, s[4:5]
	v_add_u32_e32 v33, 8, v33
	s_andn2_b64 exec, exec, s[4:5]
	s_cbranch_execnz .LBB76_63
; %bb.64:
	s_or_b64 exec, exec, s[4:5]
	v_mov_b32_e32 v22, 0
	ds_read_b64 v[22:23], v22 offset:80
	s_waitcnt lgkmcnt(0)
	v_mul_f64 v[22:23], v[28:29], v[22:23]
.LBB76_65:
	s_or_b64 exec, exec, s[2:3]
	v_cmp_gt_u32_e32 vcc, 11, v0
	; wave barrier
	ds_write_b64 v32, v[24:25]
	s_waitcnt lgkmcnt(0)
	; wave barrier
	s_and_saveexec_b64 s[2:3], vcc
	s_cbranch_execz .LBB76_69
; %bb.66:
	v_mov_b32_e32 v28, 0x70
	v_lshl_add_u32 v33, v0, 3, v28
	v_mov_b32_e32 v28, 0
	v_mov_b32_e32 v31, v1
	;; [unrolled: 1-line block ×3, first 2 shown]
	s_mov_b64 s[4:5], 0
	v_mov_b32_e32 v30, v0
.LBB76_67:                              ; =>This Inner Loop Header: Depth=1
	v_cmp_eq_u32_e32 vcc, 1, v30
	v_cndmask_b32_e32 v36, v3, v5, vcc
	v_cmp_eq_u32_e64 s[0:1], 2, v30
	v_cndmask_b32_e64 v36, v36, v7, s[0:1]
	v_cndmask_b32_e32 v37, v2, v4, vcc
	v_cmp_eq_u32_e32 vcc, 3, v30
	v_cndmask_b32_e32 v36, v36, v9, vcc
	v_cndmask_b32_e64 v37, v37, v6, s[0:1]
	v_cmp_eq_u32_e64 s[0:1], 4, v30
	v_cndmask_b32_e64 v36, v36, v11, s[0:1]
	v_cndmask_b32_e32 v37, v37, v8, vcc
	v_cmp_eq_u32_e32 vcc, 5, v30
	v_cndmask_b32_e32 v36, v36, v13, vcc
	v_cndmask_b32_e64 v37, v37, v10, s[0:1]
	;; [unrolled: 6-line block ×3, first 2 shown]
	v_cmp_eq_u32_e64 s[0:1], 8, v30
	v_cndmask_b32_e64 v36, v36, v19, s[0:1]
	v_cndmask_b32_e32 v37, v37, v16, vcc
	v_cmp_eq_u32_e32 vcc, 9, v30
	ds_read_b64 v[34:35], v33
	v_cndmask_b32_e32 v36, v36, v21, vcc
	v_cndmask_b32_e64 v37, v37, v18, s[0:1]
	v_cmp_eq_u32_e64 s[0:1], 10, v30
	v_cndmask_b32_e64 v36, v36, v23, s[0:1]
	v_cndmask_b32_e32 v37, v37, v20, vcc
	v_cmp_eq_u32_e32 vcc, 11, v30
	v_cndmask_b32_e32 v36, v36, v25, vcc
	v_cndmask_b32_e64 v38, v37, v22, s[0:1]
	v_cmp_eq_u32_e64 s[0:1], 12, v30
	v_cndmask_b32_e64 v37, v36, v27, s[0:1]
	v_cndmask_b32_e32 v36, v38, v24, vcc
	v_cndmask_b32_e64 v36, v36, v26, s[0:1]
	s_waitcnt lgkmcnt(0)
	v_fma_f64 v[28:29], v[36:37], v[34:35], v[28:29]
	v_add_co_u32_e32 v30, vcc, 1, v30
	v_addc_co_u32_e32 v31, vcc, 0, v31, vcc
	v_add_u32_e32 v34, -1, v30
	v_cmp_lt_u32_e32 vcc, 9, v34
	s_or_b64 s[4:5], vcc, s[4:5]
	v_add_u32_e32 v33, 8, v33
	s_andn2_b64 exec, exec, s[4:5]
	s_cbranch_execnz .LBB76_67
; %bb.68:
	s_or_b64 exec, exec, s[4:5]
	v_mov_b32_e32 v24, 0
	ds_read_b64 v[24:25], v24 offset:88
	s_waitcnt lgkmcnt(0)
	v_mul_f64 v[24:25], v[28:29], v[24:25]
.LBB76_69:
	s_or_b64 exec, exec, s[2:3]
	v_cmp_ne_u32_e32 vcc, 12, v0
	; wave barrier
	ds_write_b64 v32, v[26:27]
	s_waitcnt lgkmcnt(0)
	; wave barrier
	s_and_saveexec_b64 s[2:3], vcc
	s_cbranch_execz .LBB76_73
; %bb.70:
	v_mov_b32_e32 v28, 0x70
	v_lshl_add_u32 v32, v0, 3, v28
	v_mov_b32_e32 v28, 0
	v_mov_b32_e32 v31, v1
	;; [unrolled: 1-line block ×3, first 2 shown]
	s_mov_b64 s[4:5], 0
	v_mov_b32_e32 v30, v0
.LBB76_71:                              ; =>This Inner Loop Header: Depth=1
	v_cmp_eq_u32_e32 vcc, 1, v30
	v_cndmask_b32_e32 v1, v3, v5, vcc
	v_cmp_eq_u32_e64 s[0:1], 2, v30
	v_cndmask_b32_e64 v1, v1, v7, s[0:1]
	v_cndmask_b32_e32 v35, v2, v4, vcc
	v_cmp_eq_u32_e32 vcc, 3, v30
	v_cndmask_b32_e32 v1, v1, v9, vcc
	v_cndmask_b32_e64 v35, v35, v6, s[0:1]
	v_cmp_eq_u32_e64 s[0:1], 4, v30
	v_cndmask_b32_e64 v1, v1, v11, s[0:1]
	v_cndmask_b32_e32 v35, v35, v8, vcc
	v_cmp_eq_u32_e32 vcc, 5, v30
	v_cndmask_b32_e32 v1, v1, v13, vcc
	v_cndmask_b32_e64 v35, v35, v10, s[0:1]
	;; [unrolled: 6-line block ×3, first 2 shown]
	v_cmp_eq_u32_e64 s[0:1], 8, v30
	v_cndmask_b32_e64 v1, v1, v19, s[0:1]
	v_cndmask_b32_e32 v35, v35, v16, vcc
	v_cmp_eq_u32_e32 vcc, 9, v30
	ds_read_b64 v[33:34], v32
	v_cndmask_b32_e32 v1, v1, v21, vcc
	v_cndmask_b32_e64 v35, v35, v18, s[0:1]
	v_cmp_eq_u32_e64 s[0:1], 10, v30
	v_cndmask_b32_e64 v1, v1, v23, s[0:1]
	v_cndmask_b32_e32 v35, v35, v20, vcc
	v_cmp_eq_u32_e32 vcc, 11, v30
	v_cndmask_b32_e32 v1, v1, v25, vcc
	v_cndmask_b32_e64 v35, v35, v22, s[0:1]
	v_cmp_eq_u32_e64 s[0:1], 12, v30
	v_cndmask_b32_e64 v36, v1, v27, s[0:1]
	v_cndmask_b32_e32 v1, v35, v24, vcc
	v_cndmask_b32_e64 v35, v1, v26, s[0:1]
	s_waitcnt lgkmcnt(0)
	v_fma_f64 v[28:29], v[35:36], v[33:34], v[28:29]
	v_add_co_u32_e32 v30, vcc, 1, v30
	v_addc_co_u32_e32 v31, vcc, 0, v31, vcc
	v_add_u32_e32 v1, -1, v30
	v_cmp_lt_u32_e32 vcc, 10, v1
	s_or_b64 s[4:5], vcc, s[4:5]
	v_add_u32_e32 v32, 8, v32
	s_andn2_b64 exec, exec, s[4:5]
	s_cbranch_execnz .LBB76_71
; %bb.72:
	s_or_b64 exec, exec, s[4:5]
	v_mov_b32_e32 v1, 0
	ds_read_b64 v[26:27], v1 offset:96
	s_waitcnt lgkmcnt(0)
	v_mul_f64 v[26:27], v[28:29], v[26:27]
.LBB76_73:
	s_or_b64 exec, exec, s[2:3]
	; wave barrier
	s_cbranch_execnz .LBB76_15
	s_branch .LBB76_16
.LBB76_74:
	v_mov_b32_e32 v1, 0x70
	v_lshl_add_u32 v1, v0, 3, v1
	v_cmp_eq_u32_e32 vcc, 12, v0
	s_and_saveexec_b64 s[0:1], vcc
	s_cbranch_execz .LBB76_76
; %bb.75:
	v_mov_b32_e32 v50, 0
	s_waitcnt lgkmcnt(0)
	v_mov_b32_e32 v28, v2
	v_mov_b32_e32 v29, v3
	;; [unrolled: 1-line block ×25, first 2 shown]
	ds_write_b64 v1, v[24:25]
	v_mov_b32_e32 v2, v28
	v_mov_b32_e32 v3, v29
	;; [unrolled: 1-line block ×32, first 2 shown]
.LBB76_76:
	s_or_b64 exec, exec, s[0:1]
	v_mov_b32_e32 v48, 0
	s_waitcnt lgkmcnt(0)
	; wave barrier
	ds_read_b64 v[28:29], v48 offset:208
	v_cmp_lt_u32_e32 vcc, 10, v0
	s_waitcnt lgkmcnt(0)
	v_fma_f64 v[28:29], v[26:27], v[28:29], 0
	v_add_f64 v[24:25], v[24:25], -v[28:29]
	s_and_saveexec_b64 s[0:1], vcc
	s_cbranch_execz .LBB76_78
; %bb.77:
	v_mov_b32_e32 v28, v2
	v_mov_b32_e32 v29, v3
	v_mov_b32_e32 v30, v4
	v_mov_b32_e32 v31, v5
	v_mov_b32_e32 v32, v6
	v_mov_b32_e32 v33, v7
	v_mov_b32_e32 v34, v8
	v_mov_b32_e32 v35, v9
	v_mov_b32_e32 v36, v10
	v_mov_b32_e32 v37, v11
	v_mov_b32_e32 v38, v12
	v_mov_b32_e32 v39, v13
	v_mov_b32_e32 v40, v14
	v_mov_b32_e32 v41, v15
	v_mov_b32_e32 v42, v16
	v_mov_b32_e32 v43, v17
	v_mov_b32_e32 v44, v18
	v_mov_b32_e32 v45, v19
	v_mov_b32_e32 v46, v20
	v_mov_b32_e32 v47, v21
	v_mov_b32_e32 v49, v48
	v_mov_b32_e32 v50, v24
	v_mov_b32_e32 v51, v25
	v_mov_b32_e32 v52, v26
	v_mov_b32_e32 v53, v27
	ds_write_b64 v1, v[22:23]
	v_mov_b32_e32 v2, v28
	v_mov_b32_e32 v3, v29
	;; [unrolled: 1-line block ×32, first 2 shown]
.LBB76_78:
	s_or_b64 exec, exec, s[0:1]
	s_waitcnt lgkmcnt(0)
	; wave barrier
	ds_read2_b64 v[28:31], v48 offset0:25 offset1:26
	v_cmp_lt_u32_e32 vcc, 9, v0
	s_waitcnt lgkmcnt(0)
	v_fma_f64 v[28:29], v[24:25], v[28:29], 0
	v_fma_f64 v[28:29], v[26:27], v[30:31], v[28:29]
	v_add_f64 v[22:23], v[22:23], -v[28:29]
	s_and_saveexec_b64 s[0:1], vcc
	s_cbranch_execz .LBB76_80
; %bb.79:
	v_mov_b32_e32 v46, 0
	v_mov_b32_e32 v28, v2
	;; [unrolled: 1-line block ×26, first 2 shown]
	ds_write_b64 v1, v[20:21]
	v_mov_b32_e32 v2, v28
	v_mov_b32_e32 v3, v29
	;; [unrolled: 1-line block ×32, first 2 shown]
.LBB76_80:
	s_or_b64 exec, exec, s[0:1]
	v_mov_b32_e32 v44, 0
	s_waitcnt lgkmcnt(0)
	; wave barrier
	ds_read_b128 v[28:31], v44 offset:192
	ds_read_b64 v[32:33], v44 offset:208
	v_cmp_lt_u32_e32 vcc, 8, v0
	s_waitcnt lgkmcnt(1)
	v_fma_f64 v[28:29], v[22:23], v[28:29], 0
	v_fma_f64 v[28:29], v[24:25], v[30:31], v[28:29]
	s_waitcnt lgkmcnt(0)
	v_fma_f64 v[28:29], v[26:27], v[32:33], v[28:29]
	v_add_f64 v[20:21], v[20:21], -v[28:29]
	s_and_saveexec_b64 s[0:1], vcc
	s_cbranch_execz .LBB76_82
; %bb.81:
	v_mov_b32_e32 v28, v2
	v_mov_b32_e32 v29, v3
	;; [unrolled: 1-line block ×25, first 2 shown]
	ds_write_b64 v1, v[18:19]
	v_mov_b32_e32 v2, v28
	v_mov_b32_e32 v3, v29
	;; [unrolled: 1-line block ×32, first 2 shown]
.LBB76_82:
	s_or_b64 exec, exec, s[0:1]
	s_waitcnt lgkmcnt(0)
	; wave barrier
	ds_read2_b64 v[28:31], v44 offset0:23 offset1:24
	ds_read2_b64 v[32:35], v44 offset0:25 offset1:26
	v_cmp_lt_u32_e32 vcc, 7, v0
	s_waitcnt lgkmcnt(1)
	v_fma_f64 v[28:29], v[20:21], v[28:29], 0
	v_fma_f64 v[28:29], v[22:23], v[30:31], v[28:29]
	s_waitcnt lgkmcnt(0)
	v_fma_f64 v[28:29], v[24:25], v[32:33], v[28:29]
	v_fma_f64 v[28:29], v[26:27], v[34:35], v[28:29]
	v_add_f64 v[18:19], v[18:19], -v[28:29]
	s_and_saveexec_b64 s[0:1], vcc
	s_cbranch_execz .LBB76_84
; %bb.83:
	v_mov_b32_e32 v42, 0
	v_mov_b32_e32 v28, v2
	;; [unrolled: 1-line block ×26, first 2 shown]
	ds_write_b64 v1, v[16:17]
	v_mov_b32_e32 v2, v28
	v_mov_b32_e32 v3, v29
	;; [unrolled: 1-line block ×32, first 2 shown]
.LBB76_84:
	s_or_b64 exec, exec, s[0:1]
	v_mov_b32_e32 v40, 0
	s_waitcnt lgkmcnt(0)
	; wave barrier
	ds_read_b128 v[28:31], v40 offset:176
	ds_read_b128 v[32:35], v40 offset:192
	v_cmp_lt_u32_e32 vcc, 6, v0
	s_waitcnt lgkmcnt(1)
	v_fma_f64 v[28:29], v[18:19], v[28:29], 0
	v_fma_f64 v[28:29], v[20:21], v[30:31], v[28:29]
	ds_read_b64 v[30:31], v40 offset:208
	s_waitcnt lgkmcnt(1)
	v_fma_f64 v[28:29], v[22:23], v[32:33], v[28:29]
	v_fma_f64 v[28:29], v[24:25], v[34:35], v[28:29]
	s_waitcnt lgkmcnt(0)
	v_fma_f64 v[28:29], v[26:27], v[30:31], v[28:29]
	v_add_f64 v[16:17], v[16:17], -v[28:29]
	s_and_saveexec_b64 s[0:1], vcc
	s_cbranch_execz .LBB76_86
; %bb.85:
	v_mov_b32_e32 v28, v2
	v_mov_b32_e32 v29, v3
	;; [unrolled: 1-line block ×25, first 2 shown]
	ds_write_b64 v1, v[14:15]
	v_mov_b32_e32 v2, v28
	v_mov_b32_e32 v3, v29
	;; [unrolled: 1-line block ×32, first 2 shown]
.LBB76_86:
	s_or_b64 exec, exec, s[0:1]
	s_waitcnt lgkmcnt(0)
	; wave barrier
	ds_read2_b64 v[28:31], v40 offset0:21 offset1:22
	ds_read2_b64 v[32:35], v40 offset0:23 offset1:24
	v_cmp_lt_u32_e32 vcc, 5, v0
	s_waitcnt lgkmcnt(1)
	v_fma_f64 v[28:29], v[16:17], v[28:29], 0
	v_fma_f64 v[28:29], v[18:19], v[30:31], v[28:29]
	s_waitcnt lgkmcnt(0)
	v_fma_f64 v[28:29], v[20:21], v[32:33], v[28:29]
	v_fma_f64 v[32:33], v[22:23], v[34:35], v[28:29]
	ds_read2_b64 v[28:31], v40 offset0:25 offset1:26
	s_waitcnt lgkmcnt(0)
	v_fma_f64 v[28:29], v[24:25], v[28:29], v[32:33]
	v_fma_f64 v[28:29], v[26:27], v[30:31], v[28:29]
	v_add_f64 v[14:15], v[14:15], -v[28:29]
	s_and_saveexec_b64 s[0:1], vcc
	s_cbranch_execz .LBB76_88
; %bb.87:
	v_mov_b32_e32 v38, 0
	v_mov_b32_e32 v28, v2
	;; [unrolled: 1-line block ×26, first 2 shown]
	ds_write_b64 v1, v[12:13]
	v_mov_b32_e32 v2, v28
	v_mov_b32_e32 v3, v29
	;; [unrolled: 1-line block ×32, first 2 shown]
.LBB76_88:
	s_or_b64 exec, exec, s[0:1]
	v_mov_b32_e32 v36, 0
	s_waitcnt lgkmcnt(0)
	; wave barrier
	ds_read_b128 v[28:31], v36 offset:160
	ds_read_b128 v[32:35], v36 offset:176
	v_cmp_lt_u32_e32 vcc, 4, v0
	s_waitcnt lgkmcnt(1)
	v_fma_f64 v[28:29], v[14:15], v[28:29], 0
	v_fma_f64 v[28:29], v[16:17], v[30:31], v[28:29]
	s_waitcnt lgkmcnt(0)
	v_fma_f64 v[28:29], v[18:19], v[32:33], v[28:29]
	v_fma_f64 v[32:33], v[20:21], v[34:35], v[28:29]
	ds_read_b128 v[28:31], v36 offset:192
	ds_read_b64 v[34:35], v36 offset:208
	s_waitcnt lgkmcnt(1)
	v_fma_f64 v[28:29], v[22:23], v[28:29], v[32:33]
	v_fma_f64 v[28:29], v[24:25], v[30:31], v[28:29]
	s_waitcnt lgkmcnt(0)
	v_fma_f64 v[28:29], v[26:27], v[34:35], v[28:29]
	v_add_f64 v[12:13], v[12:13], -v[28:29]
	s_and_saveexec_b64 s[0:1], vcc
	s_cbranch_execz .LBB76_90
; %bb.89:
	v_mov_b32_e32 v28, v2
	v_mov_b32_e32 v29, v3
	;; [unrolled: 1-line block ×25, first 2 shown]
	ds_write_b64 v1, v[10:11]
	v_mov_b32_e32 v2, v28
	v_mov_b32_e32 v3, v29
	;; [unrolled: 1-line block ×32, first 2 shown]
.LBB76_90:
	s_or_b64 exec, exec, s[0:1]
	s_waitcnt lgkmcnt(0)
	; wave barrier
	ds_read2_b64 v[28:31], v36 offset0:19 offset1:20
	ds_read2_b64 v[32:35], v36 offset0:21 offset1:22
	v_cmp_lt_u32_e32 vcc, 3, v0
	s_waitcnt lgkmcnt(1)
	v_fma_f64 v[28:29], v[12:13], v[28:29], 0
	v_fma_f64 v[28:29], v[14:15], v[30:31], v[28:29]
	s_waitcnt lgkmcnt(0)
	v_fma_f64 v[28:29], v[16:17], v[32:33], v[28:29]
	v_fma_f64 v[37:38], v[18:19], v[34:35], v[28:29]
	ds_read2_b64 v[28:31], v36 offset0:23 offset1:24
	ds_read2_b64 v[32:35], v36 offset0:25 offset1:26
	s_waitcnt lgkmcnt(1)
	v_fma_f64 v[28:29], v[20:21], v[28:29], v[37:38]
	v_fma_f64 v[28:29], v[22:23], v[30:31], v[28:29]
	s_waitcnt lgkmcnt(0)
	v_fma_f64 v[28:29], v[24:25], v[32:33], v[28:29]
	v_fma_f64 v[28:29], v[26:27], v[34:35], v[28:29]
	v_add_f64 v[10:11], v[10:11], -v[28:29]
	s_and_saveexec_b64 s[0:1], vcc
	s_cbranch_execz .LBB76_92
; %bb.91:
	v_mov_b32_e32 v34, 0
	v_mov_b32_e32 v28, v2
	;; [unrolled: 1-line block ×26, first 2 shown]
	ds_write_b64 v1, v[8:9]
	v_mov_b32_e32 v2, v28
	v_mov_b32_e32 v3, v29
	v_mov_b32_e32 v4, v30
	v_mov_b32_e32 v5, v31
	v_mov_b32_e32 v6, v32
	v_mov_b32_e32 v7, v33
	v_mov_b32_e32 v8, v34
	v_mov_b32_e32 v9, v35
	v_mov_b32_e32 v10, v36
	v_mov_b32_e32 v11, v37
	v_mov_b32_e32 v12, v38
	v_mov_b32_e32 v13, v39
	v_mov_b32_e32 v14, v40
	v_mov_b32_e32 v15, v41
	v_mov_b32_e32 v16, v42
	v_mov_b32_e32 v17, v43
	v_mov_b32_e32 v18, v44
	v_mov_b32_e32 v19, v45
	v_mov_b32_e32 v20, v46
	v_mov_b32_e32 v21, v47
	v_mov_b32_e32 v22, v48
	v_mov_b32_e32 v23, v49
	v_mov_b32_e32 v24, v50
	v_mov_b32_e32 v25, v51
	v_mov_b32_e32 v26, v52
	v_mov_b32_e32 v27, v53
	v_mov_b32_e32 v28, v54
	v_mov_b32_e32 v29, v55
	v_mov_b32_e32 v30, v56
	v_mov_b32_e32 v31, v57
	v_mov_b32_e32 v32, v58
	v_mov_b32_e32 v33, v59
.LBB76_92:
	s_or_b64 exec, exec, s[0:1]
	v_mov_b32_e32 v34, 0
	s_waitcnt lgkmcnt(0)
	; wave barrier
	ds_read_b128 v[28:31], v34 offset:144
	ds_read_b128 v[35:38], v34 offset:160
	v_cmp_lt_u32_e32 vcc, 2, v0
	s_waitcnt lgkmcnt(1)
	v_fma_f64 v[28:29], v[10:11], v[28:29], 0
	v_fma_f64 v[28:29], v[12:13], v[30:31], v[28:29]
	s_waitcnt lgkmcnt(0)
	v_fma_f64 v[28:29], v[14:15], v[35:36], v[28:29]
	v_fma_f64 v[32:33], v[16:17], v[37:38], v[28:29]
	ds_read_b128 v[28:31], v34 offset:176
	ds_read_b128 v[35:38], v34 offset:192
	s_waitcnt lgkmcnt(1)
	v_fma_f64 v[28:29], v[18:19], v[28:29], v[32:33]
	v_fma_f64 v[28:29], v[20:21], v[30:31], v[28:29]
	ds_read_b64 v[30:31], v34 offset:208
	s_waitcnt lgkmcnt(1)
	v_fma_f64 v[28:29], v[22:23], v[35:36], v[28:29]
	v_fma_f64 v[28:29], v[24:25], v[37:38], v[28:29]
	s_waitcnt lgkmcnt(0)
	v_fma_f64 v[28:29], v[26:27], v[30:31], v[28:29]
	v_add_f64 v[8:9], v[8:9], -v[28:29]
	s_and_saveexec_b64 s[0:1], vcc
	s_cbranch_execz .LBB76_94
; %bb.93:
	v_mov_b32_e32 v30, v2
	v_mov_b32_e32 v31, v3
	;; [unrolled: 1-line block ×59, first 2 shown]
	ds_write_b64 v1, v[56:57]
.LBB76_94:
	s_or_b64 exec, exec, s[0:1]
	s_waitcnt lgkmcnt(0)
	; wave barrier
	ds_read2_b64 v[28:31], v34 offset0:17 offset1:18
	ds_read2_b64 v[35:38], v34 offset0:19 offset1:20
	v_cmp_lt_u32_e32 vcc, 1, v0
	s_waitcnt lgkmcnt(1)
	v_fma_f64 v[28:29], v[8:9], v[28:29], 0
	v_fma_f64 v[28:29], v[10:11], v[30:31], v[28:29]
	s_waitcnt lgkmcnt(0)
	v_fma_f64 v[28:29], v[12:13], v[35:36], v[28:29]
	v_fma_f64 v[32:33], v[14:15], v[37:38], v[28:29]
	ds_read2_b64 v[28:31], v34 offset0:21 offset1:22
	ds_read2_b64 v[35:38], v34 offset0:23 offset1:24
	s_waitcnt lgkmcnt(1)
	v_fma_f64 v[28:29], v[16:17], v[28:29], v[32:33]
	v_fma_f64 v[28:29], v[18:19], v[30:31], v[28:29]
	s_waitcnt lgkmcnt(0)
	v_fma_f64 v[28:29], v[20:21], v[35:36], v[28:29]
	v_fma_f64 v[32:33], v[22:23], v[37:38], v[28:29]
	ds_read2_b64 v[28:31], v34 offset0:25 offset1:26
	s_waitcnt lgkmcnt(0)
	v_fma_f64 v[28:29], v[24:25], v[28:29], v[32:33]
	v_fma_f64 v[28:29], v[26:27], v[30:31], v[28:29]
	v_add_f64 v[6:7], v[6:7], -v[28:29]
	s_and_saveexec_b64 s[0:1], vcc
	s_cbranch_execz .LBB76_96
; %bb.95:
	v_mov_b32_e32 v30, 0
	v_mov_b32_e32 v28, v2
	;; [unrolled: 1-line block ×60, first 2 shown]
	ds_write_b64 v1, v[54:55]
.LBB76_96:
	s_or_b64 exec, exec, s[0:1]
	v_mov_b32_e32 v34, 0
	s_waitcnt lgkmcnt(0)
	; wave barrier
	ds_read_b128 v[28:31], v34 offset:128
	ds_read_b128 v[35:38], v34 offset:144
	v_cmp_ne_u32_e32 vcc, 0, v0
	s_waitcnt lgkmcnt(1)
	v_fma_f64 v[28:29], v[6:7], v[28:29], 0
	v_fma_f64 v[28:29], v[8:9], v[30:31], v[28:29]
	s_waitcnt lgkmcnt(0)
	v_fma_f64 v[28:29], v[10:11], v[35:36], v[28:29]
	v_fma_f64 v[32:33], v[12:13], v[37:38], v[28:29]
	ds_read_b128 v[28:31], v34 offset:160
	ds_read_b128 v[35:38], v34 offset:176
	s_waitcnt lgkmcnt(1)
	v_fma_f64 v[28:29], v[14:15], v[28:29], v[32:33]
	v_fma_f64 v[28:29], v[16:17], v[30:31], v[28:29]
	s_waitcnt lgkmcnt(0)
	v_fma_f64 v[28:29], v[18:19], v[35:36], v[28:29]
	v_fma_f64 v[32:33], v[20:21], v[37:38], v[28:29]
	ds_read_b128 v[28:31], v34 offset:192
	ds_read_b64 v[35:36], v34 offset:208
	s_waitcnt lgkmcnt(1)
	v_fma_f64 v[28:29], v[22:23], v[28:29], v[32:33]
	v_fma_f64 v[28:29], v[24:25], v[30:31], v[28:29]
	s_waitcnt lgkmcnt(0)
	v_fma_f64 v[28:29], v[26:27], v[35:36], v[28:29]
	v_add_f64 v[4:5], v[4:5], -v[28:29]
	s_and_saveexec_b64 s[0:1], vcc
	s_cbranch_execz .LBB76_98
; %bb.97:
	v_mov_b32_e32 v35, v34
	v_mov_b32_e32 v36, v4
	;; [unrolled: 1-line block ×59, first 2 shown]
	ds_write_b64 v1, v[86:87]
.LBB76_98:
	s_or_b64 exec, exec, s[0:1]
	s_waitcnt lgkmcnt(0)
	; wave barrier
	ds_read2_b64 v[28:31], v34 offset0:15 offset1:16
	ds_read2_b64 v[35:38], v34 offset0:17 offset1:18
	s_and_b64 vcc, exec, s[40:41]
	s_waitcnt lgkmcnt(1)
	v_fma_f64 v[0:1], v[4:5], v[28:29], 0
	v_fma_f64 v[0:1], v[6:7], v[30:31], v[0:1]
	s_waitcnt lgkmcnt(0)
	v_fma_f64 v[0:1], v[8:9], v[35:36], v[0:1]
	v_fma_f64 v[0:1], v[10:11], v[37:38], v[0:1]
	ds_read2_b64 v[28:31], v34 offset0:19 offset1:20
	ds_read2_b64 v[35:38], v34 offset0:21 offset1:22
	s_waitcnt lgkmcnt(1)
	v_fma_f64 v[0:1], v[12:13], v[28:29], v[0:1]
	v_fma_f64 v[0:1], v[14:15], v[30:31], v[0:1]
	s_waitcnt lgkmcnt(0)
	v_fma_f64 v[0:1], v[16:17], v[35:36], v[0:1]
	ds_read2_b64 v[28:31], v34 offset0:23 offset1:24
	ds_read2_b64 v[32:35], v34 offset0:25 offset1:26
	v_fma_f64 v[0:1], v[18:19], v[37:38], v[0:1]
	s_waitcnt lgkmcnt(1)
	v_fma_f64 v[0:1], v[20:21], v[28:29], v[0:1]
	v_fma_f64 v[0:1], v[22:23], v[30:31], v[0:1]
	s_waitcnt lgkmcnt(0)
	v_fma_f64 v[0:1], v[24:25], v[32:33], v[0:1]
	v_fma_f64 v[0:1], v[26:27], v[34:35], v[0:1]
	v_add_f64 v[2:3], v[2:3], -v[0:1]
	s_cbranch_vccz .LBB76_123
; %bb.99:
	v_mov_b32_e32 v0, 0
	global_load_dword v1, v0, s[34:35] offset:44
	s_waitcnt vmcnt(0)
	v_readfirstlane_b32 s0, v1
	s_add_i32 s0, s0, -1
	s_cmp_lg_u32 s0, 11
	s_cbranch_scc0 .LBB76_101
; %bb.100:
	s_lshl_b32 s0, s0, 1
	s_set_gpr_idx_on s0, gpr_idx(SRC0)
	v_mov_b32_e32 v1, v3
	v_mov_b32_e32 v58, v2
	s_set_gpr_idx_off
	v_mov_b32_e32 v57, v33
	v_mov_b32_e32 v49, v25
	;; [unrolled: 1-line block ×34, first 2 shown]
	s_set_gpr_idx_on s0, gpr_idx(DST)
	v_mov_b32_e32 v26, v24
	v_mov_b32_e32 v27, v25
	s_set_gpr_idx_off
	v_mov_b32_e32 v2, v26
	v_mov_b32_e32 v3, v27
	v_mov_b32_e32 v4, v28
	v_mov_b32_e32 v5, v29
	v_mov_b32_e32 v6, v30
	v_mov_b32_e32 v7, v31
	v_mov_b32_e32 v8, v32
	v_mov_b32_e32 v9, v33
	v_mov_b32_e32 v10, v34
	v_mov_b32_e32 v11, v35
	v_mov_b32_e32 v12, v36
	v_mov_b32_e32 v13, v37
	v_mov_b32_e32 v14, v38
	v_mov_b32_e32 v15, v39
	v_mov_b32_e32 v16, v40
	v_mov_b32_e32 v17, v41
	v_mov_b32_e32 v18, v42
	v_mov_b32_e32 v19, v43
	v_mov_b32_e32 v20, v44
	v_mov_b32_e32 v21, v45
	v_mov_b32_e32 v22, v46
	v_mov_b32_e32 v23, v47
	v_mov_b32_e32 v24, v48
	v_mov_b32_e32 v25, v49
	v_mov_b32_e32 v26, v50
	v_mov_b32_e32 v27, v51
	v_mov_b32_e32 v28, v52
	v_mov_b32_e32 v29, v53
	v_mov_b32_e32 v30, v54
	v_mov_b32_e32 v31, v55
	v_mov_b32_e32 v32, v56
	v_mov_b32_e32 v33, v57
.LBB76_101:
	global_load_dword v0, v0, s[34:35] offset:40
	s_waitcnt vmcnt(0)
	v_readfirstlane_b32 s0, v0
	s_add_i32 s0, s0, -1
	s_cmp_eq_u32 s0, 10
	s_cbranch_scc1 .LBB76_103
; %bb.102:
	s_lshl_b32 s0, s0, 1
	s_set_gpr_idx_on s0, gpr_idx(SRC0)
	v_mov_b32_e32 v0, v3
	v_mov_b32_e32 v1, v2
	s_set_gpr_idx_off
	v_mov_b32_e32 v55, v33
	v_mov_b32_e32 v45, v23
	v_mov_b32_e32 v44, v22
	v_mov_b32_e32 v54, v32
	v_mov_b32_e32 v53, v31
	v_mov_b32_e32 v52, v30
	v_mov_b32_e32 v51, v29
	v_mov_b32_e32 v50, v28
	v_mov_b32_e32 v49, v27
	v_mov_b32_e32 v48, v26
	v_mov_b32_e32 v47, v25
	v_mov_b32_e32 v46, v24
	v_mov_b32_e32 v43, v21
	v_mov_b32_e32 v42, v20
	v_mov_b32_e32 v41, v19
	v_mov_b32_e32 v40, v18
	v_mov_b32_e32 v39, v17
	v_mov_b32_e32 v38, v16
	v_mov_b32_e32 v37, v15
	v_mov_b32_e32 v36, v14
	v_mov_b32_e32 v35, v13
	v_mov_b32_e32 v34, v12
	v_mov_b32_e32 v33, v11
	v_mov_b32_e32 v32, v10
	v_mov_b32_e32 v31, v9
	v_mov_b32_e32 v30, v8
	v_mov_b32_e32 v29, v7
	v_mov_b32_e32 v28, v6
	v_mov_b32_e32 v27, v5
	v_mov_b32_e32 v26, v4
	v_mov_b32_e32 v25, v3
	v_mov_b32_e32 v24, v2
	v_mov_b32_e32 v44, v1
	v_mov_b32_e32 v45, v0
	s_set_gpr_idx_on s0, gpr_idx(DST)
	v_mov_b32_e32 v24, v22
	v_mov_b32_e32 v25, v23
	s_set_gpr_idx_off
	v_mov_b32_e32 v2, v24
	v_mov_b32_e32 v3, v25
	;; [unrolled: 1-line block ×32, first 2 shown]
.LBB76_103:
	v_mov_b32_e32 v0, 0
	global_load_dword v1, v0, s[34:35] offset:36
	s_waitcnt vmcnt(0)
	v_readfirstlane_b32 s0, v1
	s_add_i32 s0, s0, -1
	s_cmp_eq_u32 s0, 9
	s_cbranch_scc1 .LBB76_105
; %bb.104:
	s_lshl_b32 s0, s0, 1
	s_set_gpr_idx_on s0, gpr_idx(SRC0)
	v_mov_b32_e32 v1, v3
	v_mov_b32_e32 v54, v2
	s_set_gpr_idx_off
	v_mov_b32_e32 v53, v33
	v_mov_b32_e32 v41, v21
	;; [unrolled: 1-line block ×34, first 2 shown]
	s_set_gpr_idx_on s0, gpr_idx(DST)
	v_mov_b32_e32 v22, v20
	v_mov_b32_e32 v23, v21
	s_set_gpr_idx_off
	v_mov_b32_e32 v2, v22
	v_mov_b32_e32 v3, v23
	;; [unrolled: 1-line block ×32, first 2 shown]
.LBB76_105:
	global_load_dword v0, v0, s[34:35] offset:32
	s_waitcnt vmcnt(0)
	v_readfirstlane_b32 s0, v0
	s_add_i32 s0, s0, -1
	s_cmp_eq_u32 s0, 8
	s_cbranch_scc1 .LBB76_107
; %bb.106:
	s_lshl_b32 s0, s0, 1
	s_set_gpr_idx_on s0, gpr_idx(SRC0)
	v_mov_b32_e32 v0, v3
	v_mov_b32_e32 v1, v2
	s_set_gpr_idx_off
	v_mov_b32_e32 v51, v33
	v_mov_b32_e32 v37, v19
	;; [unrolled: 1-line block ×34, first 2 shown]
	s_set_gpr_idx_on s0, gpr_idx(DST)
	v_mov_b32_e32 v20, v18
	v_mov_b32_e32 v21, v19
	s_set_gpr_idx_off
	v_mov_b32_e32 v2, v20
	v_mov_b32_e32 v3, v21
	;; [unrolled: 1-line block ×32, first 2 shown]
.LBB76_107:
	v_mov_b32_e32 v0, 0
	global_load_dword v1, v0, s[34:35] offset:28
	s_waitcnt vmcnt(0)
	v_readfirstlane_b32 s0, v1
	s_add_i32 s0, s0, -1
	s_cmp_eq_u32 s0, 7
	s_cbranch_scc1 .LBB76_109
; %bb.108:
	s_lshl_b32 s0, s0, 1
	s_set_gpr_idx_on s0, gpr_idx(SRC0)
	v_mov_b32_e32 v1, v3
	v_mov_b32_e32 v50, v2
	s_set_gpr_idx_off
	v_mov_b32_e32 v49, v33
	v_mov_b32_e32 v48, v32
	;; [unrolled: 1-line block ×34, first 2 shown]
	s_set_gpr_idx_on s0, gpr_idx(DST)
	v_mov_b32_e32 v18, v16
	v_mov_b32_e32 v19, v17
	s_set_gpr_idx_off
	v_mov_b32_e32 v2, v18
	v_mov_b32_e32 v3, v19
	;; [unrolled: 1-line block ×32, first 2 shown]
.LBB76_109:
	global_load_dword v0, v0, s[34:35] offset:24
	s_waitcnt vmcnt(0)
	v_readfirstlane_b32 s0, v0
	s_add_i32 s0, s0, -1
	s_cmp_eq_u32 s0, 6
	s_cbranch_scc1 .LBB76_111
; %bb.110:
	s_lshl_b32 s0, s0, 1
	s_set_gpr_idx_on s0, gpr_idx(SRC0)
	v_mov_b32_e32 v0, v3
	v_mov_b32_e32 v1, v2
	s_set_gpr_idx_off
	v_mov_b32_e32 v47, v33
	v_mov_b32_e32 v46, v32
	v_mov_b32_e32 v45, v31
	v_mov_b32_e32 v44, v30
	v_mov_b32_e32 v43, v29
	v_mov_b32_e32 v42, v28
	v_mov_b32_e32 v41, v27
	v_mov_b32_e32 v40, v26
	v_mov_b32_e32 v39, v25
	v_mov_b32_e32 v38, v24
	v_mov_b32_e32 v37, v23
	v_mov_b32_e32 v36, v22
	v_mov_b32_e32 v35, v21
	v_mov_b32_e32 v34, v20
	v_mov_b32_e32 v33, v19
	v_mov_b32_e32 v32, v18
	v_mov_b32_e32 v31, v17
	v_mov_b32_e32 v30, v16
	v_mov_b32_e32 v29, v15
	v_mov_b32_e32 v28, v14
	v_mov_b32_e32 v27, v13
	v_mov_b32_e32 v26, v12
	v_mov_b32_e32 v25, v11
	v_mov_b32_e32 v24, v10
	v_mov_b32_e32 v23, v9
	v_mov_b32_e32 v22, v8
	v_mov_b32_e32 v21, v7
	v_mov_b32_e32 v20, v6
	v_mov_b32_e32 v19, v5
	v_mov_b32_e32 v18, v4
	v_mov_b32_e32 v17, v3
	v_mov_b32_e32 v16, v2
	v_mov_b32_e32 v28, v1
	v_mov_b32_e32 v29, v0
	s_set_gpr_idx_on s0, gpr_idx(DST)
	v_mov_b32_e32 v16, v14
	v_mov_b32_e32 v17, v15
	s_set_gpr_idx_off
	v_mov_b32_e32 v2, v16
	v_mov_b32_e32 v3, v17
	;; [unrolled: 1-line block ×32, first 2 shown]
.LBB76_111:
	v_mov_b32_e32 v0, 0
	global_load_dword v1, v0, s[34:35] offset:20
	s_waitcnt vmcnt(0)
	v_readfirstlane_b32 s0, v1
	s_add_i32 s0, s0, -1
	s_cmp_eq_u32 s0, 5
	s_cbranch_scc1 .LBB76_113
; %bb.112:
	s_lshl_b32 s0, s0, 1
	s_set_gpr_idx_on s0, gpr_idx(SRC0)
	v_mov_b32_e32 v1, v3
	v_mov_b32_e32 v46, v2
	s_set_gpr_idx_off
	v_mov_b32_e32 v45, v33
	v_mov_b32_e32 v44, v32
	v_mov_b32_e32 v43, v31
	v_mov_b32_e32 v42, v30
	v_mov_b32_e32 v41, v29
	v_mov_b32_e32 v40, v28
	v_mov_b32_e32 v39, v27
	v_mov_b32_e32 v38, v26
	v_mov_b32_e32 v37, v25
	v_mov_b32_e32 v36, v24
	v_mov_b32_e32 v35, v23
	v_mov_b32_e32 v34, v22
	v_mov_b32_e32 v33, v21
	v_mov_b32_e32 v32, v20
	v_mov_b32_e32 v31, v19
	v_mov_b32_e32 v30, v18
	v_mov_b32_e32 v29, v17
	v_mov_b32_e32 v28, v16
	v_mov_b32_e32 v27, v15
	v_mov_b32_e32 v26, v14
	v_mov_b32_e32 v25, v13
	v_mov_b32_e32 v24, v12
	v_mov_b32_e32 v23, v11
	v_mov_b32_e32 v22, v10
	v_mov_b32_e32 v21, v9
	v_mov_b32_e32 v20, v8
	v_mov_b32_e32 v19, v7
	v_mov_b32_e32 v18, v6
	v_mov_b32_e32 v17, v5
	v_mov_b32_e32 v16, v4
	v_mov_b32_e32 v15, v3
	v_mov_b32_e32 v14, v2
	v_mov_b32_e32 v24, v46
	v_mov_b32_e32 v25, v1
	s_set_gpr_idx_on s0, gpr_idx(DST)
	v_mov_b32_e32 v14, v12
	v_mov_b32_e32 v15, v13
	s_set_gpr_idx_off
	v_mov_b32_e32 v2, v14
	v_mov_b32_e32 v3, v15
	;; [unrolled: 1-line block ×32, first 2 shown]
.LBB76_113:
	global_load_dword v0, v0, s[34:35] offset:16
	s_waitcnt vmcnt(0)
	v_readfirstlane_b32 s0, v0
	s_add_i32 s0, s0, -1
	s_cmp_eq_u32 s0, 4
	s_cbranch_scc1 .LBB76_115
; %bb.114:
	s_lshl_b32 s0, s0, 1
	s_set_gpr_idx_on s0, gpr_idx(SRC0)
	v_mov_b32_e32 v0, v3
	v_mov_b32_e32 v1, v2
	s_set_gpr_idx_off
	v_mov_b32_e32 v43, v33
	v_mov_b32_e32 v42, v32
	;; [unrolled: 1-line block ×34, first 2 shown]
	s_set_gpr_idx_on s0, gpr_idx(DST)
	v_mov_b32_e32 v12, v10
	v_mov_b32_e32 v13, v11
	s_set_gpr_idx_off
	v_mov_b32_e32 v2, v12
	v_mov_b32_e32 v3, v13
	;; [unrolled: 1-line block ×32, first 2 shown]
.LBB76_115:
	v_mov_b32_e32 v0, 0
	global_load_dword v1, v0, s[34:35] offset:12
	s_waitcnt vmcnt(0)
	v_readfirstlane_b32 s0, v1
	s_add_i32 s0, s0, -1
	s_cmp_eq_u32 s0, 3
	s_cbranch_scc1 .LBB76_117
; %bb.116:
	s_lshl_b32 s0, s0, 1
	s_set_gpr_idx_on s0, gpr_idx(SRC0)
	v_mov_b32_e32 v1, v3
	v_mov_b32_e32 v42, v2
	s_set_gpr_idx_off
	v_mov_b32_e32 v41, v33
	v_mov_b32_e32 v40, v32
	;; [unrolled: 1-line block ×34, first 2 shown]
	s_set_gpr_idx_on s0, gpr_idx(DST)
	v_mov_b32_e32 v10, v8
	v_mov_b32_e32 v11, v9
	s_set_gpr_idx_off
	v_mov_b32_e32 v2, v10
	v_mov_b32_e32 v3, v11
	v_mov_b32_e32 v4, v12
	v_mov_b32_e32 v5, v13
	v_mov_b32_e32 v6, v14
	v_mov_b32_e32 v7, v15
	v_mov_b32_e32 v8, v16
	v_mov_b32_e32 v9, v17
	v_mov_b32_e32 v10, v18
	v_mov_b32_e32 v11, v19
	v_mov_b32_e32 v12, v20
	v_mov_b32_e32 v13, v21
	v_mov_b32_e32 v14, v22
	v_mov_b32_e32 v15, v23
	v_mov_b32_e32 v16, v24
	v_mov_b32_e32 v17, v25
	v_mov_b32_e32 v18, v26
	v_mov_b32_e32 v19, v27
	v_mov_b32_e32 v20, v28
	v_mov_b32_e32 v21, v29
	v_mov_b32_e32 v22, v30
	v_mov_b32_e32 v23, v31
	v_mov_b32_e32 v24, v32
	v_mov_b32_e32 v25, v33
	v_mov_b32_e32 v26, v34
	v_mov_b32_e32 v27, v35
	v_mov_b32_e32 v28, v36
	v_mov_b32_e32 v29, v37
	v_mov_b32_e32 v30, v38
	v_mov_b32_e32 v31, v39
	v_mov_b32_e32 v32, v40
	v_mov_b32_e32 v33, v41
.LBB76_117:
	global_load_dword v0, v0, s[34:35] offset:8
	s_waitcnt vmcnt(0)
	v_readfirstlane_b32 s0, v0
	s_add_i32 s0, s0, -1
	s_cmp_eq_u32 s0, 2
	s_cbranch_scc1 .LBB76_119
; %bb.118:
	s_lshl_b32 s0, s0, 1
	s_set_gpr_idx_on s0, gpr_idx(SRC0)
	v_mov_b32_e32 v0, v3
	v_mov_b32_e32 v1, v2
	s_set_gpr_idx_off
	v_mov_b32_e32 v39, v33
	v_mov_b32_e32 v38, v32
	;; [unrolled: 1-line block ×34, first 2 shown]
	s_set_gpr_idx_on s0, gpr_idx(DST)
	v_mov_b32_e32 v8, v6
	v_mov_b32_e32 v9, v7
	s_set_gpr_idx_off
	v_mov_b32_e32 v2, v8
	v_mov_b32_e32 v3, v9
	;; [unrolled: 1-line block ×32, first 2 shown]
.LBB76_119:
	v_mov_b32_e32 v0, 0
	global_load_dword v1, v0, s[34:35] offset:4
	s_waitcnt vmcnt(0)
	v_readfirstlane_b32 s0, v1
	s_add_i32 s0, s0, -1
	s_cmp_eq_u32 s0, 1
	s_cbranch_scc1 .LBB76_121
; %bb.120:
	s_lshl_b32 s0, s0, 1
	s_set_gpr_idx_on s0, gpr_idx(SRC0)
	v_mov_b32_e32 v1, v3
	v_mov_b32_e32 v38, v2
	s_set_gpr_idx_off
	v_mov_b32_e32 v37, v33
	v_mov_b32_e32 v36, v32
	;; [unrolled: 1-line block ×34, first 2 shown]
	s_set_gpr_idx_on s0, gpr_idx(DST)
	v_mov_b32_e32 v6, v4
	v_mov_b32_e32 v7, v5
	s_set_gpr_idx_off
	v_mov_b32_e32 v2, v6
	v_mov_b32_e32 v3, v7
	;; [unrolled: 1-line block ×32, first 2 shown]
.LBB76_121:
	global_load_dword v0, v0, s[34:35]
	s_waitcnt vmcnt(0)
	v_readfirstlane_b32 s0, v0
	s_add_i32 s0, s0, -1
	s_cmp_eq_u32 s0, 0
	s_cbranch_scc1 .LBB76_123
; %bb.122:
	s_lshl_b32 s0, s0, 1
	s_set_gpr_idx_on s0, gpr_idx(SRC0)
	v_mov_b32_e32 v0, v3
	v_mov_b32_e32 v1, v2
	s_set_gpr_idx_off
	v_mov_b32_e32 v35, v33
	v_mov_b32_e32 v34, v32
	;; [unrolled: 1-line block ×34, first 2 shown]
	s_set_gpr_idx_on s0, gpr_idx(DST)
	v_mov_b32_e32 v4, v2
	v_mov_b32_e32 v5, v3
	s_set_gpr_idx_off
	v_mov_b32_e32 v2, v4
	v_mov_b32_e32 v3, v5
	;; [unrolled: 1-line block ×32, first 2 shown]
.LBB76_123:
	v_mov_b32_e32 v0, v2
	v_mov_b32_e32 v1, v3
	flat_store_dwordx2 v[82:83], v[0:1]
	v_mov_b32_e32 v0, v4
	v_mov_b32_e32 v1, v5
	flat_store_dwordx2 v[84:85], v[0:1]
	;; [unrolled: 3-line block ×13, first 2 shown]
	s_endpgm
	.section	.rodata,"a",@progbits
	.p2align	6, 0x0
	.amdhsa_kernel _ZN9rocsolver6v33100L18getri_kernel_smallILi13EdPKPdEEvT1_iilPiilS6_bb
		.amdhsa_group_segment_fixed_size 216
		.amdhsa_private_segment_fixed_size 0
		.amdhsa_kernarg_size 60
		.amdhsa_user_sgpr_count 6
		.amdhsa_user_sgpr_private_segment_buffer 1
		.amdhsa_user_sgpr_dispatch_ptr 0
		.amdhsa_user_sgpr_queue_ptr 0
		.amdhsa_user_sgpr_kernarg_segment_ptr 1
		.amdhsa_user_sgpr_dispatch_id 0
		.amdhsa_user_sgpr_flat_scratch_init 0
		.amdhsa_user_sgpr_private_segment_size 0
		.amdhsa_uses_dynamic_stack 0
		.amdhsa_system_sgpr_private_segment_wavefront_offset 0
		.amdhsa_system_sgpr_workgroup_id_x 1
		.amdhsa_system_sgpr_workgroup_id_y 0
		.amdhsa_system_sgpr_workgroup_id_z 0
		.amdhsa_system_sgpr_workgroup_info 0
		.amdhsa_system_vgpr_workitem_id 0
		.amdhsa_next_free_vgpr 88
		.amdhsa_next_free_sgpr 48
		.amdhsa_reserve_vcc 1
		.amdhsa_reserve_flat_scratch 0
		.amdhsa_float_round_mode_32 0
		.amdhsa_float_round_mode_16_64 0
		.amdhsa_float_denorm_mode_32 3
		.amdhsa_float_denorm_mode_16_64 3
		.amdhsa_dx10_clamp 1
		.amdhsa_ieee_mode 1
		.amdhsa_fp16_overflow 0
		.amdhsa_exception_fp_ieee_invalid_op 0
		.amdhsa_exception_fp_denorm_src 0
		.amdhsa_exception_fp_ieee_div_zero 0
		.amdhsa_exception_fp_ieee_overflow 0
		.amdhsa_exception_fp_ieee_underflow 0
		.amdhsa_exception_fp_ieee_inexact 0
		.amdhsa_exception_int_div_zero 0
	.end_amdhsa_kernel
	.section	.text._ZN9rocsolver6v33100L18getri_kernel_smallILi13EdPKPdEEvT1_iilPiilS6_bb,"axG",@progbits,_ZN9rocsolver6v33100L18getri_kernel_smallILi13EdPKPdEEvT1_iilPiilS6_bb,comdat
.Lfunc_end76:
	.size	_ZN9rocsolver6v33100L18getri_kernel_smallILi13EdPKPdEEvT1_iilPiilS6_bb, .Lfunc_end76-_ZN9rocsolver6v33100L18getri_kernel_smallILi13EdPKPdEEvT1_iilPiilS6_bb
                                        ; -- End function
	.set _ZN9rocsolver6v33100L18getri_kernel_smallILi13EdPKPdEEvT1_iilPiilS6_bb.num_vgpr, 88
	.set _ZN9rocsolver6v33100L18getri_kernel_smallILi13EdPKPdEEvT1_iilPiilS6_bb.num_agpr, 0
	.set _ZN9rocsolver6v33100L18getri_kernel_smallILi13EdPKPdEEvT1_iilPiilS6_bb.numbered_sgpr, 48
	.set _ZN9rocsolver6v33100L18getri_kernel_smallILi13EdPKPdEEvT1_iilPiilS6_bb.num_named_barrier, 0
	.set _ZN9rocsolver6v33100L18getri_kernel_smallILi13EdPKPdEEvT1_iilPiilS6_bb.private_seg_size, 0
	.set _ZN9rocsolver6v33100L18getri_kernel_smallILi13EdPKPdEEvT1_iilPiilS6_bb.uses_vcc, 1
	.set _ZN9rocsolver6v33100L18getri_kernel_smallILi13EdPKPdEEvT1_iilPiilS6_bb.uses_flat_scratch, 0
	.set _ZN9rocsolver6v33100L18getri_kernel_smallILi13EdPKPdEEvT1_iilPiilS6_bb.has_dyn_sized_stack, 0
	.set _ZN9rocsolver6v33100L18getri_kernel_smallILi13EdPKPdEEvT1_iilPiilS6_bb.has_recursion, 0
	.set _ZN9rocsolver6v33100L18getri_kernel_smallILi13EdPKPdEEvT1_iilPiilS6_bb.has_indirect_call, 0
	.section	.AMDGPU.csdata,"",@progbits
; Kernel info:
; codeLenInByte = 16492
; TotalNumSgprs: 52
; NumVgprs: 88
; ScratchSize: 0
; MemoryBound: 0
; FloatMode: 240
; IeeeMode: 1
; LDSByteSize: 216 bytes/workgroup (compile time only)
; SGPRBlocks: 6
; VGPRBlocks: 21
; NumSGPRsForWavesPerEU: 52
; NumVGPRsForWavesPerEU: 88
; Occupancy: 2
; WaveLimiterHint : 1
; COMPUTE_PGM_RSRC2:SCRATCH_EN: 0
; COMPUTE_PGM_RSRC2:USER_SGPR: 6
; COMPUTE_PGM_RSRC2:TRAP_HANDLER: 0
; COMPUTE_PGM_RSRC2:TGID_X_EN: 1
; COMPUTE_PGM_RSRC2:TGID_Y_EN: 0
; COMPUTE_PGM_RSRC2:TGID_Z_EN: 0
; COMPUTE_PGM_RSRC2:TIDIG_COMP_CNT: 0
	.section	.text._ZN9rocsolver6v33100L18getri_kernel_smallILi14EdPKPdEEvT1_iilPiilS6_bb,"axG",@progbits,_ZN9rocsolver6v33100L18getri_kernel_smallILi14EdPKPdEEvT1_iilPiilS6_bb,comdat
	.globl	_ZN9rocsolver6v33100L18getri_kernel_smallILi14EdPKPdEEvT1_iilPiilS6_bb ; -- Begin function _ZN9rocsolver6v33100L18getri_kernel_smallILi14EdPKPdEEvT1_iilPiilS6_bb
	.p2align	8
	.type	_ZN9rocsolver6v33100L18getri_kernel_smallILi14EdPKPdEEvT1_iilPiilS6_bb,@function
_ZN9rocsolver6v33100L18getri_kernel_smallILi14EdPKPdEEvT1_iilPiilS6_bb: ; @_ZN9rocsolver6v33100L18getri_kernel_smallILi14EdPKPdEEvT1_iilPiilS6_bb
; %bb.0:
	v_cmp_gt_u32_e32 vcc, 14, v0
	s_and_saveexec_b64 s[0:1], vcc
	s_cbranch_execz .LBB77_16
; %bb.1:
	s_load_dword s8, s[4:5], 0x38
	s_load_dwordx2 s[0:1], s[4:5], 0x0
	s_load_dwordx4 s[36:39], s[4:5], 0x28
                                        ; implicit-def: $sgpr40_sgpr41
	s_waitcnt lgkmcnt(0)
	s_bitcmp1_b32 s8, 8
	s_cselect_b64 s[42:43], -1, 0
	s_ashr_i32 s7, s6, 31
	s_lshl_b64 s[2:3], s[6:7], 3
	s_add_u32 s0, s0, s2
	s_addc_u32 s1, s1, s3
	s_load_dwordx2 s[2:3], s[0:1], 0x0
	s_bfe_u32 s0, s8, 0x10008
	s_cmp_eq_u32 s0, 0
	s_cbranch_scc1 .LBB77_3
; %bb.2:
	s_load_dword s0, s[4:5], 0x20
	s_load_dwordx2 s[8:9], s[4:5], 0x18
	s_mul_i32 s1, s36, s7
	s_mul_hi_u32 s10, s36, s6
	s_add_i32 s10, s10, s1
	s_mul_i32 s11, s37, s6
	s_add_i32 s11, s10, s11
	s_mul_i32 s10, s36, s6
	s_waitcnt lgkmcnt(0)
	s_ashr_i32 s1, s0, 31
	s_lshl_b64 s[10:11], s[10:11], 2
	s_add_u32 s8, s8, s10
	s_addc_u32 s9, s9, s11
	s_lshl_b64 s[0:1], s[0:1], 2
	s_add_u32 s40, s8, s0
	s_addc_u32 s41, s9, s1
.LBB77_3:
	s_load_dwordx2 s[0:1], s[4:5], 0x8
	s_load_dword s8, s[4:5], 0x38
	v_lshlrev_b32_e32 v32, 3, v0
	s_waitcnt lgkmcnt(0)
	s_ashr_i32 s5, s0, 31
	s_mov_b32 s4, s0
	s_lshl_b64 s[4:5], s[4:5], 3
	s_add_u32 s0, s2, s4
	s_addc_u32 s2, s3, s5
	s_add_i32 s3, s1, s1
	v_add_u32_e32 v1, s3, v0
	v_ashrrev_i32_e32 v2, 31, v1
	v_lshlrev_b64 v[2:3], 3, v[1:2]
	v_add_u32_e32 v1, s1, v1
	v_mov_b32_e32 v4, s2
	v_add_co_u32_e32 v60, vcc, s0, v2
	v_ashrrev_i32_e32 v2, 31, v1
	v_addc_co_u32_e32 v61, vcc, v4, v3, vcc
	v_lshlrev_b64 v[2:3], 3, v[1:2]
	v_add_u32_e32 v1, s1, v1
	v_add_co_u32_e32 v62, vcc, s0, v2
	v_ashrrev_i32_e32 v2, 31, v1
	v_addc_co_u32_e32 v63, vcc, v4, v3, vcc
	v_lshlrev_b64 v[2:3], 3, v[1:2]
	v_add_u32_e32 v1, s1, v1
	;; [unrolled: 5-line block ×10, first 2 shown]
	v_add_co_u32_e32 v80, vcc, s0, v2
	v_ashrrev_i32_e32 v2, 31, v1
	v_lshlrev_b64 v[1:2], 3, v[1:2]
	v_addc_co_u32_e32 v81, vcc, v4, v3, vcc
	v_mov_b32_e32 v3, s2
	v_add_co_u32_e32 v82, vcc, s0, v1
	v_addc_co_u32_e32 v83, vcc, v3, v2, vcc
	v_mov_b32_e32 v1, s2
	v_add_co_u32_e32 v84, vcc, s0, v32
	s_ashr_i32 s3, s1, 31
	s_mov_b32 s2, s1
	v_addc_co_u32_e32 v85, vcc, 0, v1, vcc
	s_lshl_b64 s[0:1], s[2:3], 3
	v_mov_b32_e32 v1, s1
	v_add_co_u32_e32 v86, vcc, s0, v84
	v_addc_co_u32_e32 v87, vcc, v85, v1, vcc
	flat_load_dwordx2 v[2:3], v[84:85]
	flat_load_dwordx2 v[4:5], v[86:87]
	;; [unrolled: 1-line block ×14, first 2 shown]
	v_mov_b32_e32 v1, 0
	s_bitcmp0_b32 s8, 0
	s_mov_b64 s[0:1], -1
	s_cbranch_scc1 .LBB77_14
; %bb.4:
	v_cmp_eq_u32_e64 s[0:1], 0, v0
	s_and_saveexec_b64 s[2:3], s[0:1]
; %bb.5:
	v_mov_b32_e32 v30, 0
	ds_write_b32 v30, v30 offset:224
; %bb.6:
	s_or_b64 exec, exec, s[2:3]
	v_cmp_eq_u32_e32 vcc, 1, v0
	s_waitcnt vmcnt(0) lgkmcnt(0)
	v_cndmask_b32_e32 v30, v3, v5, vcc
	v_cmp_eq_u32_e64 s[2:3], 2, v0
	v_cndmask_b32_e64 v30, v30, v7, s[2:3]
	v_cmp_eq_u32_e64 s[4:5], 3, v0
	v_cndmask_b32_e64 v30, v30, v9, s[4:5]
	;; [unrolled: 2-line block ×12, first 2 shown]
	v_cndmask_b32_e32 v30, v2, v4, vcc
	v_cndmask_b32_e64 v30, v30, v6, s[2:3]
	v_cndmask_b32_e64 v30, v30, v8, s[4:5]
	v_cndmask_b32_e64 v30, v30, v10, s[8:9]
	v_cndmask_b32_e64 v30, v30, v12, s[10:11]
	v_cndmask_b32_e64 v30, v30, v14, s[12:13]
	v_cndmask_b32_e64 v30, v30, v16, s[14:15]
	v_cndmask_b32_e64 v30, v30, v18, s[16:17]
	v_cndmask_b32_e64 v30, v30, v20, s[18:19]
	v_cndmask_b32_e64 v30, v30, v22, s[20:21]
	v_cndmask_b32_e64 v30, v30, v24, s[22:23]
	v_cndmask_b32_e64 v30, v30, v26, s[24:25]
	v_cndmask_b32_e64 v30, v30, v28, s[26:27]
	v_cmp_eq_f64_e32 vcc, 0, v[30:31]
	; wave barrier
	s_and_saveexec_b64 s[4:5], vcc
	s_cbranch_execz .LBB77_10
; %bb.7:
	v_mov_b32_e32 v33, 0
	ds_read_b32 v35, v33 offset:224
	v_add_u32_e32 v34, 1, v0
	s_waitcnt lgkmcnt(0)
	v_readfirstlane_b32 s2, v35
	s_cmp_eq_u32 s2, 0
	s_cselect_b64 s[8:9], -1, 0
	v_cmp_gt_i32_e32 vcc, s2, v34
	s_or_b64 s[8:9], s[8:9], vcc
	s_and_b64 exec, exec, s[8:9]
	s_cbranch_execz .LBB77_10
; %bb.8:
	s_mov_b64 s[8:9], 0
	v_mov_b32_e32 v35, s2
.LBB77_9:                               ; =>This Inner Loop Header: Depth=1
	ds_cmpst_rtn_b32 v35, v33, v35, v34 offset:224
	s_waitcnt lgkmcnt(0)
	v_cmp_ne_u32_e32 vcc, 0, v35
	v_cmp_le_i32_e64 s[2:3], v35, v34
	s_and_b64 s[2:3], vcc, s[2:3]
	s_and_b64 s[2:3], exec, s[2:3]
	s_or_b64 s[8:9], s[2:3], s[8:9]
	s_andn2_b64 exec, exec, s[8:9]
	s_cbranch_execnz .LBB77_9
.LBB77_10:
	s_or_b64 exec, exec, s[4:5]
	v_mov_b32_e32 v34, 0
	; wave barrier
	ds_read_b32 v33, v34 offset:224
	s_and_saveexec_b64 s[2:3], s[0:1]
	s_cbranch_execz .LBB77_12
; %bb.11:
	s_lshl_b64 s[4:5], s[6:7], 2
	s_add_u32 s4, s38, s4
	s_addc_u32 s5, s39, s5
	s_waitcnt lgkmcnt(0)
	global_store_dword v34, v33, s[4:5]
.LBB77_12:
	s_or_b64 exec, exec, s[2:3]
	s_waitcnt lgkmcnt(0)
	v_cmp_ne_u32_e32 vcc, 0, v33
	s_cbranch_vccz .LBB77_17
; %bb.13:
	s_mov_b64 s[0:1], 0
                                        ; implicit-def: $vgpr2_vgpr3_vgpr4_vgpr5_vgpr6_vgpr7_vgpr8_vgpr9_vgpr10_vgpr11_vgpr12_vgpr13_vgpr14_vgpr15_vgpr16_vgpr17_vgpr18_vgpr19_vgpr20_vgpr21_vgpr22_vgpr23_vgpr24_vgpr25_vgpr26_vgpr27_vgpr28_vgpr29_vgpr30_vgpr31_vgpr32_vgpr33
.LBB77_14:
	s_and_b64 vcc, exec, s[0:1]
	s_cbranch_vccz .LBB77_16
.LBB77_15:
	s_lshl_b64 s[0:1], s[6:7], 2
	s_add_u32 s0, s38, s0
	s_addc_u32 s1, s39, s1
	v_mov_b32_e32 v1, 0
	global_load_dword v1, v1, s[0:1]
	s_waitcnt vmcnt(0)
	v_cmp_ne_u32_e32 vcc, 0, v1
	s_cbranch_vccz .LBB77_78
.LBB77_16:
	s_endpgm
.LBB77_17:
	v_div_scale_f64 v[33:34], s[2:3], v[30:31], v[30:31], 1.0
	v_rcp_f64_e32 v[35:36], v[33:34]
	v_fma_f64 v[37:38], -v[33:34], v[35:36], 1.0
	v_fma_f64 v[35:36], v[35:36], v[37:38], v[35:36]
	v_div_scale_f64 v[37:38], vcc, 1.0, v[30:31], 1.0
	v_fma_f64 v[39:40], -v[33:34], v[35:36], 1.0
	v_fma_f64 v[35:36], v[35:36], v[39:40], v[35:36]
	v_mul_f64 v[39:40], v[37:38], v[35:36]
	v_fma_f64 v[33:34], -v[33:34], v[39:40], v[37:38]
	v_div_fmas_f64 v[33:34], v[33:34], v[35:36], v[39:40]
	v_cmp_eq_u32_e32 vcc, 13, v0
	v_div_fixup_f64 v[30:31], v[33:34], v[30:31], 1.0
	v_add_u32_e32 v34, 0x70, v32
	v_cndmask_b32_e32 v29, v29, v31, vcc
	v_cndmask_b32_e32 v28, v28, v30, vcc
	v_cmp_eq_u32_e32 vcc, 12, v0
	v_cndmask_b32_e32 v27, v27, v31, vcc
	v_cndmask_b32_e32 v26, v26, v30, vcc
	v_cmp_eq_u32_e32 vcc, 11, v0
	;; [unrolled: 3-line block ×13, first 2 shown]
	v_cndmask_b32_e32 v3, v3, v31, vcc
	v_cndmask_b32_e32 v2, v2, v30, vcc
	v_xor_b32_e32 v36, 0x80000000, v31
	v_mov_b32_e32 v35, v30
	ds_write2_b64 v32, v[35:36], v[4:5] offset1:14
	s_waitcnt lgkmcnt(0)
	; wave barrier
	s_and_saveexec_b64 s[2:3], s[0:1]
	s_cbranch_execz .LBB77_19
; %bb.18:
	ds_read_b64 v[4:5], v34
	v_mov_b32_e32 v32, 0
	ds_read_b64 v[32:33], v32 offset:8
	s_waitcnt lgkmcnt(1)
	v_fma_f64 v[4:5], v[30:31], v[4:5], 0
	s_waitcnt lgkmcnt(0)
	v_mul_f64 v[4:5], v[4:5], v[32:33]
.LBB77_19:
	s_or_b64 exec, exec, s[2:3]
	v_cmp_gt_u32_e32 vcc, 2, v0
	; wave barrier
	ds_write_b64 v34, v[6:7]
	s_waitcnt lgkmcnt(0)
	; wave barrier
	s_and_saveexec_b64 s[30:31], vcc
	s_cbranch_execz .LBB77_21
; %bb.20:
	v_cmp_eq_u32_e64 s[2:3], 1, v0
	v_cndmask_b32_e64 v30, v3, v5, s[2:3]
	v_cmp_eq_u32_e64 s[4:5], 2, v0
	v_cndmask_b32_e64 v7, v30, v7, s[4:5]
	v_cndmask_b32_e64 v30, v2, v4, s[2:3]
	v_cmp_eq_u32_e64 s[8:9], 3, v0
	v_cndmask_b32_e64 v6, v30, v6, s[4:5]
	;; [unrolled: 3-line block ×9, first 2 shown]
	ds_read_b64 v[30:31], v34
	v_cndmask_b32_e64 v7, v7, v23, s[22:23]
	v_cmp_eq_u32_e64 s[24:25], 11, v0
	v_cndmask_b32_e64 v6, v6, v22, s[22:23]
	v_cndmask_b32_e64 v7, v7, v25, s[24:25]
	v_cmp_eq_u32_e64 s[26:27], 12, v0
	v_cndmask_b32_e64 v6, v6, v24, s[24:25]
	;; [unrolled: 3-line block ×3, first 2 shown]
	v_cndmask_b32_e64 v7, v7, v29, s[28:29]
	v_cndmask_b32_e64 v6, v6, v28, s[28:29]
	s_waitcnt lgkmcnt(0)
	v_fma_f64 v[6:7], v[6:7], v[30:31], 0
	v_mov_b32_e32 v30, 0
	ds_read2_b64 v[30:33], v30 offset0:2 offset1:15
	s_waitcnt lgkmcnt(0)
	v_fma_f64 v[32:33], v[4:5], v[32:33], v[6:7]
	v_cndmask_b32_e64 v7, v7, v33, s[0:1]
	v_cndmask_b32_e64 v6, v6, v32, s[0:1]
	v_mul_f64 v[6:7], v[6:7], v[30:31]
.LBB77_21:
	s_or_b64 exec, exec, s[30:31]
	v_cmp_gt_u32_e64 s[2:3], 3, v0
	; wave barrier
	ds_write_b64 v34, v[8:9]
	s_waitcnt lgkmcnt(0)
	; wave barrier
	s_and_saveexec_b64 s[8:9], s[2:3]
	s_cbranch_execz .LBB77_25
; %bb.22:
	v_mov_b32_e32 v30, 0x70
	v_lshl_add_u32 v35, v0, 3, v30
	v_mov_b32_e32 v30, 0
	v_mov_b32_e32 v33, v1
	;; [unrolled: 1-line block ×3, first 2 shown]
	s_mov_b64 s[10:11], 0
	v_mov_b32_e32 v32, v0
.LBB77_23:                              ; =>This Inner Loop Header: Depth=1
	v_cmp_eq_u32_e64 s[2:3], 1, v32
	v_cndmask_b32_e64 v38, v3, v5, s[2:3]
	v_cmp_eq_u32_e64 s[4:5], 2, v32
	v_cndmask_b32_e64 v38, v38, v7, s[4:5]
	v_cndmask_b32_e64 v39, v2, v4, s[2:3]
	v_cmp_eq_u32_e64 s[2:3], 3, v32
	v_cndmask_b32_e64 v38, v38, v9, s[2:3]
	;; [unrolled: 3-line block ×8, first 2 shown]
	v_cndmask_b32_e64 v39, v39, v18, s[4:5]
	v_cmp_eq_u32_e64 s[4:5], 10, v32
	ds_read_b64 v[36:37], v35
	v_cndmask_b32_e64 v38, v38, v23, s[4:5]
	v_cndmask_b32_e64 v39, v39, v20, s[2:3]
	v_cmp_eq_u32_e64 s[2:3], 11, v32
	v_cndmask_b32_e64 v38, v38, v25, s[2:3]
	v_cndmask_b32_e64 v39, v39, v22, s[4:5]
	v_cmp_eq_u32_e64 s[4:5], 12, v32
	;; [unrolled: 3-line block ×3, first 2 shown]
	v_cndmask_b32_e64 v39, v38, v29, s[2:3]
	v_cndmask_b32_e64 v38, v40, v26, s[4:5]
	;; [unrolled: 1-line block ×3, first 2 shown]
	s_waitcnt lgkmcnt(0)
	v_fma_f64 v[30:31], v[38:39], v[36:37], v[30:31]
	v_add_co_u32_e64 v32, s[2:3], 1, v32
	v_addc_co_u32_e64 v33, s[2:3], 0, v33, s[2:3]
	v_add_u32_e32 v36, -1, v32
	v_cmp_lt_u32_e64 s[2:3], 1, v36
	s_or_b64 s[10:11], s[2:3], s[10:11]
	v_add_u32_e32 v35, 8, v35
	s_andn2_b64 exec, exec, s[10:11]
	s_cbranch_execnz .LBB77_23
; %bb.24:
	s_or_b64 exec, exec, s[10:11]
	v_mov_b32_e32 v8, 0
	ds_read_b64 v[8:9], v8 offset:24
	s_waitcnt lgkmcnt(0)
	v_mul_f64 v[8:9], v[30:31], v[8:9]
.LBB77_25:
	s_or_b64 exec, exec, s[8:9]
	v_cmp_gt_u32_e64 s[2:3], 4, v0
	; wave barrier
	ds_write_b64 v34, v[10:11]
	s_waitcnt lgkmcnt(0)
	; wave barrier
	s_and_saveexec_b64 s[10:11], s[2:3]
	s_cbranch_execz .LBB77_29
; %bb.26:
	v_mov_b32_e32 v30, 0x70
	v_lshl_add_u32 v35, v0, 3, v30
	v_mov_b32_e32 v30, 0
	v_mov_b32_e32 v33, v1
	;; [unrolled: 1-line block ×3, first 2 shown]
	s_mov_b64 s[12:13], 0
	v_mov_b32_e32 v32, v0
.LBB77_27:                              ; =>This Inner Loop Header: Depth=1
	v_cmp_eq_u32_e64 s[4:5], 1, v32
	v_cndmask_b32_e64 v38, v3, v5, s[4:5]
	v_cmp_eq_u32_e64 s[8:9], 2, v32
	v_cndmask_b32_e64 v38, v38, v7, s[8:9]
	v_cndmask_b32_e64 v39, v2, v4, s[4:5]
	v_cmp_eq_u32_e64 s[4:5], 3, v32
	v_cndmask_b32_e64 v38, v38, v9, s[4:5]
	;; [unrolled: 3-line block ×8, first 2 shown]
	v_cndmask_b32_e64 v39, v39, v18, s[8:9]
	v_cmp_eq_u32_e64 s[8:9], 10, v32
	ds_read_b64 v[36:37], v35
	v_cndmask_b32_e64 v38, v38, v23, s[8:9]
	v_cndmask_b32_e64 v39, v39, v20, s[4:5]
	v_cmp_eq_u32_e64 s[4:5], 11, v32
	v_cndmask_b32_e64 v38, v38, v25, s[4:5]
	v_cndmask_b32_e64 v39, v39, v22, s[8:9]
	v_cmp_eq_u32_e64 s[8:9], 12, v32
	;; [unrolled: 3-line block ×3, first 2 shown]
	v_cndmask_b32_e64 v39, v38, v29, s[4:5]
	v_cndmask_b32_e64 v38, v40, v26, s[8:9]
	;; [unrolled: 1-line block ×3, first 2 shown]
	s_waitcnt lgkmcnt(0)
	v_fma_f64 v[30:31], v[38:39], v[36:37], v[30:31]
	v_add_co_u32_e64 v32, s[4:5], 1, v32
	v_addc_co_u32_e64 v33, s[4:5], 0, v33, s[4:5]
	v_add_u32_e32 v36, -1, v32
	v_cmp_lt_u32_e64 s[4:5], 2, v36
	s_or_b64 s[12:13], s[4:5], s[12:13]
	v_add_u32_e32 v35, 8, v35
	s_andn2_b64 exec, exec, s[12:13]
	s_cbranch_execnz .LBB77_27
; %bb.28:
	s_or_b64 exec, exec, s[12:13]
	v_mov_b32_e32 v10, 0
	ds_read_b64 v[10:11], v10 offset:32
	s_waitcnt lgkmcnt(0)
	v_mul_f64 v[10:11], v[30:31], v[10:11]
.LBB77_29:
	s_or_b64 exec, exec, s[10:11]
	v_cmp_gt_u32_e64 s[4:5], 5, v0
	; wave barrier
	ds_write_b64 v34, v[12:13]
	s_waitcnt lgkmcnt(0)
	; wave barrier
	s_and_saveexec_b64 s[10:11], s[4:5]
	s_cbranch_execz .LBB77_33
; %bb.30:
	v_mov_b32_e32 v30, 0x70
	v_lshl_add_u32 v35, v0, 3, v30
	v_mov_b32_e32 v30, 0
	v_mov_b32_e32 v33, v1
	;; [unrolled: 1-line block ×3, first 2 shown]
	s_mov_b64 s[12:13], 0
	v_mov_b32_e32 v32, v0
.LBB77_31:                              ; =>This Inner Loop Header: Depth=1
	v_cmp_eq_u32_e64 s[4:5], 1, v32
	v_cndmask_b32_e64 v38, v3, v5, s[4:5]
	v_cmp_eq_u32_e64 s[8:9], 2, v32
	v_cndmask_b32_e64 v38, v38, v7, s[8:9]
	v_cndmask_b32_e64 v39, v2, v4, s[4:5]
	v_cmp_eq_u32_e64 s[4:5], 3, v32
	v_cndmask_b32_e64 v38, v38, v9, s[4:5]
	;; [unrolled: 3-line block ×8, first 2 shown]
	v_cndmask_b32_e64 v39, v39, v18, s[8:9]
	v_cmp_eq_u32_e64 s[8:9], 10, v32
	ds_read_b64 v[36:37], v35
	v_cndmask_b32_e64 v38, v38, v23, s[8:9]
	v_cndmask_b32_e64 v39, v39, v20, s[4:5]
	v_cmp_eq_u32_e64 s[4:5], 11, v32
	v_cndmask_b32_e64 v38, v38, v25, s[4:5]
	v_cndmask_b32_e64 v39, v39, v22, s[8:9]
	v_cmp_eq_u32_e64 s[8:9], 12, v32
	;; [unrolled: 3-line block ×3, first 2 shown]
	v_cndmask_b32_e64 v39, v38, v29, s[4:5]
	v_cndmask_b32_e64 v38, v40, v26, s[8:9]
	;; [unrolled: 1-line block ×3, first 2 shown]
	s_waitcnt lgkmcnt(0)
	v_fma_f64 v[30:31], v[38:39], v[36:37], v[30:31]
	v_add_co_u32_e64 v32, s[4:5], 1, v32
	v_addc_co_u32_e64 v33, s[4:5], 0, v33, s[4:5]
	v_add_u32_e32 v36, -1, v32
	v_cmp_lt_u32_e64 s[4:5], 3, v36
	s_or_b64 s[12:13], s[4:5], s[12:13]
	v_add_u32_e32 v35, 8, v35
	s_andn2_b64 exec, exec, s[12:13]
	s_cbranch_execnz .LBB77_31
; %bb.32:
	s_or_b64 exec, exec, s[12:13]
	v_mov_b32_e32 v12, 0
	ds_read_b64 v[12:13], v12 offset:40
	s_waitcnt lgkmcnt(0)
	v_mul_f64 v[12:13], v[30:31], v[12:13]
.LBB77_33:
	s_or_b64 exec, exec, s[10:11]
	v_cmp_gt_u32_e64 s[4:5], 6, v0
	; wave barrier
	ds_write_b64 v34, v[14:15]
	s_waitcnt lgkmcnt(0)
	; wave barrier
	s_and_saveexec_b64 s[12:13], s[4:5]
	s_cbranch_execz .LBB77_37
; %bb.34:
	v_mov_b32_e32 v30, 0x70
	v_lshl_add_u32 v35, v0, 3, v30
	v_mov_b32_e32 v30, 0
	v_mov_b32_e32 v33, v1
	;; [unrolled: 1-line block ×3, first 2 shown]
	s_mov_b64 s[14:15], 0
	v_mov_b32_e32 v32, v0
.LBB77_35:                              ; =>This Inner Loop Header: Depth=1
	v_cmp_eq_u32_e64 s[8:9], 1, v32
	v_cndmask_b32_e64 v38, v3, v5, s[8:9]
	v_cmp_eq_u32_e64 s[10:11], 2, v32
	v_cndmask_b32_e64 v38, v38, v7, s[10:11]
	v_cndmask_b32_e64 v39, v2, v4, s[8:9]
	v_cmp_eq_u32_e64 s[8:9], 3, v32
	v_cndmask_b32_e64 v38, v38, v9, s[8:9]
	;; [unrolled: 3-line block ×8, first 2 shown]
	v_cndmask_b32_e64 v39, v39, v18, s[10:11]
	v_cmp_eq_u32_e64 s[10:11], 10, v32
	ds_read_b64 v[36:37], v35
	v_cndmask_b32_e64 v38, v38, v23, s[10:11]
	v_cndmask_b32_e64 v39, v39, v20, s[8:9]
	v_cmp_eq_u32_e64 s[8:9], 11, v32
	v_cndmask_b32_e64 v38, v38, v25, s[8:9]
	v_cndmask_b32_e64 v39, v39, v22, s[10:11]
	v_cmp_eq_u32_e64 s[10:11], 12, v32
	;; [unrolled: 3-line block ×3, first 2 shown]
	v_cndmask_b32_e64 v39, v38, v29, s[8:9]
	v_cndmask_b32_e64 v38, v40, v26, s[10:11]
	;; [unrolled: 1-line block ×3, first 2 shown]
	s_waitcnt lgkmcnt(0)
	v_fma_f64 v[30:31], v[38:39], v[36:37], v[30:31]
	v_add_co_u32_e64 v32, s[8:9], 1, v32
	v_addc_co_u32_e64 v33, s[8:9], 0, v33, s[8:9]
	v_add_u32_e32 v36, -1, v32
	v_cmp_lt_u32_e64 s[8:9], 4, v36
	s_or_b64 s[14:15], s[8:9], s[14:15]
	v_add_u32_e32 v35, 8, v35
	s_andn2_b64 exec, exec, s[14:15]
	s_cbranch_execnz .LBB77_35
; %bb.36:
	s_or_b64 exec, exec, s[14:15]
	v_mov_b32_e32 v14, 0
	ds_read_b64 v[14:15], v14 offset:48
	s_waitcnt lgkmcnt(0)
	v_mul_f64 v[14:15], v[30:31], v[14:15]
.LBB77_37:
	s_or_b64 exec, exec, s[12:13]
	v_cmp_gt_u32_e64 s[8:9], 7, v0
	; wave barrier
	ds_write_b64 v34, v[16:17]
	s_waitcnt lgkmcnt(0)
	; wave barrier
	s_and_saveexec_b64 s[12:13], s[8:9]
	s_cbranch_execz .LBB77_41
; %bb.38:
	v_mov_b32_e32 v30, 0x70
	v_lshl_add_u32 v35, v0, 3, v30
	v_mov_b32_e32 v30, 0
	v_mov_b32_e32 v33, v1
	;; [unrolled: 1-line block ×3, first 2 shown]
	s_mov_b64 s[14:15], 0
	v_mov_b32_e32 v32, v0
.LBB77_39:                              ; =>This Inner Loop Header: Depth=1
	v_cmp_eq_u32_e64 s[8:9], 1, v32
	v_cndmask_b32_e64 v38, v3, v5, s[8:9]
	v_cmp_eq_u32_e64 s[10:11], 2, v32
	v_cndmask_b32_e64 v38, v38, v7, s[10:11]
	v_cndmask_b32_e64 v39, v2, v4, s[8:9]
	v_cmp_eq_u32_e64 s[8:9], 3, v32
	v_cndmask_b32_e64 v38, v38, v9, s[8:9]
	;; [unrolled: 3-line block ×8, first 2 shown]
	v_cndmask_b32_e64 v39, v39, v18, s[10:11]
	v_cmp_eq_u32_e64 s[10:11], 10, v32
	ds_read_b64 v[36:37], v35
	v_cndmask_b32_e64 v38, v38, v23, s[10:11]
	v_cndmask_b32_e64 v39, v39, v20, s[8:9]
	v_cmp_eq_u32_e64 s[8:9], 11, v32
	v_cndmask_b32_e64 v38, v38, v25, s[8:9]
	v_cndmask_b32_e64 v39, v39, v22, s[10:11]
	v_cmp_eq_u32_e64 s[10:11], 12, v32
	;; [unrolled: 3-line block ×3, first 2 shown]
	v_cndmask_b32_e64 v39, v38, v29, s[8:9]
	v_cndmask_b32_e64 v38, v40, v26, s[10:11]
	;; [unrolled: 1-line block ×3, first 2 shown]
	s_waitcnt lgkmcnt(0)
	v_fma_f64 v[30:31], v[38:39], v[36:37], v[30:31]
	v_add_co_u32_e64 v32, s[8:9], 1, v32
	v_addc_co_u32_e64 v33, s[8:9], 0, v33, s[8:9]
	v_add_u32_e32 v36, -1, v32
	v_cmp_lt_u32_e64 s[8:9], 5, v36
	s_or_b64 s[14:15], s[8:9], s[14:15]
	v_add_u32_e32 v35, 8, v35
	s_andn2_b64 exec, exec, s[14:15]
	s_cbranch_execnz .LBB77_39
; %bb.40:
	s_or_b64 exec, exec, s[14:15]
	v_mov_b32_e32 v16, 0
	ds_read_b64 v[16:17], v16 offset:56
	s_waitcnt lgkmcnt(0)
	v_mul_f64 v[16:17], v[30:31], v[16:17]
.LBB77_41:
	s_or_b64 exec, exec, s[12:13]
	v_cmp_gt_u32_e64 s[8:9], 8, v0
	; wave barrier
	ds_write_b64 v34, v[18:19]
	s_waitcnt lgkmcnt(0)
	; wave barrier
	s_and_saveexec_b64 s[36:37], s[8:9]
	s_cbranch_execz .LBB77_57
; %bb.42:
	v_cmp_eq_u32_e64 s[8:9], 1, v0
	v_cndmask_b32_e64 v30, v3, v5, s[8:9]
	v_cmp_eq_u32_e64 s[10:11], 2, v0
	v_cndmask_b32_e64 v30, v30, v7, s[10:11]
	;; [unrolled: 2-line block ×13, first 2 shown]
	v_cndmask_b32_e64 v30, v2, v4, s[8:9]
	v_cndmask_b32_e64 v30, v30, v6, s[10:11]
	;; [unrolled: 1-line block ×9, first 2 shown]
	ds_read_b64 v[32:33], v34
	v_cndmask_b32_e64 v30, v30, v22, s[26:27]
	v_cndmask_b32_e64 v30, v30, v24, s[28:29]
	;; [unrolled: 1-line block ×4, first 2 shown]
	s_waitcnt lgkmcnt(0)
	v_fma_f64 v[30:31], v[30:31], v[32:33], 0
	v_cmp_ne_u32_e64 s[8:9], 7, v0
	s_and_saveexec_b64 s[44:45], s[8:9]
	s_cbranch_execz .LBB77_56
; %bb.43:
	v_add_u32_e32 v32, 1, v0
	v_cmp_eq_u32_e64 s[8:9], 1, v32
	v_cndmask_b32_e64 v33, v3, v5, s[8:9]
	v_cmp_eq_u32_e64 s[10:11], 2, v32
	v_cmp_eq_u32_e64 s[12:13], 3, v32
	;; [unrolled: 1-line block ×12, first 2 shown]
	v_cndmask_b32_e64 v32, v2, v4, s[8:9]
	v_cndmask_b32_e64 v33, v33, v7, s[10:11]
	;; [unrolled: 1-line block ×17, first 2 shown]
	ds_read_b64 v[35:36], v34 offset:8
	v_cndmask_b32_e64 v33, v33, v23, s[26:27]
	v_cndmask_b32_e64 v32, v32, v22, s[26:27]
	;; [unrolled: 1-line block ×8, first 2 shown]
	s_waitcnt lgkmcnt(0)
	v_fma_f64 v[30:31], v[32:33], v[35:36], v[30:31]
	s_and_saveexec_b64 s[34:35], s[4:5]
	s_cbranch_execz .LBB77_55
; %bb.44:
	v_add_u32_e32 v32, 2, v0
	v_cmp_eq_u32_e64 s[4:5], 1, v32
	v_cndmask_b32_e64 v33, v3, v5, s[4:5]
	v_cmp_eq_u32_e64 s[8:9], 2, v32
	v_cmp_eq_u32_e64 s[10:11], 3, v32
	;; [unrolled: 1-line block ×12, first 2 shown]
	v_cndmask_b32_e64 v32, v2, v4, s[4:5]
	v_cndmask_b32_e64 v33, v33, v7, s[8:9]
	;; [unrolled: 1-line block ×17, first 2 shown]
	ds_read_b64 v[35:36], v34 offset:16
	v_cndmask_b32_e64 v33, v33, v23, s[24:25]
	v_cndmask_b32_e64 v32, v32, v22, s[24:25]
	;; [unrolled: 1-line block ×8, first 2 shown]
	s_waitcnt lgkmcnt(0)
	v_fma_f64 v[30:31], v[32:33], v[35:36], v[30:31]
	v_cmp_ne_u32_e64 s[4:5], 5, v0
	s_and_saveexec_b64 s[46:47], s[4:5]
	s_cbranch_execz .LBB77_54
; %bb.45:
	v_add_u32_e32 v32, 3, v0
	v_cmp_eq_u32_e64 s[4:5], 1, v32
	v_cndmask_b32_e64 v33, v3, v5, s[4:5]
	v_cmp_eq_u32_e64 s[8:9], 2, v32
	v_cmp_eq_u32_e64 s[10:11], 3, v32
	;; [unrolled: 1-line block ×12, first 2 shown]
	v_cndmask_b32_e64 v32, v2, v4, s[4:5]
	v_cndmask_b32_e64 v33, v33, v7, s[8:9]
	;; [unrolled: 1-line block ×17, first 2 shown]
	ds_read_b64 v[35:36], v34 offset:24
	v_cndmask_b32_e64 v33, v33, v23, s[24:25]
	v_cndmask_b32_e64 v32, v32, v22, s[24:25]
	;; [unrolled: 1-line block ×8, first 2 shown]
	s_waitcnt lgkmcnt(0)
	v_fma_f64 v[30:31], v[32:33], v[35:36], v[30:31]
	s_and_saveexec_b64 s[30:31], s[2:3]
	s_cbranch_execz .LBB77_53
; %bb.46:
	v_or_b32_e32 v32, 4, v0
	v_cmp_eq_u32_e64 s[2:3], 1, v32
	v_cndmask_b32_e64 v33, v3, v5, s[2:3]
	v_cmp_eq_u32_e64 s[4:5], 2, v32
	v_cmp_eq_u32_e64 s[8:9], 3, v32
	;; [unrolled: 1-line block ×12, first 2 shown]
	v_cndmask_b32_e64 v32, v2, v4, s[2:3]
	v_cndmask_b32_e64 v33, v33, v7, s[4:5]
	;; [unrolled: 1-line block ×17, first 2 shown]
	ds_read_b64 v[35:36], v34 offset:32
	v_cndmask_b32_e64 v33, v33, v23, s[22:23]
	v_cndmask_b32_e64 v32, v32, v22, s[22:23]
	;; [unrolled: 1-line block ×8, first 2 shown]
	s_waitcnt lgkmcnt(0)
	v_fma_f64 v[30:31], v[32:33], v[35:36], v[30:31]
	v_cmp_ne_u32_e64 s[2:3], 3, v0
	s_and_saveexec_b64 s[48:49], s[2:3]
	s_cbranch_execz .LBB77_52
; %bb.47:
	v_add_u32_e32 v32, 5, v0
	v_cmp_eq_u32_e64 s[2:3], 1, v32
	v_cndmask_b32_e64 v33, v3, v5, s[2:3]
	v_cmp_eq_u32_e64 s[4:5], 2, v32
	v_cmp_eq_u32_e64 s[8:9], 3, v32
	;; [unrolled: 1-line block ×12, first 2 shown]
	v_cndmask_b32_e64 v32, v2, v4, s[2:3]
	v_cndmask_b32_e64 v33, v33, v7, s[4:5]
	;; [unrolled: 1-line block ×17, first 2 shown]
	ds_read_b64 v[35:36], v34 offset:40
	v_cndmask_b32_e64 v33, v33, v23, s[22:23]
	v_cndmask_b32_e64 v32, v32, v22, s[22:23]
	;; [unrolled: 1-line block ×8, first 2 shown]
	s_waitcnt lgkmcnt(0)
	v_fma_f64 v[30:31], v[32:33], v[35:36], v[30:31]
	s_and_saveexec_b64 s[28:29], vcc
	s_cbranch_execz .LBB77_51
; %bb.48:
	v_or_b32_e32 v32, 6, v0
	v_cmp_eq_u32_e32 vcc, 1, v32
	v_cndmask_b32_e32 v33, v3, v5, vcc
	v_cmp_eq_u32_e64 s[2:3], 2, v32
	v_cmp_eq_u32_e64 s[4:5], 3, v32
	;; [unrolled: 1-line block ×12, first 2 shown]
	v_cndmask_b32_e32 v32, v2, v4, vcc
	v_cndmask_b32_e64 v33, v33, v7, s[2:3]
	v_cndmask_b32_e64 v32, v32, v6, s[2:3]
	;; [unrolled: 1-line block ×16, first 2 shown]
	ds_read_b64 v[32:33], v34 offset:48
	v_cndmask_b32_e64 v19, v19, v23, s[20:21]
	v_cndmask_b32_e64 v18, v18, v22, s[20:21]
	;; [unrolled: 1-line block ×8, first 2 shown]
	s_waitcnt lgkmcnt(0)
	v_fma_f64 v[30:31], v[18:19], v[32:33], v[30:31]
	s_and_saveexec_b64 s[2:3], s[0:1]
	s_cbranch_execz .LBB77_50
; %bb.49:
	ds_read_b64 v[18:19], v34 offset:56
	s_waitcnt lgkmcnt(0)
	v_fma_f64 v[30:31], v[16:17], v[18:19], v[30:31]
.LBB77_50:
	s_or_b64 exec, exec, s[2:3]
.LBB77_51:
	s_or_b64 exec, exec, s[28:29]
.LBB77_52:
	s_or_b64 exec, exec, s[48:49]
.LBB77_53:
	s_or_b64 exec, exec, s[30:31]
.LBB77_54:
	s_or_b64 exec, exec, s[46:47]
.LBB77_55:
	s_or_b64 exec, exec, s[34:35]
.LBB77_56:
	s_or_b64 exec, exec, s[44:45]
	v_mov_b32_e32 v18, 0
	ds_read_b64 v[18:19], v18 offset:64
	s_waitcnt lgkmcnt(0)
	v_mul_f64 v[18:19], v[30:31], v[18:19]
.LBB77_57:
	s_or_b64 exec, exec, s[36:37]
	v_cmp_gt_u32_e32 vcc, 9, v0
	; wave barrier
	ds_write_b64 v34, v[20:21]
	s_waitcnt lgkmcnt(0)
	; wave barrier
	s_and_saveexec_b64 s[2:3], vcc
	s_cbranch_execz .LBB77_61
; %bb.58:
	v_mov_b32_e32 v30, 0x70
	v_lshl_add_u32 v35, v0, 3, v30
	v_mov_b32_e32 v30, 0
	v_mov_b32_e32 v33, v1
	;; [unrolled: 1-line block ×3, first 2 shown]
	s_mov_b64 s[4:5], 0
	v_mov_b32_e32 v32, v0
.LBB77_59:                              ; =>This Inner Loop Header: Depth=1
	v_cmp_eq_u32_e32 vcc, 1, v32
	v_cndmask_b32_e32 v38, v3, v5, vcc
	v_cmp_eq_u32_e64 s[0:1], 2, v32
	v_cndmask_b32_e64 v38, v38, v7, s[0:1]
	v_cndmask_b32_e32 v39, v2, v4, vcc
	v_cmp_eq_u32_e32 vcc, 3, v32
	v_cndmask_b32_e32 v38, v38, v9, vcc
	v_cndmask_b32_e64 v39, v39, v6, s[0:1]
	v_cmp_eq_u32_e64 s[0:1], 4, v32
	v_cndmask_b32_e64 v38, v38, v11, s[0:1]
	v_cndmask_b32_e32 v39, v39, v8, vcc
	v_cmp_eq_u32_e32 vcc, 5, v32
	v_cndmask_b32_e32 v38, v38, v13, vcc
	v_cndmask_b32_e64 v39, v39, v10, s[0:1]
	;; [unrolled: 6-line block ×4, first 2 shown]
	v_cmp_eq_u32_e64 s[0:1], 10, v32
	ds_read_b64 v[36:37], v35
	v_cndmask_b32_e64 v38, v38, v23, s[0:1]
	v_cndmask_b32_e32 v39, v39, v20, vcc
	v_cmp_eq_u32_e32 vcc, 11, v32
	v_cndmask_b32_e32 v38, v38, v25, vcc
	v_cndmask_b32_e64 v39, v39, v22, s[0:1]
	v_cmp_eq_u32_e64 s[0:1], 12, v32
	v_cndmask_b32_e64 v38, v38, v27, s[0:1]
	v_cndmask_b32_e32 v40, v39, v24, vcc
	v_cmp_eq_u32_e32 vcc, 13, v32
	v_cndmask_b32_e32 v39, v38, v29, vcc
	v_cndmask_b32_e64 v38, v40, v26, s[0:1]
	v_cndmask_b32_e32 v38, v38, v28, vcc
	s_waitcnt lgkmcnt(0)
	v_fma_f64 v[30:31], v[38:39], v[36:37], v[30:31]
	v_add_co_u32_e32 v32, vcc, 1, v32
	v_addc_co_u32_e32 v33, vcc, 0, v33, vcc
	v_add_u32_e32 v36, -1, v32
	v_cmp_lt_u32_e32 vcc, 7, v36
	s_or_b64 s[4:5], vcc, s[4:5]
	v_add_u32_e32 v35, 8, v35
	s_andn2_b64 exec, exec, s[4:5]
	s_cbranch_execnz .LBB77_59
; %bb.60:
	s_or_b64 exec, exec, s[4:5]
	v_mov_b32_e32 v20, 0
	ds_read_b64 v[20:21], v20 offset:72
	s_waitcnt lgkmcnt(0)
	v_mul_f64 v[20:21], v[30:31], v[20:21]
.LBB77_61:
	s_or_b64 exec, exec, s[2:3]
	v_cmp_gt_u32_e32 vcc, 10, v0
	; wave barrier
	ds_write_b64 v34, v[22:23]
	s_waitcnt lgkmcnt(0)
	; wave barrier
	s_and_saveexec_b64 s[2:3], vcc
	s_cbranch_execz .LBB77_65
; %bb.62:
	v_mov_b32_e32 v30, 0x70
	v_lshl_add_u32 v35, v0, 3, v30
	v_mov_b32_e32 v30, 0
	v_mov_b32_e32 v33, v1
	;; [unrolled: 1-line block ×3, first 2 shown]
	s_mov_b64 s[4:5], 0
	v_mov_b32_e32 v32, v0
.LBB77_63:                              ; =>This Inner Loop Header: Depth=1
	v_cmp_eq_u32_e32 vcc, 1, v32
	v_cndmask_b32_e32 v38, v3, v5, vcc
	v_cmp_eq_u32_e64 s[0:1], 2, v32
	v_cndmask_b32_e64 v38, v38, v7, s[0:1]
	v_cndmask_b32_e32 v39, v2, v4, vcc
	v_cmp_eq_u32_e32 vcc, 3, v32
	v_cndmask_b32_e32 v38, v38, v9, vcc
	v_cndmask_b32_e64 v39, v39, v6, s[0:1]
	v_cmp_eq_u32_e64 s[0:1], 4, v32
	v_cndmask_b32_e64 v38, v38, v11, s[0:1]
	v_cndmask_b32_e32 v39, v39, v8, vcc
	v_cmp_eq_u32_e32 vcc, 5, v32
	v_cndmask_b32_e32 v38, v38, v13, vcc
	v_cndmask_b32_e64 v39, v39, v10, s[0:1]
	;; [unrolled: 6-line block ×4, first 2 shown]
	v_cmp_eq_u32_e64 s[0:1], 10, v32
	ds_read_b64 v[36:37], v35
	v_cndmask_b32_e64 v38, v38, v23, s[0:1]
	v_cndmask_b32_e32 v39, v39, v20, vcc
	v_cmp_eq_u32_e32 vcc, 11, v32
	v_cndmask_b32_e32 v38, v38, v25, vcc
	v_cndmask_b32_e64 v39, v39, v22, s[0:1]
	v_cmp_eq_u32_e64 s[0:1], 12, v32
	v_cndmask_b32_e64 v38, v38, v27, s[0:1]
	v_cndmask_b32_e32 v40, v39, v24, vcc
	v_cmp_eq_u32_e32 vcc, 13, v32
	v_cndmask_b32_e32 v39, v38, v29, vcc
	v_cndmask_b32_e64 v38, v40, v26, s[0:1]
	v_cndmask_b32_e32 v38, v38, v28, vcc
	s_waitcnt lgkmcnt(0)
	v_fma_f64 v[30:31], v[38:39], v[36:37], v[30:31]
	v_add_co_u32_e32 v32, vcc, 1, v32
	v_addc_co_u32_e32 v33, vcc, 0, v33, vcc
	v_add_u32_e32 v36, -1, v32
	v_cmp_lt_u32_e32 vcc, 8, v36
	s_or_b64 s[4:5], vcc, s[4:5]
	v_add_u32_e32 v35, 8, v35
	s_andn2_b64 exec, exec, s[4:5]
	s_cbranch_execnz .LBB77_63
; %bb.64:
	s_or_b64 exec, exec, s[4:5]
	v_mov_b32_e32 v22, 0
	ds_read_b64 v[22:23], v22 offset:80
	s_waitcnt lgkmcnt(0)
	v_mul_f64 v[22:23], v[30:31], v[22:23]
.LBB77_65:
	s_or_b64 exec, exec, s[2:3]
	v_cmp_gt_u32_e32 vcc, 11, v0
	; wave barrier
	ds_write_b64 v34, v[24:25]
	s_waitcnt lgkmcnt(0)
	; wave barrier
	s_and_saveexec_b64 s[2:3], vcc
	s_cbranch_execz .LBB77_69
; %bb.66:
	v_mov_b32_e32 v30, 0x70
	v_lshl_add_u32 v35, v0, 3, v30
	v_mov_b32_e32 v30, 0
	v_mov_b32_e32 v33, v1
	;; [unrolled: 1-line block ×3, first 2 shown]
	s_mov_b64 s[4:5], 0
	v_mov_b32_e32 v32, v0
.LBB77_67:                              ; =>This Inner Loop Header: Depth=1
	v_cmp_eq_u32_e32 vcc, 1, v32
	v_cndmask_b32_e32 v38, v3, v5, vcc
	v_cmp_eq_u32_e64 s[0:1], 2, v32
	v_cndmask_b32_e64 v38, v38, v7, s[0:1]
	v_cndmask_b32_e32 v39, v2, v4, vcc
	v_cmp_eq_u32_e32 vcc, 3, v32
	v_cndmask_b32_e32 v38, v38, v9, vcc
	v_cndmask_b32_e64 v39, v39, v6, s[0:1]
	v_cmp_eq_u32_e64 s[0:1], 4, v32
	v_cndmask_b32_e64 v38, v38, v11, s[0:1]
	v_cndmask_b32_e32 v39, v39, v8, vcc
	v_cmp_eq_u32_e32 vcc, 5, v32
	v_cndmask_b32_e32 v38, v38, v13, vcc
	v_cndmask_b32_e64 v39, v39, v10, s[0:1]
	v_cmp_eq_u32_e64 s[0:1], 6, v32
	v_cndmask_b32_e64 v38, v38, v15, s[0:1]
	v_cndmask_b32_e32 v39, v39, v12, vcc
	v_cmp_eq_u32_e32 vcc, 7, v32
	v_cndmask_b32_e32 v38, v38, v17, vcc
	v_cndmask_b32_e64 v39, v39, v14, s[0:1]
	v_cmp_eq_u32_e64 s[0:1], 8, v32
	v_cndmask_b32_e64 v38, v38, v19, s[0:1]
	v_cndmask_b32_e32 v39, v39, v16, vcc
	v_cmp_eq_u32_e32 vcc, 9, v32
	v_cndmask_b32_e32 v38, v38, v21, vcc
	v_cndmask_b32_e64 v39, v39, v18, s[0:1]
	v_cmp_eq_u32_e64 s[0:1], 10, v32
	ds_read_b64 v[36:37], v35
	v_cndmask_b32_e64 v38, v38, v23, s[0:1]
	v_cndmask_b32_e32 v39, v39, v20, vcc
	v_cmp_eq_u32_e32 vcc, 11, v32
	v_cndmask_b32_e32 v38, v38, v25, vcc
	v_cndmask_b32_e64 v39, v39, v22, s[0:1]
	v_cmp_eq_u32_e64 s[0:1], 12, v32
	v_cndmask_b32_e64 v38, v38, v27, s[0:1]
	v_cndmask_b32_e32 v40, v39, v24, vcc
	v_cmp_eq_u32_e32 vcc, 13, v32
	v_cndmask_b32_e32 v39, v38, v29, vcc
	v_cndmask_b32_e64 v38, v40, v26, s[0:1]
	v_cndmask_b32_e32 v38, v38, v28, vcc
	s_waitcnt lgkmcnt(0)
	v_fma_f64 v[30:31], v[38:39], v[36:37], v[30:31]
	v_add_co_u32_e32 v32, vcc, 1, v32
	v_addc_co_u32_e32 v33, vcc, 0, v33, vcc
	v_add_u32_e32 v36, -1, v32
	v_cmp_lt_u32_e32 vcc, 9, v36
	s_or_b64 s[4:5], vcc, s[4:5]
	v_add_u32_e32 v35, 8, v35
	s_andn2_b64 exec, exec, s[4:5]
	s_cbranch_execnz .LBB77_67
; %bb.68:
	s_or_b64 exec, exec, s[4:5]
	v_mov_b32_e32 v24, 0
	ds_read_b64 v[24:25], v24 offset:88
	s_waitcnt lgkmcnt(0)
	v_mul_f64 v[24:25], v[30:31], v[24:25]
.LBB77_69:
	s_or_b64 exec, exec, s[2:3]
	v_cmp_gt_u32_e32 vcc, 12, v0
	; wave barrier
	ds_write_b64 v34, v[26:27]
	s_waitcnt lgkmcnt(0)
	; wave barrier
	s_and_saveexec_b64 s[2:3], vcc
	s_cbranch_execz .LBB77_73
; %bb.70:
	v_mov_b32_e32 v30, 0x70
	v_lshl_add_u32 v35, v0, 3, v30
	v_mov_b32_e32 v30, 0
	v_mov_b32_e32 v33, v1
	;; [unrolled: 1-line block ×3, first 2 shown]
	s_mov_b64 s[4:5], 0
	v_mov_b32_e32 v32, v0
.LBB77_71:                              ; =>This Inner Loop Header: Depth=1
	v_cmp_eq_u32_e32 vcc, 1, v32
	v_cndmask_b32_e32 v38, v3, v5, vcc
	v_cmp_eq_u32_e64 s[0:1], 2, v32
	v_cndmask_b32_e64 v38, v38, v7, s[0:1]
	v_cndmask_b32_e32 v39, v2, v4, vcc
	v_cmp_eq_u32_e32 vcc, 3, v32
	v_cndmask_b32_e32 v38, v38, v9, vcc
	v_cndmask_b32_e64 v39, v39, v6, s[0:1]
	v_cmp_eq_u32_e64 s[0:1], 4, v32
	v_cndmask_b32_e64 v38, v38, v11, s[0:1]
	v_cndmask_b32_e32 v39, v39, v8, vcc
	v_cmp_eq_u32_e32 vcc, 5, v32
	v_cndmask_b32_e32 v38, v38, v13, vcc
	v_cndmask_b32_e64 v39, v39, v10, s[0:1]
	;; [unrolled: 6-line block ×4, first 2 shown]
	v_cmp_eq_u32_e64 s[0:1], 10, v32
	ds_read_b64 v[36:37], v35
	v_cndmask_b32_e64 v38, v38, v23, s[0:1]
	v_cndmask_b32_e32 v39, v39, v20, vcc
	v_cmp_eq_u32_e32 vcc, 11, v32
	v_cndmask_b32_e32 v38, v38, v25, vcc
	v_cndmask_b32_e64 v39, v39, v22, s[0:1]
	v_cmp_eq_u32_e64 s[0:1], 12, v32
	v_cndmask_b32_e64 v38, v38, v27, s[0:1]
	v_cndmask_b32_e32 v40, v39, v24, vcc
	v_cmp_eq_u32_e32 vcc, 13, v32
	v_cndmask_b32_e32 v39, v38, v29, vcc
	v_cndmask_b32_e64 v38, v40, v26, s[0:1]
	v_cndmask_b32_e32 v38, v38, v28, vcc
	s_waitcnt lgkmcnt(0)
	v_fma_f64 v[30:31], v[38:39], v[36:37], v[30:31]
	v_add_co_u32_e32 v32, vcc, 1, v32
	v_addc_co_u32_e32 v33, vcc, 0, v33, vcc
	v_add_u32_e32 v36, -1, v32
	v_cmp_lt_u32_e32 vcc, 10, v36
	s_or_b64 s[4:5], vcc, s[4:5]
	v_add_u32_e32 v35, 8, v35
	s_andn2_b64 exec, exec, s[4:5]
	s_cbranch_execnz .LBB77_71
; %bb.72:
	s_or_b64 exec, exec, s[4:5]
	v_mov_b32_e32 v26, 0
	ds_read_b64 v[26:27], v26 offset:96
	s_waitcnt lgkmcnt(0)
	v_mul_f64 v[26:27], v[30:31], v[26:27]
.LBB77_73:
	s_or_b64 exec, exec, s[2:3]
	v_cmp_ne_u32_e32 vcc, 13, v0
	; wave barrier
	ds_write_b64 v34, v[28:29]
	s_waitcnt lgkmcnt(0)
	; wave barrier
	s_and_saveexec_b64 s[2:3], vcc
	s_cbranch_execz .LBB77_77
; %bb.74:
	v_mov_b32_e32 v30, 0x70
	v_lshl_add_u32 v34, v0, 3, v30
	v_mov_b32_e32 v30, 0
	v_mov_b32_e32 v33, v1
	;; [unrolled: 1-line block ×3, first 2 shown]
	s_mov_b64 s[4:5], 0
	v_mov_b32_e32 v32, v0
.LBB77_75:                              ; =>This Inner Loop Header: Depth=1
	v_cmp_eq_u32_e32 vcc, 1, v32
	v_cndmask_b32_e32 v1, v3, v5, vcc
	v_cmp_eq_u32_e64 s[0:1], 2, v32
	v_cndmask_b32_e64 v1, v1, v7, s[0:1]
	v_cndmask_b32_e32 v37, v2, v4, vcc
	v_cmp_eq_u32_e32 vcc, 3, v32
	v_cndmask_b32_e32 v1, v1, v9, vcc
	v_cndmask_b32_e64 v37, v37, v6, s[0:1]
	v_cmp_eq_u32_e64 s[0:1], 4, v32
	v_cndmask_b32_e64 v1, v1, v11, s[0:1]
	v_cndmask_b32_e32 v37, v37, v8, vcc
	v_cmp_eq_u32_e32 vcc, 5, v32
	v_cndmask_b32_e32 v1, v1, v13, vcc
	v_cndmask_b32_e64 v37, v37, v10, s[0:1]
	;; [unrolled: 6-line block ×4, first 2 shown]
	v_cmp_eq_u32_e64 s[0:1], 10, v32
	ds_read_b64 v[35:36], v34
	v_cndmask_b32_e64 v1, v1, v23, s[0:1]
	v_cndmask_b32_e32 v37, v37, v20, vcc
	v_cmp_eq_u32_e32 vcc, 11, v32
	v_cndmask_b32_e32 v1, v1, v25, vcc
	v_cndmask_b32_e64 v37, v37, v22, s[0:1]
	v_cmp_eq_u32_e64 s[0:1], 12, v32
	v_cndmask_b32_e64 v1, v1, v27, s[0:1]
	v_cndmask_b32_e32 v37, v37, v24, vcc
	v_cmp_eq_u32_e32 vcc, 13, v32
	v_cndmask_b32_e32 v38, v1, v29, vcc
	v_cndmask_b32_e64 v1, v37, v26, s[0:1]
	v_cndmask_b32_e32 v37, v1, v28, vcc
	s_waitcnt lgkmcnt(0)
	v_fma_f64 v[30:31], v[37:38], v[35:36], v[30:31]
	v_add_co_u32_e32 v32, vcc, 1, v32
	v_addc_co_u32_e32 v33, vcc, 0, v33, vcc
	v_add_u32_e32 v1, -1, v32
	v_cmp_lt_u32_e32 vcc, 11, v1
	s_or_b64 s[4:5], vcc, s[4:5]
	v_add_u32_e32 v34, 8, v34
	s_andn2_b64 exec, exec, s[4:5]
	s_cbranch_execnz .LBB77_75
; %bb.76:
	s_or_b64 exec, exec, s[4:5]
	v_mov_b32_e32 v1, 0
	ds_read_b64 v[28:29], v1 offset:104
	s_waitcnt lgkmcnt(0)
	v_mul_f64 v[28:29], v[30:31], v[28:29]
.LBB77_77:
	s_or_b64 exec, exec, s[2:3]
	; wave barrier
	s_cbranch_execnz .LBB77_15
	s_branch .LBB77_16
.LBB77_78:
	v_mov_b32_e32 v1, 0x70
	v_lshl_add_u32 v1, v0, 3, v1
	v_cmp_eq_u32_e32 vcc, 13, v0
	s_and_saveexec_b64 s[0:1], vcc
	s_cbranch_execz .LBB77_80
; %bb.79:
	v_mov_b32_e32 v54, 0
	s_waitcnt lgkmcnt(0)
	v_mov_b32_e32 v30, v2
	v_mov_b32_e32 v31, v3
	v_mov_b32_e32 v32, v4
	v_mov_b32_e32 v33, v5
	v_mov_b32_e32 v34, v6
	v_mov_b32_e32 v35, v7
	v_mov_b32_e32 v36, v8
	v_mov_b32_e32 v37, v9
	v_mov_b32_e32 v38, v10
	v_mov_b32_e32 v39, v11
	v_mov_b32_e32 v40, v12
	v_mov_b32_e32 v41, v13
	v_mov_b32_e32 v42, v14
	v_mov_b32_e32 v43, v15
	v_mov_b32_e32 v44, v16
	v_mov_b32_e32 v45, v17
	v_mov_b32_e32 v46, v18
	v_mov_b32_e32 v47, v19
	v_mov_b32_e32 v48, v20
	v_mov_b32_e32 v49, v21
	v_mov_b32_e32 v50, v22
	v_mov_b32_e32 v51, v23
	v_mov_b32_e32 v52, v24
	v_mov_b32_e32 v53, v25
	v_mov_b32_e32 v55, v54
	v_mov_b32_e32 v56, v28
	v_mov_b32_e32 v57, v29
	ds_write_b64 v1, v[26:27]
	v_mov_b32_e32 v2, v30
	v_mov_b32_e32 v3, v31
	;; [unrolled: 1-line block ×32, first 2 shown]
.LBB77_80:
	s_or_b64 exec, exec, s[0:1]
	v_mov_b32_e32 v52, 0
	s_waitcnt lgkmcnt(0)
	; wave barrier
	ds_read_b64 v[30:31], v52 offset:216
	v_cmp_lt_u32_e32 vcc, 11, v0
	s_waitcnt lgkmcnt(0)
	v_fma_f64 v[30:31], v[28:29], v[30:31], 0
	v_add_f64 v[26:27], v[26:27], -v[30:31]
	s_and_saveexec_b64 s[0:1], vcc
	s_cbranch_execz .LBB77_82
; %bb.81:
	v_mov_b32_e32 v30, v2
	v_mov_b32_e32 v31, v3
	;; [unrolled: 1-line block ×27, first 2 shown]
	ds_write_b64 v1, v[24:25]
	v_mov_b32_e32 v2, v30
	v_mov_b32_e32 v3, v31
	v_mov_b32_e32 v4, v32
	v_mov_b32_e32 v5, v33
	v_mov_b32_e32 v6, v34
	v_mov_b32_e32 v7, v35
	v_mov_b32_e32 v8, v36
	v_mov_b32_e32 v9, v37
	v_mov_b32_e32 v10, v38
	v_mov_b32_e32 v11, v39
	v_mov_b32_e32 v12, v40
	v_mov_b32_e32 v13, v41
	v_mov_b32_e32 v14, v42
	v_mov_b32_e32 v15, v43
	v_mov_b32_e32 v16, v44
	v_mov_b32_e32 v17, v45
	v_mov_b32_e32 v18, v46
	v_mov_b32_e32 v19, v47
	v_mov_b32_e32 v20, v48
	v_mov_b32_e32 v21, v49
	v_mov_b32_e32 v22, v50
	v_mov_b32_e32 v23, v51
	v_mov_b32_e32 v24, v52
	v_mov_b32_e32 v25, v53
	v_mov_b32_e32 v26, v54
	v_mov_b32_e32 v27, v55
	v_mov_b32_e32 v28, v56
	v_mov_b32_e32 v29, v57
	v_mov_b32_e32 v30, v58
	v_mov_b32_e32 v31, v59
	v_mov_b32_e32 v32, v60
	v_mov_b32_e32 v33, v61
.LBB77_82:
	s_or_b64 exec, exec, s[0:1]
	s_waitcnt lgkmcnt(0)
	; wave barrier
	ds_read_b128 v[30:33], v52 offset:208
	v_cmp_lt_u32_e32 vcc, 10, v0
	s_waitcnt lgkmcnt(0)
	v_fma_f64 v[30:31], v[26:27], v[30:31], 0
	v_fma_f64 v[30:31], v[28:29], v[32:33], v[30:31]
	v_add_f64 v[24:25], v[24:25], -v[30:31]
	s_and_saveexec_b64 s[0:1], vcc
	s_cbranch_execz .LBB77_84
; %bb.83:
	v_mov_b32_e32 v50, 0
	v_mov_b32_e32 v30, v2
	;; [unrolled: 1-line block ×28, first 2 shown]
	ds_write_b64 v1, v[22:23]
	v_mov_b32_e32 v2, v30
	v_mov_b32_e32 v3, v31
	;; [unrolled: 1-line block ×32, first 2 shown]
.LBB77_84:
	s_or_b64 exec, exec, s[0:1]
	v_mov_b32_e32 v48, 0
	s_waitcnt lgkmcnt(0)
	; wave barrier
	ds_read2_b64 v[30:33], v48 offset0:25 offset1:26
	ds_read_b64 v[34:35], v48 offset:216
	v_cmp_lt_u32_e32 vcc, 9, v0
	s_waitcnt lgkmcnt(1)
	v_fma_f64 v[30:31], v[24:25], v[30:31], 0
	v_fma_f64 v[30:31], v[26:27], v[32:33], v[30:31]
	s_waitcnt lgkmcnt(0)
	v_fma_f64 v[30:31], v[28:29], v[34:35], v[30:31]
	v_add_f64 v[22:23], v[22:23], -v[30:31]
	s_and_saveexec_b64 s[0:1], vcc
	s_cbranch_execz .LBB77_86
; %bb.85:
	v_mov_b32_e32 v30, v2
	v_mov_b32_e32 v31, v3
	v_mov_b32_e32 v32, v4
	v_mov_b32_e32 v33, v5
	v_mov_b32_e32 v34, v6
	v_mov_b32_e32 v35, v7
	v_mov_b32_e32 v36, v8
	v_mov_b32_e32 v37, v9
	v_mov_b32_e32 v38, v10
	v_mov_b32_e32 v39, v11
	v_mov_b32_e32 v40, v12
	v_mov_b32_e32 v41, v13
	v_mov_b32_e32 v42, v14
	v_mov_b32_e32 v43, v15
	v_mov_b32_e32 v44, v16
	v_mov_b32_e32 v45, v17
	v_mov_b32_e32 v46, v18
	v_mov_b32_e32 v47, v19
	v_mov_b32_e32 v49, v48
	v_mov_b32_e32 v50, v22
	v_mov_b32_e32 v51, v23
	v_mov_b32_e32 v52, v24
	v_mov_b32_e32 v53, v25
	v_mov_b32_e32 v54, v26
	v_mov_b32_e32 v55, v27
	v_mov_b32_e32 v56, v28
	v_mov_b32_e32 v57, v29
	ds_write_b64 v1, v[20:21]
	v_mov_b32_e32 v2, v30
	v_mov_b32_e32 v3, v31
	;; [unrolled: 1-line block ×32, first 2 shown]
.LBB77_86:
	s_or_b64 exec, exec, s[0:1]
	s_waitcnt lgkmcnt(0)
	; wave barrier
	ds_read_b128 v[30:33], v48 offset:192
	ds_read_b128 v[34:37], v48 offset:208
	v_cmp_lt_u32_e32 vcc, 8, v0
	s_waitcnt lgkmcnt(1)
	v_fma_f64 v[30:31], v[22:23], v[30:31], 0
	v_fma_f64 v[30:31], v[24:25], v[32:33], v[30:31]
	s_waitcnt lgkmcnt(0)
	v_fma_f64 v[30:31], v[26:27], v[34:35], v[30:31]
	v_fma_f64 v[30:31], v[28:29], v[36:37], v[30:31]
	v_add_f64 v[20:21], v[20:21], -v[30:31]
	s_and_saveexec_b64 s[0:1], vcc
	s_cbranch_execz .LBB77_88
; %bb.87:
	v_mov_b32_e32 v46, 0
	v_mov_b32_e32 v30, v2
	;; [unrolled: 1-line block ×28, first 2 shown]
	ds_write_b64 v1, v[18:19]
	v_mov_b32_e32 v2, v30
	v_mov_b32_e32 v3, v31
	;; [unrolled: 1-line block ×32, first 2 shown]
.LBB77_88:
	s_or_b64 exec, exec, s[0:1]
	v_mov_b32_e32 v44, 0
	s_waitcnt lgkmcnt(0)
	; wave barrier
	ds_read2_b64 v[30:33], v44 offset0:23 offset1:24
	ds_read2_b64 v[34:37], v44 offset0:25 offset1:26
	v_cmp_lt_u32_e32 vcc, 7, v0
	s_waitcnt lgkmcnt(1)
	v_fma_f64 v[30:31], v[20:21], v[30:31], 0
	v_fma_f64 v[30:31], v[22:23], v[32:33], v[30:31]
	ds_read_b64 v[32:33], v44 offset:216
	s_waitcnt lgkmcnt(1)
	v_fma_f64 v[30:31], v[24:25], v[34:35], v[30:31]
	v_fma_f64 v[30:31], v[26:27], v[36:37], v[30:31]
	s_waitcnt lgkmcnt(0)
	v_fma_f64 v[30:31], v[28:29], v[32:33], v[30:31]
	v_add_f64 v[18:19], v[18:19], -v[30:31]
	s_and_saveexec_b64 s[0:1], vcc
	s_cbranch_execz .LBB77_90
; %bb.89:
	v_mov_b32_e32 v30, v2
	v_mov_b32_e32 v31, v3
	;; [unrolled: 1-line block ×27, first 2 shown]
	ds_write_b64 v1, v[16:17]
	v_mov_b32_e32 v2, v30
	v_mov_b32_e32 v3, v31
	;; [unrolled: 1-line block ×32, first 2 shown]
.LBB77_90:
	s_or_b64 exec, exec, s[0:1]
	s_waitcnt lgkmcnt(0)
	; wave barrier
	ds_read_b128 v[30:33], v44 offset:176
	ds_read_b128 v[34:37], v44 offset:192
	v_cmp_lt_u32_e32 vcc, 6, v0
	s_waitcnt lgkmcnt(1)
	v_fma_f64 v[30:31], v[18:19], v[30:31], 0
	v_fma_f64 v[30:31], v[20:21], v[32:33], v[30:31]
	s_waitcnt lgkmcnt(0)
	v_fma_f64 v[30:31], v[22:23], v[34:35], v[30:31]
	v_fma_f64 v[34:35], v[24:25], v[36:37], v[30:31]
	ds_read_b128 v[30:33], v44 offset:208
	s_waitcnt lgkmcnt(0)
	v_fma_f64 v[30:31], v[26:27], v[30:31], v[34:35]
	v_fma_f64 v[30:31], v[28:29], v[32:33], v[30:31]
	v_add_f64 v[16:17], v[16:17], -v[30:31]
	s_and_saveexec_b64 s[0:1], vcc
	s_cbranch_execz .LBB77_92
; %bb.91:
	v_mov_b32_e32 v42, 0
	v_mov_b32_e32 v30, v2
	;; [unrolled: 1-line block ×28, first 2 shown]
	ds_write_b64 v1, v[14:15]
	v_mov_b32_e32 v2, v30
	v_mov_b32_e32 v3, v31
	;; [unrolled: 1-line block ×32, first 2 shown]
.LBB77_92:
	s_or_b64 exec, exec, s[0:1]
	v_mov_b32_e32 v40, 0
	s_waitcnt lgkmcnt(0)
	; wave barrier
	ds_read2_b64 v[30:33], v40 offset0:21 offset1:22
	ds_read2_b64 v[34:37], v40 offset0:23 offset1:24
	v_cmp_lt_u32_e32 vcc, 5, v0
	s_waitcnt lgkmcnt(1)
	v_fma_f64 v[30:31], v[16:17], v[30:31], 0
	v_fma_f64 v[30:31], v[18:19], v[32:33], v[30:31]
	s_waitcnt lgkmcnt(0)
	v_fma_f64 v[30:31], v[20:21], v[34:35], v[30:31]
	v_fma_f64 v[34:35], v[22:23], v[36:37], v[30:31]
	ds_read2_b64 v[30:33], v40 offset0:25 offset1:26
	ds_read_b64 v[36:37], v40 offset:216
	s_waitcnt lgkmcnt(1)
	v_fma_f64 v[30:31], v[24:25], v[30:31], v[34:35]
	v_fma_f64 v[30:31], v[26:27], v[32:33], v[30:31]
	s_waitcnt lgkmcnt(0)
	v_fma_f64 v[30:31], v[28:29], v[36:37], v[30:31]
	v_add_f64 v[14:15], v[14:15], -v[30:31]
	s_and_saveexec_b64 s[0:1], vcc
	s_cbranch_execz .LBB77_94
; %bb.93:
	v_mov_b32_e32 v30, v2
	v_mov_b32_e32 v31, v3
	;; [unrolled: 1-line block ×27, first 2 shown]
	ds_write_b64 v1, v[12:13]
	v_mov_b32_e32 v2, v30
	v_mov_b32_e32 v3, v31
	;; [unrolled: 1-line block ×32, first 2 shown]
.LBB77_94:
	s_or_b64 exec, exec, s[0:1]
	s_waitcnt lgkmcnt(0)
	; wave barrier
	ds_read_b128 v[30:33], v40 offset:160
	ds_read_b128 v[34:37], v40 offset:176
	v_cmp_lt_u32_e32 vcc, 4, v0
	s_waitcnt lgkmcnt(1)
	v_fma_f64 v[30:31], v[14:15], v[30:31], 0
	v_fma_f64 v[30:31], v[16:17], v[32:33], v[30:31]
	s_waitcnt lgkmcnt(0)
	v_fma_f64 v[30:31], v[18:19], v[34:35], v[30:31]
	v_fma_f64 v[38:39], v[20:21], v[36:37], v[30:31]
	ds_read_b128 v[30:33], v40 offset:192
	ds_read_b128 v[34:37], v40 offset:208
	s_waitcnt lgkmcnt(1)
	v_fma_f64 v[30:31], v[22:23], v[30:31], v[38:39]
	v_fma_f64 v[30:31], v[24:25], v[32:33], v[30:31]
	s_waitcnt lgkmcnt(0)
	v_fma_f64 v[30:31], v[26:27], v[34:35], v[30:31]
	v_fma_f64 v[30:31], v[28:29], v[36:37], v[30:31]
	v_add_f64 v[12:13], v[12:13], -v[30:31]
	s_and_saveexec_b64 s[0:1], vcc
	s_cbranch_execz .LBB77_96
; %bb.95:
	v_mov_b32_e32 v38, 0
	v_mov_b32_e32 v30, v2
	;; [unrolled: 1-line block ×28, first 2 shown]
	ds_write_b64 v1, v[10:11]
	v_mov_b32_e32 v2, v30
	v_mov_b32_e32 v3, v31
	;; [unrolled: 1-line block ×32, first 2 shown]
.LBB77_96:
	s_or_b64 exec, exec, s[0:1]
	v_mov_b32_e32 v36, 0
	s_waitcnt lgkmcnt(0)
	; wave barrier
	ds_read2_b64 v[30:33], v36 offset0:19 offset1:20
	ds_read2_b64 v[37:40], v36 offset0:21 offset1:22
	v_cmp_lt_u32_e32 vcc, 3, v0
	s_waitcnt lgkmcnt(1)
	v_fma_f64 v[30:31], v[12:13], v[30:31], 0
	v_fma_f64 v[30:31], v[14:15], v[32:33], v[30:31]
	s_waitcnt lgkmcnt(0)
	v_fma_f64 v[30:31], v[16:17], v[37:38], v[30:31]
	v_fma_f64 v[34:35], v[18:19], v[39:40], v[30:31]
	ds_read2_b64 v[30:33], v36 offset0:23 offset1:24
	ds_read2_b64 v[37:40], v36 offset0:25 offset1:26
	s_waitcnt lgkmcnt(1)
	v_fma_f64 v[30:31], v[20:21], v[30:31], v[34:35]
	v_fma_f64 v[30:31], v[22:23], v[32:33], v[30:31]
	ds_read_b64 v[32:33], v36 offset:216
	s_waitcnt lgkmcnt(1)
	v_fma_f64 v[30:31], v[24:25], v[37:38], v[30:31]
	v_fma_f64 v[30:31], v[26:27], v[39:40], v[30:31]
	s_waitcnt lgkmcnt(0)
	v_fma_f64 v[30:31], v[28:29], v[32:33], v[30:31]
	v_add_f64 v[10:11], v[10:11], -v[30:31]
	s_and_saveexec_b64 s[0:1], vcc
	s_cbranch_execz .LBB77_98
; %bb.97:
	v_mov_b32_e32 v30, v2
	v_mov_b32_e32 v31, v3
	;; [unrolled: 1-line block ×61, first 2 shown]
	ds_write_b64 v1, v[58:59]
.LBB77_98:
	s_or_b64 exec, exec, s[0:1]
	s_waitcnt lgkmcnt(0)
	; wave barrier
	ds_read_b128 v[30:33], v36 offset:144
	ds_read_b128 v[37:40], v36 offset:160
	v_cmp_lt_u32_e32 vcc, 2, v0
	s_waitcnt lgkmcnt(1)
	v_fma_f64 v[30:31], v[10:11], v[30:31], 0
	v_fma_f64 v[30:31], v[12:13], v[32:33], v[30:31]
	s_waitcnt lgkmcnt(0)
	v_fma_f64 v[30:31], v[14:15], v[37:38], v[30:31]
	v_fma_f64 v[34:35], v[16:17], v[39:40], v[30:31]
	ds_read_b128 v[30:33], v36 offset:176
	ds_read_b128 v[37:40], v36 offset:192
	s_waitcnt lgkmcnt(1)
	v_fma_f64 v[30:31], v[18:19], v[30:31], v[34:35]
	v_fma_f64 v[30:31], v[20:21], v[32:33], v[30:31]
	s_waitcnt lgkmcnt(0)
	v_fma_f64 v[30:31], v[22:23], v[37:38], v[30:31]
	v_fma_f64 v[34:35], v[24:25], v[39:40], v[30:31]
	ds_read_b128 v[30:33], v36 offset:208
	s_waitcnt lgkmcnt(0)
	v_fma_f64 v[30:31], v[26:27], v[30:31], v[34:35]
	v_fma_f64 v[30:31], v[28:29], v[32:33], v[30:31]
	v_add_f64 v[8:9], v[8:9], -v[30:31]
	s_and_saveexec_b64 s[0:1], vcc
	s_cbranch_execz .LBB77_100
; %bb.99:
	v_mov_b32_e32 v34, 0
	v_mov_b32_e32 v30, v2
	;; [unrolled: 1-line block ×62, first 2 shown]
	ds_write_b64 v1, v[58:59]
.LBB77_100:
	s_or_b64 exec, exec, s[0:1]
	v_mov_b32_e32 v34, 0
	s_waitcnt lgkmcnt(0)
	; wave barrier
	ds_read2_b64 v[30:33], v34 offset0:17 offset1:18
	ds_read2_b64 v[35:38], v34 offset0:19 offset1:20
	v_cmp_lt_u32_e32 vcc, 1, v0
	s_waitcnt lgkmcnt(1)
	v_fma_f64 v[30:31], v[8:9], v[30:31], 0
	v_fma_f64 v[30:31], v[10:11], v[32:33], v[30:31]
	s_waitcnt lgkmcnt(0)
	v_fma_f64 v[30:31], v[12:13], v[35:36], v[30:31]
	v_fma_f64 v[39:40], v[14:15], v[37:38], v[30:31]
	ds_read2_b64 v[30:33], v34 offset0:21 offset1:22
	ds_read2_b64 v[35:38], v34 offset0:23 offset1:24
	s_waitcnt lgkmcnt(1)
	v_fma_f64 v[30:31], v[16:17], v[30:31], v[39:40]
	v_fma_f64 v[30:31], v[18:19], v[32:33], v[30:31]
	s_waitcnt lgkmcnt(0)
	v_fma_f64 v[30:31], v[20:21], v[35:36], v[30:31]
	v_fma_f64 v[35:36], v[22:23], v[37:38], v[30:31]
	ds_read2_b64 v[30:33], v34 offset0:25 offset1:26
	ds_read_b64 v[37:38], v34 offset:216
	s_waitcnt lgkmcnt(1)
	v_fma_f64 v[30:31], v[24:25], v[30:31], v[35:36]
	v_fma_f64 v[30:31], v[26:27], v[32:33], v[30:31]
	s_waitcnt lgkmcnt(0)
	v_fma_f64 v[30:31], v[28:29], v[37:38], v[30:31]
	v_add_f64 v[6:7], v[6:7], -v[30:31]
	s_and_saveexec_b64 s[0:1], vcc
	s_cbranch_execz .LBB77_102
; %bb.101:
	v_mov_b32_e32 v32, v2
	v_mov_b32_e32 v33, v3
	;; [unrolled: 1-line block ×61, first 2 shown]
	ds_write_b64 v1, v[88:89]
.LBB77_102:
	s_or_b64 exec, exec, s[0:1]
	s_waitcnt lgkmcnt(0)
	; wave barrier
	ds_read_b128 v[30:33], v34 offset:128
	ds_read_b128 v[35:38], v34 offset:144
	v_cmp_ne_u32_e32 vcc, 0, v0
	s_waitcnt lgkmcnt(1)
	v_fma_f64 v[30:31], v[6:7], v[30:31], 0
	v_fma_f64 v[30:31], v[8:9], v[32:33], v[30:31]
	s_waitcnt lgkmcnt(0)
	v_fma_f64 v[30:31], v[10:11], v[35:36], v[30:31]
	v_fma_f64 v[39:40], v[12:13], v[37:38], v[30:31]
	ds_read_b128 v[30:33], v34 offset:160
	ds_read_b128 v[35:38], v34 offset:176
	s_waitcnt lgkmcnt(1)
	v_fma_f64 v[30:31], v[14:15], v[30:31], v[39:40]
	v_fma_f64 v[30:31], v[16:17], v[32:33], v[30:31]
	s_waitcnt lgkmcnt(0)
	v_fma_f64 v[30:31], v[18:19], v[35:36], v[30:31]
	v_fma_f64 v[38:39], v[20:21], v[37:38], v[30:31]
	ds_read_b128 v[30:33], v34 offset:192
	ds_read_b128 v[34:37], v34 offset:208
	s_waitcnt lgkmcnt(1)
	v_fma_f64 v[30:31], v[22:23], v[30:31], v[38:39]
	v_fma_f64 v[30:31], v[24:25], v[32:33], v[30:31]
	s_waitcnt lgkmcnt(0)
	v_fma_f64 v[30:31], v[26:27], v[34:35], v[30:31]
	v_fma_f64 v[30:31], v[28:29], v[36:37], v[30:31]
	v_add_f64 v[4:5], v[4:5], -v[30:31]
	s_and_saveexec_b64 s[0:1], vcc
	s_cbranch_execz .LBB77_104
; %bb.103:
	v_mov_b32_e32 v30, 0
	v_mov_b32_e32 v31, v30
	;; [unrolled: 1-line block ×62, first 2 shown]
	ds_write_b64 v1, v[58:59]
.LBB77_104:
	s_or_b64 exec, exec, s[0:1]
	v_mov_b32_e32 v0, 0
	s_waitcnt lgkmcnt(0)
	; wave barrier
	ds_read2_b64 v[30:33], v0 offset0:15 offset1:16
	ds_read2_b64 v[34:37], v0 offset0:17 offset1:18
	s_and_b64 vcc, exec, s[42:43]
	s_waitcnt lgkmcnt(1)
	v_fma_f64 v[30:31], v[4:5], v[30:31], 0
	v_fma_f64 v[30:31], v[6:7], v[32:33], v[30:31]
	s_waitcnt lgkmcnt(0)
	v_fma_f64 v[30:31], v[8:9], v[34:35], v[30:31]
	v_fma_f64 v[38:39], v[10:11], v[36:37], v[30:31]
	ds_read2_b64 v[30:33], v0 offset0:19 offset1:20
	ds_read2_b64 v[34:37], v0 offset0:21 offset1:22
	s_waitcnt lgkmcnt(1)
	v_fma_f64 v[30:31], v[12:13], v[30:31], v[38:39]
	v_fma_f64 v[30:31], v[14:15], v[32:33], v[30:31]
	s_waitcnt lgkmcnt(0)
	v_fma_f64 v[30:31], v[16:17], v[34:35], v[30:31]
	v_fma_f64 v[38:39], v[18:19], v[36:37], v[30:31]
	ds_read2_b64 v[30:33], v0 offset0:23 offset1:24
	ds_read2_b64 v[34:37], v0 offset0:25 offset1:26
	s_waitcnt lgkmcnt(1)
	v_fma_f64 v[30:31], v[20:21], v[30:31], v[38:39]
	v_fma_f64 v[30:31], v[22:23], v[32:33], v[30:31]
	ds_read_b64 v[32:33], v0 offset:216
	s_waitcnt lgkmcnt(1)
	v_fma_f64 v[30:31], v[24:25], v[34:35], v[30:31]
	v_fma_f64 v[30:31], v[26:27], v[36:37], v[30:31]
	s_waitcnt lgkmcnt(0)
	v_fma_f64 v[30:31], v[28:29], v[32:33], v[30:31]
	v_add_f64 v[2:3], v[2:3], -v[30:31]
	s_cbranch_vccz .LBB77_131
; %bb.105:
	global_load_dword v0, v0, s[40:41] offset:48
	s_waitcnt vmcnt(0)
	v_readfirstlane_b32 s0, v0
	s_add_i32 s0, s0, -1
	s_cmp_lg_u32 s0, 12
	s_cbranch_scc0 .LBB77_107
; %bb.106:
	s_lshl_b32 s0, s0, 1
	s_set_gpr_idx_on s0, gpr_idx(SRC0)
	v_mov_b32_e32 v0, v3
	v_mov_b32_e32 v1, v2
	s_set_gpr_idx_off
	v_mov_b32_e32 v59, v33
	v_mov_b32_e32 v53, v27
	;; [unrolled: 1-line block ×34, first 2 shown]
	s_set_gpr_idx_on s0, gpr_idx(DST)
	v_mov_b32_e32 v28, v26
	v_mov_b32_e32 v29, v27
	s_set_gpr_idx_off
	v_mov_b32_e32 v2, v28
	v_mov_b32_e32 v3, v29
	;; [unrolled: 1-line block ×32, first 2 shown]
.LBB77_107:
	v_mov_b32_e32 v0, 0
	global_load_dword v1, v0, s[40:41] offset:44
	s_waitcnt vmcnt(0)
	v_readfirstlane_b32 s0, v1
	s_add_i32 s0, s0, -1
	s_cmp_eq_u32 s0, 11
	s_cbranch_scc1 .LBB77_109
; %bb.108:
	s_lshl_b32 s0, s0, 1
	s_set_gpr_idx_on s0, gpr_idx(SRC0)
	v_mov_b32_e32 v1, v3
	v_mov_b32_e32 v58, v2
	s_set_gpr_idx_off
	v_mov_b32_e32 v57, v33
	v_mov_b32_e32 v49, v25
	;; [unrolled: 1-line block ×34, first 2 shown]
	s_set_gpr_idx_on s0, gpr_idx(DST)
	v_mov_b32_e32 v26, v24
	v_mov_b32_e32 v27, v25
	s_set_gpr_idx_off
	v_mov_b32_e32 v2, v26
	v_mov_b32_e32 v3, v27
	;; [unrolled: 1-line block ×32, first 2 shown]
.LBB77_109:
	global_load_dword v0, v0, s[40:41] offset:40
	s_waitcnt vmcnt(0)
	v_readfirstlane_b32 s0, v0
	s_add_i32 s0, s0, -1
	s_cmp_eq_u32 s0, 10
	s_cbranch_scc1 .LBB77_111
; %bb.110:
	s_lshl_b32 s0, s0, 1
	s_set_gpr_idx_on s0, gpr_idx(SRC0)
	v_mov_b32_e32 v0, v3
	v_mov_b32_e32 v1, v2
	s_set_gpr_idx_off
	v_mov_b32_e32 v55, v33
	v_mov_b32_e32 v45, v23
	v_mov_b32_e32 v44, v22
	v_mov_b32_e32 v54, v32
	v_mov_b32_e32 v53, v31
	v_mov_b32_e32 v52, v30
	v_mov_b32_e32 v51, v29
	v_mov_b32_e32 v50, v28
	v_mov_b32_e32 v49, v27
	v_mov_b32_e32 v48, v26
	v_mov_b32_e32 v47, v25
	v_mov_b32_e32 v46, v24
	v_mov_b32_e32 v43, v21
	v_mov_b32_e32 v42, v20
	v_mov_b32_e32 v41, v19
	v_mov_b32_e32 v40, v18
	v_mov_b32_e32 v39, v17
	v_mov_b32_e32 v38, v16
	v_mov_b32_e32 v37, v15
	v_mov_b32_e32 v36, v14
	v_mov_b32_e32 v35, v13
	v_mov_b32_e32 v34, v12
	v_mov_b32_e32 v33, v11
	v_mov_b32_e32 v32, v10
	v_mov_b32_e32 v31, v9
	v_mov_b32_e32 v30, v8
	v_mov_b32_e32 v29, v7
	v_mov_b32_e32 v28, v6
	v_mov_b32_e32 v27, v5
	v_mov_b32_e32 v26, v4
	v_mov_b32_e32 v25, v3
	v_mov_b32_e32 v24, v2
	v_mov_b32_e32 v44, v1
	v_mov_b32_e32 v45, v0
	s_set_gpr_idx_on s0, gpr_idx(DST)
	v_mov_b32_e32 v24, v22
	v_mov_b32_e32 v25, v23
	s_set_gpr_idx_off
	v_mov_b32_e32 v2, v24
	v_mov_b32_e32 v3, v25
	;; [unrolled: 1-line block ×32, first 2 shown]
.LBB77_111:
	v_mov_b32_e32 v0, 0
	global_load_dword v1, v0, s[40:41] offset:36
	s_waitcnt vmcnt(0)
	v_readfirstlane_b32 s0, v1
	s_add_i32 s0, s0, -1
	s_cmp_eq_u32 s0, 9
	s_cbranch_scc1 .LBB77_113
; %bb.112:
	s_lshl_b32 s0, s0, 1
	s_set_gpr_idx_on s0, gpr_idx(SRC0)
	v_mov_b32_e32 v1, v3
	v_mov_b32_e32 v54, v2
	s_set_gpr_idx_off
	v_mov_b32_e32 v53, v33
	v_mov_b32_e32 v41, v21
	;; [unrolled: 1-line block ×34, first 2 shown]
	s_set_gpr_idx_on s0, gpr_idx(DST)
	v_mov_b32_e32 v22, v20
	v_mov_b32_e32 v23, v21
	s_set_gpr_idx_off
	v_mov_b32_e32 v2, v22
	v_mov_b32_e32 v3, v23
	;; [unrolled: 1-line block ×32, first 2 shown]
.LBB77_113:
	global_load_dword v0, v0, s[40:41] offset:32
	s_waitcnt vmcnt(0)
	v_readfirstlane_b32 s0, v0
	s_add_i32 s0, s0, -1
	s_cmp_eq_u32 s0, 8
	s_cbranch_scc1 .LBB77_115
; %bb.114:
	s_lshl_b32 s0, s0, 1
	s_set_gpr_idx_on s0, gpr_idx(SRC0)
	v_mov_b32_e32 v0, v3
	v_mov_b32_e32 v1, v2
	s_set_gpr_idx_off
	v_mov_b32_e32 v51, v33
	v_mov_b32_e32 v37, v19
	;; [unrolled: 1-line block ×34, first 2 shown]
	s_set_gpr_idx_on s0, gpr_idx(DST)
	v_mov_b32_e32 v20, v18
	v_mov_b32_e32 v21, v19
	s_set_gpr_idx_off
	v_mov_b32_e32 v2, v20
	v_mov_b32_e32 v3, v21
	;; [unrolled: 1-line block ×32, first 2 shown]
.LBB77_115:
	v_mov_b32_e32 v0, 0
	global_load_dword v1, v0, s[40:41] offset:28
	s_waitcnt vmcnt(0)
	v_readfirstlane_b32 s0, v1
	s_add_i32 s0, s0, -1
	s_cmp_eq_u32 s0, 7
	s_cbranch_scc1 .LBB77_117
; %bb.116:
	s_lshl_b32 s0, s0, 1
	s_set_gpr_idx_on s0, gpr_idx(SRC0)
	v_mov_b32_e32 v1, v3
	v_mov_b32_e32 v50, v2
	s_set_gpr_idx_off
	v_mov_b32_e32 v49, v33
	v_mov_b32_e32 v48, v32
	;; [unrolled: 1-line block ×34, first 2 shown]
	s_set_gpr_idx_on s0, gpr_idx(DST)
	v_mov_b32_e32 v18, v16
	v_mov_b32_e32 v19, v17
	s_set_gpr_idx_off
	v_mov_b32_e32 v2, v18
	v_mov_b32_e32 v3, v19
	;; [unrolled: 1-line block ×32, first 2 shown]
.LBB77_117:
	global_load_dword v0, v0, s[40:41] offset:24
	s_waitcnt vmcnt(0)
	v_readfirstlane_b32 s0, v0
	s_add_i32 s0, s0, -1
	s_cmp_eq_u32 s0, 6
	s_cbranch_scc1 .LBB77_119
; %bb.118:
	s_lshl_b32 s0, s0, 1
	s_set_gpr_idx_on s0, gpr_idx(SRC0)
	v_mov_b32_e32 v0, v3
	v_mov_b32_e32 v1, v2
	s_set_gpr_idx_off
	v_mov_b32_e32 v47, v33
	v_mov_b32_e32 v46, v32
	;; [unrolled: 1-line block ×34, first 2 shown]
	s_set_gpr_idx_on s0, gpr_idx(DST)
	v_mov_b32_e32 v16, v14
	v_mov_b32_e32 v17, v15
	s_set_gpr_idx_off
	v_mov_b32_e32 v2, v16
	v_mov_b32_e32 v3, v17
	v_mov_b32_e32 v4, v18
	v_mov_b32_e32 v5, v19
	v_mov_b32_e32 v6, v20
	v_mov_b32_e32 v7, v21
	v_mov_b32_e32 v8, v22
	v_mov_b32_e32 v9, v23
	v_mov_b32_e32 v10, v24
	v_mov_b32_e32 v11, v25
	v_mov_b32_e32 v12, v26
	v_mov_b32_e32 v13, v27
	v_mov_b32_e32 v14, v28
	v_mov_b32_e32 v15, v29
	v_mov_b32_e32 v16, v30
	v_mov_b32_e32 v17, v31
	v_mov_b32_e32 v18, v32
	v_mov_b32_e32 v19, v33
	v_mov_b32_e32 v20, v34
	v_mov_b32_e32 v21, v35
	v_mov_b32_e32 v22, v36
	v_mov_b32_e32 v23, v37
	v_mov_b32_e32 v24, v38
	v_mov_b32_e32 v25, v39
	v_mov_b32_e32 v26, v40
	v_mov_b32_e32 v27, v41
	v_mov_b32_e32 v28, v42
	v_mov_b32_e32 v29, v43
	v_mov_b32_e32 v30, v44
	v_mov_b32_e32 v31, v45
	v_mov_b32_e32 v32, v46
	v_mov_b32_e32 v33, v47
.LBB77_119:
	v_mov_b32_e32 v0, 0
	global_load_dword v1, v0, s[40:41] offset:20
	s_waitcnt vmcnt(0)
	v_readfirstlane_b32 s0, v1
	s_add_i32 s0, s0, -1
	s_cmp_eq_u32 s0, 5
	s_cbranch_scc1 .LBB77_121
; %bb.120:
	s_lshl_b32 s0, s0, 1
	s_set_gpr_idx_on s0, gpr_idx(SRC0)
	v_mov_b32_e32 v1, v3
	v_mov_b32_e32 v46, v2
	s_set_gpr_idx_off
	v_mov_b32_e32 v45, v33
	v_mov_b32_e32 v44, v32
	;; [unrolled: 1-line block ×34, first 2 shown]
	s_set_gpr_idx_on s0, gpr_idx(DST)
	v_mov_b32_e32 v14, v12
	v_mov_b32_e32 v15, v13
	s_set_gpr_idx_off
	v_mov_b32_e32 v2, v14
	v_mov_b32_e32 v3, v15
	;; [unrolled: 1-line block ×32, first 2 shown]
.LBB77_121:
	global_load_dword v0, v0, s[40:41] offset:16
	s_waitcnt vmcnt(0)
	v_readfirstlane_b32 s0, v0
	s_add_i32 s0, s0, -1
	s_cmp_eq_u32 s0, 4
	s_cbranch_scc1 .LBB77_123
; %bb.122:
	s_lshl_b32 s0, s0, 1
	s_set_gpr_idx_on s0, gpr_idx(SRC0)
	v_mov_b32_e32 v0, v3
	v_mov_b32_e32 v1, v2
	s_set_gpr_idx_off
	v_mov_b32_e32 v43, v33
	v_mov_b32_e32 v42, v32
	;; [unrolled: 1-line block ×34, first 2 shown]
	s_set_gpr_idx_on s0, gpr_idx(DST)
	v_mov_b32_e32 v12, v10
	v_mov_b32_e32 v13, v11
	s_set_gpr_idx_off
	v_mov_b32_e32 v2, v12
	v_mov_b32_e32 v3, v13
	v_mov_b32_e32 v4, v14
	v_mov_b32_e32 v5, v15
	v_mov_b32_e32 v6, v16
	v_mov_b32_e32 v7, v17
	v_mov_b32_e32 v8, v18
	v_mov_b32_e32 v9, v19
	v_mov_b32_e32 v10, v20
	v_mov_b32_e32 v11, v21
	v_mov_b32_e32 v12, v22
	v_mov_b32_e32 v13, v23
	v_mov_b32_e32 v14, v24
	v_mov_b32_e32 v15, v25
	v_mov_b32_e32 v16, v26
	v_mov_b32_e32 v17, v27
	v_mov_b32_e32 v18, v28
	v_mov_b32_e32 v19, v29
	v_mov_b32_e32 v20, v30
	v_mov_b32_e32 v21, v31
	v_mov_b32_e32 v22, v32
	v_mov_b32_e32 v23, v33
	v_mov_b32_e32 v24, v34
	v_mov_b32_e32 v25, v35
	v_mov_b32_e32 v26, v36
	v_mov_b32_e32 v27, v37
	v_mov_b32_e32 v28, v38
	v_mov_b32_e32 v29, v39
	v_mov_b32_e32 v30, v40
	v_mov_b32_e32 v31, v41
	v_mov_b32_e32 v32, v42
	v_mov_b32_e32 v33, v43
.LBB77_123:
	v_mov_b32_e32 v0, 0
	global_load_dword v1, v0, s[40:41] offset:12
	s_waitcnt vmcnt(0)
	v_readfirstlane_b32 s0, v1
	s_add_i32 s0, s0, -1
	s_cmp_eq_u32 s0, 3
	s_cbranch_scc1 .LBB77_125
; %bb.124:
	s_lshl_b32 s0, s0, 1
	s_set_gpr_idx_on s0, gpr_idx(SRC0)
	v_mov_b32_e32 v1, v3
	v_mov_b32_e32 v42, v2
	s_set_gpr_idx_off
	v_mov_b32_e32 v41, v33
	v_mov_b32_e32 v40, v32
	;; [unrolled: 1-line block ×34, first 2 shown]
	s_set_gpr_idx_on s0, gpr_idx(DST)
	v_mov_b32_e32 v10, v8
	v_mov_b32_e32 v11, v9
	s_set_gpr_idx_off
	v_mov_b32_e32 v2, v10
	v_mov_b32_e32 v3, v11
	;; [unrolled: 1-line block ×32, first 2 shown]
.LBB77_125:
	global_load_dword v0, v0, s[40:41] offset:8
	s_waitcnt vmcnt(0)
	v_readfirstlane_b32 s0, v0
	s_add_i32 s0, s0, -1
	s_cmp_eq_u32 s0, 2
	s_cbranch_scc1 .LBB77_127
; %bb.126:
	s_lshl_b32 s0, s0, 1
	s_set_gpr_idx_on s0, gpr_idx(SRC0)
	v_mov_b32_e32 v0, v3
	v_mov_b32_e32 v1, v2
	s_set_gpr_idx_off
	v_mov_b32_e32 v39, v33
	v_mov_b32_e32 v38, v32
	;; [unrolled: 1-line block ×34, first 2 shown]
	s_set_gpr_idx_on s0, gpr_idx(DST)
	v_mov_b32_e32 v8, v6
	v_mov_b32_e32 v9, v7
	s_set_gpr_idx_off
	v_mov_b32_e32 v2, v8
	v_mov_b32_e32 v3, v9
	;; [unrolled: 1-line block ×32, first 2 shown]
.LBB77_127:
	v_mov_b32_e32 v0, 0
	global_load_dword v1, v0, s[40:41] offset:4
	s_waitcnt vmcnt(0)
	v_readfirstlane_b32 s0, v1
	s_add_i32 s0, s0, -1
	s_cmp_eq_u32 s0, 1
	s_cbranch_scc1 .LBB77_129
; %bb.128:
	s_lshl_b32 s0, s0, 1
	s_set_gpr_idx_on s0, gpr_idx(SRC0)
	v_mov_b32_e32 v1, v3
	v_mov_b32_e32 v38, v2
	s_set_gpr_idx_off
	v_mov_b32_e32 v37, v33
	v_mov_b32_e32 v36, v32
	;; [unrolled: 1-line block ×34, first 2 shown]
	s_set_gpr_idx_on s0, gpr_idx(DST)
	v_mov_b32_e32 v6, v4
	v_mov_b32_e32 v7, v5
	s_set_gpr_idx_off
	v_mov_b32_e32 v2, v6
	v_mov_b32_e32 v3, v7
	;; [unrolled: 1-line block ×32, first 2 shown]
.LBB77_129:
	global_load_dword v0, v0, s[40:41]
	s_waitcnt vmcnt(0)
	v_readfirstlane_b32 s0, v0
	s_add_i32 s0, s0, -1
	s_cmp_eq_u32 s0, 0
	s_cbranch_scc1 .LBB77_131
; %bb.130:
	s_lshl_b32 s0, s0, 1
	s_set_gpr_idx_on s0, gpr_idx(SRC0)
	v_mov_b32_e32 v0, v3
	v_mov_b32_e32 v1, v2
	s_set_gpr_idx_off
	v_mov_b32_e32 v35, v33
	v_mov_b32_e32 v34, v32
	;; [unrolled: 1-line block ×34, first 2 shown]
	s_set_gpr_idx_on s0, gpr_idx(DST)
	v_mov_b32_e32 v4, v2
	v_mov_b32_e32 v5, v3
	s_set_gpr_idx_off
	v_mov_b32_e32 v2, v4
	v_mov_b32_e32 v3, v5
	;; [unrolled: 1-line block ×32, first 2 shown]
.LBB77_131:
	v_mov_b32_e32 v0, v2
	v_mov_b32_e32 v1, v3
	flat_store_dwordx2 v[84:85], v[0:1]
	v_mov_b32_e32 v0, v4
	v_mov_b32_e32 v1, v5
	flat_store_dwordx2 v[86:87], v[0:1]
	;; [unrolled: 3-line block ×14, first 2 shown]
	s_endpgm
	.section	.rodata,"a",@progbits
	.p2align	6, 0x0
	.amdhsa_kernel _ZN9rocsolver6v33100L18getri_kernel_smallILi14EdPKPdEEvT1_iilPiilS6_bb
		.amdhsa_group_segment_fixed_size 232
		.amdhsa_private_segment_fixed_size 0
		.amdhsa_kernarg_size 60
		.amdhsa_user_sgpr_count 6
		.amdhsa_user_sgpr_private_segment_buffer 1
		.amdhsa_user_sgpr_dispatch_ptr 0
		.amdhsa_user_sgpr_queue_ptr 0
		.amdhsa_user_sgpr_kernarg_segment_ptr 1
		.amdhsa_user_sgpr_dispatch_id 0
		.amdhsa_user_sgpr_flat_scratch_init 0
		.amdhsa_user_sgpr_private_segment_size 0
		.amdhsa_uses_dynamic_stack 0
		.amdhsa_system_sgpr_private_segment_wavefront_offset 0
		.amdhsa_system_sgpr_workgroup_id_x 1
		.amdhsa_system_sgpr_workgroup_id_y 0
		.amdhsa_system_sgpr_workgroup_id_z 0
		.amdhsa_system_sgpr_workgroup_info 0
		.amdhsa_system_vgpr_workitem_id 0
		.amdhsa_next_free_vgpr 90
		.amdhsa_next_free_sgpr 50
		.amdhsa_reserve_vcc 1
		.amdhsa_reserve_flat_scratch 0
		.amdhsa_float_round_mode_32 0
		.amdhsa_float_round_mode_16_64 0
		.amdhsa_float_denorm_mode_32 3
		.amdhsa_float_denorm_mode_16_64 3
		.amdhsa_dx10_clamp 1
		.amdhsa_ieee_mode 1
		.amdhsa_fp16_overflow 0
		.amdhsa_exception_fp_ieee_invalid_op 0
		.amdhsa_exception_fp_denorm_src 0
		.amdhsa_exception_fp_ieee_div_zero 0
		.amdhsa_exception_fp_ieee_overflow 0
		.amdhsa_exception_fp_ieee_underflow 0
		.amdhsa_exception_fp_ieee_inexact 0
		.amdhsa_exception_int_div_zero 0
	.end_amdhsa_kernel
	.section	.text._ZN9rocsolver6v33100L18getri_kernel_smallILi14EdPKPdEEvT1_iilPiilS6_bb,"axG",@progbits,_ZN9rocsolver6v33100L18getri_kernel_smallILi14EdPKPdEEvT1_iilPiilS6_bb,comdat
.Lfunc_end77:
	.size	_ZN9rocsolver6v33100L18getri_kernel_smallILi14EdPKPdEEvT1_iilPiilS6_bb, .Lfunc_end77-_ZN9rocsolver6v33100L18getri_kernel_smallILi14EdPKPdEEvT1_iilPiilS6_bb
                                        ; -- End function
	.set _ZN9rocsolver6v33100L18getri_kernel_smallILi14EdPKPdEEvT1_iilPiilS6_bb.num_vgpr, 90
	.set _ZN9rocsolver6v33100L18getri_kernel_smallILi14EdPKPdEEvT1_iilPiilS6_bb.num_agpr, 0
	.set _ZN9rocsolver6v33100L18getri_kernel_smallILi14EdPKPdEEvT1_iilPiilS6_bb.numbered_sgpr, 50
	.set _ZN9rocsolver6v33100L18getri_kernel_smallILi14EdPKPdEEvT1_iilPiilS6_bb.num_named_barrier, 0
	.set _ZN9rocsolver6v33100L18getri_kernel_smallILi14EdPKPdEEvT1_iilPiilS6_bb.private_seg_size, 0
	.set _ZN9rocsolver6v33100L18getri_kernel_smallILi14EdPKPdEEvT1_iilPiilS6_bb.uses_vcc, 1
	.set _ZN9rocsolver6v33100L18getri_kernel_smallILi14EdPKPdEEvT1_iilPiilS6_bb.uses_flat_scratch, 0
	.set _ZN9rocsolver6v33100L18getri_kernel_smallILi14EdPKPdEEvT1_iilPiilS6_bb.has_dyn_sized_stack, 0
	.set _ZN9rocsolver6v33100L18getri_kernel_smallILi14EdPKPdEEvT1_iilPiilS6_bb.has_recursion, 0
	.set _ZN9rocsolver6v33100L18getri_kernel_smallILi14EdPKPdEEvT1_iilPiilS6_bb.has_indirect_call, 0
	.section	.AMDGPU.csdata,"",@progbits
; Kernel info:
; codeLenInByte = 18208
; TotalNumSgprs: 54
; NumVgprs: 90
; ScratchSize: 0
; MemoryBound: 0
; FloatMode: 240
; IeeeMode: 1
; LDSByteSize: 232 bytes/workgroup (compile time only)
; SGPRBlocks: 6
; VGPRBlocks: 22
; NumSGPRsForWavesPerEU: 54
; NumVGPRsForWavesPerEU: 90
; Occupancy: 2
; WaveLimiterHint : 1
; COMPUTE_PGM_RSRC2:SCRATCH_EN: 0
; COMPUTE_PGM_RSRC2:USER_SGPR: 6
; COMPUTE_PGM_RSRC2:TRAP_HANDLER: 0
; COMPUTE_PGM_RSRC2:TGID_X_EN: 1
; COMPUTE_PGM_RSRC2:TGID_Y_EN: 0
; COMPUTE_PGM_RSRC2:TGID_Z_EN: 0
; COMPUTE_PGM_RSRC2:TIDIG_COMP_CNT: 0
	.section	.text._ZN9rocsolver6v33100L18getri_kernel_smallILi15EdPKPdEEvT1_iilPiilS6_bb,"axG",@progbits,_ZN9rocsolver6v33100L18getri_kernel_smallILi15EdPKPdEEvT1_iilPiilS6_bb,comdat
	.globl	_ZN9rocsolver6v33100L18getri_kernel_smallILi15EdPKPdEEvT1_iilPiilS6_bb ; -- Begin function _ZN9rocsolver6v33100L18getri_kernel_smallILi15EdPKPdEEvT1_iilPiilS6_bb
	.p2align	8
	.type	_ZN9rocsolver6v33100L18getri_kernel_smallILi15EdPKPdEEvT1_iilPiilS6_bb,@function
_ZN9rocsolver6v33100L18getri_kernel_smallILi15EdPKPdEEvT1_iilPiilS6_bb: ; @_ZN9rocsolver6v33100L18getri_kernel_smallILi15EdPKPdEEvT1_iilPiilS6_bb
; %bb.0:
	v_cmp_gt_u32_e32 vcc, 15, v0
	s_and_saveexec_b64 s[0:1], vcc
	s_cbranch_execz .LBB78_16
; %bb.1:
	s_load_dword s8, s[4:5], 0x38
	s_load_dwordx2 s[0:1], s[4:5], 0x0
	s_load_dwordx4 s[36:39], s[4:5], 0x28
                                        ; implicit-def: $sgpr40_sgpr41
	s_waitcnt lgkmcnt(0)
	s_bitcmp1_b32 s8, 8
	s_cselect_b64 s[42:43], -1, 0
	s_ashr_i32 s7, s6, 31
	s_lshl_b64 s[2:3], s[6:7], 3
	s_add_u32 s0, s0, s2
	s_addc_u32 s1, s1, s3
	s_load_dwordx2 s[2:3], s[0:1], 0x0
	s_bfe_u32 s0, s8, 0x10008
	s_cmp_eq_u32 s0, 0
	s_cbranch_scc1 .LBB78_3
; %bb.2:
	s_load_dword s0, s[4:5], 0x20
	s_load_dwordx2 s[8:9], s[4:5], 0x18
	s_mul_i32 s1, s36, s7
	s_mul_hi_u32 s10, s36, s6
	s_add_i32 s10, s10, s1
	s_mul_i32 s11, s37, s6
	s_add_i32 s11, s10, s11
	s_mul_i32 s10, s36, s6
	s_waitcnt lgkmcnt(0)
	s_ashr_i32 s1, s0, 31
	s_lshl_b64 s[10:11], s[10:11], 2
	s_add_u32 s8, s8, s10
	s_addc_u32 s9, s9, s11
	s_lshl_b64 s[0:1], s[0:1], 2
	s_add_u32 s40, s8, s0
	s_addc_u32 s41, s9, s1
.LBB78_3:
	s_load_dwordx2 s[0:1], s[4:5], 0x8
	s_load_dword s8, s[4:5], 0x38
	v_lshlrev_b32_e32 v34, 3, v0
	s_waitcnt lgkmcnt(0)
	s_ashr_i32 s5, s0, 31
	s_mov_b32 s4, s0
	s_lshl_b64 s[4:5], s[4:5], 3
	s_add_u32 s0, s2, s4
	s_addc_u32 s2, s3, s5
	s_add_i32 s3, s1, s1
	v_add_u32_e32 v1, s3, v0
	v_ashrrev_i32_e32 v2, 31, v1
	v_lshlrev_b64 v[2:3], 3, v[1:2]
	v_add_u32_e32 v1, s1, v1
	v_mov_b32_e32 v4, s2
	v_add_co_u32_e32 v64, vcc, s0, v2
	v_ashrrev_i32_e32 v2, 31, v1
	v_addc_co_u32_e32 v65, vcc, v4, v3, vcc
	v_lshlrev_b64 v[2:3], 3, v[1:2]
	v_add_u32_e32 v1, s1, v1
	v_add_co_u32_e32 v66, vcc, s0, v2
	v_ashrrev_i32_e32 v2, 31, v1
	v_addc_co_u32_e32 v67, vcc, v4, v3, vcc
	v_lshlrev_b64 v[2:3], 3, v[1:2]
	v_add_u32_e32 v1, s1, v1
	;; [unrolled: 5-line block ×11, first 2 shown]
	v_add_co_u32_e32 v86, vcc, s0, v2
	v_ashrrev_i32_e32 v2, 31, v1
	v_lshlrev_b64 v[1:2], 3, v[1:2]
	v_addc_co_u32_e32 v87, vcc, v4, v3, vcc
	v_mov_b32_e32 v3, s2
	v_add_co_u32_e32 v88, vcc, s0, v1
	v_addc_co_u32_e32 v89, vcc, v3, v2, vcc
	v_mov_b32_e32 v1, s2
	v_add_co_u32_e32 v90, vcc, s0, v34
	s_ashr_i32 s3, s1, 31
	s_mov_b32 s2, s1
	v_addc_co_u32_e32 v91, vcc, 0, v1, vcc
	s_lshl_b64 s[0:1], s[2:3], 3
	v_mov_b32_e32 v1, s1
	v_add_co_u32_e32 v92, vcc, s0, v90
	v_addc_co_u32_e32 v93, vcc, v91, v1, vcc
	flat_load_dwordx2 v[2:3], v[90:91]
	flat_load_dwordx2 v[4:5], v[92:93]
	flat_load_dwordx2 v[6:7], v[64:65]
	flat_load_dwordx2 v[8:9], v[66:67]
	flat_load_dwordx2 v[10:11], v[68:69]
	flat_load_dwordx2 v[12:13], v[70:71]
	flat_load_dwordx2 v[14:15], v[72:73]
	flat_load_dwordx2 v[16:17], v[74:75]
	flat_load_dwordx2 v[18:19], v[76:77]
	flat_load_dwordx2 v[20:21], v[78:79]
	flat_load_dwordx2 v[22:23], v[80:81]
	flat_load_dwordx2 v[24:25], v[82:83]
	flat_load_dwordx2 v[26:27], v[84:85]
	flat_load_dwordx2 v[28:29], v[86:87]
	flat_load_dwordx2 v[30:31], v[88:89]
	v_mov_b32_e32 v1, 0
	s_bitcmp0_b32 s8, 0
	s_mov_b64 s[0:1], -1
	s_cbranch_scc1 .LBB78_14
; %bb.4:
	v_cmp_eq_u32_e64 s[0:1], 0, v0
	s_and_saveexec_b64 s[2:3], s[0:1]
; %bb.5:
	v_mov_b32_e32 v32, 0
	ds_write_b32 v32, v32 offset:120
; %bb.6:
	s_or_b64 exec, exec, s[2:3]
	v_cmp_eq_u32_e32 vcc, 1, v0
	s_waitcnt vmcnt(0) lgkmcnt(0)
	v_cndmask_b32_e32 v32, v3, v5, vcc
	v_cmp_eq_u32_e64 s[2:3], 2, v0
	v_cndmask_b32_e64 v32, v32, v7, s[2:3]
	v_cmp_eq_u32_e64 s[4:5], 3, v0
	v_cndmask_b32_e64 v32, v32, v9, s[4:5]
	;; [unrolled: 2-line block ×13, first 2 shown]
	v_cndmask_b32_e32 v32, v2, v4, vcc
	v_cndmask_b32_e64 v32, v32, v6, s[2:3]
	v_cndmask_b32_e64 v32, v32, v8, s[4:5]
	;; [unrolled: 1-line block ×13, first 2 shown]
	v_cmp_eq_f64_e32 vcc, 0, v[32:33]
	; wave barrier
	s_and_saveexec_b64 s[4:5], vcc
	s_cbranch_execz .LBB78_10
; %bb.7:
	v_mov_b32_e32 v35, 0
	ds_read_b32 v37, v35 offset:120
	v_add_u32_e32 v36, 1, v0
	s_waitcnt lgkmcnt(0)
	v_readfirstlane_b32 s2, v37
	s_cmp_eq_u32 s2, 0
	s_cselect_b64 s[8:9], -1, 0
	v_cmp_gt_i32_e32 vcc, s2, v36
	s_or_b64 s[8:9], s[8:9], vcc
	s_and_b64 exec, exec, s[8:9]
	s_cbranch_execz .LBB78_10
; %bb.8:
	s_mov_b64 s[8:9], 0
	v_mov_b32_e32 v37, s2
.LBB78_9:                               ; =>This Inner Loop Header: Depth=1
	ds_cmpst_rtn_b32 v37, v35, v37, v36 offset:120
	s_waitcnt lgkmcnt(0)
	v_cmp_ne_u32_e32 vcc, 0, v37
	v_cmp_le_i32_e64 s[2:3], v37, v36
	s_and_b64 s[2:3], vcc, s[2:3]
	s_and_b64 s[2:3], exec, s[2:3]
	s_or_b64 s[8:9], s[2:3], s[8:9]
	s_andn2_b64 exec, exec, s[8:9]
	s_cbranch_execnz .LBB78_9
.LBB78_10:
	s_or_b64 exec, exec, s[4:5]
	v_mov_b32_e32 v36, 0
	; wave barrier
	ds_read_b32 v35, v36 offset:120
	s_and_saveexec_b64 s[2:3], s[0:1]
	s_cbranch_execz .LBB78_12
; %bb.11:
	s_lshl_b64 s[4:5], s[6:7], 2
	s_add_u32 s4, s38, s4
	s_addc_u32 s5, s39, s5
	s_waitcnt lgkmcnt(0)
	global_store_dword v36, v35, s[4:5]
.LBB78_12:
	s_or_b64 exec, exec, s[2:3]
	s_waitcnt lgkmcnt(0)
	v_cmp_ne_u32_e32 vcc, 0, v35
	s_cbranch_vccz .LBB78_17
; %bb.13:
	s_mov_b64 s[0:1], 0
                                        ; implicit-def: $vgpr2_vgpr3_vgpr4_vgpr5_vgpr6_vgpr7_vgpr8_vgpr9_vgpr10_vgpr11_vgpr12_vgpr13_vgpr14_vgpr15_vgpr16_vgpr17_vgpr18_vgpr19_vgpr20_vgpr21_vgpr22_vgpr23_vgpr24_vgpr25_vgpr26_vgpr27_vgpr28_vgpr29_vgpr30_vgpr31_vgpr32_vgpr33
.LBB78_14:
	s_and_b64 vcc, exec, s[0:1]
	s_cbranch_vccz .LBB78_16
.LBB78_15:
	s_lshl_b64 s[0:1], s[6:7], 2
	s_add_u32 s0, s38, s0
	s_addc_u32 s1, s39, s1
	v_mov_b32_e32 v1, 0
	global_load_dword v1, v1, s[0:1]
	s_waitcnt vmcnt(0)
	v_cmp_ne_u32_e32 vcc, 0, v1
	s_cbranch_vccz .LBB78_82
.LBB78_16:
	s_endpgm
.LBB78_17:
	v_div_scale_f64 v[35:36], s[2:3], v[32:33], v[32:33], 1.0
	v_rcp_f64_e32 v[37:38], v[35:36]
	v_fma_f64 v[39:40], -v[35:36], v[37:38], 1.0
	v_fma_f64 v[37:38], v[37:38], v[39:40], v[37:38]
	v_div_scale_f64 v[39:40], vcc, 1.0, v[32:33], 1.0
	v_fma_f64 v[41:42], -v[35:36], v[37:38], 1.0
	v_fma_f64 v[37:38], v[37:38], v[41:42], v[37:38]
	v_mul_f64 v[41:42], v[39:40], v[37:38]
	v_fma_f64 v[35:36], -v[35:36], v[41:42], v[39:40]
	v_div_fmas_f64 v[35:36], v[35:36], v[37:38], v[41:42]
	v_cmp_eq_u32_e32 vcc, 14, v0
	v_div_fixup_f64 v[32:33], v[35:36], v[32:33], 1.0
	v_add_u32_e32 v36, 0x80, v34
	v_cndmask_b32_e32 v31, v31, v33, vcc
	v_cndmask_b32_e32 v30, v30, v32, vcc
	v_cmp_eq_u32_e32 vcc, 13, v0
	v_cndmask_b32_e32 v29, v29, v33, vcc
	v_cndmask_b32_e32 v28, v28, v32, vcc
	v_cmp_eq_u32_e32 vcc, 12, v0
	;; [unrolled: 3-line block ×14, first 2 shown]
	v_cndmask_b32_e32 v3, v3, v33, vcc
	v_cndmask_b32_e32 v2, v2, v32, vcc
	v_xor_b32_e32 v38, 0x80000000, v33
	v_mov_b32_e32 v37, v32
	ds_write2_b64 v34, v[37:38], v[4:5] offset1:16
	s_waitcnt lgkmcnt(0)
	; wave barrier
	s_and_saveexec_b64 s[2:3], s[0:1]
	s_cbranch_execz .LBB78_19
; %bb.18:
	ds_read_b64 v[4:5], v36
	v_mov_b32_e32 v34, 0
	ds_read_b64 v[34:35], v34 offset:8
	s_waitcnt lgkmcnt(1)
	v_fma_f64 v[4:5], v[32:33], v[4:5], 0
	s_waitcnt lgkmcnt(0)
	v_mul_f64 v[4:5], v[4:5], v[34:35]
.LBB78_19:
	s_or_b64 exec, exec, s[2:3]
	v_cmp_gt_u32_e32 vcc, 2, v0
	; wave barrier
	ds_write_b64 v36, v[6:7]
	s_waitcnt lgkmcnt(0)
	; wave barrier
	s_and_saveexec_b64 s[34:35], vcc
	s_cbranch_execz .LBB78_21
; %bb.20:
	v_cmp_eq_u32_e64 s[2:3], 1, v0
	v_cndmask_b32_e64 v32, v3, v5, s[2:3]
	v_cmp_eq_u32_e64 s[4:5], 2, v0
	v_cndmask_b32_e64 v7, v32, v7, s[4:5]
	v_cndmask_b32_e64 v32, v2, v4, s[2:3]
	v_cmp_eq_u32_e64 s[8:9], 3, v0
	v_cndmask_b32_e64 v6, v32, v6, s[4:5]
	;; [unrolled: 3-line block ×10, first 2 shown]
	ds_read_b64 v[32:33], v36
	v_cndmask_b32_e64 v7, v7, v25, s[24:25]
	v_cmp_eq_u32_e64 s[26:27], 12, v0
	v_cndmask_b32_e64 v6, v6, v24, s[24:25]
	v_cndmask_b32_e64 v7, v7, v27, s[26:27]
	v_cmp_eq_u32_e64 s[28:29], 13, v0
	v_cndmask_b32_e64 v6, v6, v26, s[26:27]
	v_cndmask_b32_e64 v7, v7, v29, s[28:29]
	v_cmp_eq_u32_e64 s[30:31], 14, v0
	v_cndmask_b32_e64 v6, v6, v28, s[28:29]
	v_cndmask_b32_e64 v7, v7, v31, s[30:31]
	v_cndmask_b32_e64 v6, v6, v30, s[30:31]
	s_waitcnt lgkmcnt(0)
	v_fma_f64 v[6:7], v[6:7], v[32:33], 0
	v_mov_b32_e32 v32, 0
	ds_read2_b64 v[32:35], v32 offset0:2 offset1:17
	s_waitcnt lgkmcnt(0)
	v_fma_f64 v[34:35], v[4:5], v[34:35], v[6:7]
	v_cndmask_b32_e64 v7, v7, v35, s[0:1]
	v_cndmask_b32_e64 v6, v6, v34, s[0:1]
	v_mul_f64 v[6:7], v[6:7], v[32:33]
.LBB78_21:
	s_or_b64 exec, exec, s[34:35]
	v_cmp_gt_u32_e64 s[2:3], 3, v0
	; wave barrier
	ds_write_b64 v36, v[8:9]
	s_waitcnt lgkmcnt(0)
	; wave barrier
	s_and_saveexec_b64 s[8:9], s[2:3]
	s_cbranch_execz .LBB78_25
; %bb.22:
	v_mov_b32_e32 v32, 0x80
	v_lshl_add_u32 v37, v0, 3, v32
	v_mov_b32_e32 v32, 0
	v_mov_b32_e32 v35, v1
	;; [unrolled: 1-line block ×3, first 2 shown]
	s_mov_b64 s[10:11], 0
	v_mov_b32_e32 v34, v0
.LBB78_23:                              ; =>This Inner Loop Header: Depth=1
	v_cmp_eq_u32_e64 s[2:3], 1, v34
	v_cndmask_b32_e64 v40, v3, v5, s[2:3]
	v_cmp_eq_u32_e64 s[4:5], 2, v34
	v_cndmask_b32_e64 v40, v40, v7, s[4:5]
	v_cndmask_b32_e64 v41, v2, v4, s[2:3]
	v_cmp_eq_u32_e64 s[2:3], 3, v34
	v_cndmask_b32_e64 v40, v40, v9, s[2:3]
	;; [unrolled: 3-line block ×9, first 2 shown]
	v_cndmask_b32_e64 v41, v41, v20, s[2:3]
	v_cmp_eq_u32_e64 s[2:3], 11, v34
	ds_read_b64 v[38:39], v37
	v_cndmask_b32_e64 v40, v40, v25, s[2:3]
	v_cndmask_b32_e64 v41, v41, v22, s[4:5]
	v_cmp_eq_u32_e64 s[4:5], 12, v34
	v_cndmask_b32_e64 v40, v40, v27, s[4:5]
	v_cndmask_b32_e64 v41, v41, v24, s[2:3]
	v_cmp_eq_u32_e64 s[2:3], 13, v34
	;; [unrolled: 3-line block ×3, first 2 shown]
	v_cndmask_b32_e64 v41, v40, v31, s[4:5]
	v_cndmask_b32_e64 v40, v42, v28, s[2:3]
	;; [unrolled: 1-line block ×3, first 2 shown]
	s_waitcnt lgkmcnt(0)
	v_fma_f64 v[32:33], v[40:41], v[38:39], v[32:33]
	v_add_co_u32_e64 v34, s[2:3], 1, v34
	v_addc_co_u32_e64 v35, s[2:3], 0, v35, s[2:3]
	v_add_u32_e32 v38, -1, v34
	v_cmp_lt_u32_e64 s[2:3], 1, v38
	s_or_b64 s[10:11], s[2:3], s[10:11]
	v_add_u32_e32 v37, 8, v37
	s_andn2_b64 exec, exec, s[10:11]
	s_cbranch_execnz .LBB78_23
; %bb.24:
	s_or_b64 exec, exec, s[10:11]
	v_mov_b32_e32 v8, 0
	ds_read_b64 v[8:9], v8 offset:24
	s_waitcnt lgkmcnt(0)
	v_mul_f64 v[8:9], v[32:33], v[8:9]
.LBB78_25:
	s_or_b64 exec, exec, s[8:9]
	v_cmp_gt_u32_e64 s[2:3], 4, v0
	; wave barrier
	ds_write_b64 v36, v[10:11]
	s_waitcnt lgkmcnt(0)
	; wave barrier
	s_and_saveexec_b64 s[10:11], s[2:3]
	s_cbranch_execz .LBB78_29
; %bb.26:
	v_mov_b32_e32 v32, 0x80
	v_lshl_add_u32 v37, v0, 3, v32
	v_mov_b32_e32 v32, 0
	v_mov_b32_e32 v35, v1
	;; [unrolled: 1-line block ×3, first 2 shown]
	s_mov_b64 s[12:13], 0
	v_mov_b32_e32 v34, v0
.LBB78_27:                              ; =>This Inner Loop Header: Depth=1
	v_cmp_eq_u32_e64 s[4:5], 1, v34
	v_cndmask_b32_e64 v40, v3, v5, s[4:5]
	v_cmp_eq_u32_e64 s[8:9], 2, v34
	v_cndmask_b32_e64 v40, v40, v7, s[8:9]
	v_cndmask_b32_e64 v41, v2, v4, s[4:5]
	v_cmp_eq_u32_e64 s[4:5], 3, v34
	v_cndmask_b32_e64 v40, v40, v9, s[4:5]
	;; [unrolled: 3-line block ×9, first 2 shown]
	v_cndmask_b32_e64 v41, v41, v20, s[4:5]
	v_cmp_eq_u32_e64 s[4:5], 11, v34
	ds_read_b64 v[38:39], v37
	v_cndmask_b32_e64 v40, v40, v25, s[4:5]
	v_cndmask_b32_e64 v41, v41, v22, s[8:9]
	v_cmp_eq_u32_e64 s[8:9], 12, v34
	v_cndmask_b32_e64 v40, v40, v27, s[8:9]
	v_cndmask_b32_e64 v41, v41, v24, s[4:5]
	v_cmp_eq_u32_e64 s[4:5], 13, v34
	;; [unrolled: 3-line block ×3, first 2 shown]
	v_cndmask_b32_e64 v41, v40, v31, s[8:9]
	v_cndmask_b32_e64 v40, v42, v28, s[4:5]
	v_cndmask_b32_e64 v40, v40, v30, s[8:9]
	s_waitcnt lgkmcnt(0)
	v_fma_f64 v[32:33], v[40:41], v[38:39], v[32:33]
	v_add_co_u32_e64 v34, s[4:5], 1, v34
	v_addc_co_u32_e64 v35, s[4:5], 0, v35, s[4:5]
	v_add_u32_e32 v38, -1, v34
	v_cmp_lt_u32_e64 s[4:5], 2, v38
	s_or_b64 s[12:13], s[4:5], s[12:13]
	v_add_u32_e32 v37, 8, v37
	s_andn2_b64 exec, exec, s[12:13]
	s_cbranch_execnz .LBB78_27
; %bb.28:
	s_or_b64 exec, exec, s[12:13]
	v_mov_b32_e32 v10, 0
	ds_read_b64 v[10:11], v10 offset:32
	s_waitcnt lgkmcnt(0)
	v_mul_f64 v[10:11], v[32:33], v[10:11]
.LBB78_29:
	s_or_b64 exec, exec, s[10:11]
	v_cmp_gt_u32_e64 s[4:5], 5, v0
	; wave barrier
	ds_write_b64 v36, v[12:13]
	s_waitcnt lgkmcnt(0)
	; wave barrier
	s_and_saveexec_b64 s[10:11], s[4:5]
	s_cbranch_execz .LBB78_33
; %bb.30:
	v_mov_b32_e32 v32, 0x80
	v_lshl_add_u32 v37, v0, 3, v32
	v_mov_b32_e32 v32, 0
	v_mov_b32_e32 v35, v1
	;; [unrolled: 1-line block ×3, first 2 shown]
	s_mov_b64 s[12:13], 0
	v_mov_b32_e32 v34, v0
.LBB78_31:                              ; =>This Inner Loop Header: Depth=1
	v_cmp_eq_u32_e64 s[4:5], 1, v34
	v_cndmask_b32_e64 v40, v3, v5, s[4:5]
	v_cmp_eq_u32_e64 s[8:9], 2, v34
	v_cndmask_b32_e64 v40, v40, v7, s[8:9]
	v_cndmask_b32_e64 v41, v2, v4, s[4:5]
	v_cmp_eq_u32_e64 s[4:5], 3, v34
	v_cndmask_b32_e64 v40, v40, v9, s[4:5]
	v_cndmask_b32_e64 v41, v41, v6, s[8:9]
	v_cmp_eq_u32_e64 s[8:9], 4, v34
	v_cndmask_b32_e64 v40, v40, v11, s[8:9]
	v_cndmask_b32_e64 v41, v41, v8, s[4:5]
	v_cmp_eq_u32_e64 s[4:5], 5, v34
	v_cndmask_b32_e64 v40, v40, v13, s[4:5]
	v_cndmask_b32_e64 v41, v41, v10, s[8:9]
	v_cmp_eq_u32_e64 s[8:9], 6, v34
	v_cndmask_b32_e64 v40, v40, v15, s[8:9]
	v_cndmask_b32_e64 v41, v41, v12, s[4:5]
	v_cmp_eq_u32_e64 s[4:5], 7, v34
	v_cndmask_b32_e64 v40, v40, v17, s[4:5]
	v_cndmask_b32_e64 v41, v41, v14, s[8:9]
	v_cmp_eq_u32_e64 s[8:9], 8, v34
	v_cndmask_b32_e64 v40, v40, v19, s[8:9]
	v_cndmask_b32_e64 v41, v41, v16, s[4:5]
	v_cmp_eq_u32_e64 s[4:5], 9, v34
	v_cndmask_b32_e64 v40, v40, v21, s[4:5]
	v_cndmask_b32_e64 v41, v41, v18, s[8:9]
	v_cmp_eq_u32_e64 s[8:9], 10, v34
	v_cndmask_b32_e64 v40, v40, v23, s[8:9]
	v_cndmask_b32_e64 v41, v41, v20, s[4:5]
	v_cmp_eq_u32_e64 s[4:5], 11, v34
	ds_read_b64 v[38:39], v37
	v_cndmask_b32_e64 v40, v40, v25, s[4:5]
	v_cndmask_b32_e64 v41, v41, v22, s[8:9]
	v_cmp_eq_u32_e64 s[8:9], 12, v34
	v_cndmask_b32_e64 v40, v40, v27, s[8:9]
	v_cndmask_b32_e64 v41, v41, v24, s[4:5]
	v_cmp_eq_u32_e64 s[4:5], 13, v34
	;; [unrolled: 3-line block ×3, first 2 shown]
	v_cndmask_b32_e64 v41, v40, v31, s[8:9]
	v_cndmask_b32_e64 v40, v42, v28, s[4:5]
	;; [unrolled: 1-line block ×3, first 2 shown]
	s_waitcnt lgkmcnt(0)
	v_fma_f64 v[32:33], v[40:41], v[38:39], v[32:33]
	v_add_co_u32_e64 v34, s[4:5], 1, v34
	v_addc_co_u32_e64 v35, s[4:5], 0, v35, s[4:5]
	v_add_u32_e32 v38, -1, v34
	v_cmp_lt_u32_e64 s[4:5], 3, v38
	s_or_b64 s[12:13], s[4:5], s[12:13]
	v_add_u32_e32 v37, 8, v37
	s_andn2_b64 exec, exec, s[12:13]
	s_cbranch_execnz .LBB78_31
; %bb.32:
	s_or_b64 exec, exec, s[12:13]
	v_mov_b32_e32 v12, 0
	ds_read_b64 v[12:13], v12 offset:40
	s_waitcnt lgkmcnt(0)
	v_mul_f64 v[12:13], v[32:33], v[12:13]
.LBB78_33:
	s_or_b64 exec, exec, s[10:11]
	v_cmp_gt_u32_e64 s[4:5], 6, v0
	; wave barrier
	ds_write_b64 v36, v[14:15]
	s_waitcnt lgkmcnt(0)
	; wave barrier
	s_and_saveexec_b64 s[12:13], s[4:5]
	s_cbranch_execz .LBB78_37
; %bb.34:
	v_mov_b32_e32 v32, 0x80
	v_lshl_add_u32 v37, v0, 3, v32
	v_mov_b32_e32 v32, 0
	v_mov_b32_e32 v35, v1
	;; [unrolled: 1-line block ×3, first 2 shown]
	s_mov_b64 s[14:15], 0
	v_mov_b32_e32 v34, v0
.LBB78_35:                              ; =>This Inner Loop Header: Depth=1
	v_cmp_eq_u32_e64 s[8:9], 1, v34
	v_cndmask_b32_e64 v40, v3, v5, s[8:9]
	v_cmp_eq_u32_e64 s[10:11], 2, v34
	v_cndmask_b32_e64 v40, v40, v7, s[10:11]
	v_cndmask_b32_e64 v41, v2, v4, s[8:9]
	v_cmp_eq_u32_e64 s[8:9], 3, v34
	v_cndmask_b32_e64 v40, v40, v9, s[8:9]
	;; [unrolled: 3-line block ×9, first 2 shown]
	v_cndmask_b32_e64 v41, v41, v20, s[8:9]
	v_cmp_eq_u32_e64 s[8:9], 11, v34
	ds_read_b64 v[38:39], v37
	v_cndmask_b32_e64 v40, v40, v25, s[8:9]
	v_cndmask_b32_e64 v41, v41, v22, s[10:11]
	v_cmp_eq_u32_e64 s[10:11], 12, v34
	v_cndmask_b32_e64 v40, v40, v27, s[10:11]
	v_cndmask_b32_e64 v41, v41, v24, s[8:9]
	v_cmp_eq_u32_e64 s[8:9], 13, v34
	;; [unrolled: 3-line block ×3, first 2 shown]
	v_cndmask_b32_e64 v41, v40, v31, s[10:11]
	v_cndmask_b32_e64 v40, v42, v28, s[8:9]
	;; [unrolled: 1-line block ×3, first 2 shown]
	s_waitcnt lgkmcnt(0)
	v_fma_f64 v[32:33], v[40:41], v[38:39], v[32:33]
	v_add_co_u32_e64 v34, s[8:9], 1, v34
	v_addc_co_u32_e64 v35, s[8:9], 0, v35, s[8:9]
	v_add_u32_e32 v38, -1, v34
	v_cmp_lt_u32_e64 s[8:9], 4, v38
	s_or_b64 s[14:15], s[8:9], s[14:15]
	v_add_u32_e32 v37, 8, v37
	s_andn2_b64 exec, exec, s[14:15]
	s_cbranch_execnz .LBB78_35
; %bb.36:
	s_or_b64 exec, exec, s[14:15]
	v_mov_b32_e32 v14, 0
	ds_read_b64 v[14:15], v14 offset:48
	s_waitcnt lgkmcnt(0)
	v_mul_f64 v[14:15], v[32:33], v[14:15]
.LBB78_37:
	s_or_b64 exec, exec, s[12:13]
	v_cmp_gt_u32_e64 s[8:9], 7, v0
	; wave barrier
	ds_write_b64 v36, v[16:17]
	s_waitcnt lgkmcnt(0)
	; wave barrier
	s_and_saveexec_b64 s[12:13], s[8:9]
	s_cbranch_execz .LBB78_41
; %bb.38:
	v_mov_b32_e32 v32, 0x80
	v_lshl_add_u32 v37, v0, 3, v32
	v_mov_b32_e32 v32, 0
	v_mov_b32_e32 v35, v1
	;; [unrolled: 1-line block ×3, first 2 shown]
	s_mov_b64 s[14:15], 0
	v_mov_b32_e32 v34, v0
.LBB78_39:                              ; =>This Inner Loop Header: Depth=1
	v_cmp_eq_u32_e64 s[8:9], 1, v34
	v_cndmask_b32_e64 v40, v3, v5, s[8:9]
	v_cmp_eq_u32_e64 s[10:11], 2, v34
	v_cndmask_b32_e64 v40, v40, v7, s[10:11]
	v_cndmask_b32_e64 v41, v2, v4, s[8:9]
	v_cmp_eq_u32_e64 s[8:9], 3, v34
	v_cndmask_b32_e64 v40, v40, v9, s[8:9]
	;; [unrolled: 3-line block ×9, first 2 shown]
	v_cndmask_b32_e64 v41, v41, v20, s[8:9]
	v_cmp_eq_u32_e64 s[8:9], 11, v34
	ds_read_b64 v[38:39], v37
	v_cndmask_b32_e64 v40, v40, v25, s[8:9]
	v_cndmask_b32_e64 v41, v41, v22, s[10:11]
	v_cmp_eq_u32_e64 s[10:11], 12, v34
	v_cndmask_b32_e64 v40, v40, v27, s[10:11]
	v_cndmask_b32_e64 v41, v41, v24, s[8:9]
	v_cmp_eq_u32_e64 s[8:9], 13, v34
	;; [unrolled: 3-line block ×3, first 2 shown]
	v_cndmask_b32_e64 v41, v40, v31, s[10:11]
	v_cndmask_b32_e64 v40, v42, v28, s[8:9]
	;; [unrolled: 1-line block ×3, first 2 shown]
	s_waitcnt lgkmcnt(0)
	v_fma_f64 v[32:33], v[40:41], v[38:39], v[32:33]
	v_add_co_u32_e64 v34, s[8:9], 1, v34
	v_addc_co_u32_e64 v35, s[8:9], 0, v35, s[8:9]
	v_add_u32_e32 v38, -1, v34
	v_cmp_lt_u32_e64 s[8:9], 5, v38
	s_or_b64 s[14:15], s[8:9], s[14:15]
	v_add_u32_e32 v37, 8, v37
	s_andn2_b64 exec, exec, s[14:15]
	s_cbranch_execnz .LBB78_39
; %bb.40:
	s_or_b64 exec, exec, s[14:15]
	v_mov_b32_e32 v16, 0
	ds_read_b64 v[16:17], v16 offset:56
	s_waitcnt lgkmcnt(0)
	v_mul_f64 v[16:17], v[32:33], v[16:17]
.LBB78_41:
	s_or_b64 exec, exec, s[12:13]
	v_cmp_gt_u32_e64 s[8:9], 8, v0
	; wave barrier
	ds_write_b64 v36, v[18:19]
	s_waitcnt lgkmcnt(0)
	; wave barrier
	s_and_saveexec_b64 s[44:45], s[8:9]
	s_cbranch_execz .LBB78_57
; %bb.42:
	v_cmp_eq_u32_e64 s[8:9], 1, v0
	v_cndmask_b32_e64 v32, v3, v5, s[8:9]
	v_cmp_eq_u32_e64 s[10:11], 2, v0
	v_cndmask_b32_e64 v32, v32, v7, s[10:11]
	;; [unrolled: 2-line block ×14, first 2 shown]
	v_cndmask_b32_e64 v32, v2, v4, s[8:9]
	v_cndmask_b32_e64 v32, v32, v6, s[10:11]
	;; [unrolled: 1-line block ×10, first 2 shown]
	ds_read_b64 v[34:35], v36
	v_cndmask_b32_e64 v32, v32, v24, s[28:29]
	v_cndmask_b32_e64 v32, v32, v26, s[30:31]
	;; [unrolled: 1-line block ×4, first 2 shown]
	s_waitcnt lgkmcnt(0)
	v_fma_f64 v[32:33], v[32:33], v[34:35], 0
	v_cmp_ne_u32_e64 s[8:9], 7, v0
	s_and_saveexec_b64 s[46:47], s[8:9]
	s_cbranch_execz .LBB78_56
; %bb.43:
	v_add_u32_e32 v34, 1, v0
	v_cmp_eq_u32_e64 s[8:9], 1, v34
	v_cndmask_b32_e64 v35, v3, v5, s[8:9]
	v_cmp_eq_u32_e64 s[10:11], 2, v34
	v_cmp_eq_u32_e64 s[12:13], 3, v34
	;; [unrolled: 1-line block ×13, first 2 shown]
	v_cndmask_b32_e64 v34, v2, v4, s[8:9]
	v_cndmask_b32_e64 v35, v35, v7, s[10:11]
	;; [unrolled: 1-line block ×19, first 2 shown]
	ds_read_b64 v[37:38], v36 offset:8
	v_cndmask_b32_e64 v35, v35, v25, s[28:29]
	v_cndmask_b32_e64 v34, v34, v24, s[28:29]
	;; [unrolled: 1-line block ×8, first 2 shown]
	s_waitcnt lgkmcnt(0)
	v_fma_f64 v[32:33], v[34:35], v[37:38], v[32:33]
	s_and_saveexec_b64 s[36:37], s[4:5]
	s_cbranch_execz .LBB78_55
; %bb.44:
	v_add_u32_e32 v34, 2, v0
	v_cmp_eq_u32_e64 s[4:5], 1, v34
	v_cndmask_b32_e64 v35, v3, v5, s[4:5]
	v_cmp_eq_u32_e64 s[8:9], 2, v34
	v_cmp_eq_u32_e64 s[10:11], 3, v34
	;; [unrolled: 1-line block ×13, first 2 shown]
	v_cndmask_b32_e64 v34, v2, v4, s[4:5]
	v_cndmask_b32_e64 v35, v35, v7, s[8:9]
	;; [unrolled: 1-line block ×19, first 2 shown]
	ds_read_b64 v[37:38], v36 offset:16
	v_cndmask_b32_e64 v35, v35, v25, s[26:27]
	v_cndmask_b32_e64 v34, v34, v24, s[26:27]
	;; [unrolled: 1-line block ×8, first 2 shown]
	s_waitcnt lgkmcnt(0)
	v_fma_f64 v[32:33], v[34:35], v[37:38], v[32:33]
	v_cmp_ne_u32_e64 s[4:5], 5, v0
	s_and_saveexec_b64 s[48:49], s[4:5]
	s_cbranch_execz .LBB78_54
; %bb.45:
	v_add_u32_e32 v34, 3, v0
	v_cmp_eq_u32_e64 s[4:5], 1, v34
	v_cndmask_b32_e64 v35, v3, v5, s[4:5]
	v_cmp_eq_u32_e64 s[8:9], 2, v34
	v_cmp_eq_u32_e64 s[10:11], 3, v34
	;; [unrolled: 1-line block ×13, first 2 shown]
	v_cndmask_b32_e64 v34, v2, v4, s[4:5]
	v_cndmask_b32_e64 v35, v35, v7, s[8:9]
	;; [unrolled: 1-line block ×19, first 2 shown]
	ds_read_b64 v[37:38], v36 offset:24
	v_cndmask_b32_e64 v35, v35, v25, s[26:27]
	v_cndmask_b32_e64 v34, v34, v24, s[26:27]
	;; [unrolled: 1-line block ×8, first 2 shown]
	s_waitcnt lgkmcnt(0)
	v_fma_f64 v[32:33], v[34:35], v[37:38], v[32:33]
	s_and_saveexec_b64 s[34:35], s[2:3]
	s_cbranch_execz .LBB78_53
; %bb.46:
	v_or_b32_e32 v34, 4, v0
	v_cmp_eq_u32_e64 s[2:3], 1, v34
	v_cndmask_b32_e64 v35, v3, v5, s[2:3]
	v_cmp_eq_u32_e64 s[4:5], 2, v34
	v_cmp_eq_u32_e64 s[8:9], 3, v34
	;; [unrolled: 1-line block ×13, first 2 shown]
	v_cndmask_b32_e64 v34, v2, v4, s[2:3]
	v_cndmask_b32_e64 v35, v35, v7, s[4:5]
	v_cndmask_b32_e64 v34, v34, v6, s[4:5]
	v_cndmask_b32_e64 v35, v35, v9, s[8:9]
	v_cndmask_b32_e64 v34, v34, v8, s[8:9]
	v_cndmask_b32_e64 v35, v35, v11, s[10:11]
	v_cndmask_b32_e64 v34, v34, v10, s[10:11]
	v_cndmask_b32_e64 v35, v35, v13, s[12:13]
	v_cndmask_b32_e64 v34, v34, v12, s[12:13]
	v_cndmask_b32_e64 v35, v35, v15, s[14:15]
	v_cndmask_b32_e64 v34, v34, v14, s[14:15]
	v_cndmask_b32_e64 v35, v35, v17, s[16:17]
	v_cndmask_b32_e64 v34, v34, v16, s[16:17]
	v_cndmask_b32_e64 v35, v35, v19, s[18:19]
	v_cndmask_b32_e64 v34, v34, v18, s[18:19]
	v_cndmask_b32_e64 v35, v35, v21, s[20:21]
	v_cndmask_b32_e64 v34, v34, v20, s[20:21]
	v_cndmask_b32_e64 v35, v35, v23, s[22:23]
	v_cndmask_b32_e64 v34, v34, v22, s[22:23]
	ds_read_b64 v[37:38], v36 offset:32
	v_cndmask_b32_e64 v35, v35, v25, s[24:25]
	v_cndmask_b32_e64 v34, v34, v24, s[24:25]
	;; [unrolled: 1-line block ×8, first 2 shown]
	s_waitcnt lgkmcnt(0)
	v_fma_f64 v[32:33], v[34:35], v[37:38], v[32:33]
	v_cmp_ne_u32_e64 s[2:3], 3, v0
	s_and_saveexec_b64 s[50:51], s[2:3]
	s_cbranch_execz .LBB78_52
; %bb.47:
	v_add_u32_e32 v34, 5, v0
	v_cmp_eq_u32_e64 s[2:3], 1, v34
	v_cndmask_b32_e64 v35, v3, v5, s[2:3]
	v_cmp_eq_u32_e64 s[4:5], 2, v34
	v_cmp_eq_u32_e64 s[8:9], 3, v34
	;; [unrolled: 1-line block ×13, first 2 shown]
	v_cndmask_b32_e64 v34, v2, v4, s[2:3]
	v_cndmask_b32_e64 v35, v35, v7, s[4:5]
	;; [unrolled: 1-line block ×19, first 2 shown]
	ds_read_b64 v[37:38], v36 offset:40
	v_cndmask_b32_e64 v35, v35, v25, s[24:25]
	v_cndmask_b32_e64 v34, v34, v24, s[24:25]
	;; [unrolled: 1-line block ×8, first 2 shown]
	s_waitcnt lgkmcnt(0)
	v_fma_f64 v[32:33], v[34:35], v[37:38], v[32:33]
	s_and_saveexec_b64 s[30:31], vcc
	s_cbranch_execz .LBB78_51
; %bb.48:
	v_or_b32_e32 v34, 6, v0
	v_cmp_eq_u32_e32 vcc, 1, v34
	v_cndmask_b32_e32 v35, v3, v5, vcc
	v_cmp_eq_u32_e64 s[2:3], 2, v34
	v_cmp_eq_u32_e64 s[4:5], 3, v34
	;; [unrolled: 1-line block ×13, first 2 shown]
	v_cndmask_b32_e32 v34, v2, v4, vcc
	v_cndmask_b32_e64 v35, v35, v7, s[2:3]
	v_cndmask_b32_e64 v34, v34, v6, s[2:3]
	;; [unrolled: 1-line block ×18, first 2 shown]
	ds_read_b64 v[34:35], v36 offset:48
	v_cndmask_b32_e64 v19, v19, v25, s[22:23]
	v_cndmask_b32_e64 v18, v18, v24, s[22:23]
	;; [unrolled: 1-line block ×8, first 2 shown]
	s_waitcnt lgkmcnt(0)
	v_fma_f64 v[32:33], v[18:19], v[34:35], v[32:33]
	s_and_saveexec_b64 s[2:3], s[0:1]
	s_cbranch_execz .LBB78_50
; %bb.49:
	ds_read_b64 v[18:19], v36 offset:56
	s_waitcnt lgkmcnt(0)
	v_fma_f64 v[32:33], v[16:17], v[18:19], v[32:33]
.LBB78_50:
	s_or_b64 exec, exec, s[2:3]
.LBB78_51:
	s_or_b64 exec, exec, s[30:31]
.LBB78_52:
	s_or_b64 exec, exec, s[50:51]
.LBB78_53:
	s_or_b64 exec, exec, s[34:35]
.LBB78_54:
	s_or_b64 exec, exec, s[48:49]
.LBB78_55:
	s_or_b64 exec, exec, s[36:37]
.LBB78_56:
	s_or_b64 exec, exec, s[46:47]
	v_mov_b32_e32 v18, 0
	ds_read_b64 v[18:19], v18 offset:64
	s_waitcnt lgkmcnt(0)
	v_mul_f64 v[18:19], v[32:33], v[18:19]
.LBB78_57:
	s_or_b64 exec, exec, s[44:45]
	v_cmp_gt_u32_e32 vcc, 9, v0
	; wave barrier
	ds_write_b64 v36, v[20:21]
	s_waitcnt lgkmcnt(0)
	; wave barrier
	s_and_saveexec_b64 s[2:3], vcc
	s_cbranch_execz .LBB78_61
; %bb.58:
	v_mov_b32_e32 v32, 0x80
	v_lshl_add_u32 v37, v0, 3, v32
	v_mov_b32_e32 v32, 0
	v_mov_b32_e32 v35, v1
	v_mov_b32_e32 v33, 0
	s_mov_b64 s[4:5], 0
	v_mov_b32_e32 v34, v0
.LBB78_59:                              ; =>This Inner Loop Header: Depth=1
	v_cmp_eq_u32_e32 vcc, 1, v34
	v_cndmask_b32_e32 v40, v3, v5, vcc
	v_cmp_eq_u32_e64 s[0:1], 2, v34
	v_cndmask_b32_e64 v40, v40, v7, s[0:1]
	v_cndmask_b32_e32 v41, v2, v4, vcc
	v_cmp_eq_u32_e32 vcc, 3, v34
	v_cndmask_b32_e32 v40, v40, v9, vcc
	v_cndmask_b32_e64 v41, v41, v6, s[0:1]
	v_cmp_eq_u32_e64 s[0:1], 4, v34
	v_cndmask_b32_e64 v40, v40, v11, s[0:1]
	v_cndmask_b32_e32 v41, v41, v8, vcc
	v_cmp_eq_u32_e32 vcc, 5, v34
	v_cndmask_b32_e32 v40, v40, v13, vcc
	v_cndmask_b32_e64 v41, v41, v10, s[0:1]
	;; [unrolled: 6-line block ×4, first 2 shown]
	v_cmp_eq_u32_e64 s[0:1], 10, v34
	v_cndmask_b32_e64 v40, v40, v23, s[0:1]
	v_cndmask_b32_e32 v41, v41, v20, vcc
	v_cmp_eq_u32_e32 vcc, 11, v34
	ds_read_b64 v[38:39], v37
	v_cndmask_b32_e32 v40, v40, v25, vcc
	v_cndmask_b32_e64 v41, v41, v22, s[0:1]
	v_cmp_eq_u32_e64 s[0:1], 12, v34
	v_cndmask_b32_e64 v40, v40, v27, s[0:1]
	v_cndmask_b32_e32 v41, v41, v24, vcc
	v_cmp_eq_u32_e32 vcc, 13, v34
	v_cndmask_b32_e32 v40, v40, v29, vcc
	v_cndmask_b32_e64 v42, v41, v26, s[0:1]
	v_cmp_eq_u32_e64 s[0:1], 14, v34
	v_cndmask_b32_e64 v41, v40, v31, s[0:1]
	v_cndmask_b32_e32 v40, v42, v28, vcc
	v_cndmask_b32_e64 v40, v40, v30, s[0:1]
	s_waitcnt lgkmcnt(0)
	v_fma_f64 v[32:33], v[40:41], v[38:39], v[32:33]
	v_add_co_u32_e32 v34, vcc, 1, v34
	v_addc_co_u32_e32 v35, vcc, 0, v35, vcc
	v_add_u32_e32 v38, -1, v34
	v_cmp_lt_u32_e32 vcc, 7, v38
	s_or_b64 s[4:5], vcc, s[4:5]
	v_add_u32_e32 v37, 8, v37
	s_andn2_b64 exec, exec, s[4:5]
	s_cbranch_execnz .LBB78_59
; %bb.60:
	s_or_b64 exec, exec, s[4:5]
	v_mov_b32_e32 v20, 0
	ds_read_b64 v[20:21], v20 offset:72
	s_waitcnt lgkmcnt(0)
	v_mul_f64 v[20:21], v[32:33], v[20:21]
.LBB78_61:
	s_or_b64 exec, exec, s[2:3]
	v_cmp_gt_u32_e32 vcc, 10, v0
	; wave barrier
	ds_write_b64 v36, v[22:23]
	s_waitcnt lgkmcnt(0)
	; wave barrier
	s_and_saveexec_b64 s[2:3], vcc
	s_cbranch_execz .LBB78_65
; %bb.62:
	v_mov_b32_e32 v32, 0x80
	v_lshl_add_u32 v37, v0, 3, v32
	v_mov_b32_e32 v32, 0
	v_mov_b32_e32 v35, v1
	;; [unrolled: 1-line block ×3, first 2 shown]
	s_mov_b64 s[4:5], 0
	v_mov_b32_e32 v34, v0
.LBB78_63:                              ; =>This Inner Loop Header: Depth=1
	v_cmp_eq_u32_e32 vcc, 1, v34
	v_cndmask_b32_e32 v40, v3, v5, vcc
	v_cmp_eq_u32_e64 s[0:1], 2, v34
	v_cndmask_b32_e64 v40, v40, v7, s[0:1]
	v_cndmask_b32_e32 v41, v2, v4, vcc
	v_cmp_eq_u32_e32 vcc, 3, v34
	v_cndmask_b32_e32 v40, v40, v9, vcc
	v_cndmask_b32_e64 v41, v41, v6, s[0:1]
	v_cmp_eq_u32_e64 s[0:1], 4, v34
	v_cndmask_b32_e64 v40, v40, v11, s[0:1]
	v_cndmask_b32_e32 v41, v41, v8, vcc
	v_cmp_eq_u32_e32 vcc, 5, v34
	v_cndmask_b32_e32 v40, v40, v13, vcc
	v_cndmask_b32_e64 v41, v41, v10, s[0:1]
	;; [unrolled: 6-line block ×4, first 2 shown]
	v_cmp_eq_u32_e64 s[0:1], 10, v34
	v_cndmask_b32_e64 v40, v40, v23, s[0:1]
	v_cndmask_b32_e32 v41, v41, v20, vcc
	v_cmp_eq_u32_e32 vcc, 11, v34
	ds_read_b64 v[38:39], v37
	v_cndmask_b32_e32 v40, v40, v25, vcc
	v_cndmask_b32_e64 v41, v41, v22, s[0:1]
	v_cmp_eq_u32_e64 s[0:1], 12, v34
	v_cndmask_b32_e64 v40, v40, v27, s[0:1]
	v_cndmask_b32_e32 v41, v41, v24, vcc
	v_cmp_eq_u32_e32 vcc, 13, v34
	v_cndmask_b32_e32 v40, v40, v29, vcc
	v_cndmask_b32_e64 v42, v41, v26, s[0:1]
	v_cmp_eq_u32_e64 s[0:1], 14, v34
	v_cndmask_b32_e64 v41, v40, v31, s[0:1]
	v_cndmask_b32_e32 v40, v42, v28, vcc
	v_cndmask_b32_e64 v40, v40, v30, s[0:1]
	s_waitcnt lgkmcnt(0)
	v_fma_f64 v[32:33], v[40:41], v[38:39], v[32:33]
	v_add_co_u32_e32 v34, vcc, 1, v34
	v_addc_co_u32_e32 v35, vcc, 0, v35, vcc
	v_add_u32_e32 v38, -1, v34
	v_cmp_lt_u32_e32 vcc, 8, v38
	s_or_b64 s[4:5], vcc, s[4:5]
	v_add_u32_e32 v37, 8, v37
	s_andn2_b64 exec, exec, s[4:5]
	s_cbranch_execnz .LBB78_63
; %bb.64:
	s_or_b64 exec, exec, s[4:5]
	v_mov_b32_e32 v22, 0
	ds_read_b64 v[22:23], v22 offset:80
	s_waitcnt lgkmcnt(0)
	v_mul_f64 v[22:23], v[32:33], v[22:23]
.LBB78_65:
	s_or_b64 exec, exec, s[2:3]
	v_cmp_gt_u32_e32 vcc, 11, v0
	; wave barrier
	ds_write_b64 v36, v[24:25]
	s_waitcnt lgkmcnt(0)
	; wave barrier
	s_and_saveexec_b64 s[2:3], vcc
	s_cbranch_execz .LBB78_69
; %bb.66:
	v_mov_b32_e32 v32, 0x80
	v_lshl_add_u32 v37, v0, 3, v32
	v_mov_b32_e32 v32, 0
	v_mov_b32_e32 v35, v1
	;; [unrolled: 1-line block ×3, first 2 shown]
	s_mov_b64 s[4:5], 0
	v_mov_b32_e32 v34, v0
.LBB78_67:                              ; =>This Inner Loop Header: Depth=1
	v_cmp_eq_u32_e32 vcc, 1, v34
	v_cndmask_b32_e32 v40, v3, v5, vcc
	v_cmp_eq_u32_e64 s[0:1], 2, v34
	v_cndmask_b32_e64 v40, v40, v7, s[0:1]
	v_cndmask_b32_e32 v41, v2, v4, vcc
	v_cmp_eq_u32_e32 vcc, 3, v34
	v_cndmask_b32_e32 v40, v40, v9, vcc
	v_cndmask_b32_e64 v41, v41, v6, s[0:1]
	v_cmp_eq_u32_e64 s[0:1], 4, v34
	v_cndmask_b32_e64 v40, v40, v11, s[0:1]
	v_cndmask_b32_e32 v41, v41, v8, vcc
	v_cmp_eq_u32_e32 vcc, 5, v34
	v_cndmask_b32_e32 v40, v40, v13, vcc
	v_cndmask_b32_e64 v41, v41, v10, s[0:1]
	;; [unrolled: 6-line block ×4, first 2 shown]
	v_cmp_eq_u32_e64 s[0:1], 10, v34
	v_cndmask_b32_e64 v40, v40, v23, s[0:1]
	v_cndmask_b32_e32 v41, v41, v20, vcc
	v_cmp_eq_u32_e32 vcc, 11, v34
	ds_read_b64 v[38:39], v37
	v_cndmask_b32_e32 v40, v40, v25, vcc
	v_cndmask_b32_e64 v41, v41, v22, s[0:1]
	v_cmp_eq_u32_e64 s[0:1], 12, v34
	v_cndmask_b32_e64 v40, v40, v27, s[0:1]
	v_cndmask_b32_e32 v41, v41, v24, vcc
	v_cmp_eq_u32_e32 vcc, 13, v34
	v_cndmask_b32_e32 v40, v40, v29, vcc
	v_cndmask_b32_e64 v42, v41, v26, s[0:1]
	v_cmp_eq_u32_e64 s[0:1], 14, v34
	v_cndmask_b32_e64 v41, v40, v31, s[0:1]
	v_cndmask_b32_e32 v40, v42, v28, vcc
	v_cndmask_b32_e64 v40, v40, v30, s[0:1]
	s_waitcnt lgkmcnt(0)
	v_fma_f64 v[32:33], v[40:41], v[38:39], v[32:33]
	v_add_co_u32_e32 v34, vcc, 1, v34
	v_addc_co_u32_e32 v35, vcc, 0, v35, vcc
	v_add_u32_e32 v38, -1, v34
	v_cmp_lt_u32_e32 vcc, 9, v38
	s_or_b64 s[4:5], vcc, s[4:5]
	v_add_u32_e32 v37, 8, v37
	s_andn2_b64 exec, exec, s[4:5]
	s_cbranch_execnz .LBB78_67
; %bb.68:
	s_or_b64 exec, exec, s[4:5]
	v_mov_b32_e32 v24, 0
	ds_read_b64 v[24:25], v24 offset:88
	s_waitcnt lgkmcnt(0)
	v_mul_f64 v[24:25], v[32:33], v[24:25]
.LBB78_69:
	s_or_b64 exec, exec, s[2:3]
	v_cmp_gt_u32_e32 vcc, 12, v0
	; wave barrier
	ds_write_b64 v36, v[26:27]
	s_waitcnt lgkmcnt(0)
	; wave barrier
	s_and_saveexec_b64 s[2:3], vcc
	s_cbranch_execz .LBB78_73
; %bb.70:
	v_mov_b32_e32 v32, 0x80
	v_lshl_add_u32 v37, v0, 3, v32
	v_mov_b32_e32 v32, 0
	v_mov_b32_e32 v35, v1
	;; [unrolled: 1-line block ×3, first 2 shown]
	s_mov_b64 s[4:5], 0
	v_mov_b32_e32 v34, v0
.LBB78_71:                              ; =>This Inner Loop Header: Depth=1
	v_cmp_eq_u32_e32 vcc, 1, v34
	v_cndmask_b32_e32 v40, v3, v5, vcc
	v_cmp_eq_u32_e64 s[0:1], 2, v34
	v_cndmask_b32_e64 v40, v40, v7, s[0:1]
	v_cndmask_b32_e32 v41, v2, v4, vcc
	v_cmp_eq_u32_e32 vcc, 3, v34
	v_cndmask_b32_e32 v40, v40, v9, vcc
	v_cndmask_b32_e64 v41, v41, v6, s[0:1]
	v_cmp_eq_u32_e64 s[0:1], 4, v34
	v_cndmask_b32_e64 v40, v40, v11, s[0:1]
	v_cndmask_b32_e32 v41, v41, v8, vcc
	v_cmp_eq_u32_e32 vcc, 5, v34
	v_cndmask_b32_e32 v40, v40, v13, vcc
	v_cndmask_b32_e64 v41, v41, v10, s[0:1]
	;; [unrolled: 6-line block ×4, first 2 shown]
	v_cmp_eq_u32_e64 s[0:1], 10, v34
	v_cndmask_b32_e64 v40, v40, v23, s[0:1]
	v_cndmask_b32_e32 v41, v41, v20, vcc
	v_cmp_eq_u32_e32 vcc, 11, v34
	ds_read_b64 v[38:39], v37
	v_cndmask_b32_e32 v40, v40, v25, vcc
	v_cndmask_b32_e64 v41, v41, v22, s[0:1]
	v_cmp_eq_u32_e64 s[0:1], 12, v34
	v_cndmask_b32_e64 v40, v40, v27, s[0:1]
	v_cndmask_b32_e32 v41, v41, v24, vcc
	v_cmp_eq_u32_e32 vcc, 13, v34
	v_cndmask_b32_e32 v40, v40, v29, vcc
	v_cndmask_b32_e64 v42, v41, v26, s[0:1]
	v_cmp_eq_u32_e64 s[0:1], 14, v34
	v_cndmask_b32_e64 v41, v40, v31, s[0:1]
	v_cndmask_b32_e32 v40, v42, v28, vcc
	v_cndmask_b32_e64 v40, v40, v30, s[0:1]
	s_waitcnt lgkmcnt(0)
	v_fma_f64 v[32:33], v[40:41], v[38:39], v[32:33]
	v_add_co_u32_e32 v34, vcc, 1, v34
	v_addc_co_u32_e32 v35, vcc, 0, v35, vcc
	v_add_u32_e32 v38, -1, v34
	v_cmp_lt_u32_e32 vcc, 10, v38
	s_or_b64 s[4:5], vcc, s[4:5]
	v_add_u32_e32 v37, 8, v37
	s_andn2_b64 exec, exec, s[4:5]
	s_cbranch_execnz .LBB78_71
; %bb.72:
	s_or_b64 exec, exec, s[4:5]
	v_mov_b32_e32 v26, 0
	ds_read_b64 v[26:27], v26 offset:96
	s_waitcnt lgkmcnt(0)
	v_mul_f64 v[26:27], v[32:33], v[26:27]
.LBB78_73:
	s_or_b64 exec, exec, s[2:3]
	v_cmp_gt_u32_e32 vcc, 13, v0
	; wave barrier
	ds_write_b64 v36, v[28:29]
	s_waitcnt lgkmcnt(0)
	; wave barrier
	s_and_saveexec_b64 s[2:3], vcc
	s_cbranch_execz .LBB78_77
; %bb.74:
	v_mov_b32_e32 v32, 0x80
	v_lshl_add_u32 v37, v0, 3, v32
	v_mov_b32_e32 v32, 0
	v_mov_b32_e32 v35, v1
	;; [unrolled: 1-line block ×3, first 2 shown]
	s_mov_b64 s[4:5], 0
	v_mov_b32_e32 v34, v0
.LBB78_75:                              ; =>This Inner Loop Header: Depth=1
	v_cmp_eq_u32_e32 vcc, 1, v34
	v_cndmask_b32_e32 v40, v3, v5, vcc
	v_cmp_eq_u32_e64 s[0:1], 2, v34
	v_cndmask_b32_e64 v40, v40, v7, s[0:1]
	v_cndmask_b32_e32 v41, v2, v4, vcc
	v_cmp_eq_u32_e32 vcc, 3, v34
	v_cndmask_b32_e32 v40, v40, v9, vcc
	v_cndmask_b32_e64 v41, v41, v6, s[0:1]
	v_cmp_eq_u32_e64 s[0:1], 4, v34
	v_cndmask_b32_e64 v40, v40, v11, s[0:1]
	v_cndmask_b32_e32 v41, v41, v8, vcc
	v_cmp_eq_u32_e32 vcc, 5, v34
	v_cndmask_b32_e32 v40, v40, v13, vcc
	v_cndmask_b32_e64 v41, v41, v10, s[0:1]
	;; [unrolled: 6-line block ×4, first 2 shown]
	v_cmp_eq_u32_e64 s[0:1], 10, v34
	v_cndmask_b32_e64 v40, v40, v23, s[0:1]
	v_cndmask_b32_e32 v41, v41, v20, vcc
	v_cmp_eq_u32_e32 vcc, 11, v34
	ds_read_b64 v[38:39], v37
	v_cndmask_b32_e32 v40, v40, v25, vcc
	v_cndmask_b32_e64 v41, v41, v22, s[0:1]
	v_cmp_eq_u32_e64 s[0:1], 12, v34
	v_cndmask_b32_e64 v40, v40, v27, s[0:1]
	v_cndmask_b32_e32 v41, v41, v24, vcc
	v_cmp_eq_u32_e32 vcc, 13, v34
	v_cndmask_b32_e32 v40, v40, v29, vcc
	v_cndmask_b32_e64 v42, v41, v26, s[0:1]
	v_cmp_eq_u32_e64 s[0:1], 14, v34
	v_cndmask_b32_e64 v41, v40, v31, s[0:1]
	v_cndmask_b32_e32 v40, v42, v28, vcc
	v_cndmask_b32_e64 v40, v40, v30, s[0:1]
	s_waitcnt lgkmcnt(0)
	v_fma_f64 v[32:33], v[40:41], v[38:39], v[32:33]
	v_add_co_u32_e32 v34, vcc, 1, v34
	v_addc_co_u32_e32 v35, vcc, 0, v35, vcc
	v_add_u32_e32 v38, -1, v34
	v_cmp_lt_u32_e32 vcc, 11, v38
	s_or_b64 s[4:5], vcc, s[4:5]
	v_add_u32_e32 v37, 8, v37
	s_andn2_b64 exec, exec, s[4:5]
	s_cbranch_execnz .LBB78_75
; %bb.76:
	s_or_b64 exec, exec, s[4:5]
	v_mov_b32_e32 v28, 0
	ds_read_b64 v[28:29], v28 offset:104
	s_waitcnt lgkmcnt(0)
	v_mul_f64 v[28:29], v[32:33], v[28:29]
.LBB78_77:
	s_or_b64 exec, exec, s[2:3]
	v_cmp_ne_u32_e32 vcc, 14, v0
	; wave barrier
	ds_write_b64 v36, v[30:31]
	s_waitcnt lgkmcnt(0)
	; wave barrier
	s_and_saveexec_b64 s[2:3], vcc
	s_cbranch_execz .LBB78_81
; %bb.78:
	v_mov_b32_e32 v32, 0x80
	v_lshl_add_u32 v36, v0, 3, v32
	v_mov_b32_e32 v32, 0
	v_mov_b32_e32 v35, v1
	;; [unrolled: 1-line block ×3, first 2 shown]
	s_mov_b64 s[4:5], 0
	v_mov_b32_e32 v34, v0
.LBB78_79:                              ; =>This Inner Loop Header: Depth=1
	v_cmp_eq_u32_e32 vcc, 1, v34
	v_cndmask_b32_e32 v1, v3, v5, vcc
	v_cmp_eq_u32_e64 s[0:1], 2, v34
	v_cndmask_b32_e64 v1, v1, v7, s[0:1]
	v_cndmask_b32_e32 v39, v2, v4, vcc
	v_cmp_eq_u32_e32 vcc, 3, v34
	v_cndmask_b32_e32 v1, v1, v9, vcc
	v_cndmask_b32_e64 v39, v39, v6, s[0:1]
	v_cmp_eq_u32_e64 s[0:1], 4, v34
	v_cndmask_b32_e64 v1, v1, v11, s[0:1]
	v_cndmask_b32_e32 v39, v39, v8, vcc
	v_cmp_eq_u32_e32 vcc, 5, v34
	v_cndmask_b32_e32 v1, v1, v13, vcc
	v_cndmask_b32_e64 v39, v39, v10, s[0:1]
	;; [unrolled: 6-line block ×4, first 2 shown]
	v_cmp_eq_u32_e64 s[0:1], 10, v34
	v_cndmask_b32_e64 v1, v1, v23, s[0:1]
	v_cndmask_b32_e32 v39, v39, v20, vcc
	v_cmp_eq_u32_e32 vcc, 11, v34
	ds_read_b64 v[37:38], v36
	v_cndmask_b32_e32 v1, v1, v25, vcc
	v_cndmask_b32_e64 v39, v39, v22, s[0:1]
	v_cmp_eq_u32_e64 s[0:1], 12, v34
	v_cndmask_b32_e64 v1, v1, v27, s[0:1]
	v_cndmask_b32_e32 v39, v39, v24, vcc
	v_cmp_eq_u32_e32 vcc, 13, v34
	v_cndmask_b32_e32 v1, v1, v29, vcc
	v_cndmask_b32_e64 v39, v39, v26, s[0:1]
	v_cmp_eq_u32_e64 s[0:1], 14, v34
	v_cndmask_b32_e64 v40, v1, v31, s[0:1]
	v_cndmask_b32_e32 v1, v39, v28, vcc
	v_cndmask_b32_e64 v39, v1, v30, s[0:1]
	s_waitcnt lgkmcnt(0)
	v_fma_f64 v[32:33], v[39:40], v[37:38], v[32:33]
	v_add_co_u32_e32 v34, vcc, 1, v34
	v_addc_co_u32_e32 v35, vcc, 0, v35, vcc
	v_add_u32_e32 v1, -1, v34
	v_cmp_lt_u32_e32 vcc, 12, v1
	s_or_b64 s[4:5], vcc, s[4:5]
	v_add_u32_e32 v36, 8, v36
	s_andn2_b64 exec, exec, s[4:5]
	s_cbranch_execnz .LBB78_79
; %bb.80:
	s_or_b64 exec, exec, s[4:5]
	v_mov_b32_e32 v1, 0
	ds_read_b64 v[30:31], v1 offset:112
	s_waitcnt lgkmcnt(0)
	v_mul_f64 v[30:31], v[32:33], v[30:31]
.LBB78_81:
	s_or_b64 exec, exec, s[2:3]
	; wave barrier
	s_cbranch_execnz .LBB78_15
	s_branch .LBB78_16
.LBB78_82:
	v_mov_b32_e32 v1, 0x80
	v_lshl_add_u32 v1, v0, 3, v1
	v_cmp_eq_u32_e32 vcc, 14, v0
	s_and_saveexec_b64 s[0:1], vcc
	s_cbranch_execz .LBB78_84
; %bb.83:
	v_mov_b32_e32 v58, 0
	s_waitcnt lgkmcnt(0)
	v_mov_b32_e32 v32, v2
	v_mov_b32_e32 v33, v3
	;; [unrolled: 1-line block ×29, first 2 shown]
	ds_write_b64 v1, v[28:29]
	v_mov_b32_e32 v2, v32
	v_mov_b32_e32 v3, v33
	;; [unrolled: 1-line block ×32, first 2 shown]
.LBB78_84:
	s_or_b64 exec, exec, s[0:1]
	v_mov_b32_e32 v56, 0
	s_waitcnt lgkmcnt(0)
	; wave barrier
	ds_read_b64 v[32:33], v56 offset:240
	v_cmp_lt_u32_e32 vcc, 12, v0
	s_waitcnt lgkmcnt(0)
	v_fma_f64 v[32:33], v[30:31], v[32:33], 0
	v_add_f64 v[28:29], v[28:29], -v[32:33]
	s_and_saveexec_b64 s[0:1], vcc
	s_cbranch_execz .LBB78_86
; %bb.85:
	v_mov_b32_e32 v32, v2
	v_mov_b32_e32 v33, v3
	;; [unrolled: 1-line block ×29, first 2 shown]
	ds_write_b64 v1, v[26:27]
	v_mov_b32_e32 v2, v32
	v_mov_b32_e32 v3, v33
	;; [unrolled: 1-line block ×32, first 2 shown]
.LBB78_86:
	s_or_b64 exec, exec, s[0:1]
	s_waitcnt lgkmcnt(0)
	; wave barrier
	ds_read2_b64 v[32:35], v56 offset0:29 offset1:30
	v_cmp_lt_u32_e32 vcc, 11, v0
	s_waitcnt lgkmcnt(0)
	v_fma_f64 v[32:33], v[28:29], v[32:33], 0
	v_fma_f64 v[32:33], v[30:31], v[34:35], v[32:33]
	v_add_f64 v[26:27], v[26:27], -v[32:33]
	s_and_saveexec_b64 s[0:1], vcc
	s_cbranch_execz .LBB78_88
; %bb.87:
	v_mov_b32_e32 v54, 0
	v_mov_b32_e32 v32, v2
	;; [unrolled: 1-line block ×30, first 2 shown]
	ds_write_b64 v1, v[24:25]
	v_mov_b32_e32 v2, v32
	v_mov_b32_e32 v3, v33
	;; [unrolled: 1-line block ×32, first 2 shown]
.LBB78_88:
	s_or_b64 exec, exec, s[0:1]
	v_mov_b32_e32 v52, 0
	s_waitcnt lgkmcnt(0)
	; wave barrier
	ds_read_b128 v[32:35], v52 offset:224
	ds_read_b64 v[36:37], v52 offset:240
	v_cmp_lt_u32_e32 vcc, 10, v0
	s_waitcnt lgkmcnt(1)
	v_fma_f64 v[32:33], v[26:27], v[32:33], 0
	v_fma_f64 v[32:33], v[28:29], v[34:35], v[32:33]
	s_waitcnt lgkmcnt(0)
	v_fma_f64 v[32:33], v[30:31], v[36:37], v[32:33]
	v_add_f64 v[24:25], v[24:25], -v[32:33]
	s_and_saveexec_b64 s[0:1], vcc
	s_cbranch_execz .LBB78_90
; %bb.89:
	v_mov_b32_e32 v32, v2
	v_mov_b32_e32 v33, v3
	;; [unrolled: 1-line block ×29, first 2 shown]
	ds_write_b64 v1, v[22:23]
	v_mov_b32_e32 v2, v32
	v_mov_b32_e32 v3, v33
	;; [unrolled: 1-line block ×32, first 2 shown]
.LBB78_90:
	s_or_b64 exec, exec, s[0:1]
	s_waitcnt lgkmcnt(0)
	; wave barrier
	ds_read2_b64 v[32:35], v52 offset0:27 offset1:28
	ds_read2_b64 v[36:39], v52 offset0:29 offset1:30
	v_cmp_lt_u32_e32 vcc, 9, v0
	s_waitcnt lgkmcnt(1)
	v_fma_f64 v[32:33], v[24:25], v[32:33], 0
	v_fma_f64 v[32:33], v[26:27], v[34:35], v[32:33]
	s_waitcnt lgkmcnt(0)
	v_fma_f64 v[32:33], v[28:29], v[36:37], v[32:33]
	v_fma_f64 v[32:33], v[30:31], v[38:39], v[32:33]
	v_add_f64 v[22:23], v[22:23], -v[32:33]
	s_and_saveexec_b64 s[0:1], vcc
	s_cbranch_execz .LBB78_92
; %bb.91:
	v_mov_b32_e32 v50, 0
	v_mov_b32_e32 v32, v2
	;; [unrolled: 1-line block ×30, first 2 shown]
	ds_write_b64 v1, v[20:21]
	v_mov_b32_e32 v2, v32
	v_mov_b32_e32 v3, v33
	;; [unrolled: 1-line block ×32, first 2 shown]
.LBB78_92:
	s_or_b64 exec, exec, s[0:1]
	v_mov_b32_e32 v48, 0
	s_waitcnt lgkmcnt(0)
	; wave barrier
	ds_read_b128 v[32:35], v48 offset:208
	ds_read_b128 v[36:39], v48 offset:224
	v_cmp_lt_u32_e32 vcc, 8, v0
	s_waitcnt lgkmcnt(1)
	v_fma_f64 v[32:33], v[22:23], v[32:33], 0
	v_fma_f64 v[32:33], v[24:25], v[34:35], v[32:33]
	ds_read_b64 v[34:35], v48 offset:240
	s_waitcnt lgkmcnt(1)
	v_fma_f64 v[32:33], v[26:27], v[36:37], v[32:33]
	v_fma_f64 v[32:33], v[28:29], v[38:39], v[32:33]
	s_waitcnt lgkmcnt(0)
	v_fma_f64 v[32:33], v[30:31], v[34:35], v[32:33]
	v_add_f64 v[20:21], v[20:21], -v[32:33]
	s_and_saveexec_b64 s[0:1], vcc
	s_cbranch_execz .LBB78_94
; %bb.93:
	v_mov_b32_e32 v32, v2
	v_mov_b32_e32 v33, v3
	;; [unrolled: 1-line block ×29, first 2 shown]
	ds_write_b64 v1, v[18:19]
	v_mov_b32_e32 v2, v32
	v_mov_b32_e32 v3, v33
	;; [unrolled: 1-line block ×32, first 2 shown]
.LBB78_94:
	s_or_b64 exec, exec, s[0:1]
	s_waitcnt lgkmcnt(0)
	; wave barrier
	ds_read2_b64 v[32:35], v48 offset0:25 offset1:26
	ds_read2_b64 v[36:39], v48 offset0:27 offset1:28
	v_cmp_lt_u32_e32 vcc, 7, v0
	s_waitcnt lgkmcnt(1)
	v_fma_f64 v[32:33], v[20:21], v[32:33], 0
	v_fma_f64 v[32:33], v[22:23], v[34:35], v[32:33]
	s_waitcnt lgkmcnt(0)
	v_fma_f64 v[32:33], v[24:25], v[36:37], v[32:33]
	v_fma_f64 v[36:37], v[26:27], v[38:39], v[32:33]
	ds_read2_b64 v[32:35], v48 offset0:29 offset1:30
	s_waitcnt lgkmcnt(0)
	v_fma_f64 v[32:33], v[28:29], v[32:33], v[36:37]
	v_fma_f64 v[32:33], v[30:31], v[34:35], v[32:33]
	v_add_f64 v[18:19], v[18:19], -v[32:33]
	s_and_saveexec_b64 s[0:1], vcc
	s_cbranch_execz .LBB78_96
; %bb.95:
	v_mov_b32_e32 v46, 0
	v_mov_b32_e32 v32, v2
	;; [unrolled: 1-line block ×30, first 2 shown]
	ds_write_b64 v1, v[16:17]
	v_mov_b32_e32 v2, v32
	v_mov_b32_e32 v3, v33
	;; [unrolled: 1-line block ×32, first 2 shown]
.LBB78_96:
	s_or_b64 exec, exec, s[0:1]
	v_mov_b32_e32 v44, 0
	s_waitcnt lgkmcnt(0)
	; wave barrier
	ds_read_b128 v[32:35], v44 offset:192
	ds_read_b128 v[36:39], v44 offset:208
	v_cmp_lt_u32_e32 vcc, 6, v0
	s_waitcnt lgkmcnt(1)
	v_fma_f64 v[32:33], v[18:19], v[32:33], 0
	v_fma_f64 v[32:33], v[20:21], v[34:35], v[32:33]
	s_waitcnt lgkmcnt(0)
	v_fma_f64 v[32:33], v[22:23], v[36:37], v[32:33]
	v_fma_f64 v[36:37], v[24:25], v[38:39], v[32:33]
	ds_read_b128 v[32:35], v44 offset:224
	ds_read_b64 v[38:39], v44 offset:240
	s_waitcnt lgkmcnt(1)
	v_fma_f64 v[32:33], v[26:27], v[32:33], v[36:37]
	v_fma_f64 v[32:33], v[28:29], v[34:35], v[32:33]
	s_waitcnt lgkmcnt(0)
	v_fma_f64 v[32:33], v[30:31], v[38:39], v[32:33]
	v_add_f64 v[16:17], v[16:17], -v[32:33]
	s_and_saveexec_b64 s[0:1], vcc
	s_cbranch_execz .LBB78_98
; %bb.97:
	v_mov_b32_e32 v32, v2
	v_mov_b32_e32 v33, v3
	v_mov_b32_e32 v34, v4
	v_mov_b32_e32 v35, v5
	v_mov_b32_e32 v36, v6
	v_mov_b32_e32 v37, v7
	v_mov_b32_e32 v38, v8
	v_mov_b32_e32 v39, v9
	v_mov_b32_e32 v40, v10
	v_mov_b32_e32 v41, v11
	v_mov_b32_e32 v42, v12
	v_mov_b32_e32 v43, v13
	v_mov_b32_e32 v45, v44
	v_mov_b32_e32 v46, v16
	v_mov_b32_e32 v47, v17
	v_mov_b32_e32 v48, v18
	v_mov_b32_e32 v49, v19
	v_mov_b32_e32 v50, v20
	v_mov_b32_e32 v51, v21
	v_mov_b32_e32 v52, v22
	v_mov_b32_e32 v53, v23
	v_mov_b32_e32 v54, v24
	v_mov_b32_e32 v55, v25
	v_mov_b32_e32 v56, v26
	v_mov_b32_e32 v57, v27
	v_mov_b32_e32 v58, v28
	v_mov_b32_e32 v59, v29
	v_mov_b32_e32 v60, v30
	v_mov_b32_e32 v61, v31
	ds_write_b64 v1, v[14:15]
	v_mov_b32_e32 v2, v32
	v_mov_b32_e32 v3, v33
	;; [unrolled: 1-line block ×32, first 2 shown]
.LBB78_98:
	s_or_b64 exec, exec, s[0:1]
	s_waitcnt lgkmcnt(0)
	; wave barrier
	ds_read2_b64 v[32:35], v44 offset0:23 offset1:24
	ds_read2_b64 v[36:39], v44 offset0:25 offset1:26
	v_cmp_lt_u32_e32 vcc, 5, v0
	s_waitcnt lgkmcnt(1)
	v_fma_f64 v[32:33], v[16:17], v[32:33], 0
	v_fma_f64 v[32:33], v[18:19], v[34:35], v[32:33]
	s_waitcnt lgkmcnt(0)
	v_fma_f64 v[32:33], v[20:21], v[36:37], v[32:33]
	v_fma_f64 v[40:41], v[22:23], v[38:39], v[32:33]
	ds_read2_b64 v[32:35], v44 offset0:27 offset1:28
	ds_read2_b64 v[36:39], v44 offset0:29 offset1:30
	s_waitcnt lgkmcnt(1)
	v_fma_f64 v[32:33], v[24:25], v[32:33], v[40:41]
	v_fma_f64 v[32:33], v[26:27], v[34:35], v[32:33]
	s_waitcnt lgkmcnt(0)
	v_fma_f64 v[32:33], v[28:29], v[36:37], v[32:33]
	v_fma_f64 v[32:33], v[30:31], v[38:39], v[32:33]
	v_add_f64 v[14:15], v[14:15], -v[32:33]
	s_and_saveexec_b64 s[0:1], vcc
	s_cbranch_execz .LBB78_100
; %bb.99:
	v_mov_b32_e32 v42, 0
	v_mov_b32_e32 v32, v2
	;; [unrolled: 1-line block ×64, first 2 shown]
	ds_write_b64 v1, v[62:63]
.LBB78_100:
	s_or_b64 exec, exec, s[0:1]
	v_mov_b32_e32 v40, 0
	s_waitcnt lgkmcnt(0)
	; wave barrier
	ds_read_b128 v[32:35], v40 offset:176
	ds_read_b128 v[36:39], v40 offset:192
	v_cmp_lt_u32_e32 vcc, 4, v0
	s_waitcnt lgkmcnt(1)
	v_fma_f64 v[32:33], v[14:15], v[32:33], 0
	v_fma_f64 v[32:33], v[16:17], v[34:35], v[32:33]
	s_waitcnt lgkmcnt(0)
	v_fma_f64 v[32:33], v[18:19], v[36:37], v[32:33]
	v_fma_f64 v[41:42], v[20:21], v[38:39], v[32:33]
	ds_read_b128 v[32:35], v40 offset:208
	ds_read_b128 v[36:39], v40 offset:224
	s_waitcnt lgkmcnt(1)
	v_fma_f64 v[32:33], v[22:23], v[32:33], v[41:42]
	v_fma_f64 v[32:33], v[24:25], v[34:35], v[32:33]
	ds_read_b64 v[34:35], v40 offset:240
	s_waitcnt lgkmcnt(1)
	v_fma_f64 v[32:33], v[26:27], v[36:37], v[32:33]
	v_fma_f64 v[32:33], v[28:29], v[38:39], v[32:33]
	s_waitcnt lgkmcnt(0)
	v_fma_f64 v[32:33], v[30:31], v[34:35], v[32:33]
	v_add_f64 v[12:13], v[12:13], -v[32:33]
	s_and_saveexec_b64 s[0:1], vcc
	s_cbranch_execz .LBB78_102
; %bb.101:
	v_mov_b32_e32 v32, v2
	v_mov_b32_e32 v33, v3
	;; [unrolled: 1-line block ×63, first 2 shown]
	ds_write_b64 v1, v[62:63]
.LBB78_102:
	s_or_b64 exec, exec, s[0:1]
	s_waitcnt lgkmcnt(0)
	; wave barrier
	ds_read2_b64 v[32:35], v40 offset0:21 offset1:22
	ds_read2_b64 v[36:39], v40 offset0:23 offset1:24
	v_cmp_lt_u32_e32 vcc, 3, v0
	s_waitcnt lgkmcnt(1)
	v_fma_f64 v[32:33], v[12:13], v[32:33], 0
	v_fma_f64 v[32:33], v[14:15], v[34:35], v[32:33]
	s_waitcnt lgkmcnt(0)
	v_fma_f64 v[32:33], v[16:17], v[36:37], v[32:33]
	v_fma_f64 v[41:42], v[18:19], v[38:39], v[32:33]
	ds_read2_b64 v[32:35], v40 offset0:25 offset1:26
	ds_read2_b64 v[36:39], v40 offset0:27 offset1:28
	s_waitcnt lgkmcnt(1)
	v_fma_f64 v[32:33], v[20:21], v[32:33], v[41:42]
	v_fma_f64 v[32:33], v[22:23], v[34:35], v[32:33]
	s_waitcnt lgkmcnt(0)
	v_fma_f64 v[32:33], v[24:25], v[36:37], v[32:33]
	v_fma_f64 v[36:37], v[26:27], v[38:39], v[32:33]
	ds_read2_b64 v[32:35], v40 offset0:29 offset1:30
	s_waitcnt lgkmcnt(0)
	v_fma_f64 v[32:33], v[28:29], v[32:33], v[36:37]
	v_fma_f64 v[32:33], v[30:31], v[34:35], v[32:33]
	v_add_f64 v[10:11], v[10:11], -v[32:33]
	s_and_saveexec_b64 s[0:1], vcc
	s_cbranch_execz .LBB78_104
; %bb.103:
	v_mov_b32_e32 v38, 0
	v_mov_b32_e32 v32, v2
	;; [unrolled: 1-line block ×64, first 2 shown]
	ds_write_b64 v1, v[62:63]
.LBB78_104:
	s_or_b64 exec, exec, s[0:1]
	v_mov_b32_e32 v36, 0
	s_waitcnt lgkmcnt(0)
	; wave barrier
	ds_read_b128 v[32:35], v36 offset:160
	ds_read_b128 v[37:40], v36 offset:176
	v_cmp_lt_u32_e32 vcc, 2, v0
	s_waitcnt lgkmcnt(1)
	v_fma_f64 v[32:33], v[10:11], v[32:33], 0
	v_fma_f64 v[32:33], v[12:13], v[34:35], v[32:33]
	s_waitcnt lgkmcnt(0)
	v_fma_f64 v[32:33], v[14:15], v[37:38], v[32:33]
	v_fma_f64 v[41:42], v[16:17], v[39:40], v[32:33]
	ds_read_b128 v[32:35], v36 offset:192
	ds_read_b128 v[37:40], v36 offset:208
	s_waitcnt lgkmcnt(1)
	v_fma_f64 v[32:33], v[18:19], v[32:33], v[41:42]
	v_fma_f64 v[32:33], v[20:21], v[34:35], v[32:33]
	s_waitcnt lgkmcnt(0)
	v_fma_f64 v[32:33], v[22:23], v[37:38], v[32:33]
	v_fma_f64 v[37:38], v[24:25], v[39:40], v[32:33]
	ds_read_b128 v[32:35], v36 offset:224
	ds_read_b64 v[39:40], v36 offset:240
	s_waitcnt lgkmcnt(1)
	v_fma_f64 v[32:33], v[26:27], v[32:33], v[37:38]
	v_fma_f64 v[32:33], v[28:29], v[34:35], v[32:33]
	s_waitcnt lgkmcnt(0)
	v_fma_f64 v[32:33], v[30:31], v[39:40], v[32:33]
	v_add_f64 v[8:9], v[8:9], -v[32:33]
	s_and_saveexec_b64 s[0:1], vcc
	s_cbranch_execz .LBB78_106
; %bb.105:
	v_mov_b32_e32 v32, v2
	v_mov_b32_e32 v33, v3
	;; [unrolled: 1-line block ×63, first 2 shown]
	ds_write_b64 v1, v[62:63]
.LBB78_106:
	s_or_b64 exec, exec, s[0:1]
	s_waitcnt lgkmcnt(0)
	; wave barrier
	ds_read2_b64 v[32:35], v36 offset0:19 offset1:20
	ds_read2_b64 v[37:40], v36 offset0:21 offset1:22
	v_cmp_lt_u32_e32 vcc, 1, v0
	s_waitcnt lgkmcnt(1)
	v_fma_f64 v[32:33], v[8:9], v[32:33], 0
	v_fma_f64 v[32:33], v[10:11], v[34:35], v[32:33]
	s_waitcnt lgkmcnt(0)
	v_fma_f64 v[32:33], v[12:13], v[37:38], v[32:33]
	v_fma_f64 v[41:42], v[14:15], v[39:40], v[32:33]
	ds_read2_b64 v[32:35], v36 offset0:23 offset1:24
	ds_read2_b64 v[37:40], v36 offset0:25 offset1:26
	s_waitcnt lgkmcnt(1)
	v_fma_f64 v[32:33], v[16:17], v[32:33], v[41:42]
	v_fma_f64 v[32:33], v[18:19], v[34:35], v[32:33]
	s_waitcnt lgkmcnt(0)
	v_fma_f64 v[32:33], v[20:21], v[37:38], v[32:33]
	v_fma_f64 v[40:41], v[22:23], v[39:40], v[32:33]
	ds_read2_b64 v[32:35], v36 offset0:27 offset1:28
	ds_read2_b64 v[36:39], v36 offset0:29 offset1:30
	s_waitcnt lgkmcnt(1)
	v_fma_f64 v[32:33], v[24:25], v[32:33], v[40:41]
	v_fma_f64 v[32:33], v[26:27], v[34:35], v[32:33]
	s_waitcnt lgkmcnt(0)
	v_fma_f64 v[32:33], v[28:29], v[36:37], v[32:33]
	v_fma_f64 v[32:33], v[30:31], v[38:39], v[32:33]
	v_add_f64 v[6:7], v[6:7], -v[32:33]
	s_and_saveexec_b64 s[0:1], vcc
	s_cbranch_execz .LBB78_108
; %bb.107:
	v_mov_b32_e32 v34, 0
	v_mov_b32_e32 v32, v2
	;; [unrolled: 1-line block ×64, first 2 shown]
	ds_write_b64 v1, v[62:63]
.LBB78_108:
	s_or_b64 exec, exec, s[0:1]
	v_mov_b32_e32 v34, 0
	s_waitcnt lgkmcnt(0)
	; wave barrier
	ds_read_b128 v[35:38], v34 offset:144
	ds_read_b128 v[39:42], v34 offset:160
	v_cmp_ne_u32_e32 vcc, 0, v0
	s_waitcnt lgkmcnt(1)
	v_fma_f64 v[32:33], v[6:7], v[35:36], 0
	v_fma_f64 v[32:33], v[8:9], v[37:38], v[32:33]
	s_waitcnt lgkmcnt(0)
	v_fma_f64 v[32:33], v[10:11], v[39:40], v[32:33]
	v_fma_f64 v[32:33], v[12:13], v[41:42], v[32:33]
	ds_read_b128 v[35:38], v34 offset:176
	ds_read_b128 v[39:42], v34 offset:192
	s_waitcnt lgkmcnt(1)
	v_fma_f64 v[32:33], v[14:15], v[35:36], v[32:33]
	v_fma_f64 v[32:33], v[16:17], v[37:38], v[32:33]
	s_waitcnt lgkmcnt(0)
	v_fma_f64 v[32:33], v[18:19], v[39:40], v[32:33]
	v_fma_f64 v[32:33], v[20:21], v[41:42], v[32:33]
	ds_read_b128 v[35:38], v34 offset:208
	ds_read_b128 v[39:42], v34 offset:224
	s_waitcnt lgkmcnt(1)
	v_fma_f64 v[32:33], v[22:23], v[35:36], v[32:33]
	ds_read_b64 v[35:36], v34 offset:240
	v_fma_f64 v[32:33], v[24:25], v[37:38], v[32:33]
	s_waitcnt lgkmcnt(1)
	v_fma_f64 v[32:33], v[26:27], v[39:40], v[32:33]
	v_fma_f64 v[32:33], v[28:29], v[41:42], v[32:33]
	s_waitcnt lgkmcnt(0)
	v_fma_f64 v[32:33], v[30:31], v[35:36], v[32:33]
	v_add_f64 v[4:5], v[4:5], -v[32:33]
	s_and_saveexec_b64 s[0:1], vcc
	s_cbranch_execz .LBB78_110
; %bb.109:
	v_mov_b32_e32 v35, v34
	v_mov_b32_e32 v36, v4
	;; [unrolled: 1-line block ×63, first 2 shown]
	ds_write_b64 v1, v[94:95]
.LBB78_110:
	s_or_b64 exec, exec, s[0:1]
	s_waitcnt lgkmcnt(0)
	; wave barrier
	ds_read2_b64 v[35:38], v34 offset0:17 offset1:18
	ds_read2_b64 v[39:42], v34 offset0:19 offset1:20
	s_and_b64 vcc, exec, s[42:43]
	s_waitcnt lgkmcnt(1)
	v_fma_f64 v[0:1], v[4:5], v[35:36], 0
	v_fma_f64 v[0:1], v[6:7], v[37:38], v[0:1]
	s_waitcnt lgkmcnt(0)
	v_fma_f64 v[0:1], v[8:9], v[39:40], v[0:1]
	v_fma_f64 v[0:1], v[10:11], v[41:42], v[0:1]
	ds_read2_b64 v[35:38], v34 offset0:21 offset1:22
	ds_read2_b64 v[39:42], v34 offset0:23 offset1:24
	s_waitcnt lgkmcnt(1)
	v_fma_f64 v[0:1], v[12:13], v[35:36], v[0:1]
	v_fma_f64 v[0:1], v[14:15], v[37:38], v[0:1]
	s_waitcnt lgkmcnt(0)
	v_fma_f64 v[0:1], v[16:17], v[39:40], v[0:1]
	v_fma_f64 v[0:1], v[18:19], v[41:42], v[0:1]
	ds_read2_b64 v[35:38], v34 offset0:25 offset1:26
	ds_read2_b64 v[39:42], v34 offset0:27 offset1:28
	s_waitcnt lgkmcnt(1)
	v_fma_f64 v[0:1], v[20:21], v[35:36], v[0:1]
	ds_read2_b64 v[32:35], v34 offset0:29 offset1:30
	v_fma_f64 v[0:1], v[22:23], v[37:38], v[0:1]
	s_waitcnt lgkmcnt(1)
	v_fma_f64 v[0:1], v[24:25], v[39:40], v[0:1]
	v_fma_f64 v[0:1], v[26:27], v[41:42], v[0:1]
	s_waitcnt lgkmcnt(0)
	v_fma_f64 v[0:1], v[28:29], v[32:33], v[0:1]
	v_fma_f64 v[0:1], v[30:31], v[34:35], v[0:1]
	v_add_f64 v[2:3], v[2:3], -v[0:1]
	s_cbranch_vccz .LBB78_139
; %bb.111:
	v_mov_b32_e32 v0, 0
	global_load_dword v1, v0, s[40:41] offset:52
	s_waitcnt vmcnt(0)
	v_readfirstlane_b32 s0, v1
	s_add_i32 s0, s0, -1
	s_cmp_lg_u32 s0, 13
	s_cbranch_scc0 .LBB78_113
; %bb.112:
	s_lshl_b32 s0, s0, 1
	s_set_gpr_idx_on s0, gpr_idx(SRC0)
	v_mov_b32_e32 v1, v3
	v_mov_b32_e32 v62, v2
	s_set_gpr_idx_off
	v_mov_b32_e32 v61, v33
	v_mov_b32_e32 v57, v29
	;; [unrolled: 1-line block ×34, first 2 shown]
	s_set_gpr_idx_on s0, gpr_idx(DST)
	v_mov_b32_e32 v30, v28
	v_mov_b32_e32 v31, v29
	s_set_gpr_idx_off
	v_mov_b32_e32 v2, v30
	v_mov_b32_e32 v3, v31
	;; [unrolled: 1-line block ×32, first 2 shown]
.LBB78_113:
	global_load_dword v0, v0, s[40:41] offset:48
	s_waitcnt vmcnt(0)
	v_readfirstlane_b32 s0, v0
	s_add_i32 s0, s0, -1
	s_cmp_eq_u32 s0, 12
	s_cbranch_scc1 .LBB78_115
; %bb.114:
	s_lshl_b32 s0, s0, 1
	s_set_gpr_idx_on s0, gpr_idx(SRC0)
	v_mov_b32_e32 v0, v3
	v_mov_b32_e32 v1, v2
	s_set_gpr_idx_off
	v_mov_b32_e32 v59, v33
	v_mov_b32_e32 v53, v27
	;; [unrolled: 1-line block ×34, first 2 shown]
	s_set_gpr_idx_on s0, gpr_idx(DST)
	v_mov_b32_e32 v28, v26
	v_mov_b32_e32 v29, v27
	s_set_gpr_idx_off
	v_mov_b32_e32 v2, v28
	v_mov_b32_e32 v3, v29
	;; [unrolled: 1-line block ×32, first 2 shown]
.LBB78_115:
	v_mov_b32_e32 v0, 0
	global_load_dword v1, v0, s[40:41] offset:44
	s_waitcnt vmcnt(0)
	v_readfirstlane_b32 s0, v1
	s_add_i32 s0, s0, -1
	s_cmp_eq_u32 s0, 11
	s_cbranch_scc1 .LBB78_117
; %bb.116:
	s_lshl_b32 s0, s0, 1
	s_set_gpr_idx_on s0, gpr_idx(SRC0)
	v_mov_b32_e32 v1, v3
	v_mov_b32_e32 v58, v2
	s_set_gpr_idx_off
	v_mov_b32_e32 v57, v33
	v_mov_b32_e32 v49, v25
	;; [unrolled: 1-line block ×34, first 2 shown]
	s_set_gpr_idx_on s0, gpr_idx(DST)
	v_mov_b32_e32 v26, v24
	v_mov_b32_e32 v27, v25
	s_set_gpr_idx_off
	v_mov_b32_e32 v2, v26
	v_mov_b32_e32 v3, v27
	;; [unrolled: 1-line block ×32, first 2 shown]
.LBB78_117:
	global_load_dword v0, v0, s[40:41] offset:40
	s_waitcnt vmcnt(0)
	v_readfirstlane_b32 s0, v0
	s_add_i32 s0, s0, -1
	s_cmp_eq_u32 s0, 10
	s_cbranch_scc1 .LBB78_119
; %bb.118:
	s_lshl_b32 s0, s0, 1
	s_set_gpr_idx_on s0, gpr_idx(SRC0)
	v_mov_b32_e32 v0, v3
	v_mov_b32_e32 v1, v2
	s_set_gpr_idx_off
	v_mov_b32_e32 v55, v33
	v_mov_b32_e32 v45, v23
	v_mov_b32_e32 v44, v22
	v_mov_b32_e32 v54, v32
	v_mov_b32_e32 v53, v31
	v_mov_b32_e32 v52, v30
	v_mov_b32_e32 v51, v29
	v_mov_b32_e32 v50, v28
	v_mov_b32_e32 v49, v27
	v_mov_b32_e32 v48, v26
	v_mov_b32_e32 v47, v25
	v_mov_b32_e32 v46, v24
	v_mov_b32_e32 v43, v21
	v_mov_b32_e32 v42, v20
	v_mov_b32_e32 v41, v19
	v_mov_b32_e32 v40, v18
	v_mov_b32_e32 v39, v17
	v_mov_b32_e32 v38, v16
	v_mov_b32_e32 v37, v15
	v_mov_b32_e32 v36, v14
	v_mov_b32_e32 v35, v13
	v_mov_b32_e32 v34, v12
	v_mov_b32_e32 v33, v11
	v_mov_b32_e32 v32, v10
	v_mov_b32_e32 v31, v9
	v_mov_b32_e32 v30, v8
	v_mov_b32_e32 v29, v7
	v_mov_b32_e32 v28, v6
	v_mov_b32_e32 v27, v5
	v_mov_b32_e32 v26, v4
	v_mov_b32_e32 v25, v3
	v_mov_b32_e32 v24, v2
	v_mov_b32_e32 v44, v1
	v_mov_b32_e32 v45, v0
	s_set_gpr_idx_on s0, gpr_idx(DST)
	v_mov_b32_e32 v24, v22
	v_mov_b32_e32 v25, v23
	s_set_gpr_idx_off
	v_mov_b32_e32 v2, v24
	v_mov_b32_e32 v3, v25
	;; [unrolled: 1-line block ×32, first 2 shown]
.LBB78_119:
	v_mov_b32_e32 v0, 0
	global_load_dword v1, v0, s[40:41] offset:36
	s_waitcnt vmcnt(0)
	v_readfirstlane_b32 s0, v1
	s_add_i32 s0, s0, -1
	s_cmp_eq_u32 s0, 9
	s_cbranch_scc1 .LBB78_121
; %bb.120:
	s_lshl_b32 s0, s0, 1
	s_set_gpr_idx_on s0, gpr_idx(SRC0)
	v_mov_b32_e32 v1, v3
	v_mov_b32_e32 v54, v2
	s_set_gpr_idx_off
	v_mov_b32_e32 v53, v33
	v_mov_b32_e32 v41, v21
	;; [unrolled: 1-line block ×34, first 2 shown]
	s_set_gpr_idx_on s0, gpr_idx(DST)
	v_mov_b32_e32 v22, v20
	v_mov_b32_e32 v23, v21
	s_set_gpr_idx_off
	v_mov_b32_e32 v2, v22
	v_mov_b32_e32 v3, v23
	;; [unrolled: 1-line block ×32, first 2 shown]
.LBB78_121:
	global_load_dword v0, v0, s[40:41] offset:32
	s_waitcnt vmcnt(0)
	v_readfirstlane_b32 s0, v0
	s_add_i32 s0, s0, -1
	s_cmp_eq_u32 s0, 8
	s_cbranch_scc1 .LBB78_123
; %bb.122:
	s_lshl_b32 s0, s0, 1
	s_set_gpr_idx_on s0, gpr_idx(SRC0)
	v_mov_b32_e32 v0, v3
	v_mov_b32_e32 v1, v2
	s_set_gpr_idx_off
	v_mov_b32_e32 v51, v33
	v_mov_b32_e32 v37, v19
	;; [unrolled: 1-line block ×34, first 2 shown]
	s_set_gpr_idx_on s0, gpr_idx(DST)
	v_mov_b32_e32 v20, v18
	v_mov_b32_e32 v21, v19
	s_set_gpr_idx_off
	v_mov_b32_e32 v2, v20
	v_mov_b32_e32 v3, v21
	;; [unrolled: 1-line block ×32, first 2 shown]
.LBB78_123:
	v_mov_b32_e32 v0, 0
	global_load_dword v1, v0, s[40:41] offset:28
	s_waitcnt vmcnt(0)
	v_readfirstlane_b32 s0, v1
	s_add_i32 s0, s0, -1
	s_cmp_eq_u32 s0, 7
	s_cbranch_scc1 .LBB78_125
; %bb.124:
	s_lshl_b32 s0, s0, 1
	s_set_gpr_idx_on s0, gpr_idx(SRC0)
	v_mov_b32_e32 v1, v3
	v_mov_b32_e32 v50, v2
	s_set_gpr_idx_off
	v_mov_b32_e32 v49, v33
	v_mov_b32_e32 v48, v32
	;; [unrolled: 1-line block ×34, first 2 shown]
	s_set_gpr_idx_on s0, gpr_idx(DST)
	v_mov_b32_e32 v18, v16
	v_mov_b32_e32 v19, v17
	s_set_gpr_idx_off
	v_mov_b32_e32 v2, v18
	v_mov_b32_e32 v3, v19
	;; [unrolled: 1-line block ×32, first 2 shown]
.LBB78_125:
	global_load_dword v0, v0, s[40:41] offset:24
	s_waitcnt vmcnt(0)
	v_readfirstlane_b32 s0, v0
	s_add_i32 s0, s0, -1
	s_cmp_eq_u32 s0, 6
	s_cbranch_scc1 .LBB78_127
; %bb.126:
	s_lshl_b32 s0, s0, 1
	s_set_gpr_idx_on s0, gpr_idx(SRC0)
	v_mov_b32_e32 v0, v3
	v_mov_b32_e32 v1, v2
	s_set_gpr_idx_off
	v_mov_b32_e32 v47, v33
	v_mov_b32_e32 v46, v32
	;; [unrolled: 1-line block ×34, first 2 shown]
	s_set_gpr_idx_on s0, gpr_idx(DST)
	v_mov_b32_e32 v16, v14
	v_mov_b32_e32 v17, v15
	s_set_gpr_idx_off
	v_mov_b32_e32 v2, v16
	v_mov_b32_e32 v3, v17
	;; [unrolled: 1-line block ×32, first 2 shown]
.LBB78_127:
	v_mov_b32_e32 v0, 0
	global_load_dword v1, v0, s[40:41] offset:20
	s_waitcnt vmcnt(0)
	v_readfirstlane_b32 s0, v1
	s_add_i32 s0, s0, -1
	s_cmp_eq_u32 s0, 5
	s_cbranch_scc1 .LBB78_129
; %bb.128:
	s_lshl_b32 s0, s0, 1
	s_set_gpr_idx_on s0, gpr_idx(SRC0)
	v_mov_b32_e32 v1, v3
	v_mov_b32_e32 v46, v2
	s_set_gpr_idx_off
	v_mov_b32_e32 v45, v33
	v_mov_b32_e32 v44, v32
	;; [unrolled: 1-line block ×34, first 2 shown]
	s_set_gpr_idx_on s0, gpr_idx(DST)
	v_mov_b32_e32 v14, v12
	v_mov_b32_e32 v15, v13
	s_set_gpr_idx_off
	v_mov_b32_e32 v2, v14
	v_mov_b32_e32 v3, v15
	v_mov_b32_e32 v4, v16
	v_mov_b32_e32 v5, v17
	v_mov_b32_e32 v6, v18
	v_mov_b32_e32 v7, v19
	v_mov_b32_e32 v8, v20
	v_mov_b32_e32 v9, v21
	v_mov_b32_e32 v10, v22
	v_mov_b32_e32 v11, v23
	v_mov_b32_e32 v12, v24
	v_mov_b32_e32 v13, v25
	v_mov_b32_e32 v14, v26
	v_mov_b32_e32 v15, v27
	v_mov_b32_e32 v16, v28
	v_mov_b32_e32 v17, v29
	v_mov_b32_e32 v18, v30
	v_mov_b32_e32 v19, v31
	v_mov_b32_e32 v20, v32
	v_mov_b32_e32 v21, v33
	v_mov_b32_e32 v22, v34
	v_mov_b32_e32 v23, v35
	v_mov_b32_e32 v24, v36
	v_mov_b32_e32 v25, v37
	v_mov_b32_e32 v26, v38
	v_mov_b32_e32 v27, v39
	v_mov_b32_e32 v28, v40
	v_mov_b32_e32 v29, v41
	v_mov_b32_e32 v30, v42
	v_mov_b32_e32 v31, v43
	v_mov_b32_e32 v32, v44
	v_mov_b32_e32 v33, v45
.LBB78_129:
	global_load_dword v0, v0, s[40:41] offset:16
	s_waitcnt vmcnt(0)
	v_readfirstlane_b32 s0, v0
	s_add_i32 s0, s0, -1
	s_cmp_eq_u32 s0, 4
	s_cbranch_scc1 .LBB78_131
; %bb.130:
	s_lshl_b32 s0, s0, 1
	s_set_gpr_idx_on s0, gpr_idx(SRC0)
	v_mov_b32_e32 v0, v3
	v_mov_b32_e32 v1, v2
	s_set_gpr_idx_off
	v_mov_b32_e32 v43, v33
	v_mov_b32_e32 v42, v32
	;; [unrolled: 1-line block ×34, first 2 shown]
	s_set_gpr_idx_on s0, gpr_idx(DST)
	v_mov_b32_e32 v12, v10
	v_mov_b32_e32 v13, v11
	s_set_gpr_idx_off
	v_mov_b32_e32 v2, v12
	v_mov_b32_e32 v3, v13
	;; [unrolled: 1-line block ×32, first 2 shown]
.LBB78_131:
	v_mov_b32_e32 v0, 0
	global_load_dword v1, v0, s[40:41] offset:12
	s_waitcnt vmcnt(0)
	v_readfirstlane_b32 s0, v1
	s_add_i32 s0, s0, -1
	s_cmp_eq_u32 s0, 3
	s_cbranch_scc1 .LBB78_133
; %bb.132:
	s_lshl_b32 s0, s0, 1
	s_set_gpr_idx_on s0, gpr_idx(SRC0)
	v_mov_b32_e32 v1, v3
	v_mov_b32_e32 v42, v2
	s_set_gpr_idx_off
	v_mov_b32_e32 v41, v33
	v_mov_b32_e32 v40, v32
	;; [unrolled: 1-line block ×34, first 2 shown]
	s_set_gpr_idx_on s0, gpr_idx(DST)
	v_mov_b32_e32 v10, v8
	v_mov_b32_e32 v11, v9
	s_set_gpr_idx_off
	v_mov_b32_e32 v2, v10
	v_mov_b32_e32 v3, v11
	;; [unrolled: 1-line block ×32, first 2 shown]
.LBB78_133:
	global_load_dword v0, v0, s[40:41] offset:8
	s_waitcnt vmcnt(0)
	v_readfirstlane_b32 s0, v0
	s_add_i32 s0, s0, -1
	s_cmp_eq_u32 s0, 2
	s_cbranch_scc1 .LBB78_135
; %bb.134:
	s_lshl_b32 s0, s0, 1
	s_set_gpr_idx_on s0, gpr_idx(SRC0)
	v_mov_b32_e32 v0, v3
	v_mov_b32_e32 v1, v2
	s_set_gpr_idx_off
	v_mov_b32_e32 v39, v33
	v_mov_b32_e32 v38, v32
	v_mov_b32_e32 v37, v31
	v_mov_b32_e32 v36, v30
	v_mov_b32_e32 v35, v29
	v_mov_b32_e32 v34, v28
	v_mov_b32_e32 v33, v27
	v_mov_b32_e32 v32, v26
	v_mov_b32_e32 v31, v25
	v_mov_b32_e32 v30, v24
	v_mov_b32_e32 v29, v23
	v_mov_b32_e32 v28, v22
	v_mov_b32_e32 v27, v21
	v_mov_b32_e32 v26, v20
	v_mov_b32_e32 v25, v19
	v_mov_b32_e32 v24, v18
	v_mov_b32_e32 v23, v17
	v_mov_b32_e32 v22, v16
	v_mov_b32_e32 v21, v15
	v_mov_b32_e32 v20, v14
	v_mov_b32_e32 v19, v13
	v_mov_b32_e32 v18, v12
	v_mov_b32_e32 v17, v11
	v_mov_b32_e32 v16, v10
	v_mov_b32_e32 v15, v9
	v_mov_b32_e32 v14, v8
	v_mov_b32_e32 v13, v7
	v_mov_b32_e32 v12, v6
	v_mov_b32_e32 v11, v5
	v_mov_b32_e32 v10, v4
	v_mov_b32_e32 v9, v3
	v_mov_b32_e32 v8, v2
	v_mov_b32_e32 v12, v1
	v_mov_b32_e32 v13, v0
	s_set_gpr_idx_on s0, gpr_idx(DST)
	v_mov_b32_e32 v8, v6
	v_mov_b32_e32 v9, v7
	s_set_gpr_idx_off
	v_mov_b32_e32 v2, v8
	v_mov_b32_e32 v3, v9
	;; [unrolled: 1-line block ×32, first 2 shown]
.LBB78_135:
	v_mov_b32_e32 v0, 0
	global_load_dword v1, v0, s[40:41] offset:4
	s_waitcnt vmcnt(0)
	v_readfirstlane_b32 s0, v1
	s_add_i32 s0, s0, -1
	s_cmp_eq_u32 s0, 1
	s_cbranch_scc1 .LBB78_137
; %bb.136:
	s_lshl_b32 s0, s0, 1
	s_set_gpr_idx_on s0, gpr_idx(SRC0)
	v_mov_b32_e32 v1, v3
	v_mov_b32_e32 v38, v2
	s_set_gpr_idx_off
	v_mov_b32_e32 v37, v33
	v_mov_b32_e32 v36, v32
	;; [unrolled: 1-line block ×34, first 2 shown]
	s_set_gpr_idx_on s0, gpr_idx(DST)
	v_mov_b32_e32 v6, v4
	v_mov_b32_e32 v7, v5
	s_set_gpr_idx_off
	v_mov_b32_e32 v2, v6
	v_mov_b32_e32 v3, v7
	;; [unrolled: 1-line block ×32, first 2 shown]
.LBB78_137:
	global_load_dword v0, v0, s[40:41]
	s_waitcnt vmcnt(0)
	v_readfirstlane_b32 s0, v0
	s_add_i32 s0, s0, -1
	s_cmp_eq_u32 s0, 0
	s_cbranch_scc1 .LBB78_139
; %bb.138:
	s_lshl_b32 s0, s0, 1
	s_set_gpr_idx_on s0, gpr_idx(SRC0)
	v_mov_b32_e32 v0, v3
	v_mov_b32_e32 v1, v2
	s_set_gpr_idx_off
	v_mov_b32_e32 v35, v33
	v_mov_b32_e32 v34, v32
	;; [unrolled: 1-line block ×34, first 2 shown]
	s_set_gpr_idx_on s0, gpr_idx(DST)
	v_mov_b32_e32 v4, v2
	v_mov_b32_e32 v5, v3
	s_set_gpr_idx_off
	v_mov_b32_e32 v2, v4
	v_mov_b32_e32 v3, v5
	;; [unrolled: 1-line block ×32, first 2 shown]
.LBB78_139:
	v_mov_b32_e32 v0, v2
	v_mov_b32_e32 v1, v3
	flat_store_dwordx2 v[90:91], v[0:1]
	v_mov_b32_e32 v0, v4
	v_mov_b32_e32 v1, v5
	flat_store_dwordx2 v[92:93], v[0:1]
	;; [unrolled: 3-line block ×15, first 2 shown]
	s_endpgm
	.section	.rodata,"a",@progbits
	.p2align	6, 0x0
	.amdhsa_kernel _ZN9rocsolver6v33100L18getri_kernel_smallILi15EdPKPdEEvT1_iilPiilS6_bb
		.amdhsa_group_segment_fixed_size 248
		.amdhsa_private_segment_fixed_size 0
		.amdhsa_kernarg_size 60
		.amdhsa_user_sgpr_count 6
		.amdhsa_user_sgpr_private_segment_buffer 1
		.amdhsa_user_sgpr_dispatch_ptr 0
		.amdhsa_user_sgpr_queue_ptr 0
		.amdhsa_user_sgpr_kernarg_segment_ptr 1
		.amdhsa_user_sgpr_dispatch_id 0
		.amdhsa_user_sgpr_flat_scratch_init 0
		.amdhsa_user_sgpr_private_segment_size 0
		.amdhsa_uses_dynamic_stack 0
		.amdhsa_system_sgpr_private_segment_wavefront_offset 0
		.amdhsa_system_sgpr_workgroup_id_x 1
		.amdhsa_system_sgpr_workgroup_id_y 0
		.amdhsa_system_sgpr_workgroup_id_z 0
		.amdhsa_system_sgpr_workgroup_info 0
		.amdhsa_system_vgpr_workitem_id 0
		.amdhsa_next_free_vgpr 96
		.amdhsa_next_free_sgpr 52
		.amdhsa_reserve_vcc 1
		.amdhsa_reserve_flat_scratch 0
		.amdhsa_float_round_mode_32 0
		.amdhsa_float_round_mode_16_64 0
		.amdhsa_float_denorm_mode_32 3
		.amdhsa_float_denorm_mode_16_64 3
		.amdhsa_dx10_clamp 1
		.amdhsa_ieee_mode 1
		.amdhsa_fp16_overflow 0
		.amdhsa_exception_fp_ieee_invalid_op 0
		.amdhsa_exception_fp_denorm_src 0
		.amdhsa_exception_fp_ieee_div_zero 0
		.amdhsa_exception_fp_ieee_overflow 0
		.amdhsa_exception_fp_ieee_underflow 0
		.amdhsa_exception_fp_ieee_inexact 0
		.amdhsa_exception_int_div_zero 0
	.end_amdhsa_kernel
	.section	.text._ZN9rocsolver6v33100L18getri_kernel_smallILi15EdPKPdEEvT1_iilPiilS6_bb,"axG",@progbits,_ZN9rocsolver6v33100L18getri_kernel_smallILi15EdPKPdEEvT1_iilPiilS6_bb,comdat
.Lfunc_end78:
	.size	_ZN9rocsolver6v33100L18getri_kernel_smallILi15EdPKPdEEvT1_iilPiilS6_bb, .Lfunc_end78-_ZN9rocsolver6v33100L18getri_kernel_smallILi15EdPKPdEEvT1_iilPiilS6_bb
                                        ; -- End function
	.set _ZN9rocsolver6v33100L18getri_kernel_smallILi15EdPKPdEEvT1_iilPiilS6_bb.num_vgpr, 96
	.set _ZN9rocsolver6v33100L18getri_kernel_smallILi15EdPKPdEEvT1_iilPiilS6_bb.num_agpr, 0
	.set _ZN9rocsolver6v33100L18getri_kernel_smallILi15EdPKPdEEvT1_iilPiilS6_bb.numbered_sgpr, 52
	.set _ZN9rocsolver6v33100L18getri_kernel_smallILi15EdPKPdEEvT1_iilPiilS6_bb.num_named_barrier, 0
	.set _ZN9rocsolver6v33100L18getri_kernel_smallILi15EdPKPdEEvT1_iilPiilS6_bb.private_seg_size, 0
	.set _ZN9rocsolver6v33100L18getri_kernel_smallILi15EdPKPdEEvT1_iilPiilS6_bb.uses_vcc, 1
	.set _ZN9rocsolver6v33100L18getri_kernel_smallILi15EdPKPdEEvT1_iilPiilS6_bb.uses_flat_scratch, 0
	.set _ZN9rocsolver6v33100L18getri_kernel_smallILi15EdPKPdEEvT1_iilPiilS6_bb.has_dyn_sized_stack, 0
	.set _ZN9rocsolver6v33100L18getri_kernel_smallILi15EdPKPdEEvT1_iilPiilS6_bb.has_recursion, 0
	.set _ZN9rocsolver6v33100L18getri_kernel_smallILi15EdPKPdEEvT1_iilPiilS6_bb.has_indirect_call, 0
	.section	.AMDGPU.csdata,"",@progbits
; Kernel info:
; codeLenInByte = 20048
; TotalNumSgprs: 56
; NumVgprs: 96
; ScratchSize: 0
; MemoryBound: 0
; FloatMode: 240
; IeeeMode: 1
; LDSByteSize: 248 bytes/workgroup (compile time only)
; SGPRBlocks: 6
; VGPRBlocks: 23
; NumSGPRsForWavesPerEU: 56
; NumVGPRsForWavesPerEU: 96
; Occupancy: 2
; WaveLimiterHint : 1
; COMPUTE_PGM_RSRC2:SCRATCH_EN: 0
; COMPUTE_PGM_RSRC2:USER_SGPR: 6
; COMPUTE_PGM_RSRC2:TRAP_HANDLER: 0
; COMPUTE_PGM_RSRC2:TGID_X_EN: 1
; COMPUTE_PGM_RSRC2:TGID_Y_EN: 0
; COMPUTE_PGM_RSRC2:TGID_Z_EN: 0
; COMPUTE_PGM_RSRC2:TIDIG_COMP_CNT: 0
	.section	.text._ZN9rocsolver6v33100L18getri_kernel_smallILi16EdPKPdEEvT1_iilPiilS6_bb,"axG",@progbits,_ZN9rocsolver6v33100L18getri_kernel_smallILi16EdPKPdEEvT1_iilPiilS6_bb,comdat
	.globl	_ZN9rocsolver6v33100L18getri_kernel_smallILi16EdPKPdEEvT1_iilPiilS6_bb ; -- Begin function _ZN9rocsolver6v33100L18getri_kernel_smallILi16EdPKPdEEvT1_iilPiilS6_bb
	.p2align	8
	.type	_ZN9rocsolver6v33100L18getri_kernel_smallILi16EdPKPdEEvT1_iilPiilS6_bb,@function
_ZN9rocsolver6v33100L18getri_kernel_smallILi16EdPKPdEEvT1_iilPiilS6_bb: ; @_ZN9rocsolver6v33100L18getri_kernel_smallILi16EdPKPdEEvT1_iilPiilS6_bb
; %bb.0:
	v_cmp_gt_u32_e32 vcc, 16, v0
	s_and_saveexec_b64 s[0:1], vcc
	s_cbranch_execz .LBB79_16
; %bb.1:
	s_load_dword s8, s[4:5], 0x38
	s_load_dwordx2 s[0:1], s[4:5], 0x0
	s_load_dwordx4 s[40:43], s[4:5], 0x28
                                        ; implicit-def: $sgpr44_sgpr45
	s_waitcnt lgkmcnt(0)
	s_bitcmp1_b32 s8, 8
	s_cselect_b64 s[46:47], -1, 0
	s_ashr_i32 s7, s6, 31
	s_lshl_b64 s[2:3], s[6:7], 3
	s_add_u32 s0, s0, s2
	s_addc_u32 s1, s1, s3
	s_load_dwordx2 s[2:3], s[0:1], 0x0
	s_bfe_u32 s0, s8, 0x10008
	s_cmp_eq_u32 s0, 0
	s_cbranch_scc1 .LBB79_3
; %bb.2:
	s_load_dword s0, s[4:5], 0x20
	s_load_dwordx2 s[8:9], s[4:5], 0x18
	s_mul_i32 s1, s40, s7
	s_mul_hi_u32 s10, s40, s6
	s_add_i32 s10, s10, s1
	s_mul_i32 s11, s41, s6
	s_add_i32 s11, s10, s11
	s_mul_i32 s10, s40, s6
	s_waitcnt lgkmcnt(0)
	s_ashr_i32 s1, s0, 31
	s_lshl_b64 s[10:11], s[10:11], 2
	s_add_u32 s8, s8, s10
	s_addc_u32 s9, s9, s11
	s_lshl_b64 s[0:1], s[0:1], 2
	s_add_u32 s44, s8, s0
	s_addc_u32 s45, s9, s1
.LBB79_3:
	s_load_dwordx2 s[0:1], s[4:5], 0x8
	s_load_dword s8, s[4:5], 0x38
	v_lshlrev_b32_e32 v36, 3, v0
	s_waitcnt lgkmcnt(0)
	s_ashr_i32 s5, s0, 31
	s_mov_b32 s4, s0
	s_lshl_b64 s[4:5], s[4:5], 3
	s_add_u32 s0, s2, s4
	s_addc_u32 s2, s3, s5
	s_add_i32 s3, s1, s1
	v_add_u32_e32 v1, s3, v0
	v_ashrrev_i32_e32 v2, 31, v1
	v_lshlrev_b64 v[2:3], 3, v[1:2]
	v_add_u32_e32 v1, s1, v1
	v_mov_b32_e32 v4, s2
	v_add_co_u32_e32 v64, vcc, s0, v2
	v_ashrrev_i32_e32 v2, 31, v1
	v_addc_co_u32_e32 v65, vcc, v4, v3, vcc
	v_lshlrev_b64 v[2:3], 3, v[1:2]
	v_add_u32_e32 v1, s1, v1
	v_add_co_u32_e32 v66, vcc, s0, v2
	v_ashrrev_i32_e32 v2, 31, v1
	v_addc_co_u32_e32 v67, vcc, v4, v3, vcc
	v_lshlrev_b64 v[2:3], 3, v[1:2]
	v_add_u32_e32 v1, s1, v1
	v_add_co_u32_e32 v68, vcc, s0, v2
	v_ashrrev_i32_e32 v2, 31, v1
	v_addc_co_u32_e32 v69, vcc, v4, v3, vcc
	v_lshlrev_b64 v[2:3], 3, v[1:2]
	v_add_u32_e32 v1, s1, v1
	v_add_co_u32_e32 v70, vcc, s0, v2
	v_ashrrev_i32_e32 v2, 31, v1
	v_addc_co_u32_e32 v71, vcc, v4, v3, vcc
	v_lshlrev_b64 v[2:3], 3, v[1:2]
	v_add_u32_e32 v1, s1, v1
	v_add_co_u32_e32 v72, vcc, s0, v2
	v_ashrrev_i32_e32 v2, 31, v1
	v_addc_co_u32_e32 v73, vcc, v4, v3, vcc
	v_lshlrev_b64 v[2:3], 3, v[1:2]
	v_add_u32_e32 v1, s1, v1
	v_add_co_u32_e32 v74, vcc, s0, v2
	v_ashrrev_i32_e32 v2, 31, v1
	v_addc_co_u32_e32 v75, vcc, v4, v3, vcc
	v_lshlrev_b64 v[2:3], 3, v[1:2]
	v_add_u32_e32 v1, s1, v1
	v_add_co_u32_e32 v76, vcc, s0, v2
	v_ashrrev_i32_e32 v2, 31, v1
	v_addc_co_u32_e32 v77, vcc, v4, v3, vcc
	v_lshlrev_b64 v[2:3], 3, v[1:2]
	v_add_u32_e32 v1, s1, v1
	v_add_co_u32_e32 v78, vcc, s0, v2
	v_ashrrev_i32_e32 v2, 31, v1
	v_addc_co_u32_e32 v79, vcc, v4, v3, vcc
	v_lshlrev_b64 v[2:3], 3, v[1:2]
	v_add_u32_e32 v1, s1, v1
	v_add_co_u32_e32 v80, vcc, s0, v2
	v_ashrrev_i32_e32 v2, 31, v1
	v_addc_co_u32_e32 v81, vcc, v4, v3, vcc
	v_lshlrev_b64 v[2:3], 3, v[1:2]
	v_add_u32_e32 v1, s1, v1
	v_add_co_u32_e32 v82, vcc, s0, v2
	v_ashrrev_i32_e32 v2, 31, v1
	v_addc_co_u32_e32 v83, vcc, v4, v3, vcc
	v_lshlrev_b64 v[2:3], 3, v[1:2]
	v_add_u32_e32 v1, s1, v1
	v_add_co_u32_e32 v84, vcc, s0, v2
	v_ashrrev_i32_e32 v2, 31, v1
	v_addc_co_u32_e32 v85, vcc, v4, v3, vcc
	v_lshlrev_b64 v[2:3], 3, v[1:2]
	v_add_u32_e32 v1, s1, v1
	v_add_co_u32_e32 v86, vcc, s0, v2
	v_ashrrev_i32_e32 v2, 31, v1
	v_addc_co_u32_e32 v87, vcc, v4, v3, vcc
	v_lshlrev_b64 v[2:3], 3, v[1:2]
	v_add_u32_e32 v1, s1, v1
	v_add_co_u32_e32 v88, vcc, s0, v2
	v_ashrrev_i32_e32 v2, 31, v1
	v_lshlrev_b64 v[1:2], 3, v[1:2]
	v_addc_co_u32_e32 v89, vcc, v4, v3, vcc
	v_mov_b32_e32 v3, s2
	v_add_co_u32_e32 v90, vcc, s0, v1
	v_addc_co_u32_e32 v91, vcc, v3, v2, vcc
	v_mov_b32_e32 v1, s2
	v_add_co_u32_e32 v92, vcc, s0, v36
	s_ashr_i32 s3, s1, 31
	s_mov_b32 s2, s1
	v_addc_co_u32_e32 v93, vcc, 0, v1, vcc
	s_lshl_b64 s[0:1], s[2:3], 3
	v_mov_b32_e32 v1, s1
	v_add_co_u32_e32 v94, vcc, s0, v92
	v_addc_co_u32_e32 v95, vcc, v93, v1, vcc
	flat_load_dwordx2 v[2:3], v[92:93]
	flat_load_dwordx2 v[4:5], v[94:95]
	;; [unrolled: 1-line block ×16, first 2 shown]
	v_mov_b32_e32 v1, 0
	s_bitcmp0_b32 s8, 0
	s_mov_b64 s[0:1], -1
	s_cbranch_scc1 .LBB79_14
; %bb.4:
	v_cmp_eq_u32_e64 s[0:1], 0, v0
	s_and_saveexec_b64 s[2:3], s[0:1]
; %bb.5:
	v_mov_b32_e32 v34, 0
	ds_write_b32 v34, v34 offset:256
; %bb.6:
	s_or_b64 exec, exec, s[2:3]
	v_cmp_eq_u32_e32 vcc, 1, v0
	s_waitcnt vmcnt(0) lgkmcnt(0)
	v_cndmask_b32_e32 v34, v3, v5, vcc
	v_cmp_eq_u32_e64 s[2:3], 2, v0
	v_cndmask_b32_e64 v34, v34, v7, s[2:3]
	v_cmp_eq_u32_e64 s[4:5], 3, v0
	v_cndmask_b32_e64 v34, v34, v9, s[4:5]
	;; [unrolled: 2-line block ×14, first 2 shown]
	v_cndmask_b32_e32 v34, v2, v4, vcc
	v_cndmask_b32_e64 v34, v34, v6, s[2:3]
	v_cndmask_b32_e64 v34, v34, v8, s[4:5]
	;; [unrolled: 1-line block ×14, first 2 shown]
	v_cmp_eq_f64_e32 vcc, 0, v[34:35]
	; wave barrier
	s_and_saveexec_b64 s[4:5], vcc
	s_cbranch_execz .LBB79_10
; %bb.7:
	v_mov_b32_e32 v37, 0
	ds_read_b32 v39, v37 offset:256
	v_add_u32_e32 v38, 1, v0
	s_waitcnt lgkmcnt(0)
	v_readfirstlane_b32 s2, v39
	s_cmp_eq_u32 s2, 0
	s_cselect_b64 s[8:9], -1, 0
	v_cmp_gt_i32_e32 vcc, s2, v38
	s_or_b64 s[8:9], s[8:9], vcc
	s_and_b64 exec, exec, s[8:9]
	s_cbranch_execz .LBB79_10
; %bb.8:
	s_mov_b64 s[8:9], 0
	v_mov_b32_e32 v39, s2
.LBB79_9:                               ; =>This Inner Loop Header: Depth=1
	ds_cmpst_rtn_b32 v39, v37, v39, v38 offset:256
	s_waitcnt lgkmcnt(0)
	v_cmp_ne_u32_e32 vcc, 0, v39
	v_cmp_le_i32_e64 s[2:3], v39, v38
	s_and_b64 s[2:3], vcc, s[2:3]
	s_and_b64 s[2:3], exec, s[2:3]
	s_or_b64 s[8:9], s[2:3], s[8:9]
	s_andn2_b64 exec, exec, s[8:9]
	s_cbranch_execnz .LBB79_9
.LBB79_10:
	s_or_b64 exec, exec, s[4:5]
	v_mov_b32_e32 v38, 0
	; wave barrier
	ds_read_b32 v37, v38 offset:256
	s_and_saveexec_b64 s[2:3], s[0:1]
	s_cbranch_execz .LBB79_12
; %bb.11:
	s_lshl_b64 s[4:5], s[6:7], 2
	s_add_u32 s4, s42, s4
	s_addc_u32 s5, s43, s5
	s_waitcnt lgkmcnt(0)
	global_store_dword v38, v37, s[4:5]
.LBB79_12:
	s_or_b64 exec, exec, s[2:3]
	s_waitcnt lgkmcnt(0)
	v_cmp_ne_u32_e32 vcc, 0, v37
	s_cbranch_vccz .LBB79_17
; %bb.13:
	s_mov_b64 s[0:1], 0
                                        ; implicit-def: $vgpr2_vgpr3_vgpr4_vgpr5_vgpr6_vgpr7_vgpr8_vgpr9_vgpr10_vgpr11_vgpr12_vgpr13_vgpr14_vgpr15_vgpr16_vgpr17_vgpr18_vgpr19_vgpr20_vgpr21_vgpr22_vgpr23_vgpr24_vgpr25_vgpr26_vgpr27_vgpr28_vgpr29_vgpr30_vgpr31_vgpr32_vgpr33
.LBB79_14:
	s_and_b64 vcc, exec, s[0:1]
	s_cbranch_vccz .LBB79_16
.LBB79_15:
	s_lshl_b64 s[0:1], s[6:7], 2
	s_add_u32 s0, s42, s0
	s_addc_u32 s1, s43, s1
	v_mov_b32_e32 v1, 0
	global_load_dword v1, v1, s[0:1]
	s_waitcnt vmcnt(0)
	v_cmp_ne_u32_e32 vcc, 0, v1
	s_cbranch_vccz .LBB79_86
.LBB79_16:
	s_endpgm
.LBB79_17:
	v_div_scale_f64 v[37:38], s[2:3], v[34:35], v[34:35], 1.0
	v_rcp_f64_e32 v[39:40], v[37:38]
	v_fma_f64 v[41:42], -v[37:38], v[39:40], 1.0
	v_fma_f64 v[39:40], v[39:40], v[41:42], v[39:40]
	v_div_scale_f64 v[41:42], vcc, 1.0, v[34:35], 1.0
	v_fma_f64 v[43:44], -v[37:38], v[39:40], 1.0
	v_fma_f64 v[39:40], v[39:40], v[43:44], v[39:40]
	v_mul_f64 v[43:44], v[41:42], v[39:40]
	v_fma_f64 v[37:38], -v[37:38], v[43:44], v[41:42]
	v_div_fmas_f64 v[37:38], v[37:38], v[39:40], v[43:44]
	v_cmp_eq_u32_e32 vcc, 15, v0
	v_div_fixup_f64 v[34:35], v[37:38], v[34:35], 1.0
	v_add_u32_e32 v38, 0x80, v36
	v_cndmask_b32_e32 v33, v33, v35, vcc
	v_cndmask_b32_e32 v32, v32, v34, vcc
	v_cmp_eq_u32_e32 vcc, 14, v0
	v_cndmask_b32_e32 v31, v31, v35, vcc
	v_cndmask_b32_e32 v30, v30, v34, vcc
	v_cmp_eq_u32_e32 vcc, 13, v0
	;; [unrolled: 3-line block ×15, first 2 shown]
	v_cndmask_b32_e32 v3, v3, v35, vcc
	v_cndmask_b32_e32 v2, v2, v34, vcc
	v_xor_b32_e32 v40, 0x80000000, v35
	v_mov_b32_e32 v39, v34
	ds_write2_b64 v36, v[39:40], v[4:5] offset1:16
	s_waitcnt lgkmcnt(0)
	; wave barrier
	s_and_saveexec_b64 s[2:3], s[0:1]
	s_cbranch_execz .LBB79_19
; %bb.18:
	ds_read_b64 v[4:5], v38
	v_mov_b32_e32 v36, 0
	ds_read_b64 v[36:37], v36 offset:8
	s_waitcnt lgkmcnt(1)
	v_fma_f64 v[4:5], v[34:35], v[4:5], 0
	s_waitcnt lgkmcnt(0)
	v_mul_f64 v[4:5], v[4:5], v[36:37]
.LBB79_19:
	s_or_b64 exec, exec, s[2:3]
	v_cmp_gt_u32_e32 vcc, 2, v0
	; wave barrier
	ds_write_b64 v38, v[6:7]
	s_waitcnt lgkmcnt(0)
	; wave barrier
	s_and_saveexec_b64 s[36:37], vcc
	s_cbranch_execz .LBB79_21
; %bb.20:
	v_cmp_eq_u32_e64 s[2:3], 1, v0
	v_cndmask_b32_e64 v34, v3, v5, s[2:3]
	v_cmp_eq_u32_e64 s[4:5], 2, v0
	v_cndmask_b32_e64 v7, v34, v7, s[4:5]
	v_cndmask_b32_e64 v34, v2, v4, s[2:3]
	v_cmp_eq_u32_e64 s[8:9], 3, v0
	v_cndmask_b32_e64 v6, v34, v6, s[4:5]
	v_cndmask_b32_e64 v7, v7, v9, s[8:9]
	v_cmp_eq_u32_e64 s[10:11], 4, v0
	v_cndmask_b32_e64 v6, v6, v8, s[8:9]
	v_cndmask_b32_e64 v7, v7, v11, s[10:11]
	v_cmp_eq_u32_e64 s[12:13], 5, v0
	v_cndmask_b32_e64 v6, v6, v10, s[10:11]
	v_cndmask_b32_e64 v7, v7, v13, s[12:13]
	v_cmp_eq_u32_e64 s[14:15], 6, v0
	v_cndmask_b32_e64 v6, v6, v12, s[12:13]
	v_cndmask_b32_e64 v7, v7, v15, s[14:15]
	v_cmp_eq_u32_e64 s[16:17], 7, v0
	v_cndmask_b32_e64 v6, v6, v14, s[14:15]
	v_cndmask_b32_e64 v7, v7, v17, s[16:17]
	v_cmp_eq_u32_e64 s[18:19], 8, v0
	v_cndmask_b32_e64 v6, v6, v16, s[16:17]
	v_cndmask_b32_e64 v7, v7, v19, s[18:19]
	v_cmp_eq_u32_e64 s[20:21], 9, v0
	v_cndmask_b32_e64 v6, v6, v18, s[18:19]
	v_cndmask_b32_e64 v7, v7, v21, s[20:21]
	v_cmp_eq_u32_e64 s[22:23], 10, v0
	v_cndmask_b32_e64 v6, v6, v20, s[20:21]
	v_cndmask_b32_e64 v7, v7, v23, s[22:23]
	v_cmp_eq_u32_e64 s[24:25], 11, v0
	v_cndmask_b32_e64 v6, v6, v22, s[22:23]
	v_cndmask_b32_e64 v7, v7, v25, s[24:25]
	v_cmp_eq_u32_e64 s[26:27], 12, v0
	v_cndmask_b32_e64 v6, v6, v24, s[24:25]
	ds_read_b64 v[34:35], v38
	v_cndmask_b32_e64 v7, v7, v27, s[26:27]
	v_cmp_eq_u32_e64 s[28:29], 13, v0
	v_cndmask_b32_e64 v6, v6, v26, s[26:27]
	v_cndmask_b32_e64 v7, v7, v29, s[28:29]
	v_cmp_eq_u32_e64 s[30:31], 14, v0
	v_cndmask_b32_e64 v6, v6, v28, s[28:29]
	;; [unrolled: 3-line block ×3, first 2 shown]
	v_cndmask_b32_e64 v7, v7, v33, s[34:35]
	v_cndmask_b32_e64 v6, v6, v32, s[34:35]
	s_waitcnt lgkmcnt(0)
	v_fma_f64 v[6:7], v[6:7], v[34:35], 0
	v_mov_b32_e32 v34, 0
	ds_read2_b64 v[34:37], v34 offset0:2 offset1:17
	s_waitcnt lgkmcnt(0)
	v_fma_f64 v[36:37], v[4:5], v[36:37], v[6:7]
	v_cndmask_b32_e64 v7, v7, v37, s[0:1]
	v_cndmask_b32_e64 v6, v6, v36, s[0:1]
	v_mul_f64 v[6:7], v[6:7], v[34:35]
.LBB79_21:
	s_or_b64 exec, exec, s[36:37]
	v_cmp_gt_u32_e64 s[2:3], 3, v0
	; wave barrier
	ds_write_b64 v38, v[8:9]
	s_waitcnt lgkmcnt(0)
	; wave barrier
	s_and_saveexec_b64 s[8:9], s[2:3]
	s_cbranch_execz .LBB79_25
; %bb.22:
	v_mov_b32_e32 v34, 0x80
	v_lshl_add_u32 v39, v0, 3, v34
	v_mov_b32_e32 v34, 0
	v_mov_b32_e32 v37, v1
	;; [unrolled: 1-line block ×3, first 2 shown]
	s_mov_b64 s[10:11], 0
	v_mov_b32_e32 v36, v0
.LBB79_23:                              ; =>This Inner Loop Header: Depth=1
	v_cmp_eq_u32_e64 s[2:3], 1, v36
	v_cndmask_b32_e64 v42, v3, v5, s[2:3]
	v_cmp_eq_u32_e64 s[4:5], 2, v36
	v_cndmask_b32_e64 v42, v42, v7, s[4:5]
	v_cndmask_b32_e64 v43, v2, v4, s[2:3]
	v_cmp_eq_u32_e64 s[2:3], 3, v36
	v_cndmask_b32_e64 v42, v42, v9, s[2:3]
	;; [unrolled: 3-line block ×10, first 2 shown]
	v_cndmask_b32_e64 v43, v43, v22, s[4:5]
	v_cmp_eq_u32_e64 s[4:5], 12, v36
	ds_read_b64 v[40:41], v39
	v_cndmask_b32_e64 v42, v42, v27, s[4:5]
	v_cndmask_b32_e64 v43, v43, v24, s[2:3]
	v_cmp_eq_u32_e64 s[2:3], 13, v36
	v_cndmask_b32_e64 v42, v42, v29, s[2:3]
	v_cndmask_b32_e64 v43, v43, v26, s[4:5]
	v_cmp_eq_u32_e64 s[4:5], 14, v36
	;; [unrolled: 3-line block ×3, first 2 shown]
	v_cndmask_b32_e64 v43, v42, v33, s[2:3]
	v_cndmask_b32_e64 v42, v44, v30, s[4:5]
	;; [unrolled: 1-line block ×3, first 2 shown]
	s_waitcnt lgkmcnt(0)
	v_fma_f64 v[34:35], v[42:43], v[40:41], v[34:35]
	v_add_co_u32_e64 v36, s[2:3], 1, v36
	v_addc_co_u32_e64 v37, s[2:3], 0, v37, s[2:3]
	v_add_u32_e32 v40, -1, v36
	v_cmp_lt_u32_e64 s[2:3], 1, v40
	s_or_b64 s[10:11], s[2:3], s[10:11]
	v_add_u32_e32 v39, 8, v39
	s_andn2_b64 exec, exec, s[10:11]
	s_cbranch_execnz .LBB79_23
; %bb.24:
	s_or_b64 exec, exec, s[10:11]
	v_mov_b32_e32 v8, 0
	ds_read_b64 v[8:9], v8 offset:24
	s_waitcnt lgkmcnt(0)
	v_mul_f64 v[8:9], v[34:35], v[8:9]
.LBB79_25:
	s_or_b64 exec, exec, s[8:9]
	v_cmp_gt_u32_e64 s[2:3], 4, v0
	; wave barrier
	ds_write_b64 v38, v[10:11]
	s_waitcnt lgkmcnt(0)
	; wave barrier
	s_and_saveexec_b64 s[10:11], s[2:3]
	s_cbranch_execz .LBB79_29
; %bb.26:
	v_mov_b32_e32 v34, 0x80
	v_lshl_add_u32 v39, v0, 3, v34
	v_mov_b32_e32 v34, 0
	v_mov_b32_e32 v37, v1
	;; [unrolled: 1-line block ×3, first 2 shown]
	s_mov_b64 s[12:13], 0
	v_mov_b32_e32 v36, v0
.LBB79_27:                              ; =>This Inner Loop Header: Depth=1
	v_cmp_eq_u32_e64 s[4:5], 1, v36
	v_cndmask_b32_e64 v42, v3, v5, s[4:5]
	v_cmp_eq_u32_e64 s[8:9], 2, v36
	v_cndmask_b32_e64 v42, v42, v7, s[8:9]
	v_cndmask_b32_e64 v43, v2, v4, s[4:5]
	v_cmp_eq_u32_e64 s[4:5], 3, v36
	v_cndmask_b32_e64 v42, v42, v9, s[4:5]
	;; [unrolled: 3-line block ×10, first 2 shown]
	v_cndmask_b32_e64 v43, v43, v22, s[8:9]
	v_cmp_eq_u32_e64 s[8:9], 12, v36
	ds_read_b64 v[40:41], v39
	v_cndmask_b32_e64 v42, v42, v27, s[8:9]
	v_cndmask_b32_e64 v43, v43, v24, s[4:5]
	v_cmp_eq_u32_e64 s[4:5], 13, v36
	v_cndmask_b32_e64 v42, v42, v29, s[4:5]
	v_cndmask_b32_e64 v43, v43, v26, s[8:9]
	v_cmp_eq_u32_e64 s[8:9], 14, v36
	;; [unrolled: 3-line block ×3, first 2 shown]
	v_cndmask_b32_e64 v43, v42, v33, s[4:5]
	v_cndmask_b32_e64 v42, v44, v30, s[8:9]
	;; [unrolled: 1-line block ×3, first 2 shown]
	s_waitcnt lgkmcnt(0)
	v_fma_f64 v[34:35], v[42:43], v[40:41], v[34:35]
	v_add_co_u32_e64 v36, s[4:5], 1, v36
	v_addc_co_u32_e64 v37, s[4:5], 0, v37, s[4:5]
	v_add_u32_e32 v40, -1, v36
	v_cmp_lt_u32_e64 s[4:5], 2, v40
	s_or_b64 s[12:13], s[4:5], s[12:13]
	v_add_u32_e32 v39, 8, v39
	s_andn2_b64 exec, exec, s[12:13]
	s_cbranch_execnz .LBB79_27
; %bb.28:
	s_or_b64 exec, exec, s[12:13]
	v_mov_b32_e32 v10, 0
	ds_read_b64 v[10:11], v10 offset:32
	s_waitcnt lgkmcnt(0)
	v_mul_f64 v[10:11], v[34:35], v[10:11]
.LBB79_29:
	s_or_b64 exec, exec, s[10:11]
	v_cmp_gt_u32_e64 s[4:5], 5, v0
	; wave barrier
	ds_write_b64 v38, v[12:13]
	s_waitcnt lgkmcnt(0)
	; wave barrier
	s_and_saveexec_b64 s[10:11], s[4:5]
	s_cbranch_execz .LBB79_33
; %bb.30:
	v_mov_b32_e32 v34, 0x80
	v_lshl_add_u32 v39, v0, 3, v34
	v_mov_b32_e32 v34, 0
	v_mov_b32_e32 v37, v1
	;; [unrolled: 1-line block ×3, first 2 shown]
	s_mov_b64 s[12:13], 0
	v_mov_b32_e32 v36, v0
.LBB79_31:                              ; =>This Inner Loop Header: Depth=1
	v_cmp_eq_u32_e64 s[4:5], 1, v36
	v_cndmask_b32_e64 v42, v3, v5, s[4:5]
	v_cmp_eq_u32_e64 s[8:9], 2, v36
	v_cndmask_b32_e64 v42, v42, v7, s[8:9]
	v_cndmask_b32_e64 v43, v2, v4, s[4:5]
	v_cmp_eq_u32_e64 s[4:5], 3, v36
	v_cndmask_b32_e64 v42, v42, v9, s[4:5]
	;; [unrolled: 3-line block ×10, first 2 shown]
	v_cndmask_b32_e64 v43, v43, v22, s[8:9]
	v_cmp_eq_u32_e64 s[8:9], 12, v36
	ds_read_b64 v[40:41], v39
	v_cndmask_b32_e64 v42, v42, v27, s[8:9]
	v_cndmask_b32_e64 v43, v43, v24, s[4:5]
	v_cmp_eq_u32_e64 s[4:5], 13, v36
	v_cndmask_b32_e64 v42, v42, v29, s[4:5]
	v_cndmask_b32_e64 v43, v43, v26, s[8:9]
	v_cmp_eq_u32_e64 s[8:9], 14, v36
	;; [unrolled: 3-line block ×3, first 2 shown]
	v_cndmask_b32_e64 v43, v42, v33, s[4:5]
	v_cndmask_b32_e64 v42, v44, v30, s[8:9]
	;; [unrolled: 1-line block ×3, first 2 shown]
	s_waitcnt lgkmcnt(0)
	v_fma_f64 v[34:35], v[42:43], v[40:41], v[34:35]
	v_add_co_u32_e64 v36, s[4:5], 1, v36
	v_addc_co_u32_e64 v37, s[4:5], 0, v37, s[4:5]
	v_add_u32_e32 v40, -1, v36
	v_cmp_lt_u32_e64 s[4:5], 3, v40
	s_or_b64 s[12:13], s[4:5], s[12:13]
	v_add_u32_e32 v39, 8, v39
	s_andn2_b64 exec, exec, s[12:13]
	s_cbranch_execnz .LBB79_31
; %bb.32:
	s_or_b64 exec, exec, s[12:13]
	v_mov_b32_e32 v12, 0
	ds_read_b64 v[12:13], v12 offset:40
	s_waitcnt lgkmcnt(0)
	v_mul_f64 v[12:13], v[34:35], v[12:13]
.LBB79_33:
	s_or_b64 exec, exec, s[10:11]
	v_cmp_gt_u32_e64 s[4:5], 6, v0
	; wave barrier
	ds_write_b64 v38, v[14:15]
	s_waitcnt lgkmcnt(0)
	; wave barrier
	s_and_saveexec_b64 s[12:13], s[4:5]
	s_cbranch_execz .LBB79_37
; %bb.34:
	v_mov_b32_e32 v34, 0x80
	v_lshl_add_u32 v39, v0, 3, v34
	v_mov_b32_e32 v34, 0
	v_mov_b32_e32 v37, v1
	;; [unrolled: 1-line block ×3, first 2 shown]
	s_mov_b64 s[14:15], 0
	v_mov_b32_e32 v36, v0
.LBB79_35:                              ; =>This Inner Loop Header: Depth=1
	v_cmp_eq_u32_e64 s[8:9], 1, v36
	v_cndmask_b32_e64 v42, v3, v5, s[8:9]
	v_cmp_eq_u32_e64 s[10:11], 2, v36
	v_cndmask_b32_e64 v42, v42, v7, s[10:11]
	v_cndmask_b32_e64 v43, v2, v4, s[8:9]
	v_cmp_eq_u32_e64 s[8:9], 3, v36
	v_cndmask_b32_e64 v42, v42, v9, s[8:9]
	;; [unrolled: 3-line block ×10, first 2 shown]
	v_cndmask_b32_e64 v43, v43, v22, s[10:11]
	v_cmp_eq_u32_e64 s[10:11], 12, v36
	ds_read_b64 v[40:41], v39
	v_cndmask_b32_e64 v42, v42, v27, s[10:11]
	v_cndmask_b32_e64 v43, v43, v24, s[8:9]
	v_cmp_eq_u32_e64 s[8:9], 13, v36
	v_cndmask_b32_e64 v42, v42, v29, s[8:9]
	v_cndmask_b32_e64 v43, v43, v26, s[10:11]
	v_cmp_eq_u32_e64 s[10:11], 14, v36
	;; [unrolled: 3-line block ×3, first 2 shown]
	v_cndmask_b32_e64 v43, v42, v33, s[8:9]
	v_cndmask_b32_e64 v42, v44, v30, s[10:11]
	;; [unrolled: 1-line block ×3, first 2 shown]
	s_waitcnt lgkmcnt(0)
	v_fma_f64 v[34:35], v[42:43], v[40:41], v[34:35]
	v_add_co_u32_e64 v36, s[8:9], 1, v36
	v_addc_co_u32_e64 v37, s[8:9], 0, v37, s[8:9]
	v_add_u32_e32 v40, -1, v36
	v_cmp_lt_u32_e64 s[8:9], 4, v40
	s_or_b64 s[14:15], s[8:9], s[14:15]
	v_add_u32_e32 v39, 8, v39
	s_andn2_b64 exec, exec, s[14:15]
	s_cbranch_execnz .LBB79_35
; %bb.36:
	s_or_b64 exec, exec, s[14:15]
	v_mov_b32_e32 v14, 0
	ds_read_b64 v[14:15], v14 offset:48
	s_waitcnt lgkmcnt(0)
	v_mul_f64 v[14:15], v[34:35], v[14:15]
.LBB79_37:
	s_or_b64 exec, exec, s[12:13]
	v_cmp_gt_u32_e64 s[8:9], 7, v0
	; wave barrier
	ds_write_b64 v38, v[16:17]
	s_waitcnt lgkmcnt(0)
	; wave barrier
	s_and_saveexec_b64 s[12:13], s[8:9]
	s_cbranch_execz .LBB79_41
; %bb.38:
	v_mov_b32_e32 v34, 0x80
	v_lshl_add_u32 v39, v0, 3, v34
	v_mov_b32_e32 v34, 0
	v_mov_b32_e32 v37, v1
	;; [unrolled: 1-line block ×3, first 2 shown]
	s_mov_b64 s[14:15], 0
	v_mov_b32_e32 v36, v0
.LBB79_39:                              ; =>This Inner Loop Header: Depth=1
	v_cmp_eq_u32_e64 s[8:9], 1, v36
	v_cndmask_b32_e64 v42, v3, v5, s[8:9]
	v_cmp_eq_u32_e64 s[10:11], 2, v36
	v_cndmask_b32_e64 v42, v42, v7, s[10:11]
	v_cndmask_b32_e64 v43, v2, v4, s[8:9]
	v_cmp_eq_u32_e64 s[8:9], 3, v36
	v_cndmask_b32_e64 v42, v42, v9, s[8:9]
	;; [unrolled: 3-line block ×10, first 2 shown]
	v_cndmask_b32_e64 v43, v43, v22, s[10:11]
	v_cmp_eq_u32_e64 s[10:11], 12, v36
	ds_read_b64 v[40:41], v39
	v_cndmask_b32_e64 v42, v42, v27, s[10:11]
	v_cndmask_b32_e64 v43, v43, v24, s[8:9]
	v_cmp_eq_u32_e64 s[8:9], 13, v36
	v_cndmask_b32_e64 v42, v42, v29, s[8:9]
	v_cndmask_b32_e64 v43, v43, v26, s[10:11]
	v_cmp_eq_u32_e64 s[10:11], 14, v36
	;; [unrolled: 3-line block ×3, first 2 shown]
	v_cndmask_b32_e64 v43, v42, v33, s[8:9]
	v_cndmask_b32_e64 v42, v44, v30, s[10:11]
	;; [unrolled: 1-line block ×3, first 2 shown]
	s_waitcnt lgkmcnt(0)
	v_fma_f64 v[34:35], v[42:43], v[40:41], v[34:35]
	v_add_co_u32_e64 v36, s[8:9], 1, v36
	v_addc_co_u32_e64 v37, s[8:9], 0, v37, s[8:9]
	v_add_u32_e32 v40, -1, v36
	v_cmp_lt_u32_e64 s[8:9], 5, v40
	s_or_b64 s[14:15], s[8:9], s[14:15]
	v_add_u32_e32 v39, 8, v39
	s_andn2_b64 exec, exec, s[14:15]
	s_cbranch_execnz .LBB79_39
; %bb.40:
	s_or_b64 exec, exec, s[14:15]
	v_mov_b32_e32 v16, 0
	ds_read_b64 v[16:17], v16 offset:56
	s_waitcnt lgkmcnt(0)
	v_mul_f64 v[16:17], v[34:35], v[16:17]
.LBB79_41:
	s_or_b64 exec, exec, s[12:13]
	v_cmp_gt_u32_e64 s[8:9], 8, v0
	; wave barrier
	ds_write_b64 v38, v[18:19]
	s_waitcnt lgkmcnt(0)
	; wave barrier
	s_and_saveexec_b64 s[40:41], s[8:9]
	s_cbranch_execz .LBB79_57
; %bb.42:
	v_cmp_eq_u32_e64 s[8:9], 1, v0
	v_cndmask_b32_e64 v34, v3, v5, s[8:9]
	v_cmp_eq_u32_e64 s[10:11], 2, v0
	v_cndmask_b32_e64 v34, v34, v7, s[10:11]
	;; [unrolled: 2-line block ×15, first 2 shown]
	v_cndmask_b32_e64 v34, v2, v4, s[8:9]
	v_cndmask_b32_e64 v34, v34, v6, s[10:11]
	;; [unrolled: 1-line block ×11, first 2 shown]
	ds_read_b64 v[36:37], v38
	v_cndmask_b32_e64 v34, v34, v26, s[30:31]
	v_cndmask_b32_e64 v34, v34, v28, s[34:35]
	;; [unrolled: 1-line block ×4, first 2 shown]
	s_waitcnt lgkmcnt(0)
	v_fma_f64 v[34:35], v[34:35], v[36:37], 0
	v_cmp_ne_u32_e64 s[8:9], 7, v0
	s_and_saveexec_b64 s[48:49], s[8:9]
	s_cbranch_execz .LBB79_56
; %bb.43:
	v_add_u32_e32 v36, 1, v0
	v_cmp_eq_u32_e64 s[8:9], 1, v36
	v_cndmask_b32_e64 v37, v3, v5, s[8:9]
	v_cmp_eq_u32_e64 s[10:11], 2, v36
	v_cmp_eq_u32_e64 s[12:13], 3, v36
	;; [unrolled: 1-line block ×14, first 2 shown]
	v_cndmask_b32_e64 v36, v2, v4, s[8:9]
	v_cndmask_b32_e64 v37, v37, v7, s[10:11]
	;; [unrolled: 1-line block ×21, first 2 shown]
	ds_read_b64 v[39:40], v38 offset:8
	v_cndmask_b32_e64 v37, v37, v27, s[30:31]
	v_cndmask_b32_e64 v36, v36, v26, s[30:31]
	;; [unrolled: 1-line block ×8, first 2 shown]
	s_waitcnt lgkmcnt(0)
	v_fma_f64 v[34:35], v[36:37], v[39:40], v[34:35]
	s_and_saveexec_b64 s[38:39], s[4:5]
	s_cbranch_execz .LBB79_55
; %bb.44:
	v_add_u32_e32 v36, 2, v0
	v_cmp_eq_u32_e64 s[4:5], 1, v36
	v_cndmask_b32_e64 v37, v3, v5, s[4:5]
	v_cmp_eq_u32_e64 s[8:9], 2, v36
	v_cmp_eq_u32_e64 s[10:11], 3, v36
	;; [unrolled: 1-line block ×14, first 2 shown]
	v_cndmask_b32_e64 v36, v2, v4, s[4:5]
	v_cndmask_b32_e64 v37, v37, v7, s[8:9]
	;; [unrolled: 1-line block ×21, first 2 shown]
	ds_read_b64 v[39:40], v38 offset:16
	v_cndmask_b32_e64 v37, v37, v27, s[28:29]
	v_cndmask_b32_e64 v36, v36, v26, s[28:29]
	;; [unrolled: 1-line block ×8, first 2 shown]
	s_waitcnt lgkmcnt(0)
	v_fma_f64 v[34:35], v[36:37], v[39:40], v[34:35]
	v_cmp_ne_u32_e64 s[4:5], 5, v0
	s_and_saveexec_b64 s[50:51], s[4:5]
	s_cbranch_execz .LBB79_54
; %bb.45:
	v_add_u32_e32 v36, 3, v0
	v_cmp_eq_u32_e64 s[4:5], 1, v36
	v_cndmask_b32_e64 v37, v3, v5, s[4:5]
	v_cmp_eq_u32_e64 s[8:9], 2, v36
	v_cmp_eq_u32_e64 s[10:11], 3, v36
	;; [unrolled: 1-line block ×14, first 2 shown]
	v_cndmask_b32_e64 v36, v2, v4, s[4:5]
	v_cndmask_b32_e64 v37, v37, v7, s[8:9]
	;; [unrolled: 1-line block ×21, first 2 shown]
	ds_read_b64 v[39:40], v38 offset:24
	v_cndmask_b32_e64 v37, v37, v27, s[28:29]
	v_cndmask_b32_e64 v36, v36, v26, s[28:29]
	v_cndmask_b32_e64 v37, v37, v29, s[30:31]
	v_cndmask_b32_e64 v36, v36, v28, s[30:31]
	v_cndmask_b32_e64 v37, v37, v31, s[34:35]
	v_cndmask_b32_e64 v36, v36, v30, s[34:35]
	v_cndmask_b32_e64 v37, v37, v33, s[36:37]
	v_cndmask_b32_e64 v36, v36, v32, s[36:37]
	s_waitcnt lgkmcnt(0)
	v_fma_f64 v[34:35], v[36:37], v[39:40], v[34:35]
	s_and_saveexec_b64 s[36:37], s[2:3]
	s_cbranch_execz .LBB79_53
; %bb.46:
	v_or_b32_e32 v36, 4, v0
	v_cmp_eq_u32_e64 s[2:3], 1, v36
	v_cndmask_b32_e64 v37, v3, v5, s[2:3]
	v_cmp_eq_u32_e64 s[4:5], 2, v36
	v_cmp_eq_u32_e64 s[8:9], 3, v36
	;; [unrolled: 1-line block ×14, first 2 shown]
	v_cndmask_b32_e64 v36, v2, v4, s[2:3]
	v_cndmask_b32_e64 v37, v37, v7, s[4:5]
	;; [unrolled: 1-line block ×21, first 2 shown]
	ds_read_b64 v[39:40], v38 offset:32
	v_cndmask_b32_e64 v37, v37, v27, s[26:27]
	v_cndmask_b32_e64 v36, v36, v26, s[26:27]
	;; [unrolled: 1-line block ×8, first 2 shown]
	s_waitcnt lgkmcnt(0)
	v_fma_f64 v[34:35], v[36:37], v[39:40], v[34:35]
	v_cmp_ne_u32_e64 s[2:3], 3, v0
	s_and_saveexec_b64 s[52:53], s[2:3]
	s_cbranch_execz .LBB79_52
; %bb.47:
	v_add_u32_e32 v36, 5, v0
	v_cmp_eq_u32_e64 s[2:3], 1, v36
	v_cndmask_b32_e64 v37, v3, v5, s[2:3]
	v_cmp_eq_u32_e64 s[4:5], 2, v36
	v_cmp_eq_u32_e64 s[8:9], 3, v36
	;; [unrolled: 1-line block ×14, first 2 shown]
	v_cndmask_b32_e64 v36, v2, v4, s[2:3]
	v_cndmask_b32_e64 v37, v37, v7, s[4:5]
	;; [unrolled: 1-line block ×21, first 2 shown]
	ds_read_b64 v[39:40], v38 offset:40
	v_cndmask_b32_e64 v37, v37, v27, s[26:27]
	v_cndmask_b32_e64 v36, v36, v26, s[26:27]
	v_cndmask_b32_e64 v37, v37, v29, s[28:29]
	v_cndmask_b32_e64 v36, v36, v28, s[28:29]
	v_cndmask_b32_e64 v37, v37, v31, s[30:31]
	v_cndmask_b32_e64 v36, v36, v30, s[30:31]
	v_cndmask_b32_e64 v37, v37, v33, s[34:35]
	v_cndmask_b32_e64 v36, v36, v32, s[34:35]
	s_waitcnt lgkmcnt(0)
	v_fma_f64 v[34:35], v[36:37], v[39:40], v[34:35]
	s_and_saveexec_b64 s[34:35], vcc
	s_cbranch_execz .LBB79_51
; %bb.48:
	v_or_b32_e32 v36, 6, v0
	v_cmp_eq_u32_e32 vcc, 1, v36
	v_cndmask_b32_e32 v37, v3, v5, vcc
	v_cmp_eq_u32_e64 s[2:3], 2, v36
	v_cmp_eq_u32_e64 s[4:5], 3, v36
	;; [unrolled: 1-line block ×14, first 2 shown]
	v_cndmask_b32_e32 v36, v2, v4, vcc
	v_cndmask_b32_e64 v37, v37, v7, s[2:3]
	v_cndmask_b32_e64 v36, v36, v6, s[2:3]
	;; [unrolled: 1-line block ×20, first 2 shown]
	ds_read_b64 v[36:37], v38 offset:48
	v_cndmask_b32_e64 v19, v19, v27, s[24:25]
	v_cndmask_b32_e64 v18, v18, v26, s[24:25]
	;; [unrolled: 1-line block ×8, first 2 shown]
	s_waitcnt lgkmcnt(0)
	v_fma_f64 v[34:35], v[18:19], v[36:37], v[34:35]
	s_and_saveexec_b64 s[2:3], s[0:1]
	s_cbranch_execz .LBB79_50
; %bb.49:
	ds_read_b64 v[18:19], v38 offset:56
	s_waitcnt lgkmcnt(0)
	v_fma_f64 v[34:35], v[16:17], v[18:19], v[34:35]
.LBB79_50:
	s_or_b64 exec, exec, s[2:3]
.LBB79_51:
	s_or_b64 exec, exec, s[34:35]
.LBB79_52:
	s_or_b64 exec, exec, s[52:53]
.LBB79_53:
	s_or_b64 exec, exec, s[36:37]
.LBB79_54:
	s_or_b64 exec, exec, s[50:51]
.LBB79_55:
	s_or_b64 exec, exec, s[38:39]
.LBB79_56:
	s_or_b64 exec, exec, s[48:49]
	v_mov_b32_e32 v18, 0
	ds_read_b64 v[18:19], v18 offset:64
	s_waitcnt lgkmcnt(0)
	v_mul_f64 v[18:19], v[34:35], v[18:19]
.LBB79_57:
	s_or_b64 exec, exec, s[40:41]
	v_cmp_gt_u32_e32 vcc, 9, v0
	; wave barrier
	ds_write_b64 v38, v[20:21]
	s_waitcnt lgkmcnt(0)
	; wave barrier
	s_and_saveexec_b64 s[2:3], vcc
	s_cbranch_execz .LBB79_61
; %bb.58:
	v_mov_b32_e32 v34, 0x80
	v_lshl_add_u32 v39, v0, 3, v34
	v_mov_b32_e32 v34, 0
	v_mov_b32_e32 v37, v1
	;; [unrolled: 1-line block ×3, first 2 shown]
	s_mov_b64 s[4:5], 0
	v_mov_b32_e32 v36, v0
.LBB79_59:                              ; =>This Inner Loop Header: Depth=1
	v_cmp_eq_u32_e32 vcc, 1, v36
	v_cndmask_b32_e32 v42, v3, v5, vcc
	v_cmp_eq_u32_e64 s[0:1], 2, v36
	v_cndmask_b32_e64 v42, v42, v7, s[0:1]
	v_cndmask_b32_e32 v43, v2, v4, vcc
	v_cmp_eq_u32_e32 vcc, 3, v36
	v_cndmask_b32_e32 v42, v42, v9, vcc
	v_cndmask_b32_e64 v43, v43, v6, s[0:1]
	v_cmp_eq_u32_e64 s[0:1], 4, v36
	v_cndmask_b32_e64 v42, v42, v11, s[0:1]
	v_cndmask_b32_e32 v43, v43, v8, vcc
	v_cmp_eq_u32_e32 vcc, 5, v36
	v_cndmask_b32_e32 v42, v42, v13, vcc
	v_cndmask_b32_e64 v43, v43, v10, s[0:1]
	v_cmp_eq_u32_e64 s[0:1], 6, v36
	v_cndmask_b32_e64 v42, v42, v15, s[0:1]
	v_cndmask_b32_e32 v43, v43, v12, vcc
	v_cmp_eq_u32_e32 vcc, 7, v36
	v_cndmask_b32_e32 v42, v42, v17, vcc
	v_cndmask_b32_e64 v43, v43, v14, s[0:1]
	v_cmp_eq_u32_e64 s[0:1], 8, v36
	v_cndmask_b32_e64 v42, v42, v19, s[0:1]
	v_cndmask_b32_e32 v43, v43, v16, vcc
	v_cmp_eq_u32_e32 vcc, 9, v36
	v_cndmask_b32_e32 v42, v42, v21, vcc
	v_cndmask_b32_e64 v43, v43, v18, s[0:1]
	v_cmp_eq_u32_e64 s[0:1], 10, v36
	v_cndmask_b32_e64 v42, v42, v23, s[0:1]
	v_cndmask_b32_e32 v43, v43, v20, vcc
	v_cmp_eq_u32_e32 vcc, 11, v36
	v_cndmask_b32_e32 v42, v42, v25, vcc
	v_cndmask_b32_e64 v43, v43, v22, s[0:1]
	v_cmp_eq_u32_e64 s[0:1], 12, v36
	ds_read_b64 v[40:41], v39
	v_cndmask_b32_e64 v42, v42, v27, s[0:1]
	v_cndmask_b32_e32 v43, v43, v24, vcc
	v_cmp_eq_u32_e32 vcc, 13, v36
	v_cndmask_b32_e32 v42, v42, v29, vcc
	v_cndmask_b32_e64 v43, v43, v26, s[0:1]
	v_cmp_eq_u32_e64 s[0:1], 14, v36
	v_cndmask_b32_e64 v42, v42, v31, s[0:1]
	v_cndmask_b32_e32 v44, v43, v28, vcc
	v_cmp_eq_u32_e32 vcc, 15, v36
	v_cndmask_b32_e32 v43, v42, v33, vcc
	v_cndmask_b32_e64 v42, v44, v30, s[0:1]
	v_cndmask_b32_e32 v42, v42, v32, vcc
	s_waitcnt lgkmcnt(0)
	v_fma_f64 v[34:35], v[42:43], v[40:41], v[34:35]
	v_add_co_u32_e32 v36, vcc, 1, v36
	v_addc_co_u32_e32 v37, vcc, 0, v37, vcc
	v_add_u32_e32 v40, -1, v36
	v_cmp_lt_u32_e32 vcc, 7, v40
	s_or_b64 s[4:5], vcc, s[4:5]
	v_add_u32_e32 v39, 8, v39
	s_andn2_b64 exec, exec, s[4:5]
	s_cbranch_execnz .LBB79_59
; %bb.60:
	s_or_b64 exec, exec, s[4:5]
	v_mov_b32_e32 v20, 0
	ds_read_b64 v[20:21], v20 offset:72
	s_waitcnt lgkmcnt(0)
	v_mul_f64 v[20:21], v[34:35], v[20:21]
.LBB79_61:
	s_or_b64 exec, exec, s[2:3]
	v_cmp_gt_u32_e32 vcc, 10, v0
	; wave barrier
	ds_write_b64 v38, v[22:23]
	s_waitcnt lgkmcnt(0)
	; wave barrier
	s_and_saveexec_b64 s[2:3], vcc
	s_cbranch_execz .LBB79_65
; %bb.62:
	v_mov_b32_e32 v34, 0x80
	v_lshl_add_u32 v39, v0, 3, v34
	v_mov_b32_e32 v34, 0
	v_mov_b32_e32 v37, v1
	;; [unrolled: 1-line block ×3, first 2 shown]
	s_mov_b64 s[4:5], 0
	v_mov_b32_e32 v36, v0
.LBB79_63:                              ; =>This Inner Loop Header: Depth=1
	v_cmp_eq_u32_e32 vcc, 1, v36
	v_cndmask_b32_e32 v42, v3, v5, vcc
	v_cmp_eq_u32_e64 s[0:1], 2, v36
	v_cndmask_b32_e64 v42, v42, v7, s[0:1]
	v_cndmask_b32_e32 v43, v2, v4, vcc
	v_cmp_eq_u32_e32 vcc, 3, v36
	v_cndmask_b32_e32 v42, v42, v9, vcc
	v_cndmask_b32_e64 v43, v43, v6, s[0:1]
	v_cmp_eq_u32_e64 s[0:1], 4, v36
	v_cndmask_b32_e64 v42, v42, v11, s[0:1]
	v_cndmask_b32_e32 v43, v43, v8, vcc
	v_cmp_eq_u32_e32 vcc, 5, v36
	v_cndmask_b32_e32 v42, v42, v13, vcc
	v_cndmask_b32_e64 v43, v43, v10, s[0:1]
	v_cmp_eq_u32_e64 s[0:1], 6, v36
	v_cndmask_b32_e64 v42, v42, v15, s[0:1]
	v_cndmask_b32_e32 v43, v43, v12, vcc
	v_cmp_eq_u32_e32 vcc, 7, v36
	v_cndmask_b32_e32 v42, v42, v17, vcc
	v_cndmask_b32_e64 v43, v43, v14, s[0:1]
	v_cmp_eq_u32_e64 s[0:1], 8, v36
	v_cndmask_b32_e64 v42, v42, v19, s[0:1]
	v_cndmask_b32_e32 v43, v43, v16, vcc
	v_cmp_eq_u32_e32 vcc, 9, v36
	v_cndmask_b32_e32 v42, v42, v21, vcc
	v_cndmask_b32_e64 v43, v43, v18, s[0:1]
	v_cmp_eq_u32_e64 s[0:1], 10, v36
	v_cndmask_b32_e64 v42, v42, v23, s[0:1]
	v_cndmask_b32_e32 v43, v43, v20, vcc
	v_cmp_eq_u32_e32 vcc, 11, v36
	v_cndmask_b32_e32 v42, v42, v25, vcc
	v_cndmask_b32_e64 v43, v43, v22, s[0:1]
	v_cmp_eq_u32_e64 s[0:1], 12, v36
	ds_read_b64 v[40:41], v39
	v_cndmask_b32_e64 v42, v42, v27, s[0:1]
	v_cndmask_b32_e32 v43, v43, v24, vcc
	v_cmp_eq_u32_e32 vcc, 13, v36
	v_cndmask_b32_e32 v42, v42, v29, vcc
	v_cndmask_b32_e64 v43, v43, v26, s[0:1]
	v_cmp_eq_u32_e64 s[0:1], 14, v36
	v_cndmask_b32_e64 v42, v42, v31, s[0:1]
	v_cndmask_b32_e32 v44, v43, v28, vcc
	v_cmp_eq_u32_e32 vcc, 15, v36
	v_cndmask_b32_e32 v43, v42, v33, vcc
	v_cndmask_b32_e64 v42, v44, v30, s[0:1]
	v_cndmask_b32_e32 v42, v42, v32, vcc
	s_waitcnt lgkmcnt(0)
	v_fma_f64 v[34:35], v[42:43], v[40:41], v[34:35]
	v_add_co_u32_e32 v36, vcc, 1, v36
	v_addc_co_u32_e32 v37, vcc, 0, v37, vcc
	v_add_u32_e32 v40, -1, v36
	v_cmp_lt_u32_e32 vcc, 8, v40
	s_or_b64 s[4:5], vcc, s[4:5]
	v_add_u32_e32 v39, 8, v39
	s_andn2_b64 exec, exec, s[4:5]
	s_cbranch_execnz .LBB79_63
; %bb.64:
	s_or_b64 exec, exec, s[4:5]
	v_mov_b32_e32 v22, 0
	ds_read_b64 v[22:23], v22 offset:80
	s_waitcnt lgkmcnt(0)
	v_mul_f64 v[22:23], v[34:35], v[22:23]
.LBB79_65:
	s_or_b64 exec, exec, s[2:3]
	v_cmp_gt_u32_e32 vcc, 11, v0
	; wave barrier
	ds_write_b64 v38, v[24:25]
	s_waitcnt lgkmcnt(0)
	; wave barrier
	s_and_saveexec_b64 s[2:3], vcc
	s_cbranch_execz .LBB79_69
; %bb.66:
	v_mov_b32_e32 v34, 0x80
	v_lshl_add_u32 v39, v0, 3, v34
	v_mov_b32_e32 v34, 0
	v_mov_b32_e32 v37, v1
	v_mov_b32_e32 v35, 0
	s_mov_b64 s[4:5], 0
	v_mov_b32_e32 v36, v0
.LBB79_67:                              ; =>This Inner Loop Header: Depth=1
	v_cmp_eq_u32_e32 vcc, 1, v36
	v_cndmask_b32_e32 v42, v3, v5, vcc
	v_cmp_eq_u32_e64 s[0:1], 2, v36
	v_cndmask_b32_e64 v42, v42, v7, s[0:1]
	v_cndmask_b32_e32 v43, v2, v4, vcc
	v_cmp_eq_u32_e32 vcc, 3, v36
	v_cndmask_b32_e32 v42, v42, v9, vcc
	v_cndmask_b32_e64 v43, v43, v6, s[0:1]
	v_cmp_eq_u32_e64 s[0:1], 4, v36
	v_cndmask_b32_e64 v42, v42, v11, s[0:1]
	v_cndmask_b32_e32 v43, v43, v8, vcc
	v_cmp_eq_u32_e32 vcc, 5, v36
	v_cndmask_b32_e32 v42, v42, v13, vcc
	v_cndmask_b32_e64 v43, v43, v10, s[0:1]
	;; [unrolled: 6-line block ×5, first 2 shown]
	v_cmp_eq_u32_e64 s[0:1], 12, v36
	ds_read_b64 v[40:41], v39
	v_cndmask_b32_e64 v42, v42, v27, s[0:1]
	v_cndmask_b32_e32 v43, v43, v24, vcc
	v_cmp_eq_u32_e32 vcc, 13, v36
	v_cndmask_b32_e32 v42, v42, v29, vcc
	v_cndmask_b32_e64 v43, v43, v26, s[0:1]
	v_cmp_eq_u32_e64 s[0:1], 14, v36
	v_cndmask_b32_e64 v42, v42, v31, s[0:1]
	v_cndmask_b32_e32 v44, v43, v28, vcc
	v_cmp_eq_u32_e32 vcc, 15, v36
	v_cndmask_b32_e32 v43, v42, v33, vcc
	v_cndmask_b32_e64 v42, v44, v30, s[0:1]
	v_cndmask_b32_e32 v42, v42, v32, vcc
	s_waitcnt lgkmcnt(0)
	v_fma_f64 v[34:35], v[42:43], v[40:41], v[34:35]
	v_add_co_u32_e32 v36, vcc, 1, v36
	v_addc_co_u32_e32 v37, vcc, 0, v37, vcc
	v_add_u32_e32 v40, -1, v36
	v_cmp_lt_u32_e32 vcc, 9, v40
	s_or_b64 s[4:5], vcc, s[4:5]
	v_add_u32_e32 v39, 8, v39
	s_andn2_b64 exec, exec, s[4:5]
	s_cbranch_execnz .LBB79_67
; %bb.68:
	s_or_b64 exec, exec, s[4:5]
	v_mov_b32_e32 v24, 0
	ds_read_b64 v[24:25], v24 offset:88
	s_waitcnt lgkmcnt(0)
	v_mul_f64 v[24:25], v[34:35], v[24:25]
.LBB79_69:
	s_or_b64 exec, exec, s[2:3]
	v_cmp_gt_u32_e32 vcc, 12, v0
	; wave barrier
	ds_write_b64 v38, v[26:27]
	s_waitcnt lgkmcnt(0)
	; wave barrier
	s_and_saveexec_b64 s[2:3], vcc
	s_cbranch_execz .LBB79_73
; %bb.70:
	v_mov_b32_e32 v34, 0x80
	v_lshl_add_u32 v39, v0, 3, v34
	v_mov_b32_e32 v34, 0
	v_mov_b32_e32 v37, v1
	;; [unrolled: 1-line block ×3, first 2 shown]
	s_mov_b64 s[4:5], 0
	v_mov_b32_e32 v36, v0
.LBB79_71:                              ; =>This Inner Loop Header: Depth=1
	v_cmp_eq_u32_e32 vcc, 1, v36
	v_cndmask_b32_e32 v42, v3, v5, vcc
	v_cmp_eq_u32_e64 s[0:1], 2, v36
	v_cndmask_b32_e64 v42, v42, v7, s[0:1]
	v_cndmask_b32_e32 v43, v2, v4, vcc
	v_cmp_eq_u32_e32 vcc, 3, v36
	v_cndmask_b32_e32 v42, v42, v9, vcc
	v_cndmask_b32_e64 v43, v43, v6, s[0:1]
	v_cmp_eq_u32_e64 s[0:1], 4, v36
	v_cndmask_b32_e64 v42, v42, v11, s[0:1]
	v_cndmask_b32_e32 v43, v43, v8, vcc
	v_cmp_eq_u32_e32 vcc, 5, v36
	v_cndmask_b32_e32 v42, v42, v13, vcc
	v_cndmask_b32_e64 v43, v43, v10, s[0:1]
	;; [unrolled: 6-line block ×5, first 2 shown]
	v_cmp_eq_u32_e64 s[0:1], 12, v36
	ds_read_b64 v[40:41], v39
	v_cndmask_b32_e64 v42, v42, v27, s[0:1]
	v_cndmask_b32_e32 v43, v43, v24, vcc
	v_cmp_eq_u32_e32 vcc, 13, v36
	v_cndmask_b32_e32 v42, v42, v29, vcc
	v_cndmask_b32_e64 v43, v43, v26, s[0:1]
	v_cmp_eq_u32_e64 s[0:1], 14, v36
	v_cndmask_b32_e64 v42, v42, v31, s[0:1]
	v_cndmask_b32_e32 v44, v43, v28, vcc
	v_cmp_eq_u32_e32 vcc, 15, v36
	v_cndmask_b32_e32 v43, v42, v33, vcc
	v_cndmask_b32_e64 v42, v44, v30, s[0:1]
	v_cndmask_b32_e32 v42, v42, v32, vcc
	s_waitcnt lgkmcnt(0)
	v_fma_f64 v[34:35], v[42:43], v[40:41], v[34:35]
	v_add_co_u32_e32 v36, vcc, 1, v36
	v_addc_co_u32_e32 v37, vcc, 0, v37, vcc
	v_add_u32_e32 v40, -1, v36
	v_cmp_lt_u32_e32 vcc, 10, v40
	s_or_b64 s[4:5], vcc, s[4:5]
	v_add_u32_e32 v39, 8, v39
	s_andn2_b64 exec, exec, s[4:5]
	s_cbranch_execnz .LBB79_71
; %bb.72:
	s_or_b64 exec, exec, s[4:5]
	v_mov_b32_e32 v26, 0
	ds_read_b64 v[26:27], v26 offset:96
	s_waitcnt lgkmcnt(0)
	v_mul_f64 v[26:27], v[34:35], v[26:27]
.LBB79_73:
	s_or_b64 exec, exec, s[2:3]
	v_cmp_gt_u32_e32 vcc, 13, v0
	; wave barrier
	ds_write_b64 v38, v[28:29]
	s_waitcnt lgkmcnt(0)
	; wave barrier
	s_and_saveexec_b64 s[2:3], vcc
	s_cbranch_execz .LBB79_77
; %bb.74:
	v_mov_b32_e32 v34, 0x80
	v_lshl_add_u32 v39, v0, 3, v34
	v_mov_b32_e32 v34, 0
	v_mov_b32_e32 v37, v1
	;; [unrolled: 1-line block ×3, first 2 shown]
	s_mov_b64 s[4:5], 0
	v_mov_b32_e32 v36, v0
.LBB79_75:                              ; =>This Inner Loop Header: Depth=1
	v_cmp_eq_u32_e32 vcc, 1, v36
	v_cndmask_b32_e32 v42, v3, v5, vcc
	v_cmp_eq_u32_e64 s[0:1], 2, v36
	v_cndmask_b32_e64 v42, v42, v7, s[0:1]
	v_cndmask_b32_e32 v43, v2, v4, vcc
	v_cmp_eq_u32_e32 vcc, 3, v36
	v_cndmask_b32_e32 v42, v42, v9, vcc
	v_cndmask_b32_e64 v43, v43, v6, s[0:1]
	v_cmp_eq_u32_e64 s[0:1], 4, v36
	v_cndmask_b32_e64 v42, v42, v11, s[0:1]
	v_cndmask_b32_e32 v43, v43, v8, vcc
	v_cmp_eq_u32_e32 vcc, 5, v36
	v_cndmask_b32_e32 v42, v42, v13, vcc
	v_cndmask_b32_e64 v43, v43, v10, s[0:1]
	;; [unrolled: 6-line block ×5, first 2 shown]
	v_cmp_eq_u32_e64 s[0:1], 12, v36
	ds_read_b64 v[40:41], v39
	v_cndmask_b32_e64 v42, v42, v27, s[0:1]
	v_cndmask_b32_e32 v43, v43, v24, vcc
	v_cmp_eq_u32_e32 vcc, 13, v36
	v_cndmask_b32_e32 v42, v42, v29, vcc
	v_cndmask_b32_e64 v43, v43, v26, s[0:1]
	v_cmp_eq_u32_e64 s[0:1], 14, v36
	v_cndmask_b32_e64 v42, v42, v31, s[0:1]
	v_cndmask_b32_e32 v44, v43, v28, vcc
	v_cmp_eq_u32_e32 vcc, 15, v36
	v_cndmask_b32_e32 v43, v42, v33, vcc
	v_cndmask_b32_e64 v42, v44, v30, s[0:1]
	v_cndmask_b32_e32 v42, v42, v32, vcc
	s_waitcnt lgkmcnt(0)
	v_fma_f64 v[34:35], v[42:43], v[40:41], v[34:35]
	v_add_co_u32_e32 v36, vcc, 1, v36
	v_addc_co_u32_e32 v37, vcc, 0, v37, vcc
	v_add_u32_e32 v40, -1, v36
	v_cmp_lt_u32_e32 vcc, 11, v40
	s_or_b64 s[4:5], vcc, s[4:5]
	v_add_u32_e32 v39, 8, v39
	s_andn2_b64 exec, exec, s[4:5]
	s_cbranch_execnz .LBB79_75
; %bb.76:
	s_or_b64 exec, exec, s[4:5]
	v_mov_b32_e32 v28, 0
	ds_read_b64 v[28:29], v28 offset:104
	s_waitcnt lgkmcnt(0)
	v_mul_f64 v[28:29], v[34:35], v[28:29]
.LBB79_77:
	s_or_b64 exec, exec, s[2:3]
	v_cmp_gt_u32_e32 vcc, 14, v0
	; wave barrier
	ds_write_b64 v38, v[30:31]
	s_waitcnt lgkmcnt(0)
	; wave barrier
	s_and_saveexec_b64 s[2:3], vcc
	s_cbranch_execz .LBB79_81
; %bb.78:
	v_mov_b32_e32 v34, 0x80
	v_lshl_add_u32 v39, v0, 3, v34
	v_mov_b32_e32 v34, 0
	v_mov_b32_e32 v37, v1
	;; [unrolled: 1-line block ×3, first 2 shown]
	s_mov_b64 s[4:5], 0
	v_mov_b32_e32 v36, v0
.LBB79_79:                              ; =>This Inner Loop Header: Depth=1
	v_cmp_eq_u32_e32 vcc, 1, v36
	v_cndmask_b32_e32 v42, v3, v5, vcc
	v_cmp_eq_u32_e64 s[0:1], 2, v36
	v_cndmask_b32_e64 v42, v42, v7, s[0:1]
	v_cndmask_b32_e32 v43, v2, v4, vcc
	v_cmp_eq_u32_e32 vcc, 3, v36
	v_cndmask_b32_e32 v42, v42, v9, vcc
	v_cndmask_b32_e64 v43, v43, v6, s[0:1]
	v_cmp_eq_u32_e64 s[0:1], 4, v36
	v_cndmask_b32_e64 v42, v42, v11, s[0:1]
	v_cndmask_b32_e32 v43, v43, v8, vcc
	v_cmp_eq_u32_e32 vcc, 5, v36
	v_cndmask_b32_e32 v42, v42, v13, vcc
	v_cndmask_b32_e64 v43, v43, v10, s[0:1]
	;; [unrolled: 6-line block ×5, first 2 shown]
	v_cmp_eq_u32_e64 s[0:1], 12, v36
	ds_read_b64 v[40:41], v39
	v_cndmask_b32_e64 v42, v42, v27, s[0:1]
	v_cndmask_b32_e32 v43, v43, v24, vcc
	v_cmp_eq_u32_e32 vcc, 13, v36
	v_cndmask_b32_e32 v42, v42, v29, vcc
	v_cndmask_b32_e64 v43, v43, v26, s[0:1]
	v_cmp_eq_u32_e64 s[0:1], 14, v36
	v_cndmask_b32_e64 v42, v42, v31, s[0:1]
	v_cndmask_b32_e32 v44, v43, v28, vcc
	v_cmp_eq_u32_e32 vcc, 15, v36
	v_cndmask_b32_e32 v43, v42, v33, vcc
	v_cndmask_b32_e64 v42, v44, v30, s[0:1]
	v_cndmask_b32_e32 v42, v42, v32, vcc
	s_waitcnt lgkmcnt(0)
	v_fma_f64 v[34:35], v[42:43], v[40:41], v[34:35]
	v_add_co_u32_e32 v36, vcc, 1, v36
	v_addc_co_u32_e32 v37, vcc, 0, v37, vcc
	v_add_u32_e32 v40, -1, v36
	v_cmp_lt_u32_e32 vcc, 12, v40
	s_or_b64 s[4:5], vcc, s[4:5]
	v_add_u32_e32 v39, 8, v39
	s_andn2_b64 exec, exec, s[4:5]
	s_cbranch_execnz .LBB79_79
; %bb.80:
	s_or_b64 exec, exec, s[4:5]
	v_mov_b32_e32 v30, 0
	ds_read_b64 v[30:31], v30 offset:112
	s_waitcnt lgkmcnt(0)
	v_mul_f64 v[30:31], v[34:35], v[30:31]
.LBB79_81:
	s_or_b64 exec, exec, s[2:3]
	v_cmp_ne_u32_e32 vcc, 15, v0
	; wave barrier
	ds_write_b64 v38, v[32:33]
	s_waitcnt lgkmcnt(0)
	; wave barrier
	s_and_saveexec_b64 s[2:3], vcc
	s_cbranch_execz .LBB79_85
; %bb.82:
	v_mov_b32_e32 v34, 0x80
	v_lshl_add_u32 v38, v0, 3, v34
	v_mov_b32_e32 v34, 0
	v_mov_b32_e32 v37, v1
	;; [unrolled: 1-line block ×3, first 2 shown]
	s_mov_b64 s[4:5], 0
	v_mov_b32_e32 v36, v0
.LBB79_83:                              ; =>This Inner Loop Header: Depth=1
	v_cmp_eq_u32_e32 vcc, 1, v36
	v_cndmask_b32_e32 v1, v3, v5, vcc
	v_cmp_eq_u32_e64 s[0:1], 2, v36
	v_cndmask_b32_e64 v1, v1, v7, s[0:1]
	v_cndmask_b32_e32 v41, v2, v4, vcc
	v_cmp_eq_u32_e32 vcc, 3, v36
	v_cndmask_b32_e32 v1, v1, v9, vcc
	v_cndmask_b32_e64 v41, v41, v6, s[0:1]
	v_cmp_eq_u32_e64 s[0:1], 4, v36
	v_cndmask_b32_e64 v1, v1, v11, s[0:1]
	v_cndmask_b32_e32 v41, v41, v8, vcc
	v_cmp_eq_u32_e32 vcc, 5, v36
	v_cndmask_b32_e32 v1, v1, v13, vcc
	v_cndmask_b32_e64 v41, v41, v10, s[0:1]
	;; [unrolled: 6-line block ×5, first 2 shown]
	v_cmp_eq_u32_e64 s[0:1], 12, v36
	ds_read_b64 v[39:40], v38
	v_cndmask_b32_e64 v1, v1, v27, s[0:1]
	v_cndmask_b32_e32 v41, v41, v24, vcc
	v_cmp_eq_u32_e32 vcc, 13, v36
	v_cndmask_b32_e32 v1, v1, v29, vcc
	v_cndmask_b32_e64 v41, v41, v26, s[0:1]
	v_cmp_eq_u32_e64 s[0:1], 14, v36
	v_cndmask_b32_e64 v1, v1, v31, s[0:1]
	v_cndmask_b32_e32 v41, v41, v28, vcc
	v_cmp_eq_u32_e32 vcc, 15, v36
	v_cndmask_b32_e32 v42, v1, v33, vcc
	v_cndmask_b32_e64 v1, v41, v30, s[0:1]
	v_cndmask_b32_e32 v41, v1, v32, vcc
	s_waitcnt lgkmcnt(0)
	v_fma_f64 v[34:35], v[41:42], v[39:40], v[34:35]
	v_add_co_u32_e32 v36, vcc, 1, v36
	v_addc_co_u32_e32 v37, vcc, 0, v37, vcc
	v_add_u32_e32 v1, -1, v36
	v_cmp_lt_u32_e32 vcc, 13, v1
	s_or_b64 s[4:5], vcc, s[4:5]
	v_add_u32_e32 v38, 8, v38
	s_andn2_b64 exec, exec, s[4:5]
	s_cbranch_execnz .LBB79_83
; %bb.84:
	s_or_b64 exec, exec, s[4:5]
	v_mov_b32_e32 v1, 0
	ds_read_b64 v[32:33], v1 offset:120
	s_waitcnt lgkmcnt(0)
	v_mul_f64 v[32:33], v[34:35], v[32:33]
.LBB79_85:
	s_or_b64 exec, exec, s[2:3]
	; wave barrier
	s_cbranch_execnz .LBB79_15
	s_branch .LBB79_16
.LBB79_86:
	v_mov_b32_e32 v1, 0x80
	v_lshl_add_u32 v1, v0, 3, v1
	v_cmp_eq_u32_e32 vcc, 15, v0
	s_and_saveexec_b64 s[0:1], vcc
	s_cbranch_execz .LBB79_88
; %bb.87:
	s_waitcnt lgkmcnt(0)
	v_mov_b32_e32 v63, v33
	s_mov_b32 s2, 0
	v_mov_b32_e32 v62, v32
	v_mov_b32_e32 v61, v31
	;; [unrolled: 1-line block ×33, first 2 shown]
	ds_write_b64 v1, v[30:31]
	v_mov_b32_e32 v2, v32
	v_mov_b32_e32 v3, v33
	;; [unrolled: 1-line block ×32, first 2 shown]
.LBB79_88:
	s_or_b64 exec, exec, s[0:1]
	v_mov_b32_e32 v62, 0
	s_waitcnt lgkmcnt(0)
	; wave barrier
	ds_read_b64 v[34:35], v62 offset:248
	v_cmp_lt_u32_e32 vcc, 13, v0
	s_waitcnt lgkmcnt(0)
	v_fma_f64 v[34:35], v[32:33], v[34:35], 0
	v_add_f64 v[30:31], v[30:31], -v[34:35]
	s_and_saveexec_b64 s[0:1], vcc
	s_cbranch_execz .LBB79_90
; %bb.89:
	v_mov_b32_e32 v61, v33
	s_mov_b32 s2, 0
	v_mov_b32_e32 v60, v32
	v_mov_b32_e32 v59, v31
	;; [unrolled: 1-line block ×33, first 2 shown]
	ds_write_b64 v1, v[28:29]
	v_mov_b32_e32 v2, v30
	v_mov_b32_e32 v3, v31
	v_mov_b32_e32 v4, v32
	v_mov_b32_e32 v5, v33
	v_mov_b32_e32 v6, v34
	v_mov_b32_e32 v7, v35
	v_mov_b32_e32 v8, v36
	v_mov_b32_e32 v9, v37
	v_mov_b32_e32 v10, v38
	v_mov_b32_e32 v11, v39
	v_mov_b32_e32 v12, v40
	v_mov_b32_e32 v13, v41
	v_mov_b32_e32 v14, v42
	v_mov_b32_e32 v15, v43
	v_mov_b32_e32 v16, v44
	v_mov_b32_e32 v17, v45
	v_mov_b32_e32 v18, v46
	v_mov_b32_e32 v19, v47
	v_mov_b32_e32 v20, v48
	v_mov_b32_e32 v21, v49
	v_mov_b32_e32 v22, v50
	v_mov_b32_e32 v23, v51
	v_mov_b32_e32 v24, v52
	v_mov_b32_e32 v25, v53
	v_mov_b32_e32 v26, v54
	v_mov_b32_e32 v27, v55
	v_mov_b32_e32 v28, v56
	v_mov_b32_e32 v29, v57
	v_mov_b32_e32 v30, v58
	v_mov_b32_e32 v31, v59
	v_mov_b32_e32 v32, v60
	v_mov_b32_e32 v33, v61
.LBB79_90:
	s_or_b64 exec, exec, s[0:1]
	s_waitcnt lgkmcnt(0)
	; wave barrier
	ds_read_b128 v[34:37], v62 offset:240
	v_cmp_lt_u32_e32 vcc, 12, v0
	s_waitcnt lgkmcnt(0)
	v_fma_f64 v[34:35], v[30:31], v[34:35], 0
	v_fma_f64 v[34:35], v[32:33], v[36:37], v[34:35]
	v_add_f64 v[28:29], v[28:29], -v[34:35]
	s_and_saveexec_b64 s[0:1], vcc
	s_cbranch_execz .LBB79_92
; %bb.91:
	v_mov_b32_e32 v59, v33
	s_mov_b32 s2, 0
	v_mov_b32_e32 v58, v32
	v_mov_b32_e32 v57, v31
	;; [unrolled: 1-line block ×33, first 2 shown]
	ds_write_b64 v1, v[26:27]
	v_mov_b32_e32 v2, v28
	v_mov_b32_e32 v3, v29
	;; [unrolled: 1-line block ×32, first 2 shown]
.LBB79_92:
	s_or_b64 exec, exec, s[0:1]
	v_mov_b32_e32 v58, 0
	s_waitcnt lgkmcnt(0)
	; wave barrier
	ds_read2_b64 v[34:37], v58 offset0:29 offset1:30
	ds_read_b64 v[38:39], v58 offset:248
	v_cmp_lt_u32_e32 vcc, 11, v0
	s_waitcnt lgkmcnt(1)
	v_fma_f64 v[34:35], v[28:29], v[34:35], 0
	v_fma_f64 v[34:35], v[30:31], v[36:37], v[34:35]
	s_waitcnt lgkmcnt(0)
	v_fma_f64 v[34:35], v[32:33], v[38:39], v[34:35]
	v_add_f64 v[26:27], v[26:27], -v[34:35]
	s_and_saveexec_b64 s[0:1], vcc
	s_cbranch_execz .LBB79_94
; %bb.93:
	v_mov_b32_e32 v57, v33
	s_mov_b32 s2, 0
	v_mov_b32_e32 v56, v32
	v_mov_b32_e32 v55, v31
	;; [unrolled: 1-line block ×33, first 2 shown]
	ds_write_b64 v1, v[24:25]
	v_mov_b32_e32 v2, v26
	v_mov_b32_e32 v3, v27
	;; [unrolled: 1-line block ×32, first 2 shown]
.LBB79_94:
	s_or_b64 exec, exec, s[0:1]
	s_waitcnt lgkmcnt(0)
	; wave barrier
	ds_read_b128 v[34:37], v58 offset:224
	ds_read_b128 v[38:41], v58 offset:240
	v_cmp_lt_u32_e32 vcc, 10, v0
	s_waitcnt lgkmcnt(1)
	v_fma_f64 v[34:35], v[26:27], v[34:35], 0
	v_fma_f64 v[34:35], v[28:29], v[36:37], v[34:35]
	s_waitcnt lgkmcnt(0)
	v_fma_f64 v[34:35], v[30:31], v[38:39], v[34:35]
	v_fma_f64 v[34:35], v[32:33], v[40:41], v[34:35]
	v_add_f64 v[24:25], v[24:25], -v[34:35]
	s_and_saveexec_b64 s[0:1], vcc
	s_cbranch_execz .LBB79_96
; %bb.95:
	v_mov_b32_e32 v55, v33
	s_mov_b32 s2, 0
	v_mov_b32_e32 v54, v32
	v_mov_b32_e32 v53, v31
	;; [unrolled: 1-line block ×33, first 2 shown]
	ds_write_b64 v1, v[22:23]
	v_mov_b32_e32 v2, v24
	v_mov_b32_e32 v3, v25
	;; [unrolled: 1-line block ×32, first 2 shown]
.LBB79_96:
	s_or_b64 exec, exec, s[0:1]
	v_mov_b32_e32 v54, 0
	s_waitcnt lgkmcnt(0)
	; wave barrier
	ds_read2_b64 v[34:37], v54 offset0:27 offset1:28
	ds_read2_b64 v[38:41], v54 offset0:29 offset1:30
	v_cmp_lt_u32_e32 vcc, 9, v0
	s_waitcnt lgkmcnt(1)
	v_fma_f64 v[34:35], v[24:25], v[34:35], 0
	v_fma_f64 v[34:35], v[26:27], v[36:37], v[34:35]
	ds_read_b64 v[36:37], v54 offset:248
	s_waitcnt lgkmcnt(1)
	v_fma_f64 v[34:35], v[28:29], v[38:39], v[34:35]
	v_fma_f64 v[34:35], v[30:31], v[40:41], v[34:35]
	s_waitcnt lgkmcnt(0)
	v_fma_f64 v[34:35], v[32:33], v[36:37], v[34:35]
	v_add_f64 v[22:23], v[22:23], -v[34:35]
	s_and_saveexec_b64 s[0:1], vcc
	s_cbranch_execz .LBB79_98
; %bb.97:
	v_mov_b32_e32 v53, v33
	s_mov_b32 s2, 0
	v_mov_b32_e32 v52, v32
	v_mov_b32_e32 v51, v31
	;; [unrolled: 1-line block ×33, first 2 shown]
	ds_write_b64 v1, v[20:21]
	v_mov_b32_e32 v2, v22
	v_mov_b32_e32 v3, v23
	v_mov_b32_e32 v4, v24
	v_mov_b32_e32 v5, v25
	v_mov_b32_e32 v6, v26
	v_mov_b32_e32 v7, v27
	v_mov_b32_e32 v8, v28
	v_mov_b32_e32 v9, v29
	v_mov_b32_e32 v10, v30
	v_mov_b32_e32 v11, v31
	v_mov_b32_e32 v12, v32
	v_mov_b32_e32 v13, v33
	v_mov_b32_e32 v14, v34
	v_mov_b32_e32 v15, v35
	v_mov_b32_e32 v16, v36
	v_mov_b32_e32 v17, v37
	v_mov_b32_e32 v18, v38
	v_mov_b32_e32 v19, v39
	v_mov_b32_e32 v20, v40
	v_mov_b32_e32 v21, v41
	v_mov_b32_e32 v22, v42
	v_mov_b32_e32 v23, v43
	v_mov_b32_e32 v24, v44
	v_mov_b32_e32 v25, v45
	v_mov_b32_e32 v26, v46
	v_mov_b32_e32 v27, v47
	v_mov_b32_e32 v28, v48
	v_mov_b32_e32 v29, v49
	v_mov_b32_e32 v30, v50
	v_mov_b32_e32 v31, v51
	v_mov_b32_e32 v32, v52
	v_mov_b32_e32 v33, v53
.LBB79_98:
	s_or_b64 exec, exec, s[0:1]
	s_waitcnt lgkmcnt(0)
	; wave barrier
	ds_read_b128 v[34:37], v54 offset:208
	ds_read_b128 v[38:41], v54 offset:224
	v_cmp_lt_u32_e32 vcc, 8, v0
	s_waitcnt lgkmcnt(1)
	v_fma_f64 v[34:35], v[22:23], v[34:35], 0
	v_fma_f64 v[34:35], v[24:25], v[36:37], v[34:35]
	s_waitcnt lgkmcnt(0)
	v_fma_f64 v[34:35], v[26:27], v[38:39], v[34:35]
	v_fma_f64 v[38:39], v[28:29], v[40:41], v[34:35]
	ds_read_b128 v[34:37], v54 offset:240
	s_waitcnt lgkmcnt(0)
	v_fma_f64 v[34:35], v[30:31], v[34:35], v[38:39]
	v_fma_f64 v[34:35], v[32:33], v[36:37], v[34:35]
	v_add_f64 v[20:21], v[20:21], -v[34:35]
	s_and_saveexec_b64 s[0:1], vcc
	s_cbranch_execz .LBB79_100
; %bb.99:
	v_mov_b32_e32 v51, v33
	s_mov_b32 s2, 0
	v_mov_b32_e32 v50, v32
	v_mov_b32_e32 v49, v31
	;; [unrolled: 1-line block ×33, first 2 shown]
	ds_write_b64 v1, v[18:19]
	v_mov_b32_e32 v2, v20
	v_mov_b32_e32 v3, v21
	;; [unrolled: 1-line block ×32, first 2 shown]
.LBB79_100:
	s_or_b64 exec, exec, s[0:1]
	v_mov_b32_e32 v50, 0
	s_waitcnt lgkmcnt(0)
	; wave barrier
	ds_read2_b64 v[34:37], v50 offset0:25 offset1:26
	ds_read2_b64 v[38:41], v50 offset0:27 offset1:28
	v_cmp_lt_u32_e32 vcc, 7, v0
	s_waitcnt lgkmcnt(1)
	v_fma_f64 v[34:35], v[20:21], v[34:35], 0
	v_fma_f64 v[34:35], v[22:23], v[36:37], v[34:35]
	s_waitcnt lgkmcnt(0)
	v_fma_f64 v[34:35], v[24:25], v[38:39], v[34:35]
	v_fma_f64 v[38:39], v[26:27], v[40:41], v[34:35]
	ds_read2_b64 v[34:37], v50 offset0:29 offset1:30
	ds_read_b64 v[40:41], v50 offset:248
	s_waitcnt lgkmcnt(1)
	v_fma_f64 v[34:35], v[28:29], v[34:35], v[38:39]
	v_fma_f64 v[34:35], v[30:31], v[36:37], v[34:35]
	s_waitcnt lgkmcnt(0)
	v_fma_f64 v[34:35], v[32:33], v[40:41], v[34:35]
	v_add_f64 v[18:19], v[18:19], -v[34:35]
	s_and_saveexec_b64 s[0:1], vcc
	s_cbranch_execz .LBB79_102
; %bb.101:
	v_mov_b32_e32 v49, v33
	s_mov_b32 s2, 0
	v_mov_b32_e32 v48, v32
	v_mov_b32_e32 v47, v31
	;; [unrolled: 1-line block ×33, first 2 shown]
	ds_write_b64 v1, v[16:17]
	v_mov_b32_e32 v2, v18
	v_mov_b32_e32 v3, v19
	;; [unrolled: 1-line block ×32, first 2 shown]
.LBB79_102:
	s_or_b64 exec, exec, s[0:1]
	s_waitcnt lgkmcnt(0)
	; wave barrier
	ds_read_b128 v[34:37], v50 offset:192
	ds_read_b128 v[38:41], v50 offset:208
	v_cmp_lt_u32_e32 vcc, 6, v0
	s_waitcnt lgkmcnt(1)
	v_fma_f64 v[34:35], v[18:19], v[34:35], 0
	v_fma_f64 v[34:35], v[20:21], v[36:37], v[34:35]
	s_waitcnt lgkmcnt(0)
	v_fma_f64 v[34:35], v[22:23], v[38:39], v[34:35]
	v_fma_f64 v[42:43], v[24:25], v[40:41], v[34:35]
	ds_read_b128 v[34:37], v50 offset:224
	ds_read_b128 v[38:41], v50 offset:240
	s_waitcnt lgkmcnt(1)
	v_fma_f64 v[34:35], v[26:27], v[34:35], v[42:43]
	v_fma_f64 v[34:35], v[28:29], v[36:37], v[34:35]
	s_waitcnt lgkmcnt(0)
	v_fma_f64 v[34:35], v[30:31], v[38:39], v[34:35]
	v_fma_f64 v[34:35], v[32:33], v[40:41], v[34:35]
	v_add_f64 v[16:17], v[16:17], -v[34:35]
	s_and_saveexec_b64 s[0:1], vcc
	s_cbranch_execz .LBB79_104
; %bb.103:
	v_mov_b32_e32 v47, v33
	s_mov_b32 s2, 0
	v_mov_b32_e32 v46, v32
	v_mov_b32_e32 v45, v31
	;; [unrolled: 1-line block ×33, first 2 shown]
	ds_write_b64 v1, v[14:15]
	v_mov_b32_e32 v2, v16
	v_mov_b32_e32 v3, v17
	;; [unrolled: 1-line block ×32, first 2 shown]
.LBB79_104:
	s_or_b64 exec, exec, s[0:1]
	v_mov_b32_e32 v46, 0
	s_waitcnt lgkmcnt(0)
	; wave barrier
	ds_read2_b64 v[34:37], v46 offset0:23 offset1:24
	ds_read2_b64 v[38:41], v46 offset0:25 offset1:26
	v_cmp_lt_u32_e32 vcc, 5, v0
	s_waitcnt lgkmcnt(1)
	v_fma_f64 v[34:35], v[16:17], v[34:35], 0
	v_fma_f64 v[34:35], v[18:19], v[36:37], v[34:35]
	s_waitcnt lgkmcnt(0)
	v_fma_f64 v[34:35], v[20:21], v[38:39], v[34:35]
	v_fma_f64 v[42:43], v[22:23], v[40:41], v[34:35]
	ds_read2_b64 v[34:37], v46 offset0:27 offset1:28
	ds_read2_b64 v[38:41], v46 offset0:29 offset1:30
	s_waitcnt lgkmcnt(1)
	v_fma_f64 v[34:35], v[24:25], v[34:35], v[42:43]
	v_fma_f64 v[34:35], v[26:27], v[36:37], v[34:35]
	ds_read_b64 v[36:37], v46 offset:248
	s_waitcnt lgkmcnt(1)
	v_fma_f64 v[34:35], v[28:29], v[38:39], v[34:35]
	v_fma_f64 v[34:35], v[30:31], v[40:41], v[34:35]
	s_waitcnt lgkmcnt(0)
	v_fma_f64 v[34:35], v[32:33], v[36:37], v[34:35]
	v_add_f64 v[14:15], v[14:15], -v[34:35]
	s_and_saveexec_b64 s[0:1], vcc
	s_cbranch_execz .LBB79_106
; %bb.105:
	v_mov_b32_e32 v45, v33
	s_mov_b32 s2, 0
	v_mov_b32_e32 v44, v32
	v_mov_b32_e32 v43, v31
	;; [unrolled: 1-line block ×33, first 2 shown]
	ds_write_b64 v1, v[12:13]
	v_mov_b32_e32 v2, v14
	v_mov_b32_e32 v3, v15
	;; [unrolled: 1-line block ×32, first 2 shown]
.LBB79_106:
	s_or_b64 exec, exec, s[0:1]
	s_waitcnt lgkmcnt(0)
	; wave barrier
	ds_read_b128 v[34:37], v46 offset:176
	ds_read_b128 v[38:41], v46 offset:192
	v_cmp_lt_u32_e32 vcc, 4, v0
	s_waitcnt lgkmcnt(1)
	v_fma_f64 v[34:35], v[14:15], v[34:35], 0
	v_fma_f64 v[34:35], v[16:17], v[36:37], v[34:35]
	s_waitcnt lgkmcnt(0)
	v_fma_f64 v[34:35], v[18:19], v[38:39], v[34:35]
	v_fma_f64 v[42:43], v[20:21], v[40:41], v[34:35]
	ds_read_b128 v[34:37], v46 offset:208
	ds_read_b128 v[38:41], v46 offset:224
	s_waitcnt lgkmcnt(1)
	v_fma_f64 v[34:35], v[22:23], v[34:35], v[42:43]
	v_fma_f64 v[34:35], v[24:25], v[36:37], v[34:35]
	s_waitcnt lgkmcnt(0)
	v_fma_f64 v[34:35], v[26:27], v[38:39], v[34:35]
	v_fma_f64 v[38:39], v[28:29], v[40:41], v[34:35]
	ds_read_b128 v[34:37], v46 offset:240
	s_waitcnt lgkmcnt(0)
	v_fma_f64 v[34:35], v[30:31], v[34:35], v[38:39]
	v_fma_f64 v[34:35], v[32:33], v[36:37], v[34:35]
	v_add_f64 v[12:13], v[12:13], -v[34:35]
	s_and_saveexec_b64 s[0:1], vcc
	s_cbranch_execz .LBB79_108
; %bb.107:
	v_mov_b32_e32 v43, v33
	s_mov_b32 s2, 0
	v_mov_b32_e32 v42, v32
	v_mov_b32_e32 v41, v31
	;; [unrolled: 1-line block ×33, first 2 shown]
	ds_write_b64 v1, v[10:11]
	v_mov_b32_e32 v2, v12
	v_mov_b32_e32 v3, v13
	;; [unrolled: 1-line block ×32, first 2 shown]
.LBB79_108:
	s_or_b64 exec, exec, s[0:1]
	v_mov_b32_e32 v42, 0
	s_waitcnt lgkmcnt(0)
	; wave barrier
	ds_read2_b64 v[34:37], v42 offset0:21 offset1:22
	ds_read2_b64 v[38:41], v42 offset0:23 offset1:24
	v_cmp_lt_u32_e32 vcc, 3, v0
	s_waitcnt lgkmcnt(1)
	v_fma_f64 v[34:35], v[12:13], v[34:35], 0
	v_fma_f64 v[34:35], v[14:15], v[36:37], v[34:35]
	s_waitcnt lgkmcnt(0)
	v_fma_f64 v[34:35], v[16:17], v[38:39], v[34:35]
	v_fma_f64 v[43:44], v[18:19], v[40:41], v[34:35]
	ds_read2_b64 v[34:37], v42 offset0:25 offset1:26
	ds_read2_b64 v[38:41], v42 offset0:27 offset1:28
	s_waitcnt lgkmcnt(1)
	v_fma_f64 v[34:35], v[20:21], v[34:35], v[43:44]
	v_fma_f64 v[34:35], v[22:23], v[36:37], v[34:35]
	s_waitcnt lgkmcnt(0)
	v_fma_f64 v[34:35], v[24:25], v[38:39], v[34:35]
	v_fma_f64 v[38:39], v[26:27], v[40:41], v[34:35]
	ds_read2_b64 v[34:37], v42 offset0:29 offset1:30
	ds_read_b64 v[40:41], v42 offset:248
	s_waitcnt lgkmcnt(1)
	v_fma_f64 v[34:35], v[28:29], v[34:35], v[38:39]
	v_fma_f64 v[34:35], v[30:31], v[36:37], v[34:35]
	s_waitcnt lgkmcnt(0)
	v_fma_f64 v[34:35], v[32:33], v[40:41], v[34:35]
	v_add_f64 v[10:11], v[10:11], -v[34:35]
	s_and_saveexec_b64 s[0:1], vcc
	s_cbranch_execz .LBB79_110
; %bb.109:
	v_mov_b32_e32 v41, v33
	s_mov_b32 s2, 0
	v_mov_b32_e32 v40, v32
	v_mov_b32_e32 v39, v31
	;; [unrolled: 1-line block ×33, first 2 shown]
	ds_write_b64 v1, v[8:9]
	v_mov_b32_e32 v2, v10
	v_mov_b32_e32 v3, v11
	;; [unrolled: 1-line block ×32, first 2 shown]
.LBB79_110:
	s_or_b64 exec, exec, s[0:1]
	s_waitcnt lgkmcnt(0)
	; wave barrier
	ds_read_b128 v[34:37], v42 offset:160
	ds_read_b128 v[38:41], v42 offset:176
	v_cmp_lt_u32_e32 vcc, 2, v0
	s_waitcnt lgkmcnt(1)
	v_fma_f64 v[34:35], v[10:11], v[34:35], 0
	v_fma_f64 v[34:35], v[12:13], v[36:37], v[34:35]
	s_waitcnt lgkmcnt(0)
	v_fma_f64 v[34:35], v[14:15], v[38:39], v[34:35]
	v_fma_f64 v[43:44], v[16:17], v[40:41], v[34:35]
	ds_read_b128 v[34:37], v42 offset:192
	ds_read_b128 v[38:41], v42 offset:208
	s_waitcnt lgkmcnt(1)
	v_fma_f64 v[34:35], v[18:19], v[34:35], v[43:44]
	v_fma_f64 v[34:35], v[20:21], v[36:37], v[34:35]
	s_waitcnt lgkmcnt(0)
	v_fma_f64 v[34:35], v[22:23], v[38:39], v[34:35]
	v_fma_f64 v[43:44], v[24:25], v[40:41], v[34:35]
	ds_read_b128 v[34:37], v42 offset:224
	ds_read_b128 v[38:41], v42 offset:240
	s_waitcnt lgkmcnt(1)
	v_fma_f64 v[34:35], v[26:27], v[34:35], v[43:44]
	v_fma_f64 v[34:35], v[28:29], v[36:37], v[34:35]
	s_waitcnt lgkmcnt(0)
	v_fma_f64 v[34:35], v[30:31], v[38:39], v[34:35]
	v_fma_f64 v[34:35], v[32:33], v[40:41], v[34:35]
	v_add_f64 v[8:9], v[8:9], -v[34:35]
	s_and_saveexec_b64 s[0:1], vcc
	s_cbranch_execz .LBB79_112
; %bb.111:
	v_mov_b32_e32 v39, v33
	s_mov_b32 s2, 0
	v_mov_b32_e32 v38, v32
	v_mov_b32_e32 v37, v31
	;; [unrolled: 1-line block ×33, first 2 shown]
	ds_write_b64 v1, v[6:7]
	v_mov_b32_e32 v2, v8
	v_mov_b32_e32 v3, v9
	;; [unrolled: 1-line block ×32, first 2 shown]
.LBB79_112:
	s_or_b64 exec, exec, s[0:1]
	v_mov_b32_e32 v38, 0
	s_waitcnt lgkmcnt(0)
	; wave barrier
	ds_read2_b64 v[34:37], v38 offset0:19 offset1:20
	ds_read2_b64 v[39:42], v38 offset0:21 offset1:22
	v_cmp_lt_u32_e32 vcc, 1, v0
	s_waitcnt lgkmcnt(1)
	v_fma_f64 v[34:35], v[8:9], v[34:35], 0
	v_fma_f64 v[34:35], v[10:11], v[36:37], v[34:35]
	s_waitcnt lgkmcnt(0)
	v_fma_f64 v[34:35], v[12:13], v[39:40], v[34:35]
	v_fma_f64 v[43:44], v[14:15], v[41:42], v[34:35]
	ds_read2_b64 v[34:37], v38 offset0:23 offset1:24
	ds_read2_b64 v[39:42], v38 offset0:25 offset1:26
	s_waitcnt lgkmcnt(1)
	v_fma_f64 v[34:35], v[16:17], v[34:35], v[43:44]
	v_fma_f64 v[34:35], v[18:19], v[36:37], v[34:35]
	s_waitcnt lgkmcnt(0)
	v_fma_f64 v[34:35], v[20:21], v[39:40], v[34:35]
	v_fma_f64 v[43:44], v[22:23], v[41:42], v[34:35]
	ds_read2_b64 v[34:37], v38 offset0:27 offset1:28
	ds_read2_b64 v[39:42], v38 offset0:29 offset1:30
	s_waitcnt lgkmcnt(1)
	v_fma_f64 v[34:35], v[24:25], v[34:35], v[43:44]
	v_fma_f64 v[34:35], v[26:27], v[36:37], v[34:35]
	ds_read_b64 v[36:37], v38 offset:248
	s_waitcnt lgkmcnt(1)
	v_fma_f64 v[34:35], v[28:29], v[39:40], v[34:35]
	v_fma_f64 v[34:35], v[30:31], v[41:42], v[34:35]
	s_waitcnt lgkmcnt(0)
	v_fma_f64 v[34:35], v[32:33], v[36:37], v[34:35]
	v_add_f64 v[6:7], v[6:7], -v[34:35]
	s_and_saveexec_b64 s[0:1], vcc
	s_cbranch_execz .LBB79_114
; %bb.113:
	v_mov_b32_e32 v37, v33
	s_mov_b32 s2, 0
	v_mov_b32_e32 v36, v32
	v_mov_b32_e32 v35, v31
	;; [unrolled: 1-line block ×33, first 2 shown]
	ds_write_b64 v1, v[4:5]
	v_mov_b32_e32 v2, v6
	v_mov_b32_e32 v3, v7
	;; [unrolled: 1-line block ×32, first 2 shown]
.LBB79_114:
	s_or_b64 exec, exec, s[0:1]
	s_waitcnt lgkmcnt(0)
	; wave barrier
	ds_read_b128 v[34:37], v38 offset:144
	ds_read_b128 v[39:42], v38 offset:160
	s_mov_b32 s2, 0
	v_cmp_ne_u32_e32 vcc, 0, v0
	s_waitcnt lgkmcnt(1)
	v_fma_f64 v[34:35], v[6:7], v[34:35], 0
	v_fma_f64 v[34:35], v[8:9], v[36:37], v[34:35]
	s_waitcnt lgkmcnt(0)
	v_fma_f64 v[34:35], v[10:11], v[39:40], v[34:35]
	v_fma_f64 v[43:44], v[12:13], v[41:42], v[34:35]
	ds_read_b128 v[34:37], v38 offset:176
	ds_read_b128 v[39:42], v38 offset:192
	s_waitcnt lgkmcnt(1)
	v_fma_f64 v[34:35], v[14:15], v[34:35], v[43:44]
	v_fma_f64 v[34:35], v[16:17], v[36:37], v[34:35]
	s_waitcnt lgkmcnt(0)
	v_fma_f64 v[34:35], v[18:19], v[39:40], v[34:35]
	v_fma_f64 v[43:44], v[20:21], v[41:42], v[34:35]
	ds_read_b128 v[34:37], v38 offset:208
	ds_read_b128 v[39:42], v38 offset:224
	s_waitcnt lgkmcnt(1)
	v_fma_f64 v[34:35], v[22:23], v[34:35], v[43:44]
	v_fma_f64 v[34:35], v[24:25], v[36:37], v[34:35]
	s_waitcnt lgkmcnt(0)
	v_fma_f64 v[34:35], v[26:27], v[39:40], v[34:35]
	v_fma_f64 v[39:40], v[28:29], v[41:42], v[34:35]
	ds_read_b128 v[34:37], v38 offset:240
	s_waitcnt lgkmcnt(0)
	v_fma_f64 v[34:35], v[30:31], v[34:35], v[39:40]
	v_fma_f64 v[34:35], v[32:33], v[36:37], v[34:35]
	v_add_f64 v[4:5], v[4:5], -v[34:35]
	s_and_saveexec_b64 s[0:1], vcc
	s_cbranch_execz .LBB79_116
; %bb.115:
	v_mov_b32_e32 v35, v33
	v_mov_b32_e32 v34, v32
	;; [unrolled: 1-line block ×34, first 2 shown]
	ds_write_b64 v1, v[2:3]
	v_mov_b32_e32 v2, v4
	v_mov_b32_e32 v3, v5
	;; [unrolled: 1-line block ×32, first 2 shown]
.LBB79_116:
	s_or_b64 exec, exec, s[0:1]
	v_mov_b32_e32 v0, 0
	s_waitcnt lgkmcnt(0)
	; wave barrier
	ds_read2_b64 v[34:37], v0 offset0:17 offset1:18
	ds_read2_b64 v[38:41], v0 offset0:19 offset1:20
	s_and_b64 vcc, exec, s[46:47]
	s_waitcnt lgkmcnt(1)
	v_fma_f64 v[34:35], v[4:5], v[34:35], 0
	v_fma_f64 v[34:35], v[6:7], v[36:37], v[34:35]
	s_waitcnt lgkmcnt(0)
	v_fma_f64 v[34:35], v[8:9], v[38:39], v[34:35]
	v_fma_f64 v[42:43], v[10:11], v[40:41], v[34:35]
	ds_read2_b64 v[34:37], v0 offset0:21 offset1:22
	ds_read2_b64 v[38:41], v0 offset0:23 offset1:24
	s_waitcnt lgkmcnt(1)
	v_fma_f64 v[34:35], v[12:13], v[34:35], v[42:43]
	v_fma_f64 v[34:35], v[14:15], v[36:37], v[34:35]
	s_waitcnt lgkmcnt(0)
	v_fma_f64 v[34:35], v[16:17], v[38:39], v[34:35]
	v_fma_f64 v[42:43], v[18:19], v[40:41], v[34:35]
	ds_read2_b64 v[34:37], v0 offset0:25 offset1:26
	ds_read2_b64 v[38:41], v0 offset0:27 offset1:28
	s_waitcnt lgkmcnt(1)
	v_fma_f64 v[34:35], v[20:21], v[34:35], v[42:43]
	v_fma_f64 v[34:35], v[22:23], v[36:37], v[34:35]
	s_waitcnt lgkmcnt(0)
	v_fma_f64 v[34:35], v[24:25], v[38:39], v[34:35]
	v_fma_f64 v[38:39], v[26:27], v[40:41], v[34:35]
	ds_read2_b64 v[34:37], v0 offset0:29 offset1:30
	ds_read_b64 v[40:41], v0 offset:248
	s_waitcnt lgkmcnt(1)
	v_fma_f64 v[34:35], v[28:29], v[34:35], v[38:39]
	v_fma_f64 v[34:35], v[30:31], v[36:37], v[34:35]
	s_waitcnt lgkmcnt(0)
	v_fma_f64 v[34:35], v[32:33], v[40:41], v[34:35]
	v_add_f64 v[2:3], v[2:3], -v[34:35]
	s_cbranch_vccz .LBB79_147
; %bb.117:
	global_load_dword v0, v0, s[44:45] offset:56
	s_waitcnt vmcnt(0)
	v_readfirstlane_b32 s0, v0
	s_add_i32 s0, s0, -1
	s_cmp_lg_u32 s0, 14
	s_cbranch_scc0 .LBB79_119
; %bb.118:
	s_lshl_b32 s0, s0, 1
	s_set_gpr_idx_on s0, gpr_idx(SRC0)
	v_mov_b32_e32 v0, v3
	v_mov_b32_e32 v1, v2
	s_set_gpr_idx_off
	v_mov_b32_e32 v63, v33
	v_mov_b32_e32 v61, v31
	v_mov_b32_e32 v60, v30
	v_mov_b32_e32 v62, v32
	v_mov_b32_e32 v59, v29
	v_mov_b32_e32 v58, v28
	v_mov_b32_e32 v57, v27
	v_mov_b32_e32 v56, v26
	v_mov_b32_e32 v55, v25
	v_mov_b32_e32 v54, v24
	v_mov_b32_e32 v53, v23
	v_mov_b32_e32 v52, v22
	v_mov_b32_e32 v51, v21
	v_mov_b32_e32 v50, v20
	v_mov_b32_e32 v49, v19
	v_mov_b32_e32 v48, v18
	v_mov_b32_e32 v47, v17
	v_mov_b32_e32 v46, v16
	v_mov_b32_e32 v45, v15
	v_mov_b32_e32 v44, v14
	v_mov_b32_e32 v43, v13
	v_mov_b32_e32 v42, v12
	v_mov_b32_e32 v41, v11
	v_mov_b32_e32 v40, v10
	v_mov_b32_e32 v39, v9
	v_mov_b32_e32 v38, v8
	v_mov_b32_e32 v37, v7
	v_mov_b32_e32 v36, v6
	v_mov_b32_e32 v35, v5
	v_mov_b32_e32 v34, v4
	v_mov_b32_e32 v33, v3
	v_mov_b32_e32 v32, v2
	v_mov_b32_e32 v60, v1
	v_mov_b32_e32 v61, v0
	s_set_gpr_idx_on s0, gpr_idx(DST)
	v_mov_b32_e32 v32, v30
	v_mov_b32_e32 v33, v31
	s_set_gpr_idx_off
	v_mov_b32_e32 v2, v32
	v_mov_b32_e32 v3, v33
	;; [unrolled: 1-line block ×32, first 2 shown]
.LBB79_119:
	v_mov_b32_e32 v0, 0
	global_load_dword v1, v0, s[44:45] offset:52
	s_waitcnt vmcnt(0)
	v_readfirstlane_b32 s0, v1
	s_add_i32 s0, s0, -1
	s_cmp_eq_u32 s0, 13
	s_cbranch_scc1 .LBB79_121
; %bb.120:
	s_lshl_b32 s0, s0, 1
	s_set_gpr_idx_on s0, gpr_idx(SRC0)
	v_mov_b32_e32 v1, v3
	v_mov_b32_e32 v62, v2
	s_set_gpr_idx_off
	v_mov_b32_e32 v61, v33
	v_mov_b32_e32 v57, v29
	;; [unrolled: 1-line block ×34, first 2 shown]
	s_set_gpr_idx_on s0, gpr_idx(DST)
	v_mov_b32_e32 v30, v28
	v_mov_b32_e32 v31, v29
	s_set_gpr_idx_off
	v_mov_b32_e32 v2, v30
	v_mov_b32_e32 v3, v31
	;; [unrolled: 1-line block ×32, first 2 shown]
.LBB79_121:
	global_load_dword v0, v0, s[44:45] offset:48
	s_waitcnt vmcnt(0)
	v_readfirstlane_b32 s0, v0
	s_add_i32 s0, s0, -1
	s_cmp_eq_u32 s0, 12
	s_cbranch_scc1 .LBB79_123
; %bb.122:
	s_lshl_b32 s0, s0, 1
	s_set_gpr_idx_on s0, gpr_idx(SRC0)
	v_mov_b32_e32 v0, v3
	v_mov_b32_e32 v1, v2
	s_set_gpr_idx_off
	v_mov_b32_e32 v59, v33
	v_mov_b32_e32 v53, v27
	;; [unrolled: 1-line block ×34, first 2 shown]
	s_set_gpr_idx_on s0, gpr_idx(DST)
	v_mov_b32_e32 v28, v26
	v_mov_b32_e32 v29, v27
	s_set_gpr_idx_off
	v_mov_b32_e32 v2, v28
	v_mov_b32_e32 v3, v29
	;; [unrolled: 1-line block ×32, first 2 shown]
.LBB79_123:
	v_mov_b32_e32 v0, 0
	global_load_dword v1, v0, s[44:45] offset:44
	s_waitcnt vmcnt(0)
	v_readfirstlane_b32 s0, v1
	s_add_i32 s0, s0, -1
	s_cmp_eq_u32 s0, 11
	s_cbranch_scc1 .LBB79_125
; %bb.124:
	s_lshl_b32 s0, s0, 1
	s_set_gpr_idx_on s0, gpr_idx(SRC0)
	v_mov_b32_e32 v1, v3
	v_mov_b32_e32 v58, v2
	s_set_gpr_idx_off
	v_mov_b32_e32 v57, v33
	v_mov_b32_e32 v49, v25
	;; [unrolled: 1-line block ×34, first 2 shown]
	s_set_gpr_idx_on s0, gpr_idx(DST)
	v_mov_b32_e32 v26, v24
	v_mov_b32_e32 v27, v25
	s_set_gpr_idx_off
	v_mov_b32_e32 v2, v26
	v_mov_b32_e32 v3, v27
	;; [unrolled: 1-line block ×32, first 2 shown]
.LBB79_125:
	global_load_dword v0, v0, s[44:45] offset:40
	s_waitcnt vmcnt(0)
	v_readfirstlane_b32 s0, v0
	s_add_i32 s0, s0, -1
	s_cmp_eq_u32 s0, 10
	s_cbranch_scc1 .LBB79_127
; %bb.126:
	s_lshl_b32 s0, s0, 1
	s_set_gpr_idx_on s0, gpr_idx(SRC0)
	v_mov_b32_e32 v0, v3
	v_mov_b32_e32 v1, v2
	s_set_gpr_idx_off
	v_mov_b32_e32 v55, v33
	v_mov_b32_e32 v45, v23
	;; [unrolled: 1-line block ×34, first 2 shown]
	s_set_gpr_idx_on s0, gpr_idx(DST)
	v_mov_b32_e32 v24, v22
	v_mov_b32_e32 v25, v23
	s_set_gpr_idx_off
	v_mov_b32_e32 v2, v24
	v_mov_b32_e32 v3, v25
	;; [unrolled: 1-line block ×32, first 2 shown]
.LBB79_127:
	v_mov_b32_e32 v0, 0
	global_load_dword v1, v0, s[44:45] offset:36
	s_waitcnt vmcnt(0)
	v_readfirstlane_b32 s0, v1
	s_add_i32 s0, s0, -1
	s_cmp_eq_u32 s0, 9
	s_cbranch_scc1 .LBB79_129
; %bb.128:
	s_lshl_b32 s0, s0, 1
	s_set_gpr_idx_on s0, gpr_idx(SRC0)
	v_mov_b32_e32 v1, v3
	v_mov_b32_e32 v54, v2
	s_set_gpr_idx_off
	v_mov_b32_e32 v53, v33
	v_mov_b32_e32 v41, v21
	;; [unrolled: 1-line block ×34, first 2 shown]
	s_set_gpr_idx_on s0, gpr_idx(DST)
	v_mov_b32_e32 v22, v20
	v_mov_b32_e32 v23, v21
	s_set_gpr_idx_off
	v_mov_b32_e32 v2, v22
	v_mov_b32_e32 v3, v23
	;; [unrolled: 1-line block ×32, first 2 shown]
.LBB79_129:
	global_load_dword v0, v0, s[44:45] offset:32
	s_waitcnt vmcnt(0)
	v_readfirstlane_b32 s0, v0
	s_add_i32 s0, s0, -1
	s_cmp_eq_u32 s0, 8
	s_cbranch_scc1 .LBB79_131
; %bb.130:
	s_lshl_b32 s0, s0, 1
	s_set_gpr_idx_on s0, gpr_idx(SRC0)
	v_mov_b32_e32 v0, v3
	v_mov_b32_e32 v1, v2
	s_set_gpr_idx_off
	v_mov_b32_e32 v51, v33
	v_mov_b32_e32 v37, v19
	;; [unrolled: 1-line block ×34, first 2 shown]
	s_set_gpr_idx_on s0, gpr_idx(DST)
	v_mov_b32_e32 v20, v18
	v_mov_b32_e32 v21, v19
	s_set_gpr_idx_off
	v_mov_b32_e32 v2, v20
	v_mov_b32_e32 v3, v21
	;; [unrolled: 1-line block ×32, first 2 shown]
.LBB79_131:
	v_mov_b32_e32 v0, 0
	global_load_dword v1, v0, s[44:45] offset:28
	s_waitcnt vmcnt(0)
	v_readfirstlane_b32 s0, v1
	s_add_i32 s0, s0, -1
	s_cmp_eq_u32 s0, 7
	s_cbranch_scc1 .LBB79_133
; %bb.132:
	s_lshl_b32 s0, s0, 1
	s_set_gpr_idx_on s0, gpr_idx(SRC0)
	v_mov_b32_e32 v1, v3
	v_mov_b32_e32 v50, v2
	s_set_gpr_idx_off
	v_mov_b32_e32 v49, v33
	v_mov_b32_e32 v48, v32
	;; [unrolled: 1-line block ×34, first 2 shown]
	s_set_gpr_idx_on s0, gpr_idx(DST)
	v_mov_b32_e32 v18, v16
	v_mov_b32_e32 v19, v17
	s_set_gpr_idx_off
	v_mov_b32_e32 v2, v18
	v_mov_b32_e32 v3, v19
	;; [unrolled: 1-line block ×32, first 2 shown]
.LBB79_133:
	global_load_dword v0, v0, s[44:45] offset:24
	s_waitcnt vmcnt(0)
	v_readfirstlane_b32 s0, v0
	s_add_i32 s0, s0, -1
	s_cmp_eq_u32 s0, 6
	s_cbranch_scc1 .LBB79_135
; %bb.134:
	s_lshl_b32 s0, s0, 1
	s_set_gpr_idx_on s0, gpr_idx(SRC0)
	v_mov_b32_e32 v0, v3
	v_mov_b32_e32 v1, v2
	s_set_gpr_idx_off
	v_mov_b32_e32 v47, v33
	v_mov_b32_e32 v46, v32
	;; [unrolled: 1-line block ×34, first 2 shown]
	s_set_gpr_idx_on s0, gpr_idx(DST)
	v_mov_b32_e32 v16, v14
	v_mov_b32_e32 v17, v15
	s_set_gpr_idx_off
	v_mov_b32_e32 v2, v16
	v_mov_b32_e32 v3, v17
	;; [unrolled: 1-line block ×32, first 2 shown]
.LBB79_135:
	v_mov_b32_e32 v0, 0
	global_load_dword v1, v0, s[44:45] offset:20
	s_waitcnt vmcnt(0)
	v_readfirstlane_b32 s0, v1
	s_add_i32 s0, s0, -1
	s_cmp_eq_u32 s0, 5
	s_cbranch_scc1 .LBB79_137
; %bb.136:
	s_lshl_b32 s0, s0, 1
	s_set_gpr_idx_on s0, gpr_idx(SRC0)
	v_mov_b32_e32 v1, v3
	v_mov_b32_e32 v46, v2
	s_set_gpr_idx_off
	v_mov_b32_e32 v45, v33
	v_mov_b32_e32 v44, v32
	;; [unrolled: 1-line block ×34, first 2 shown]
	s_set_gpr_idx_on s0, gpr_idx(DST)
	v_mov_b32_e32 v14, v12
	v_mov_b32_e32 v15, v13
	s_set_gpr_idx_off
	v_mov_b32_e32 v2, v14
	v_mov_b32_e32 v3, v15
	;; [unrolled: 1-line block ×32, first 2 shown]
.LBB79_137:
	global_load_dword v0, v0, s[44:45] offset:16
	s_waitcnt vmcnt(0)
	v_readfirstlane_b32 s0, v0
	s_add_i32 s0, s0, -1
	s_cmp_eq_u32 s0, 4
	s_cbranch_scc1 .LBB79_139
; %bb.138:
	s_lshl_b32 s0, s0, 1
	s_set_gpr_idx_on s0, gpr_idx(SRC0)
	v_mov_b32_e32 v0, v3
	v_mov_b32_e32 v1, v2
	s_set_gpr_idx_off
	v_mov_b32_e32 v43, v33
	v_mov_b32_e32 v42, v32
	v_mov_b32_e32 v41, v31
	v_mov_b32_e32 v40, v30
	v_mov_b32_e32 v39, v29
	v_mov_b32_e32 v38, v28
	v_mov_b32_e32 v37, v27
	v_mov_b32_e32 v36, v26
	v_mov_b32_e32 v35, v25
	v_mov_b32_e32 v34, v24
	v_mov_b32_e32 v33, v23
	v_mov_b32_e32 v32, v22
	v_mov_b32_e32 v31, v21
	v_mov_b32_e32 v30, v20
	v_mov_b32_e32 v29, v19
	v_mov_b32_e32 v28, v18
	v_mov_b32_e32 v27, v17
	v_mov_b32_e32 v26, v16
	v_mov_b32_e32 v25, v15
	v_mov_b32_e32 v24, v14
	v_mov_b32_e32 v23, v13
	v_mov_b32_e32 v22, v12
	v_mov_b32_e32 v21, v11
	v_mov_b32_e32 v20, v10
	v_mov_b32_e32 v19, v9
	v_mov_b32_e32 v18, v8
	v_mov_b32_e32 v17, v7
	v_mov_b32_e32 v16, v6
	v_mov_b32_e32 v15, v5
	v_mov_b32_e32 v14, v4
	v_mov_b32_e32 v13, v3
	v_mov_b32_e32 v12, v2
	v_mov_b32_e32 v20, v1
	v_mov_b32_e32 v21, v0
	s_set_gpr_idx_on s0, gpr_idx(DST)
	v_mov_b32_e32 v12, v10
	v_mov_b32_e32 v13, v11
	s_set_gpr_idx_off
	v_mov_b32_e32 v2, v12
	v_mov_b32_e32 v3, v13
	;; [unrolled: 1-line block ×32, first 2 shown]
.LBB79_139:
	v_mov_b32_e32 v0, 0
	global_load_dword v1, v0, s[44:45] offset:12
	s_waitcnt vmcnt(0)
	v_readfirstlane_b32 s0, v1
	s_add_i32 s0, s0, -1
	s_cmp_eq_u32 s0, 3
	s_cbranch_scc1 .LBB79_141
; %bb.140:
	s_lshl_b32 s0, s0, 1
	s_set_gpr_idx_on s0, gpr_idx(SRC0)
	v_mov_b32_e32 v1, v3
	v_mov_b32_e32 v42, v2
	s_set_gpr_idx_off
	v_mov_b32_e32 v41, v33
	v_mov_b32_e32 v40, v32
	;; [unrolled: 1-line block ×34, first 2 shown]
	s_set_gpr_idx_on s0, gpr_idx(DST)
	v_mov_b32_e32 v10, v8
	v_mov_b32_e32 v11, v9
	s_set_gpr_idx_off
	v_mov_b32_e32 v2, v10
	v_mov_b32_e32 v3, v11
	;; [unrolled: 1-line block ×32, first 2 shown]
.LBB79_141:
	global_load_dword v0, v0, s[44:45] offset:8
	s_waitcnt vmcnt(0)
	v_readfirstlane_b32 s0, v0
	s_add_i32 s0, s0, -1
	s_cmp_eq_u32 s0, 2
	s_cbranch_scc1 .LBB79_143
; %bb.142:
	s_lshl_b32 s0, s0, 1
	s_set_gpr_idx_on s0, gpr_idx(SRC0)
	v_mov_b32_e32 v0, v3
	v_mov_b32_e32 v1, v2
	s_set_gpr_idx_off
	v_mov_b32_e32 v39, v33
	v_mov_b32_e32 v38, v32
	;; [unrolled: 1-line block ×34, first 2 shown]
	s_set_gpr_idx_on s0, gpr_idx(DST)
	v_mov_b32_e32 v8, v6
	v_mov_b32_e32 v9, v7
	s_set_gpr_idx_off
	v_mov_b32_e32 v2, v8
	v_mov_b32_e32 v3, v9
	;; [unrolled: 1-line block ×32, first 2 shown]
.LBB79_143:
	v_mov_b32_e32 v0, 0
	global_load_dword v1, v0, s[44:45] offset:4
	s_waitcnt vmcnt(0)
	v_readfirstlane_b32 s0, v1
	s_add_i32 s0, s0, -1
	s_cmp_eq_u32 s0, 1
	s_cbranch_scc1 .LBB79_145
; %bb.144:
	s_lshl_b32 s0, s0, 1
	s_set_gpr_idx_on s0, gpr_idx(SRC0)
	v_mov_b32_e32 v1, v3
	v_mov_b32_e32 v38, v2
	s_set_gpr_idx_off
	v_mov_b32_e32 v37, v33
	v_mov_b32_e32 v36, v32
	;; [unrolled: 1-line block ×34, first 2 shown]
	s_set_gpr_idx_on s0, gpr_idx(DST)
	v_mov_b32_e32 v6, v4
	v_mov_b32_e32 v7, v5
	s_set_gpr_idx_off
	v_mov_b32_e32 v2, v6
	v_mov_b32_e32 v3, v7
	;; [unrolled: 1-line block ×32, first 2 shown]
.LBB79_145:
	global_load_dword v0, v0, s[44:45]
	s_waitcnt vmcnt(0)
	v_readfirstlane_b32 s0, v0
	s_add_i32 s0, s0, -1
	s_cmp_eq_u32 s0, 0
	s_cbranch_scc1 .LBB79_147
; %bb.146:
	s_lshl_b32 s0, s0, 1
	s_set_gpr_idx_on s0, gpr_idx(SRC0)
	v_mov_b32_e32 v0, v3
	v_mov_b32_e32 v1, v2
	s_set_gpr_idx_off
	v_mov_b32_e32 v35, v33
	v_mov_b32_e32 v34, v32
	;; [unrolled: 1-line block ×34, first 2 shown]
	s_set_gpr_idx_on s0, gpr_idx(DST)
	v_mov_b32_e32 v4, v2
	v_mov_b32_e32 v5, v3
	s_set_gpr_idx_off
	v_mov_b32_e32 v2, v4
	v_mov_b32_e32 v3, v5
	;; [unrolled: 1-line block ×32, first 2 shown]
.LBB79_147:
	flat_store_dwordx2 v[92:93], v[2:3]
	flat_store_dwordx2 v[94:95], v[4:5]
	flat_store_dwordx2 v[64:65], v[6:7]
	flat_store_dwordx2 v[66:67], v[8:9]
	flat_store_dwordx2 v[68:69], v[10:11]
	flat_store_dwordx2 v[70:71], v[12:13]
	flat_store_dwordx2 v[72:73], v[14:15]
	flat_store_dwordx2 v[74:75], v[16:17]
	flat_store_dwordx2 v[76:77], v[18:19]
	flat_store_dwordx2 v[78:79], v[20:21]
	flat_store_dwordx2 v[80:81], v[22:23]
	flat_store_dwordx2 v[82:83], v[24:25]
	flat_store_dwordx2 v[84:85], v[26:27]
	flat_store_dwordx2 v[86:87], v[28:29]
	flat_store_dwordx2 v[88:89], v[30:31]
	flat_store_dwordx2 v[90:91], v[32:33]
	s_endpgm
	.section	.rodata,"a",@progbits
	.p2align	6, 0x0
	.amdhsa_kernel _ZN9rocsolver6v33100L18getri_kernel_smallILi16EdPKPdEEvT1_iilPiilS6_bb
		.amdhsa_group_segment_fixed_size 264
		.amdhsa_private_segment_fixed_size 0
		.amdhsa_kernarg_size 60
		.amdhsa_user_sgpr_count 6
		.amdhsa_user_sgpr_private_segment_buffer 1
		.amdhsa_user_sgpr_dispatch_ptr 0
		.amdhsa_user_sgpr_queue_ptr 0
		.amdhsa_user_sgpr_kernarg_segment_ptr 1
		.amdhsa_user_sgpr_dispatch_id 0
		.amdhsa_user_sgpr_flat_scratch_init 0
		.amdhsa_user_sgpr_private_segment_size 0
		.amdhsa_uses_dynamic_stack 0
		.amdhsa_system_sgpr_private_segment_wavefront_offset 0
		.amdhsa_system_sgpr_workgroup_id_x 1
		.amdhsa_system_sgpr_workgroup_id_y 0
		.amdhsa_system_sgpr_workgroup_id_z 0
		.amdhsa_system_sgpr_workgroup_info 0
		.amdhsa_system_vgpr_workitem_id 0
		.amdhsa_next_free_vgpr 96
		.amdhsa_next_free_sgpr 54
		.amdhsa_reserve_vcc 1
		.amdhsa_reserve_flat_scratch 0
		.amdhsa_float_round_mode_32 0
		.amdhsa_float_round_mode_16_64 0
		.amdhsa_float_denorm_mode_32 3
		.amdhsa_float_denorm_mode_16_64 3
		.amdhsa_dx10_clamp 1
		.amdhsa_ieee_mode 1
		.amdhsa_fp16_overflow 0
		.amdhsa_exception_fp_ieee_invalid_op 0
		.amdhsa_exception_fp_denorm_src 0
		.amdhsa_exception_fp_ieee_div_zero 0
		.amdhsa_exception_fp_ieee_overflow 0
		.amdhsa_exception_fp_ieee_underflow 0
		.amdhsa_exception_fp_ieee_inexact 0
		.amdhsa_exception_int_div_zero 0
	.end_amdhsa_kernel
	.section	.text._ZN9rocsolver6v33100L18getri_kernel_smallILi16EdPKPdEEvT1_iilPiilS6_bb,"axG",@progbits,_ZN9rocsolver6v33100L18getri_kernel_smallILi16EdPKPdEEvT1_iilPiilS6_bb,comdat
.Lfunc_end79:
	.size	_ZN9rocsolver6v33100L18getri_kernel_smallILi16EdPKPdEEvT1_iilPiilS6_bb, .Lfunc_end79-_ZN9rocsolver6v33100L18getri_kernel_smallILi16EdPKPdEEvT1_iilPiilS6_bb
                                        ; -- End function
	.set _ZN9rocsolver6v33100L18getri_kernel_smallILi16EdPKPdEEvT1_iilPiilS6_bb.num_vgpr, 96
	.set _ZN9rocsolver6v33100L18getri_kernel_smallILi16EdPKPdEEvT1_iilPiilS6_bb.num_agpr, 0
	.set _ZN9rocsolver6v33100L18getri_kernel_smallILi16EdPKPdEEvT1_iilPiilS6_bb.numbered_sgpr, 54
	.set _ZN9rocsolver6v33100L18getri_kernel_smallILi16EdPKPdEEvT1_iilPiilS6_bb.num_named_barrier, 0
	.set _ZN9rocsolver6v33100L18getri_kernel_smallILi16EdPKPdEEvT1_iilPiilS6_bb.private_seg_size, 0
	.set _ZN9rocsolver6v33100L18getri_kernel_smallILi16EdPKPdEEvT1_iilPiilS6_bb.uses_vcc, 1
	.set _ZN9rocsolver6v33100L18getri_kernel_smallILi16EdPKPdEEvT1_iilPiilS6_bb.uses_flat_scratch, 0
	.set _ZN9rocsolver6v33100L18getri_kernel_smallILi16EdPKPdEEvT1_iilPiilS6_bb.has_dyn_sized_stack, 0
	.set _ZN9rocsolver6v33100L18getri_kernel_smallILi16EdPKPdEEvT1_iilPiilS6_bb.has_recursion, 0
	.set _ZN9rocsolver6v33100L18getri_kernel_smallILi16EdPKPdEEvT1_iilPiilS6_bb.has_indirect_call, 0
	.section	.AMDGPU.csdata,"",@progbits
; Kernel info:
; codeLenInByte = 21908
; TotalNumSgprs: 58
; NumVgprs: 96
; ScratchSize: 0
; MemoryBound: 0
; FloatMode: 240
; IeeeMode: 1
; LDSByteSize: 264 bytes/workgroup (compile time only)
; SGPRBlocks: 7
; VGPRBlocks: 23
; NumSGPRsForWavesPerEU: 58
; NumVGPRsForWavesPerEU: 96
; Occupancy: 2
; WaveLimiterHint : 1
; COMPUTE_PGM_RSRC2:SCRATCH_EN: 0
; COMPUTE_PGM_RSRC2:USER_SGPR: 6
; COMPUTE_PGM_RSRC2:TRAP_HANDLER: 0
; COMPUTE_PGM_RSRC2:TGID_X_EN: 1
; COMPUTE_PGM_RSRC2:TGID_Y_EN: 0
; COMPUTE_PGM_RSRC2:TGID_Z_EN: 0
; COMPUTE_PGM_RSRC2:TIDIG_COMP_CNT: 0
	.section	.text._ZN9rocsolver6v33100L18getri_kernel_smallILi17EdPKPdEEvT1_iilPiilS6_bb,"axG",@progbits,_ZN9rocsolver6v33100L18getri_kernel_smallILi17EdPKPdEEvT1_iilPiilS6_bb,comdat
	.globl	_ZN9rocsolver6v33100L18getri_kernel_smallILi17EdPKPdEEvT1_iilPiilS6_bb ; -- Begin function _ZN9rocsolver6v33100L18getri_kernel_smallILi17EdPKPdEEvT1_iilPiilS6_bb
	.p2align	8
	.type	_ZN9rocsolver6v33100L18getri_kernel_smallILi17EdPKPdEEvT1_iilPiilS6_bb,@function
_ZN9rocsolver6v33100L18getri_kernel_smallILi17EdPKPdEEvT1_iilPiilS6_bb: ; @_ZN9rocsolver6v33100L18getri_kernel_smallILi17EdPKPdEEvT1_iilPiilS6_bb
; %bb.0:
	s_add_u32 s0, s0, s7
	s_addc_u32 s1, s1, 0
	v_cmp_gt_u32_e32 vcc, 17, v0
	s_and_saveexec_b64 s[8:9], vcc
	s_cbranch_execz .LBB80_76
; %bb.1:
	s_load_dword s18, s[4:5], 0x38
	s_load_dwordx2 s[12:13], s[4:5], 0x0
	s_load_dwordx4 s[8:11], s[4:5], 0x28
	s_waitcnt lgkmcnt(0)
	s_bitcmp1_b32 s18, 8
	s_cselect_b64 s[14:15], -1, 0
	s_ashr_i32 s7, s6, 31
	s_lshl_b64 s[16:17], s[6:7], 3
	s_add_u32 s12, s12, s16
	s_addc_u32 s13, s13, s17
	s_load_dwordx2 s[16:17], s[12:13], 0x0
	s_bfe_u32 s12, s18, 0x10008
	s_cmp_eq_u32 s12, 0
                                        ; implicit-def: $sgpr12_sgpr13
	s_cbranch_scc1 .LBB80_3
; %bb.2:
	s_load_dword s12, s[4:5], 0x20
	s_load_dwordx2 s[18:19], s[4:5], 0x18
	s_mul_i32 s13, s8, s7
	s_mul_hi_u32 s20, s8, s6
	s_add_i32 s20, s20, s13
	s_mul_i32 s9, s9, s6
	s_add_i32 s9, s20, s9
	s_mul_i32 s8, s8, s6
	s_waitcnt lgkmcnt(0)
	s_ashr_i32 s13, s12, 31
	s_lshl_b64 s[8:9], s[8:9], 2
	s_add_u32 s18, s18, s8
	s_addc_u32 s19, s19, s9
	s_lshl_b64 s[8:9], s[12:13], 2
	s_add_u32 s12, s18, s8
	s_addc_u32 s13, s19, s9
.LBB80_3:
	s_load_dwordx2 s[8:9], s[4:5], 0x8
	s_load_dword s18, s[4:5], 0x38
	v_lshlrev_b32_e32 v37, 3, v0
	s_waitcnt lgkmcnt(0)
	s_ashr_i32 s5, s8, 31
	s_mov_b32 s4, s8
	s_lshl_b64 s[4:5], s[4:5], 3
	s_add_u32 s8, s16, s4
	s_addc_u32 s16, s17, s5
	v_mov_b32_e32 v2, s16
	v_add_co_u32_e32 v1, vcc, s8, v37
	v_addc_co_u32_e32 v2, vcc, 0, v2, vcc
	flat_load_dwordx2 v[5:6], v[1:2]
	s_mov_b32 s4, s9
	s_ashr_i32 s5, s9, 31
	s_lshl_b64 s[4:5], s[4:5], 3
	v_mov_b32_e32 v4, s5
	v_add_co_u32_e32 v3, vcc, s4, v1
	v_addc_co_u32_e32 v4, vcc, v2, v4, vcc
	s_add_i32 s4, s9, s9
	v_add_u32_e32 v9, s4, v0
	v_ashrrev_i32_e32 v10, 31, v9
	v_mov_b32_e32 v11, s16
	v_add_u32_e32 v12, s9, v9
	v_ashrrev_i32_e32 v13, 31, v12
	v_mov_b32_e32 v14, s16
	v_mov_b32_e32 v15, s16
	;; [unrolled: 1-line block ×13, first 2 shown]
	s_bitcmp0_b32 s18, 0
	s_waitcnt vmcnt(0) lgkmcnt(0)
	buffer_store_dword v6, off, s[0:3], 0 offset:4
	buffer_store_dword v5, off, s[0:3], 0
	flat_load_dwordx2 v[7:8], v[3:4]
	v_lshlrev_b64 v[5:6], 3, v[9:10]
	s_waitcnt vmcnt(0) lgkmcnt(0)
	buffer_store_dword v8, off, s[0:3], 0 offset:12
	buffer_store_dword v7, off, s[0:3], 0 offset:8
	v_add_co_u32_e32 v5, vcc, s8, v5
	v_addc_co_u32_e32 v6, vcc, v11, v6, vcc
	flat_load_dwordx2 v[10:11], v[5:6]
	v_lshlrev_b64 v[7:8], 3, v[12:13]
	s_waitcnt vmcnt(0) lgkmcnt(0)
	buffer_store_dword v11, off, s[0:3], 0 offset:20
	buffer_store_dword v10, off, s[0:3], 0 offset:16
	v_add_co_u32_e32 v7, vcc, s8, v7
	v_addc_co_u32_e32 v8, vcc, v14, v8, vcc
	flat_load_dwordx2 v[13:14], v[7:8]
	v_add_u32_e32 v11, s9, v12
	v_ashrrev_i32_e32 v12, 31, v11
	v_lshlrev_b64 v[9:10], 3, v[11:12]
	s_waitcnt vmcnt(0) lgkmcnt(0)
	buffer_store_dword v14, off, s[0:3], 0 offset:28
	buffer_store_dword v13, off, s[0:3], 0 offset:24
	v_add_co_u32_e32 v9, vcc, s8, v9
	v_addc_co_u32_e32 v10, vcc, v15, v10, vcc
	flat_load_dwordx2 v[13:14], v[9:10]
	v_add_u32_e32 v15, s9, v11
	v_ashrrev_i32_e32 v16, 31, v15
	v_lshlrev_b64 v[11:12], 3, v[15:16]
	v_add_u32_e32 v18, s9, v15
	v_add_co_u32_e32 v11, vcc, s8, v11
	v_addc_co_u32_e32 v12, vcc, v17, v12, vcc
	v_ashrrev_i32_e32 v19, 31, v18
	s_waitcnt vmcnt(0) lgkmcnt(0)
	buffer_store_dword v14, off, s[0:3], 0 offset:36
	buffer_store_dword v13, off, s[0:3], 0 offset:32
	flat_load_dwordx2 v[16:17], v[11:12]
	v_lshlrev_b64 v[13:14], 3, v[18:19]
	s_waitcnt vmcnt(0) lgkmcnt(0)
	buffer_store_dword v17, off, s[0:3], 0 offset:44
	buffer_store_dword v16, off, s[0:3], 0 offset:40
	v_add_co_u32_e32 v13, vcc, s8, v13
	v_addc_co_u32_e32 v14, vcc, v20, v14, vcc
	flat_load_dwordx2 v[19:20], v[13:14]
	v_add_u32_e32 v17, s9, v18
	v_ashrrev_i32_e32 v18, 31, v17
	v_lshlrev_b64 v[15:16], 3, v[17:18]
	s_waitcnt vmcnt(0) lgkmcnt(0)
	buffer_store_dword v20, off, s[0:3], 0 offset:52
	buffer_store_dword v19, off, s[0:3], 0 offset:48
	v_add_co_u32_e32 v15, vcc, s8, v15
	v_addc_co_u32_e32 v16, vcc, v21, v16, vcc
	flat_load_dwordx2 v[19:20], v[15:16]
	v_add_u32_e32 v21, s9, v17
	v_ashrrev_i32_e32 v22, 31, v21
	v_lshlrev_b64 v[17:18], 3, v[21:22]
	v_add_u32_e32 v24, s9, v21
	v_add_co_u32_e32 v17, vcc, s8, v17
	v_addc_co_u32_e32 v18, vcc, v23, v18, vcc
	v_ashrrev_i32_e32 v25, 31, v24
	s_waitcnt vmcnt(0) lgkmcnt(0)
	buffer_store_dword v20, off, s[0:3], 0 offset:60
	buffer_store_dword v19, off, s[0:3], 0 offset:56
	flat_load_dwordx2 v[22:23], v[17:18]
	v_lshlrev_b64 v[19:20], 3, v[24:25]
	s_waitcnt vmcnt(0) lgkmcnt(0)
	buffer_store_dword v23, off, s[0:3], 0 offset:68
	buffer_store_dword v22, off, s[0:3], 0 offset:64
	v_add_co_u32_e32 v19, vcc, s8, v19
	v_addc_co_u32_e32 v20, vcc, v26, v20, vcc
	flat_load_dwordx2 v[25:26], v[19:20]
	v_add_u32_e32 v23, s9, v24
	v_ashrrev_i32_e32 v24, 31, v23
	v_lshlrev_b64 v[21:22], 3, v[23:24]
	s_waitcnt vmcnt(0) lgkmcnt(0)
	buffer_store_dword v26, off, s[0:3], 0 offset:76
	buffer_store_dword v25, off, s[0:3], 0 offset:72
	v_add_co_u32_e32 v21, vcc, s8, v21
	v_addc_co_u32_e32 v22, vcc, v27, v22, vcc
	flat_load_dwordx2 v[25:26], v[21:22]
	v_add_u32_e32 v27, s9, v23
	v_ashrrev_i32_e32 v28, 31, v27
	v_lshlrev_b64 v[23:24], 3, v[27:28]
	v_add_u32_e32 v30, s9, v27
	v_add_co_u32_e32 v23, vcc, s8, v23
	v_addc_co_u32_e32 v24, vcc, v29, v24, vcc
	v_ashrrev_i32_e32 v31, 31, v30
	s_waitcnt vmcnt(0) lgkmcnt(0)
	buffer_store_dword v26, off, s[0:3], 0 offset:84
	buffer_store_dword v25, off, s[0:3], 0 offset:80
	flat_load_dwordx2 v[28:29], v[23:24]
	v_lshlrev_b64 v[25:26], 3, v[30:31]
	s_waitcnt vmcnt(0) lgkmcnt(0)
	buffer_store_dword v29, off, s[0:3], 0 offset:92
	buffer_store_dword v28, off, s[0:3], 0 offset:88
	v_add_co_u32_e32 v25, vcc, s8, v25
	v_addc_co_u32_e32 v26, vcc, v32, v26, vcc
	flat_load_dwordx2 v[31:32], v[25:26]
	v_add_u32_e32 v29, s9, v30
	v_ashrrev_i32_e32 v30, 31, v29
	v_lshlrev_b64 v[27:28], 3, v[29:30]
	s_waitcnt vmcnt(0) lgkmcnt(0)
	buffer_store_dword v32, off, s[0:3], 0 offset:100
	buffer_store_dword v31, off, s[0:3], 0 offset:96
	v_add_co_u32_e32 v27, vcc, s8, v27
	v_addc_co_u32_e32 v28, vcc, v33, v28, vcc
	flat_load_dwordx2 v[31:32], v[27:28]
	v_add_u32_e32 v33, s9, v29
	v_ashrrev_i32_e32 v34, 31, v33
	v_lshlrev_b64 v[29:30], 3, v[33:34]
	v_add_u32_e32 v38, s9, v33
	v_add_co_u32_e32 v29, vcc, s8, v29
	v_addc_co_u32_e32 v30, vcc, v35, v30, vcc
	v_ashrrev_i32_e32 v39, 31, v38
	v_add_u32_e32 v33, s9, v38
	s_waitcnt vmcnt(0) lgkmcnt(0)
	buffer_store_dword v32, off, s[0:3], 0 offset:108
	buffer_store_dword v31, off, s[0:3], 0 offset:104
	flat_load_dwordx2 v[34:35], v[29:30]
	v_lshlrev_b64 v[31:32], 3, v[38:39]
	v_mov_b32_e32 v39, s16
	v_add_co_u32_e32 v31, vcc, s8, v31
	v_addc_co_u32_e32 v32, vcc, v36, v32, vcc
	s_waitcnt vmcnt(0) lgkmcnt(0)
	buffer_store_dword v35, off, s[0:3], 0 offset:116
	buffer_store_dword v34, off, s[0:3], 0 offset:112
	flat_load_dwordx2 v[35:36], v[31:32]
	v_ashrrev_i32_e32 v34, 31, v33
	v_lshlrev_b64 v[33:34], 3, v[33:34]
	s_waitcnt vmcnt(0) lgkmcnt(0)
	buffer_store_dword v36, off, s[0:3], 0 offset:124
	buffer_store_dword v35, off, s[0:3], 0 offset:120
	v_add_co_u32_e32 v33, vcc, s8, v33
	v_addc_co_u32_e32 v34, vcc, v39, v34, vcc
	flat_load_dwordx2 v[35:36], v[33:34]
	s_mov_b64 s[8:9], -1
	s_waitcnt vmcnt(0) lgkmcnt(0)
	buffer_store_dword v36, off, s[0:3], 0 offset:132
	buffer_store_dword v35, off, s[0:3], 0 offset:128
	s_cbranch_scc1 .LBB80_74
; %bb.4:
	v_cmp_eq_u32_e64 s[4:5], 0, v0
	s_and_saveexec_b64 s[8:9], s[4:5]
; %bb.5:
	v_mov_b32_e32 v35, 0
	ds_write_b32 v35, v35 offset:136
; %bb.6:
	s_or_b64 exec, exec, s[8:9]
	v_mov_b32_e32 v35, 0
	v_lshl_add_u32 v35, v0, 3, v35
	s_waitcnt lgkmcnt(0)
	; wave barrier
	buffer_load_dword v38, v35, s[0:3], 0 offen
	buffer_load_dword v39, v35, s[0:3], 0 offen offset:4
	s_waitcnt vmcnt(0)
	v_cmp_eq_f64_e32 vcc, 0, v[38:39]
	s_and_saveexec_b64 s[16:17], vcc
	s_cbranch_execz .LBB80_10
; %bb.7:
	v_mov_b32_e32 v36, 0
	ds_read_b32 v39, v36 offset:136
	v_add_u32_e32 v38, 1, v0
	s_waitcnt lgkmcnt(0)
	v_readfirstlane_b32 s8, v39
	s_cmp_eq_u32 s8, 0
	s_cselect_b64 s[18:19], -1, 0
	v_cmp_gt_i32_e32 vcc, s8, v38
	s_or_b64 s[18:19], s[18:19], vcc
	s_and_b64 exec, exec, s[18:19]
	s_cbranch_execz .LBB80_10
; %bb.8:
	s_mov_b64 s[18:19], 0
	v_mov_b32_e32 v39, s8
.LBB80_9:                               ; =>This Inner Loop Header: Depth=1
	ds_cmpst_rtn_b32 v39, v36, v39, v38 offset:136
	s_waitcnt lgkmcnt(0)
	v_cmp_ne_u32_e32 vcc, 0, v39
	v_cmp_le_i32_e64 s[8:9], v39, v38
	s_and_b64 s[8:9], vcc, s[8:9]
	s_and_b64 s[8:9], exec, s[8:9]
	s_or_b64 s[18:19], s[8:9], s[18:19]
	s_andn2_b64 exec, exec, s[18:19]
	s_cbranch_execnz .LBB80_9
.LBB80_10:
	s_or_b64 exec, exec, s[16:17]
	v_mov_b32_e32 v38, 0
	; wave barrier
	ds_read_b32 v36, v38 offset:136
	s_and_saveexec_b64 s[8:9], s[4:5]
	s_cbranch_execz .LBB80_12
; %bb.11:
	s_lshl_b64 s[16:17], s[6:7], 2
	s_add_u32 s16, s10, s16
	s_addc_u32 s17, s11, s17
	s_waitcnt lgkmcnt(0)
	global_store_dword v38, v36, s[16:17]
.LBB80_12:
	s_or_b64 exec, exec, s[8:9]
	s_waitcnt lgkmcnt(0)
	v_cmp_ne_u32_e32 vcc, 0, v36
	s_mov_b64 s[8:9], 0
	s_cbranch_vccnz .LBB80_74
; %bb.13:
	buffer_load_dword v38, v35, s[0:3], 0 offen
	buffer_load_dword v39, v35, s[0:3], 0 offen offset:4
	s_waitcnt vmcnt(0)
	v_div_scale_f64 v[40:41], s[8:9], v[38:39], v[38:39], 1.0
	v_rcp_f64_e32 v[42:43], v[40:41]
	v_fma_f64 v[44:45], -v[40:41], v[42:43], 1.0
	v_fma_f64 v[42:43], v[42:43], v[44:45], v[42:43]
	v_div_scale_f64 v[44:45], vcc, 1.0, v[38:39], 1.0
	v_fma_f64 v[46:47], -v[40:41], v[42:43], 1.0
	v_fma_f64 v[42:43], v[42:43], v[46:47], v[42:43]
	v_mul_f64 v[46:47], v[44:45], v[42:43]
	v_fma_f64 v[40:41], -v[40:41], v[46:47], v[44:45]
	v_div_fmas_f64 v[40:41], v[40:41], v[42:43], v[46:47]
	v_div_fixup_f64 v[39:40], v[40:41], v[38:39], 1.0
	v_add_u32_e32 v38, 0x90, v37
	buffer_store_dword v40, v35, s[0:3], 0 offen offset:4
	buffer_store_dword v39, v35, s[0:3], 0 offen
	buffer_load_dword v42, off, s[0:3], 0 offset:12
	buffer_load_dword v41, off, s[0:3], 0 offset:8
	v_xor_b32_e32 v40, 0x80000000, v40
	s_waitcnt vmcnt(0)
	ds_write2_b64 v37, v[39:40], v[41:42] offset1:18
	s_waitcnt lgkmcnt(0)
	; wave barrier
	s_and_saveexec_b64 s[8:9], s[4:5]
	s_cbranch_execz .LBB80_15
; %bb.14:
	buffer_load_dword v39, v35, s[0:3], 0 offen
	buffer_load_dword v40, v35, s[0:3], 0 offen offset:4
	ds_read_b64 v[41:42], v38
	v_mov_b32_e32 v36, 0
	ds_read_b64 v[43:44], v36 offset:8
	s_waitcnt vmcnt(0) lgkmcnt(1)
	v_fma_f64 v[39:40], v[39:40], v[41:42], 0
	s_waitcnt lgkmcnt(0)
	v_mul_f64 v[39:40], v[39:40], v[43:44]
	buffer_store_dword v39, off, s[0:3], 0 offset:8
	buffer_store_dword v40, off, s[0:3], 0 offset:12
.LBB80_15:
	s_or_b64 exec, exec, s[8:9]
	; wave barrier
	buffer_load_dword v39, off, s[0:3], 0 offset:16
	buffer_load_dword v40, off, s[0:3], 0 offset:20
	v_cmp_gt_u32_e32 vcc, 2, v0
	s_waitcnt vmcnt(0)
	ds_write_b64 v38, v[39:40]
	s_waitcnt lgkmcnt(0)
	; wave barrier
	s_and_saveexec_b64 s[8:9], vcc
	s_cbranch_execz .LBB80_17
; %bb.16:
	buffer_load_dword v39, v35, s[0:3], 0 offen
	buffer_load_dword v40, v35, s[0:3], 0 offen offset:4
                                        ; kill: killed $vgpr35
	s_nop 0
	buffer_load_dword v35, off, s[0:3], 0 offset:8
	buffer_load_dword v36, off, s[0:3], 0 offset:12
	ds_read_b64 v[41:42], v38
	s_waitcnt vmcnt(2) lgkmcnt(0)
	v_fma_f64 v[43:44], v[39:40], v[41:42], 0
	v_mov_b32_e32 v39, 0
	ds_read2_b64 v[39:42], v39 offset0:2 offset1:19
	s_waitcnt vmcnt(0) lgkmcnt(0)
	v_fma_f64 v[35:36], v[35:36], v[41:42], v[43:44]
	v_cndmask_b32_e64 v36, v44, v36, s[4:5]
	v_cndmask_b32_e64 v35, v43, v35, s[4:5]
	v_mul_f64 v[35:36], v[35:36], v[39:40]
	buffer_store_dword v36, off, s[0:3], 0 offset:20
	buffer_store_dword v35, off, s[0:3], 0 offset:16
.LBB80_17:
	s_or_b64 exec, exec, s[8:9]
	; wave barrier
	buffer_load_dword v35, off, s[0:3], 0 offset:24
	buffer_load_dword v36, off, s[0:3], 0 offset:28
	v_cmp_gt_u32_e32 vcc, 3, v0
	v_add_u32_e32 v39, -1, v0
	s_waitcnt vmcnt(0)
	ds_write_b64 v38, v[35:36]
	s_waitcnt lgkmcnt(0)
	; wave barrier
	s_and_saveexec_b64 s[4:5], vcc
	s_cbranch_execz .LBB80_21
; %bb.18:
	v_mov_b32_e32 v35, 0
	v_add_u32_e32 v40, -1, v0
	v_add_u32_e32 v41, 0x90, v37
	v_mov_b32_e32 v42, v37
	v_mov_b32_e32 v36, 0
	s_mov_b64 s[8:9], 0
.LBB80_19:                              ; =>This Inner Loop Header: Depth=1
	buffer_load_dword v43, v42, s[0:3], 0 offen
	buffer_load_dword v44, v42, s[0:3], 0 offen offset:4
	ds_read_b64 v[45:46], v41
	v_add_u32_e32 v40, 1, v40
	v_cmp_lt_u32_e32 vcc, 1, v40
	v_add_u32_e32 v41, 8, v41
	s_or_b64 s[8:9], vcc, s[8:9]
	v_add_u32_e32 v42, 8, v42
	s_waitcnt vmcnt(0) lgkmcnt(0)
	v_fma_f64 v[35:36], v[43:44], v[45:46], v[35:36]
	s_andn2_b64 exec, exec, s[8:9]
	s_cbranch_execnz .LBB80_19
; %bb.20:
	s_or_b64 exec, exec, s[8:9]
	v_mov_b32_e32 v40, 0
	ds_read_b64 v[40:41], v40 offset:24
	s_waitcnt lgkmcnt(0)
	v_mul_f64 v[35:36], v[35:36], v[40:41]
	buffer_store_dword v36, off, s[0:3], 0 offset:28
	buffer_store_dword v35, off, s[0:3], 0 offset:24
.LBB80_21:
	s_or_b64 exec, exec, s[4:5]
	; wave barrier
	buffer_load_dword v35, off, s[0:3], 0 offset:32
	buffer_load_dword v36, off, s[0:3], 0 offset:36
	v_cmp_gt_u32_e32 vcc, 4, v0
	s_waitcnt vmcnt(0)
	ds_write_b64 v38, v[35:36]
	s_waitcnt lgkmcnt(0)
	; wave barrier
	s_and_saveexec_b64 s[4:5], vcc
	s_cbranch_execz .LBB80_25
; %bb.22:
	v_mov_b32_e32 v35, 0
	v_add_u32_e32 v40, -1, v0
	v_add_u32_e32 v41, 0x90, v37
	v_mov_b32_e32 v42, v37
	v_mov_b32_e32 v36, 0
	s_mov_b64 s[8:9], 0
.LBB80_23:                              ; =>This Inner Loop Header: Depth=1
	buffer_load_dword v43, v42, s[0:3], 0 offen
	buffer_load_dword v44, v42, s[0:3], 0 offen offset:4
	ds_read_b64 v[45:46], v41
	v_add_u32_e32 v40, 1, v40
	v_cmp_lt_u32_e32 vcc, 2, v40
	v_add_u32_e32 v41, 8, v41
	s_or_b64 s[8:9], vcc, s[8:9]
	v_add_u32_e32 v42, 8, v42
	s_waitcnt vmcnt(0) lgkmcnt(0)
	v_fma_f64 v[35:36], v[43:44], v[45:46], v[35:36]
	s_andn2_b64 exec, exec, s[8:9]
	s_cbranch_execnz .LBB80_23
; %bb.24:
	s_or_b64 exec, exec, s[8:9]
	v_mov_b32_e32 v40, 0
	ds_read_b64 v[40:41], v40 offset:32
	s_waitcnt lgkmcnt(0)
	v_mul_f64 v[35:36], v[35:36], v[40:41]
	buffer_store_dword v36, off, s[0:3], 0 offset:36
	buffer_store_dword v35, off, s[0:3], 0 offset:32
.LBB80_25:
	s_or_b64 exec, exec, s[4:5]
	; wave barrier
	buffer_load_dword v35, off, s[0:3], 0 offset:40
	buffer_load_dword v36, off, s[0:3], 0 offset:44
	v_cmp_gt_u32_e32 vcc, 5, v0
	;; [unrolled: 40-line block ×12, first 2 shown]
	s_waitcnt vmcnt(0)
	ds_write_b64 v38, v[35:36]
	s_waitcnt lgkmcnt(0)
	; wave barrier
	s_and_saveexec_b64 s[4:5], vcc
	s_cbranch_execz .LBB80_69
; %bb.66:
	v_mov_b32_e32 v35, 0
	v_add_u32_e32 v40, -1, v0
	v_add_u32_e32 v41, 0x90, v37
	v_mov_b32_e32 v42, v37
	v_mov_b32_e32 v36, 0
	s_mov_b64 s[8:9], 0
.LBB80_67:                              ; =>This Inner Loop Header: Depth=1
	buffer_load_dword v43, v42, s[0:3], 0 offen
	buffer_load_dword v44, v42, s[0:3], 0 offen offset:4
	ds_read_b64 v[45:46], v41
	v_add_u32_e32 v40, 1, v40
	v_cmp_lt_u32_e32 vcc, 13, v40
	v_add_u32_e32 v41, 8, v41
	s_or_b64 s[8:9], vcc, s[8:9]
	v_add_u32_e32 v42, 8, v42
	s_waitcnt vmcnt(0) lgkmcnt(0)
	v_fma_f64 v[35:36], v[43:44], v[45:46], v[35:36]
	s_andn2_b64 exec, exec, s[8:9]
	s_cbranch_execnz .LBB80_67
; %bb.68:
	s_or_b64 exec, exec, s[8:9]
	v_mov_b32_e32 v40, 0
	ds_read_b64 v[40:41], v40 offset:120
	s_waitcnt lgkmcnt(0)
	v_mul_f64 v[35:36], v[35:36], v[40:41]
	buffer_store_dword v36, off, s[0:3], 0 offset:124
	buffer_store_dword v35, off, s[0:3], 0 offset:120
.LBB80_69:
	s_or_b64 exec, exec, s[4:5]
	; wave barrier
	buffer_load_dword v35, off, s[0:3], 0 offset:128
	buffer_load_dword v36, off, s[0:3], 0 offset:132
	v_cmp_ne_u32_e32 vcc, 16, v0
	s_waitcnt vmcnt(0)
	ds_write_b64 v38, v[35:36]
	s_waitcnt lgkmcnt(0)
	; wave barrier
	s_and_saveexec_b64 s[4:5], vcc
	s_cbranch_execz .LBB80_73
; %bb.70:
	v_mov_b32_e32 v35, 0
	v_add_u32_e32 v38, 0x90, v37
	v_mov_b32_e32 v36, 0
	s_mov_b64 s[8:9], 0
.LBB80_71:                              ; =>This Inner Loop Header: Depth=1
	buffer_load_dword v40, v37, s[0:3], 0 offen
	buffer_load_dword v41, v37, s[0:3], 0 offen offset:4
	ds_read_b64 v[42:43], v38
	v_add_u32_e32 v39, 1, v39
	v_cmp_lt_u32_e32 vcc, 14, v39
	v_add_u32_e32 v38, 8, v38
	s_or_b64 s[8:9], vcc, s[8:9]
	v_add_u32_e32 v37, 8, v37
	s_waitcnt vmcnt(0) lgkmcnt(0)
	v_fma_f64 v[35:36], v[40:41], v[42:43], v[35:36]
	s_andn2_b64 exec, exec, s[8:9]
	s_cbranch_execnz .LBB80_71
; %bb.72:
	s_or_b64 exec, exec, s[8:9]
	v_mov_b32_e32 v37, 0
	ds_read_b64 v[37:38], v37 offset:128
	s_waitcnt lgkmcnt(0)
	v_mul_f64 v[35:36], v[35:36], v[37:38]
	buffer_store_dword v36, off, s[0:3], 0 offset:132
	buffer_store_dword v35, off, s[0:3], 0 offset:128
.LBB80_73:
	s_or_b64 exec, exec, s[4:5]
	s_mov_b64 s[8:9], -1
	; wave barrier
.LBB80_74:
	s_and_b64 vcc, exec, s[8:9]
	s_cbranch_vccz .LBB80_76
; %bb.75:
	s_lshl_b64 s[4:5], s[6:7], 2
	s_add_u32 s4, s10, s4
	s_addc_u32 s5, s11, s5
	v_mov_b32_e32 v35, 0
	global_load_dword v35, v35, s[4:5]
	s_waitcnt vmcnt(0)
	v_cmp_ne_u32_e32 vcc, 0, v35
	s_cbranch_vccz .LBB80_77
.LBB80_76:
	s_endpgm
.LBB80_77:
	v_mov_b32_e32 v35, 0x90
	v_lshl_add_u32 v35, v0, 3, v35
	v_cmp_eq_u32_e32 vcc, 16, v0
	s_and_saveexec_b64 s[4:5], vcc
	s_cbranch_execz .LBB80_79
; %bb.78:
	buffer_load_dword v36, off, s[0:3], 0 offset:120
	buffer_load_dword v37, off, s[0:3], 0 offset:124
	v_mov_b32_e32 v38, 0
	buffer_store_dword v38, off, s[0:3], 0 offset:120
	buffer_store_dword v38, off, s[0:3], 0 offset:124
	s_waitcnt vmcnt(2)
	ds_write_b64 v35, v[36:37]
.LBB80_79:
	s_or_b64 exec, exec, s[4:5]
	s_waitcnt lgkmcnt(0)
	; wave barrier
	buffer_load_dword v37, off, s[0:3], 0 offset:128
	buffer_load_dword v38, off, s[0:3], 0 offset:132
	;; [unrolled: 1-line block ×4, first 2 shown]
	v_mov_b32_e32 v36, 0
	ds_read_b64 v[41:42], v36 offset:272
	v_cmp_lt_u32_e32 vcc, 14, v0
	s_waitcnt vmcnt(2) lgkmcnt(0)
	v_fma_f64 v[37:38], v[37:38], v[41:42], 0
	s_waitcnt vmcnt(0)
	v_add_f64 v[37:38], v[39:40], -v[37:38]
	buffer_store_dword v37, off, s[0:3], 0 offset:120
	buffer_store_dword v38, off, s[0:3], 0 offset:124
	s_and_saveexec_b64 s[4:5], vcc
	s_cbranch_execz .LBB80_81
; %bb.80:
	buffer_load_dword v37, off, s[0:3], 0 offset:112
	buffer_load_dword v38, off, s[0:3], 0 offset:116
	s_waitcnt vmcnt(0)
	ds_write_b64 v35, v[37:38]
	buffer_store_dword v36, off, s[0:3], 0 offset:112
	buffer_store_dword v36, off, s[0:3], 0 offset:116
.LBB80_81:
	s_or_b64 exec, exec, s[4:5]
	s_waitcnt lgkmcnt(0)
	; wave barrier
	buffer_load_dword v40, off, s[0:3], 0 offset:120
	buffer_load_dword v41, off, s[0:3], 0 offset:124
	buffer_load_dword v42, off, s[0:3], 0 offset:128
	buffer_load_dword v43, off, s[0:3], 0 offset:132
	buffer_load_dword v44, off, s[0:3], 0 offset:112
	buffer_load_dword v45, off, s[0:3], 0 offset:116
	ds_read2_b64 v[36:39], v36 offset0:33 offset1:34
	v_cmp_lt_u32_e32 vcc, 13, v0
	s_waitcnt vmcnt(4) lgkmcnt(0)
	v_fma_f64 v[36:37], v[40:41], v[36:37], 0
	s_waitcnt vmcnt(2)
	v_fma_f64 v[36:37], v[42:43], v[38:39], v[36:37]
	s_waitcnt vmcnt(0)
	v_add_f64 v[36:37], v[44:45], -v[36:37]
	buffer_store_dword v36, off, s[0:3], 0 offset:112
	buffer_store_dword v37, off, s[0:3], 0 offset:116
	s_and_saveexec_b64 s[4:5], vcc
	s_cbranch_execz .LBB80_83
; %bb.82:
	buffer_load_dword v36, off, s[0:3], 0 offset:104
	buffer_load_dword v37, off, s[0:3], 0 offset:108
	v_mov_b32_e32 v38, 0
	buffer_store_dword v38, off, s[0:3], 0 offset:104
	buffer_store_dword v38, off, s[0:3], 0 offset:108
	s_waitcnt vmcnt(2)
	ds_write_b64 v35, v[36:37]
.LBB80_83:
	s_or_b64 exec, exec, s[4:5]
	s_waitcnt lgkmcnt(0)
	; wave barrier
	buffer_load_dword v41, off, s[0:3], 0 offset:112
	buffer_load_dword v42, off, s[0:3], 0 offset:116
	;; [unrolled: 1-line block ×8, first 2 shown]
	v_mov_b32_e32 v36, 0
	ds_read_b128 v[37:40], v36 offset:256
	ds_read_b64 v[49:50], v36 offset:272
	v_cmp_lt_u32_e32 vcc, 12, v0
	s_waitcnt vmcnt(6) lgkmcnt(1)
	v_fma_f64 v[37:38], v[41:42], v[37:38], 0
	s_waitcnt vmcnt(4)
	v_fma_f64 v[37:38], v[43:44], v[39:40], v[37:38]
	s_waitcnt vmcnt(2) lgkmcnt(0)
	v_fma_f64 v[37:38], v[45:46], v[49:50], v[37:38]
	s_waitcnt vmcnt(0)
	v_add_f64 v[37:38], v[47:48], -v[37:38]
	buffer_store_dword v37, off, s[0:3], 0 offset:104
	buffer_store_dword v38, off, s[0:3], 0 offset:108
	s_and_saveexec_b64 s[4:5], vcc
	s_cbranch_execz .LBB80_85
; %bb.84:
	buffer_load_dword v37, off, s[0:3], 0 offset:96
	buffer_load_dword v38, off, s[0:3], 0 offset:100
	s_waitcnt vmcnt(0)
	ds_write_b64 v35, v[37:38]
	buffer_store_dword v36, off, s[0:3], 0 offset:96
	buffer_store_dword v36, off, s[0:3], 0 offset:100
.LBB80_85:
	s_or_b64 exec, exec, s[4:5]
	s_waitcnt lgkmcnt(0)
	; wave barrier
	buffer_load_dword v45, off, s[0:3], 0 offset:104
	buffer_load_dword v46, off, s[0:3], 0 offset:108
	;; [unrolled: 1-line block ×10, first 2 shown]
	ds_read2_b64 v[37:40], v36 offset0:31 offset1:32
	ds_read2_b64 v[41:44], v36 offset0:33 offset1:34
	v_cmp_lt_u32_e32 vcc, 11, v0
	s_waitcnt vmcnt(8) lgkmcnt(1)
	v_fma_f64 v[36:37], v[45:46], v[37:38], 0
	s_waitcnt vmcnt(6)
	v_fma_f64 v[36:37], v[47:48], v[39:40], v[36:37]
	s_waitcnt vmcnt(4) lgkmcnt(0)
	v_fma_f64 v[36:37], v[49:50], v[41:42], v[36:37]
	s_waitcnt vmcnt(2)
	v_fma_f64 v[36:37], v[51:52], v[43:44], v[36:37]
	s_waitcnt vmcnt(0)
	v_add_f64 v[36:37], v[53:54], -v[36:37]
	buffer_store_dword v36, off, s[0:3], 0 offset:96
	buffer_store_dword v37, off, s[0:3], 0 offset:100
	s_and_saveexec_b64 s[4:5], vcc
	s_cbranch_execz .LBB80_87
; %bb.86:
	buffer_load_dword v36, off, s[0:3], 0 offset:88
	buffer_load_dword v37, off, s[0:3], 0 offset:92
	v_mov_b32_e32 v38, 0
	buffer_store_dword v38, off, s[0:3], 0 offset:88
	buffer_store_dword v38, off, s[0:3], 0 offset:92
	s_waitcnt vmcnt(2)
	ds_write_b64 v35, v[36:37]
.LBB80_87:
	s_or_b64 exec, exec, s[4:5]
	s_waitcnt lgkmcnt(0)
	; wave barrier
	buffer_load_dword v45, off, s[0:3], 0 offset:96
	buffer_load_dword v46, off, s[0:3], 0 offset:100
	;; [unrolled: 1-line block ×12, first 2 shown]
	v_mov_b32_e32 v36, 0
	ds_read_b128 v[37:40], v36 offset:240
	ds_read_b128 v[41:44], v36 offset:256
	v_cmp_lt_u32_e32 vcc, 10, v0
	s_waitcnt vmcnt(10) lgkmcnt(1)
	v_fma_f64 v[37:38], v[45:46], v[37:38], 0
	s_waitcnt vmcnt(8)
	v_fma_f64 v[37:38], v[47:48], v[39:40], v[37:38]
	ds_read_b64 v[39:40], v36 offset:272
	s_waitcnt vmcnt(6) lgkmcnt(1)
	v_fma_f64 v[37:38], v[49:50], v[41:42], v[37:38]
	s_waitcnt vmcnt(4)
	v_fma_f64 v[37:38], v[51:52], v[43:44], v[37:38]
	s_waitcnt vmcnt(2) lgkmcnt(0)
	v_fma_f64 v[37:38], v[53:54], v[39:40], v[37:38]
	s_waitcnt vmcnt(0)
	v_add_f64 v[37:38], v[55:56], -v[37:38]
	buffer_store_dword v37, off, s[0:3], 0 offset:88
	buffer_store_dword v38, off, s[0:3], 0 offset:92
	s_and_saveexec_b64 s[4:5], vcc
	s_cbranch_execz .LBB80_89
; %bb.88:
	buffer_load_dword v37, off, s[0:3], 0 offset:80
	buffer_load_dword v38, off, s[0:3], 0 offset:84
	s_waitcnt vmcnt(0)
	ds_write_b64 v35, v[37:38]
	buffer_store_dword v36, off, s[0:3], 0 offset:80
	buffer_store_dword v36, off, s[0:3], 0 offset:84
.LBB80_89:
	s_or_b64 exec, exec, s[4:5]
	s_waitcnt lgkmcnt(0)
	; wave barrier
	buffer_load_dword v45, off, s[0:3], 0 offset:88
	buffer_load_dword v46, off, s[0:3], 0 offset:92
	;; [unrolled: 1-line block ×14, first 2 shown]
	ds_read2_b64 v[37:40], v36 offset0:29 offset1:30
	ds_read2_b64 v[41:44], v36 offset0:31 offset1:32
	v_cmp_lt_u32_e32 vcc, 9, v0
	s_waitcnt vmcnt(12) lgkmcnt(1)
	v_fma_f64 v[37:38], v[45:46], v[37:38], 0
	s_waitcnt vmcnt(10)
	v_fma_f64 v[37:38], v[47:48], v[39:40], v[37:38]
	s_waitcnt vmcnt(8) lgkmcnt(0)
	v_fma_f64 v[37:38], v[49:50], v[41:42], v[37:38]
	s_waitcnt vmcnt(6)
	v_fma_f64 v[40:41], v[51:52], v[43:44], v[37:38]
	ds_read2_b64 v[36:39], v36 offset0:33 offset1:34
	s_waitcnt vmcnt(4) lgkmcnt(0)
	v_fma_f64 v[36:37], v[53:54], v[36:37], v[40:41]
	s_waitcnt vmcnt(2)
	v_fma_f64 v[36:37], v[55:56], v[38:39], v[36:37]
	s_waitcnt vmcnt(0)
	v_add_f64 v[36:37], v[57:58], -v[36:37]
	buffer_store_dword v36, off, s[0:3], 0 offset:80
	buffer_store_dword v37, off, s[0:3], 0 offset:84
	s_and_saveexec_b64 s[4:5], vcc
	s_cbranch_execz .LBB80_91
; %bb.90:
	buffer_load_dword v36, off, s[0:3], 0 offset:72
	buffer_load_dword v37, off, s[0:3], 0 offset:76
	v_mov_b32_e32 v38, 0
	buffer_store_dword v38, off, s[0:3], 0 offset:72
	buffer_store_dword v38, off, s[0:3], 0 offset:76
	s_waitcnt vmcnt(2)
	ds_write_b64 v35, v[36:37]
.LBB80_91:
	s_or_b64 exec, exec, s[4:5]
	s_waitcnt lgkmcnt(0)
	; wave barrier
	buffer_load_dword v45, off, s[0:3], 0 offset:80
	buffer_load_dword v46, off, s[0:3], 0 offset:84
	;; [unrolled: 1-line block ×16, first 2 shown]
	v_mov_b32_e32 v36, 0
	ds_read_b128 v[37:40], v36 offset:224
	ds_read_b128 v[41:44], v36 offset:240
	v_cmp_lt_u32_e32 vcc, 8, v0
	s_waitcnt vmcnt(14) lgkmcnt(1)
	v_fma_f64 v[37:38], v[45:46], v[37:38], 0
	s_waitcnt vmcnt(12)
	v_fma_f64 v[37:38], v[47:48], v[39:40], v[37:38]
	s_waitcnt vmcnt(10) lgkmcnt(0)
	v_fma_f64 v[37:38], v[49:50], v[41:42], v[37:38]
	s_waitcnt vmcnt(8)
	v_fma_f64 v[41:42], v[51:52], v[43:44], v[37:38]
	ds_read_b128 v[37:40], v36 offset:256
	ds_read_b64 v[43:44], v36 offset:272
	s_waitcnt vmcnt(6) lgkmcnt(1)
	v_fma_f64 v[37:38], v[53:54], v[37:38], v[41:42]
	s_waitcnt vmcnt(4)
	v_fma_f64 v[37:38], v[55:56], v[39:40], v[37:38]
	s_waitcnt vmcnt(2) lgkmcnt(0)
	v_fma_f64 v[37:38], v[57:58], v[43:44], v[37:38]
	s_waitcnt vmcnt(0)
	v_add_f64 v[37:38], v[59:60], -v[37:38]
	buffer_store_dword v37, off, s[0:3], 0 offset:72
	buffer_store_dword v38, off, s[0:3], 0 offset:76
	s_and_saveexec_b64 s[4:5], vcc
	s_cbranch_execz .LBB80_93
; %bb.92:
	buffer_load_dword v37, off, s[0:3], 0 offset:64
	buffer_load_dword v38, off, s[0:3], 0 offset:68
	s_waitcnt vmcnt(0)
	ds_write_b64 v35, v[37:38]
	buffer_store_dword v36, off, s[0:3], 0 offset:64
	buffer_store_dword v36, off, s[0:3], 0 offset:68
.LBB80_93:
	s_or_b64 exec, exec, s[4:5]
	s_waitcnt lgkmcnt(0)
	; wave barrier
	buffer_load_dword v41, off, s[0:3], 0 offset:64
	buffer_load_dword v42, off, s[0:3], 0 offset:68
	;; [unrolled: 1-line block ×16, first 2 shown]
	ds_read2_b64 v[37:40], v36 offset0:27 offset1:28
	v_cmp_lt_u32_e32 vcc, 7, v0
	s_waitcnt vmcnt(12) lgkmcnt(0)
	v_fma_f64 v[37:38], v[43:44], v[37:38], 0
	s_waitcnt vmcnt(10)
	v_fma_f64 v[43:44], v[45:46], v[39:40], v[37:38]
	ds_read2_b64 v[37:40], v36 offset0:29 offset1:30
	s_waitcnt vmcnt(8) lgkmcnt(0)
	v_fma_f64 v[37:38], v[47:48], v[37:38], v[43:44]
	s_waitcnt vmcnt(6)
	v_fma_f64 v[43:44], v[49:50], v[39:40], v[37:38]
	ds_read2_b64 v[37:40], v36 offset0:31 offset1:32
	;; [unrolled: 5-line block ×3, first 2 shown]
	s_waitcnt vmcnt(0) lgkmcnt(0)
	v_fma_f64 v[36:37], v[55:56], v[36:37], v[43:44]
	buffer_load_dword v44, off, s[0:3], 0 offset:132
	buffer_load_dword v43, off, s[0:3], 0 offset:128
	s_waitcnt vmcnt(0)
	v_fma_f64 v[36:37], v[43:44], v[38:39], v[36:37]
	v_add_f64 v[36:37], v[41:42], -v[36:37]
	buffer_store_dword v36, off, s[0:3], 0 offset:64
	buffer_store_dword v37, off, s[0:3], 0 offset:68
	s_and_saveexec_b64 s[4:5], vcc
	s_cbranch_execz .LBB80_95
; %bb.94:
	buffer_load_dword v36, off, s[0:3], 0 offset:56
	buffer_load_dword v37, off, s[0:3], 0 offset:60
	v_mov_b32_e32 v38, 0
	buffer_store_dword v38, off, s[0:3], 0 offset:56
	buffer_store_dword v38, off, s[0:3], 0 offset:60
	s_waitcnt vmcnt(2)
	ds_write_b64 v35, v[36:37]
.LBB80_95:
	s_or_b64 exec, exec, s[4:5]
	s_waitcnt lgkmcnt(0)
	; wave barrier
	buffer_load_dword v41, off, s[0:3], 0 offset:64
	buffer_load_dword v42, off, s[0:3], 0 offset:68
	;; [unrolled: 1-line block ×20, first 2 shown]
	v_mov_b32_e32 v36, 0
	ds_read_b128 v[37:40], v36 offset:208
	v_cmp_lt_u32_e32 vcc, 6, v0
	s_waitcnt vmcnt(18) lgkmcnt(0)
	v_fma_f64 v[37:38], v[41:42], v[37:38], 0
	s_waitcnt vmcnt(16)
	v_fma_f64 v[41:42], v[43:44], v[39:40], v[37:38]
	ds_read_b128 v[37:40], v36 offset:224
	s_waitcnt vmcnt(14) lgkmcnt(0)
	v_fma_f64 v[37:38], v[45:46], v[37:38], v[41:42]
	s_waitcnt vmcnt(12)
	v_fma_f64 v[41:42], v[47:48], v[39:40], v[37:38]
	ds_read_b128 v[37:40], v36 offset:240
	;; [unrolled: 5-line block ×3, first 2 shown]
	s_waitcnt vmcnt(6) lgkmcnt(0)
	v_fma_f64 v[37:38], v[53:54], v[37:38], v[41:42]
	s_waitcnt vmcnt(4)
	v_fma_f64 v[37:38], v[55:56], v[39:40], v[37:38]
	ds_read_b64 v[39:40], v36 offset:272
	s_waitcnt vmcnt(2) lgkmcnt(0)
	v_fma_f64 v[37:38], v[57:58], v[39:40], v[37:38]
	s_waitcnt vmcnt(0)
	v_add_f64 v[37:38], v[59:60], -v[37:38]
	buffer_store_dword v37, off, s[0:3], 0 offset:56
	buffer_store_dword v38, off, s[0:3], 0 offset:60
	s_and_saveexec_b64 s[4:5], vcc
	s_cbranch_execz .LBB80_97
; %bb.96:
	buffer_load_dword v37, off, s[0:3], 0 offset:48
	buffer_load_dword v38, off, s[0:3], 0 offset:52
	s_waitcnt vmcnt(0)
	ds_write_b64 v35, v[37:38]
	buffer_store_dword v36, off, s[0:3], 0 offset:48
	buffer_store_dword v36, off, s[0:3], 0 offset:52
.LBB80_97:
	s_or_b64 exec, exec, s[4:5]
	s_waitcnt lgkmcnt(0)
	; wave barrier
	buffer_load_dword v41, off, s[0:3], 0 offset:56
	buffer_load_dword v42, off, s[0:3], 0 offset:60
	;; [unrolled: 1-line block ×20, first 2 shown]
	ds_read2_b64 v[37:40], v36 offset0:25 offset1:26
	buffer_load_dword v61, off, s[0:3], 0 offset:48
	buffer_load_dword v62, off, s[0:3], 0 offset:52
	v_cmp_lt_u32_e32 vcc, 5, v0
	s_waitcnt vmcnt(20) lgkmcnt(0)
	v_fma_f64 v[37:38], v[41:42], v[37:38], 0
	s_waitcnt vmcnt(18)
	v_fma_f64 v[41:42], v[43:44], v[39:40], v[37:38]
	ds_read2_b64 v[37:40], v36 offset0:27 offset1:28
	s_waitcnt vmcnt(16) lgkmcnt(0)
	v_fma_f64 v[37:38], v[45:46], v[37:38], v[41:42]
	s_waitcnt vmcnt(14)
	v_fma_f64 v[41:42], v[47:48], v[39:40], v[37:38]
	ds_read2_b64 v[37:40], v36 offset0:29 offset1:30
	;; [unrolled: 5-line block ×4, first 2 shown]
	s_waitcnt vmcnt(4) lgkmcnt(0)
	v_fma_f64 v[36:37], v[57:58], v[36:37], v[40:41]
	s_waitcnt vmcnt(2)
	v_fma_f64 v[36:37], v[59:60], v[38:39], v[36:37]
	s_waitcnt vmcnt(0)
	v_add_f64 v[36:37], v[61:62], -v[36:37]
	buffer_store_dword v36, off, s[0:3], 0 offset:48
	buffer_store_dword v37, off, s[0:3], 0 offset:52
	s_and_saveexec_b64 s[4:5], vcc
	s_cbranch_execz .LBB80_99
; %bb.98:
	buffer_load_dword v36, off, s[0:3], 0 offset:40
	buffer_load_dword v37, off, s[0:3], 0 offset:44
	v_mov_b32_e32 v38, 0
	buffer_store_dword v38, off, s[0:3], 0 offset:40
	buffer_store_dword v38, off, s[0:3], 0 offset:44
	s_waitcnt vmcnt(2)
	ds_write_b64 v35, v[36:37]
.LBB80_99:
	s_or_b64 exec, exec, s[4:5]
	s_waitcnt lgkmcnt(0)
	; wave barrier
	buffer_load_dword v45, off, s[0:3], 0 offset:48
	buffer_load_dword v46, off, s[0:3], 0 offset:52
	;; [unrolled: 1-line block ×21, first 2 shown]
	v_mov_b32_e32 v36, 0
	ds_read_b128 v[37:40], v36 offset:192
	ds_read_b128 v[41:44], v36 offset:208
	buffer_load_dword v62, off, s[0:3], 0 offset:132
	v_cmp_lt_u32_e32 vcc, 4, v0
	s_waitcnt vmcnt(20) lgkmcnt(1)
	v_fma_f64 v[37:38], v[45:46], v[37:38], 0
	buffer_load_dword v45, off, s[0:3], 0 offset:40
	buffer_load_dword v46, off, s[0:3], 0 offset:44
	s_waitcnt vmcnt(20)
	v_fma_f64 v[37:38], v[47:48], v[39:40], v[37:38]
	s_waitcnt vmcnt(18) lgkmcnt(0)
	v_fma_f64 v[37:38], v[49:50], v[41:42], v[37:38]
	s_waitcnt vmcnt(16)
	v_fma_f64 v[47:48], v[51:52], v[43:44], v[37:38]
	ds_read_b128 v[37:40], v36 offset:224
	ds_read_b128 v[41:44], v36 offset:240
	s_waitcnt vmcnt(14) lgkmcnt(1)
	v_fma_f64 v[37:38], v[53:54], v[37:38], v[47:48]
	s_waitcnt vmcnt(12)
	v_fma_f64 v[37:38], v[55:56], v[39:40], v[37:38]
	s_waitcnt vmcnt(10) lgkmcnt(0)
	v_fma_f64 v[37:38], v[57:58], v[41:42], v[37:38]
	s_waitcnt vmcnt(5)
	v_fma_f64 v[41:42], v[59:60], v[43:44], v[37:38]
	ds_read_b128 v[37:40], v36 offset:256
	ds_read_b64 v[43:44], v36 offset:272
	s_waitcnt vmcnt(4) lgkmcnt(1)
	v_fma_f64 v[37:38], v[65:66], v[37:38], v[41:42]
	s_waitcnt vmcnt(3)
	v_fma_f64 v[37:38], v[63:64], v[39:40], v[37:38]
	s_waitcnt vmcnt(2) lgkmcnt(0)
	v_fma_f64 v[37:38], v[61:62], v[43:44], v[37:38]
	s_waitcnt vmcnt(0)
	v_add_f64 v[37:38], v[45:46], -v[37:38]
	buffer_store_dword v38, off, s[0:3], 0 offset:44
	buffer_store_dword v37, off, s[0:3], 0 offset:40
	s_and_saveexec_b64 s[4:5], vcc
	s_cbranch_execz .LBB80_101
; %bb.100:
	buffer_load_dword v37, off, s[0:3], 0 offset:32
	buffer_load_dword v38, off, s[0:3], 0 offset:36
	s_waitcnt vmcnt(0)
	ds_write_b64 v35, v[37:38]
	buffer_store_dword v36, off, s[0:3], 0 offset:32
	buffer_store_dword v36, off, s[0:3], 0 offset:36
.LBB80_101:
	s_or_b64 exec, exec, s[4:5]
	s_waitcnt lgkmcnt(0)
	; wave barrier
	buffer_load_dword v45, off, s[0:3], 0 offset:40
	buffer_load_dword v46, off, s[0:3], 0 offset:44
	;; [unrolled: 1-line block ×21, first 2 shown]
	ds_read2_b64 v[37:40], v36 offset0:23 offset1:24
	ds_read2_b64 v[41:44], v36 offset0:25 offset1:26
	buffer_load_dword v62, off, s[0:3], 0 offset:124
	v_cmp_lt_u32_e32 vcc, 3, v0
	s_waitcnt vmcnt(20) lgkmcnt(1)
	v_fma_f64 v[37:38], v[45:46], v[37:38], 0
	buffer_load_dword v46, off, s[0:3], 0 offset:132
	buffer_load_dword v45, off, s[0:3], 0 offset:128
	s_waitcnt vmcnt(20)
	v_fma_f64 v[37:38], v[47:48], v[39:40], v[37:38]
	buffer_load_dword v47, off, s[0:3], 0 offset:32
	buffer_load_dword v48, off, s[0:3], 0 offset:36
	s_waitcnt vmcnt(20) lgkmcnt(0)
	v_fma_f64 v[37:38], v[49:50], v[41:42], v[37:38]
	s_waitcnt vmcnt(18)
	v_fma_f64 v[49:50], v[51:52], v[43:44], v[37:38]
	ds_read2_b64 v[37:40], v36 offset0:27 offset1:28
	ds_read2_b64 v[41:44], v36 offset0:29 offset1:30
	s_waitcnt vmcnt(16) lgkmcnt(1)
	v_fma_f64 v[37:38], v[53:54], v[37:38], v[49:50]
	s_waitcnt vmcnt(14)
	v_fma_f64 v[37:38], v[55:56], v[39:40], v[37:38]
	s_waitcnt vmcnt(12) lgkmcnt(0)
	v_fma_f64 v[37:38], v[57:58], v[41:42], v[37:38]
	s_waitcnt vmcnt(7)
	v_fma_f64 v[49:50], v[59:60], v[43:44], v[37:38]
	ds_read2_b64 v[37:40], v36 offset0:31 offset1:32
	ds_read2_b64 v[41:44], v36 offset0:33 offset1:34
	s_waitcnt vmcnt(6) lgkmcnt(1)
	v_fma_f64 v[36:37], v[65:66], v[37:38], v[49:50]
	s_waitcnt vmcnt(5)
	v_fma_f64 v[36:37], v[63:64], v[39:40], v[36:37]
	s_waitcnt vmcnt(4) lgkmcnt(0)
	v_fma_f64 v[36:37], v[61:62], v[41:42], v[36:37]
	s_waitcnt vmcnt(2)
	v_fma_f64 v[36:37], v[45:46], v[43:44], v[36:37]
	s_waitcnt vmcnt(0)
	v_add_f64 v[36:37], v[47:48], -v[36:37]
	buffer_store_dword v37, off, s[0:3], 0 offset:36
	buffer_store_dword v36, off, s[0:3], 0 offset:32
	s_and_saveexec_b64 s[4:5], vcc
	s_cbranch_execz .LBB80_103
; %bb.102:
	buffer_load_dword v36, off, s[0:3], 0 offset:24
	buffer_load_dword v37, off, s[0:3], 0 offset:28
	v_mov_b32_e32 v38, 0
	buffer_store_dword v38, off, s[0:3], 0 offset:24
	buffer_store_dword v38, off, s[0:3], 0 offset:28
	s_waitcnt vmcnt(2)
	ds_write_b64 v35, v[36:37]
.LBB80_103:
	s_or_b64 exec, exec, s[4:5]
	s_waitcnt lgkmcnt(0)
	; wave barrier
	buffer_load_dword v45, off, s[0:3], 0 offset:32
	buffer_load_dword v46, off, s[0:3], 0 offset:36
	;; [unrolled: 1-line block ×21, first 2 shown]
	v_mov_b32_e32 v36, 0
	ds_read_b128 v[37:40], v36 offset:176
	ds_read_b128 v[41:44], v36 offset:192
	buffer_load_dword v62, off, s[0:3], 0 offset:116
	v_cmp_lt_u32_e32 vcc, 2, v0
	s_waitcnt vmcnt(20) lgkmcnt(1)
	v_fma_f64 v[37:38], v[45:46], v[37:38], 0
	s_waitcnt vmcnt(18)
	v_fma_f64 v[37:38], v[47:48], v[39:40], v[37:38]
	buffer_load_dword v46, off, s[0:3], 0 offset:124
	buffer_load_dword v47, off, s[0:3], 0 offset:128
	;; [unrolled: 1-line block ×4, first 2 shown]
	s_waitcnt vmcnt(20) lgkmcnt(0)
	v_fma_f64 v[37:38], v[49:50], v[41:42], v[37:38]
	buffer_load_dword v49, off, s[0:3], 0 offset:24
	buffer_load_dword v50, off, s[0:3], 0 offset:28
	s_waitcnt vmcnt(20)
	v_fma_f64 v[51:52], v[51:52], v[43:44], v[37:38]
	ds_read_b128 v[37:40], v36 offset:208
	ds_read_b128 v[41:44], v36 offset:224
	s_waitcnt vmcnt(18) lgkmcnt(1)
	v_fma_f64 v[37:38], v[53:54], v[37:38], v[51:52]
	s_waitcnt vmcnt(16)
	v_fma_f64 v[37:38], v[55:56], v[39:40], v[37:38]
	s_waitcnt vmcnt(14) lgkmcnt(0)
	v_fma_f64 v[37:38], v[57:58], v[41:42], v[37:38]
	s_waitcnt vmcnt(9)
	v_fma_f64 v[51:52], v[59:60], v[43:44], v[37:38]
	ds_read_b128 v[37:40], v36 offset:240
	ds_read_b128 v[41:44], v36 offset:256
	s_waitcnt vmcnt(8) lgkmcnt(1)
	v_fma_f64 v[37:38], v[65:66], v[37:38], v[51:52]
	s_waitcnt vmcnt(7)
	v_fma_f64 v[37:38], v[63:64], v[39:40], v[37:38]
	ds_read_b64 v[39:40], v36 offset:272
	s_waitcnt vmcnt(6) lgkmcnt(1)
	v_fma_f64 v[37:38], v[61:62], v[41:42], v[37:38]
	s_waitcnt vmcnt(3)
	v_fma_f64 v[37:38], v[45:46], v[43:44], v[37:38]
	s_waitcnt vmcnt(2) lgkmcnt(0)
	v_fma_f64 v[37:38], v[47:48], v[39:40], v[37:38]
	s_waitcnt vmcnt(0)
	v_add_f64 v[37:38], v[49:50], -v[37:38]
	buffer_store_dword v38, off, s[0:3], 0 offset:28
	buffer_store_dword v37, off, s[0:3], 0 offset:24
	s_and_saveexec_b64 s[4:5], vcc
	s_cbranch_execz .LBB80_105
; %bb.104:
	buffer_load_dword v37, off, s[0:3], 0 offset:16
	buffer_load_dword v38, off, s[0:3], 0 offset:20
	s_waitcnt vmcnt(0)
	ds_write_b64 v35, v[37:38]
	buffer_store_dword v36, off, s[0:3], 0 offset:16
	buffer_store_dword v36, off, s[0:3], 0 offset:20
.LBB80_105:
	s_or_b64 exec, exec, s[4:5]
	s_waitcnt lgkmcnt(0)
	; wave barrier
	buffer_load_dword v45, off, s[0:3], 0 offset:24
	buffer_load_dword v46, off, s[0:3], 0 offset:28
	;; [unrolled: 1-line block ×22, first 2 shown]
	ds_read2_b64 v[37:40], v36 offset0:21 offset1:22
	ds_read2_b64 v[41:44], v36 offset0:23 offset1:24
	v_cmp_lt_u32_e32 vcc, 1, v0
	s_waitcnt vmcnt(20) lgkmcnt(1)
	v_fma_f64 v[37:38], v[45:46], v[37:38], 0
	s_waitcnt vmcnt(18)
	v_fma_f64 v[37:38], v[47:48], v[39:40], v[37:38]
	buffer_load_dword v46, off, s[0:3], 0 offset:116
	buffer_load_dword v47, off, s[0:3], 0 offset:128
	;; [unrolled: 1-line block ×6, first 2 shown]
	s_waitcnt vmcnt(22) lgkmcnt(0)
	v_fma_f64 v[37:38], v[49:50], v[41:42], v[37:38]
	s_waitcnt vmcnt(20)
	v_fma_f64 v[49:50], v[51:52], v[43:44], v[37:38]
	ds_read2_b64 v[37:40], v36 offset0:25 offset1:26
	buffer_load_dword v51, off, s[0:3], 0 offset:16
	buffer_load_dword v52, off, s[0:3], 0 offset:20
	ds_read2_b64 v[41:44], v36 offset0:27 offset1:28
	s_waitcnt vmcnt(20) lgkmcnt(1)
	v_fma_f64 v[37:38], v[53:54], v[37:38], v[49:50]
	s_waitcnt vmcnt(18)
	v_fma_f64 v[37:38], v[55:56], v[39:40], v[37:38]
	s_waitcnt vmcnt(16) lgkmcnt(0)
	v_fma_f64 v[37:38], v[57:58], v[41:42], v[37:38]
	s_waitcnt vmcnt(11)
	v_fma_f64 v[49:50], v[59:60], v[43:44], v[37:38]
	ds_read2_b64 v[37:40], v36 offset0:29 offset1:30
	ds_read2_b64 v[41:44], v36 offset0:31 offset1:32
	s_waitcnt vmcnt(10) lgkmcnt(1)
	v_fma_f64 v[37:38], v[65:66], v[37:38], v[49:50]
	s_waitcnt vmcnt(9)
	v_fma_f64 v[37:38], v[63:64], v[39:40], v[37:38]
	s_waitcnt vmcnt(8) lgkmcnt(0)
	v_fma_f64 v[37:38], v[61:62], v[41:42], v[37:38]
	s_waitcnt vmcnt(4)
	v_fma_f64 v[40:41], v[45:46], v[43:44], v[37:38]
	ds_read2_b64 v[36:39], v36 offset0:33 offset1:34
	s_waitcnt vmcnt(3) lgkmcnt(0)
	v_fma_f64 v[36:37], v[67:68], v[36:37], v[40:41]
	s_waitcnt vmcnt(2)
	v_fma_f64 v[36:37], v[47:48], v[38:39], v[36:37]
	s_waitcnt vmcnt(0)
	v_add_f64 v[36:37], v[51:52], -v[36:37]
	buffer_store_dword v37, off, s[0:3], 0 offset:20
	buffer_store_dword v36, off, s[0:3], 0 offset:16
	s_and_saveexec_b64 s[4:5], vcc
	s_cbranch_execz .LBB80_107
; %bb.106:
	buffer_load_dword v36, off, s[0:3], 0 offset:8
	buffer_load_dword v37, off, s[0:3], 0 offset:12
	v_mov_b32_e32 v38, 0
	buffer_store_dword v38, off, s[0:3], 0 offset:8
	buffer_store_dword v38, off, s[0:3], 0 offset:12
	s_waitcnt vmcnt(2)
	ds_write_b64 v35, v[36:37]
.LBB80_107:
	s_or_b64 exec, exec, s[4:5]
	s_waitcnt lgkmcnt(0)
	; wave barrier
	buffer_load_dword v46, off, s[0:3], 0 offset:16
	buffer_load_dword v47, off, s[0:3], 0 offset:20
	;; [unrolled: 1-line block ×22, first 2 shown]
	v_mov_b32_e32 v37, 0
	ds_read_b128 v[38:41], v37 offset:160
	ds_read_b128 v[42:45], v37 offset:176
	v_cmp_ne_u32_e32 vcc, 0, v0
	s_waitcnt vmcnt(20) lgkmcnt(1)
	v_fma_f64 v[38:39], v[46:47], v[38:39], 0
	s_waitcnt vmcnt(18)
	v_fma_f64 v[38:39], v[48:49], v[40:41], v[38:39]
	buffer_load_dword v47, off, s[0:3], 0 offset:108
	buffer_load_dword v48, off, s[0:3], 0 offset:128
	;; [unrolled: 1-line block ×8, first 2 shown]
	s_waitcnt vmcnt(24) lgkmcnt(0)
	v_fma_f64 v[38:39], v[50:51], v[42:43], v[38:39]
	s_waitcnt vmcnt(22)
	v_fma_f64 v[50:51], v[52:53], v[44:45], v[38:39]
	ds_read_b128 v[38:41], v37 offset:192
	ds_read_b128 v[42:45], v37 offset:208
	s_waitcnt vmcnt(20) lgkmcnt(1)
	v_fma_f64 v[38:39], v[54:55], v[38:39], v[50:51]
	buffer_load_dword v50, off, s[0:3], 0 offset:8
	buffer_load_dword v51, off, s[0:3], 0 offset:12
	s_waitcnt vmcnt(20)
	v_fma_f64 v[38:39], v[56:57], v[40:41], v[38:39]
	s_waitcnt vmcnt(18) lgkmcnt(0)
	v_fma_f64 v[38:39], v[58:59], v[42:43], v[38:39]
	s_waitcnt vmcnt(13)
	v_fma_f64 v[52:53], v[60:61], v[44:45], v[38:39]
	ds_read_b128 v[38:41], v37 offset:224
	ds_read_b128 v[42:45], v37 offset:240
	s_waitcnt vmcnt(12) lgkmcnt(1)
	v_fma_f64 v[38:39], v[66:67], v[38:39], v[52:53]
	s_waitcnt vmcnt(11)
	v_fma_f64 v[38:39], v[64:65], v[40:41], v[38:39]
	s_waitcnt vmcnt(10) lgkmcnt(0)
	v_fma_f64 v[38:39], v[62:63], v[42:43], v[38:39]
	s_waitcnt vmcnt(5)
	v_fma_f64 v[42:43], v[46:47], v[44:45], v[38:39]
	ds_read_b128 v[38:41], v37 offset:256
	ds_read_b64 v[44:45], v37 offset:272
	s_waitcnt vmcnt(4) lgkmcnt(1)
	v_fma_f64 v[38:39], v[70:71], v[38:39], v[42:43]
	s_waitcnt vmcnt(3)
	v_fma_f64 v[38:39], v[68:69], v[40:41], v[38:39]
	s_waitcnt vmcnt(2) lgkmcnt(0)
	v_fma_f64 v[38:39], v[48:49], v[44:45], v[38:39]
	s_waitcnt vmcnt(0)
	v_add_f64 v[38:39], v[50:51], -v[38:39]
	buffer_store_dword v39, off, s[0:3], 0 offset:12
	buffer_store_dword v38, off, s[0:3], 0 offset:8
	s_and_saveexec_b64 s[4:5], vcc
	s_cbranch_execz .LBB80_109
; %bb.108:
	buffer_load_dword v38, off, s[0:3], 0
	buffer_load_dword v39, off, s[0:3], 0 offset:4
	s_waitcnt vmcnt(0)
	ds_write_b64 v35, v[38:39]
	buffer_store_dword v37, off, s[0:3], 0
	buffer_store_dword v37, off, s[0:3], 0 offset:4
.LBB80_109:
	s_or_b64 exec, exec, s[4:5]
	s_waitcnt lgkmcnt(0)
	; wave barrier
	buffer_load_dword v35, off, s[0:3], 0 offset:8
	buffer_load_dword v36, off, s[0:3], 0 offset:12
	;; [unrolled: 1-line block ×22, first 2 shown]
	ds_read2_b64 v[38:41], v37 offset0:19 offset1:20
	ds_read2_b64 v[42:45], v37 offset0:21 offset1:22
	s_and_b64 vcc, exec, s[14:15]
	s_waitcnt vmcnt(20) lgkmcnt(1)
	v_fma_f64 v[35:36], v[35:36], v[38:39], 0
	s_waitcnt vmcnt(18)
	v_fma_f64 v[38:39], v[46:47], v[40:41], v[35:36]
	buffer_load_dword v47, off, s[0:3], 0 offset:100
	buffer_load_dword v35, off, s[0:3], 0 offset:120
	;; [unrolled: 1-line block ×8, first 2 shown]
	s_waitcnt vmcnt(24) lgkmcnt(0)
	v_fma_f64 v[38:39], v[48:49], v[42:43], v[38:39]
	s_waitcnt vmcnt(22)
	v_fma_f64 v[48:49], v[50:51], v[44:45], v[38:39]
	ds_read2_b64 v[38:41], v37 offset0:23 offset1:24
	ds_read2_b64 v[42:45], v37 offset0:25 offset1:26
	s_waitcnt vmcnt(20) lgkmcnt(1)
	v_fma_f64 v[38:39], v[52:53], v[38:39], v[48:49]
	buffer_load_dword v49, off, s[0:3], 0 offset:132
	buffer_load_dword v48, off, s[0:3], 0 offset:128
	buffer_load_dword v50, off, s[0:3], 0
	buffer_load_dword v51, off, s[0:3], 0 offset:4
	s_waitcnt vmcnt(22)
	v_fma_f64 v[38:39], v[54:55], v[40:41], v[38:39]
	s_waitcnt vmcnt(20) lgkmcnt(0)
	v_fma_f64 v[38:39], v[56:57], v[42:43], v[38:39]
	s_waitcnt vmcnt(15)
	v_fma_f64 v[52:53], v[58:59], v[44:45], v[38:39]
	ds_read2_b64 v[38:41], v37 offset0:27 offset1:28
	ds_read2_b64 v[42:45], v37 offset0:29 offset1:30
	s_waitcnt vmcnt(14) lgkmcnt(1)
	v_fma_f64 v[38:39], v[64:65], v[38:39], v[52:53]
	s_waitcnt vmcnt(13)
	v_fma_f64 v[38:39], v[62:63], v[40:41], v[38:39]
	s_waitcnt vmcnt(12) lgkmcnt(0)
	v_fma_f64 v[38:39], v[60:61], v[42:43], v[38:39]
	s_waitcnt vmcnt(7)
	v_fma_f64 v[46:47], v[46:47], v[44:45], v[38:39]
	ds_read2_b64 v[38:41], v37 offset0:31 offset1:32
	ds_read2_b64 v[42:45], v37 offset0:33 offset1:34
	s_waitcnt vmcnt(6) lgkmcnt(1)
	v_fma_f64 v[37:38], v[68:69], v[38:39], v[46:47]
	s_waitcnt vmcnt(5)
	v_fma_f64 v[37:38], v[66:67], v[40:41], v[37:38]
	s_waitcnt vmcnt(4) lgkmcnt(0)
	v_fma_f64 v[37:38], v[35:36], v[42:43], v[37:38]
	s_waitcnt vmcnt(2)
	v_fma_f64 v[37:38], v[48:49], v[44:45], v[37:38]
	s_waitcnt vmcnt(0)
	v_add_f64 v[37:38], v[50:51], -v[37:38]
	buffer_store_dword v38, off, s[0:3], 0 offset:4
	buffer_store_dword v37, off, s[0:3], 0
	s_cbranch_vccz .LBB80_142
; %bb.110:
	v_mov_b32_e32 v0, 0
	global_load_dword v37, v0, s[12:13] offset:60
	s_waitcnt vmcnt(0)
	v_add_u32_e32 v37, -1, v37
	v_cmp_ne_u32_e32 vcc, 15, v37
	s_cbranch_vccz .LBB80_112
; %bb.111:
	v_lshlrev_b32_e32 v37, 3, v37
	buffer_load_dword v38, v37, s[0:3], 0 offen
	buffer_load_dword v39, v37, s[0:3], 0 offen offset:4
	s_waitcnt vmcnt(1)
	buffer_store_dword v38, off, s[0:3], 0 offset:120
	s_waitcnt vmcnt(1)
	buffer_store_dword v39, off, s[0:3], 0 offset:124
	buffer_store_dword v35, v37, s[0:3], 0 offen
	buffer_store_dword v36, v37, s[0:3], 0 offen offset:4
.LBB80_112:
	global_load_dword v0, v0, s[12:13] offset:56
	s_waitcnt vmcnt(0)
	v_add_u32_e32 v0, -1, v0
	v_cmp_eq_u32_e32 vcc, 14, v0
	s_cbranch_vccnz .LBB80_114
; %bb.113:
	v_lshlrev_b32_e32 v0, 3, v0
	buffer_load_dword v35, v0, s[0:3], 0 offen
	buffer_load_dword v36, v0, s[0:3], 0 offen offset:4
	buffer_load_dword v37, off, s[0:3], 0 offset:116
	buffer_load_dword v38, off, s[0:3], 0 offset:112
	s_waitcnt vmcnt(3)
	buffer_store_dword v35, off, s[0:3], 0 offset:112
	s_waitcnt vmcnt(3)
	buffer_store_dword v36, off, s[0:3], 0 offset:116
	s_waitcnt vmcnt(3)
	buffer_store_dword v37, v0, s[0:3], 0 offen offset:4
	s_waitcnt vmcnt(3)
	buffer_store_dword v38, v0, s[0:3], 0 offen
.LBB80_114:
	v_mov_b32_e32 v0, 0
	global_load_dword v35, v0, s[12:13] offset:52
	s_waitcnt vmcnt(0)
	v_add_u32_e32 v35, -1, v35
	v_cmp_eq_u32_e32 vcc, 13, v35
	s_cbranch_vccnz .LBB80_116
; %bb.115:
	v_lshlrev_b32_e32 v35, 3, v35
	buffer_load_dword v36, v35, s[0:3], 0 offen
	buffer_load_dword v37, v35, s[0:3], 0 offen offset:4
	buffer_load_dword v38, off, s[0:3], 0 offset:104
	buffer_load_dword v39, off, s[0:3], 0 offset:108
	s_waitcnt vmcnt(3)
	buffer_store_dword v36, off, s[0:3], 0 offset:104
	s_waitcnt vmcnt(3)
	buffer_store_dword v37, off, s[0:3], 0 offset:108
	s_waitcnt vmcnt(3)
	buffer_store_dword v38, v35, s[0:3], 0 offen
	s_waitcnt vmcnt(3)
	buffer_store_dword v39, v35, s[0:3], 0 offen offset:4
.LBB80_116:
	global_load_dword v0, v0, s[12:13] offset:48
	s_waitcnt vmcnt(0)
	v_add_u32_e32 v0, -1, v0
	v_cmp_eq_u32_e32 vcc, 12, v0
	s_cbranch_vccnz .LBB80_118
; %bb.117:
	v_lshlrev_b32_e32 v0, 3, v0
	buffer_load_dword v35, v0, s[0:3], 0 offen
	buffer_load_dword v36, v0, s[0:3], 0 offen offset:4
	buffer_load_dword v37, off, s[0:3], 0 offset:100
	buffer_load_dword v38, off, s[0:3], 0 offset:96
	s_waitcnt vmcnt(3)
	buffer_store_dword v35, off, s[0:3], 0 offset:96
	s_waitcnt vmcnt(3)
	buffer_store_dword v36, off, s[0:3], 0 offset:100
	s_waitcnt vmcnt(3)
	buffer_store_dword v37, v0, s[0:3], 0 offen offset:4
	s_waitcnt vmcnt(3)
	buffer_store_dword v38, v0, s[0:3], 0 offen
.LBB80_118:
	v_mov_b32_e32 v0, 0
	global_load_dword v35, v0, s[12:13] offset:44
	s_waitcnt vmcnt(0)
	v_add_u32_e32 v35, -1, v35
	v_cmp_eq_u32_e32 vcc, 11, v35
	s_cbranch_vccnz .LBB80_120
; %bb.119:
	v_lshlrev_b32_e32 v35, 3, v35
	buffer_load_dword v36, v35, s[0:3], 0 offen
	buffer_load_dword v37, v35, s[0:3], 0 offen offset:4
	buffer_load_dword v38, off, s[0:3], 0 offset:88
	buffer_load_dword v39, off, s[0:3], 0 offset:92
	s_waitcnt vmcnt(3)
	buffer_store_dword v36, off, s[0:3], 0 offset:88
	s_waitcnt vmcnt(3)
	buffer_store_dword v37, off, s[0:3], 0 offset:92
	s_waitcnt vmcnt(3)
	buffer_store_dword v38, v35, s[0:3], 0 offen
	s_waitcnt vmcnt(3)
	buffer_store_dword v39, v35, s[0:3], 0 offen offset:4
.LBB80_120:
	;; [unrolled: 41-line block ×7, first 2 shown]
	global_load_dword v0, v0, s[12:13]
	s_nop 0
	buffer_load_dword v37, off, s[0:3], 0
	buffer_load_dword v38, off, s[0:3], 0 offset:4
	s_waitcnt vmcnt(2)
	v_add_u32_e32 v0, -1, v0
	v_cmp_eq_u32_e32 vcc, 0, v0
	s_cbranch_vccnz .LBB80_142
; %bb.141:
	v_lshlrev_b32_e32 v0, 3, v0
	buffer_load_dword v35, v0, s[0:3], 0 offen offset:4
	buffer_load_dword v36, v0, s[0:3], 0 offen
	s_waitcnt vmcnt(1)
	buffer_store_dword v35, off, s[0:3], 0 offset:4
	s_waitcnt vmcnt(1)
	buffer_store_dword v36, off, s[0:3], 0
	buffer_store_dword v38, v0, s[0:3], 0 offen offset:4
	buffer_store_dword v37, v0, s[0:3], 0 offen
	buffer_load_dword v37, off, s[0:3], 0
	s_nop 0
	buffer_load_dword v38, off, s[0:3], 0 offset:4
.LBB80_142:
	s_waitcnt vmcnt(0)
	flat_store_dwordx2 v[1:2], v[37:38]
	buffer_load_dword v0, off, s[0:3], 0 offset:8
	s_nop 0
	buffer_load_dword v1, off, s[0:3], 0 offset:12
	s_waitcnt vmcnt(0)
	flat_store_dwordx2 v[3:4], v[0:1]
	buffer_load_dword v0, off, s[0:3], 0 offset:16
	s_nop 0
	buffer_load_dword v1, off, s[0:3], 0 offset:20
	;; [unrolled: 5-line block ×16, first 2 shown]
	s_waitcnt vmcnt(0)
	flat_store_dwordx2 v[33:34], v[0:1]
	s_endpgm
	.section	.rodata,"a",@progbits
	.p2align	6, 0x0
	.amdhsa_kernel _ZN9rocsolver6v33100L18getri_kernel_smallILi17EdPKPdEEvT1_iilPiilS6_bb
		.amdhsa_group_segment_fixed_size 280
		.amdhsa_private_segment_fixed_size 144
		.amdhsa_kernarg_size 60
		.amdhsa_user_sgpr_count 6
		.amdhsa_user_sgpr_private_segment_buffer 1
		.amdhsa_user_sgpr_dispatch_ptr 0
		.amdhsa_user_sgpr_queue_ptr 0
		.amdhsa_user_sgpr_kernarg_segment_ptr 1
		.amdhsa_user_sgpr_dispatch_id 0
		.amdhsa_user_sgpr_flat_scratch_init 0
		.amdhsa_user_sgpr_private_segment_size 0
		.amdhsa_uses_dynamic_stack 0
		.amdhsa_system_sgpr_private_segment_wavefront_offset 1
		.amdhsa_system_sgpr_workgroup_id_x 1
		.amdhsa_system_sgpr_workgroup_id_y 0
		.amdhsa_system_sgpr_workgroup_id_z 0
		.amdhsa_system_sgpr_workgroup_info 0
		.amdhsa_system_vgpr_workitem_id 0
		.amdhsa_next_free_vgpr 72
		.amdhsa_next_free_sgpr 21
		.amdhsa_reserve_vcc 1
		.amdhsa_reserve_flat_scratch 0
		.amdhsa_float_round_mode_32 0
		.amdhsa_float_round_mode_16_64 0
		.amdhsa_float_denorm_mode_32 3
		.amdhsa_float_denorm_mode_16_64 3
		.amdhsa_dx10_clamp 1
		.amdhsa_ieee_mode 1
		.amdhsa_fp16_overflow 0
		.amdhsa_exception_fp_ieee_invalid_op 0
		.amdhsa_exception_fp_denorm_src 0
		.amdhsa_exception_fp_ieee_div_zero 0
		.amdhsa_exception_fp_ieee_overflow 0
		.amdhsa_exception_fp_ieee_underflow 0
		.amdhsa_exception_fp_ieee_inexact 0
		.amdhsa_exception_int_div_zero 0
	.end_amdhsa_kernel
	.section	.text._ZN9rocsolver6v33100L18getri_kernel_smallILi17EdPKPdEEvT1_iilPiilS6_bb,"axG",@progbits,_ZN9rocsolver6v33100L18getri_kernel_smallILi17EdPKPdEEvT1_iilPiilS6_bb,comdat
.Lfunc_end80:
	.size	_ZN9rocsolver6v33100L18getri_kernel_smallILi17EdPKPdEEvT1_iilPiilS6_bb, .Lfunc_end80-_ZN9rocsolver6v33100L18getri_kernel_smallILi17EdPKPdEEvT1_iilPiilS6_bb
                                        ; -- End function
	.set _ZN9rocsolver6v33100L18getri_kernel_smallILi17EdPKPdEEvT1_iilPiilS6_bb.num_vgpr, 72
	.set _ZN9rocsolver6v33100L18getri_kernel_smallILi17EdPKPdEEvT1_iilPiilS6_bb.num_agpr, 0
	.set _ZN9rocsolver6v33100L18getri_kernel_smallILi17EdPKPdEEvT1_iilPiilS6_bb.numbered_sgpr, 21
	.set _ZN9rocsolver6v33100L18getri_kernel_smallILi17EdPKPdEEvT1_iilPiilS6_bb.num_named_barrier, 0
	.set _ZN9rocsolver6v33100L18getri_kernel_smallILi17EdPKPdEEvT1_iilPiilS6_bb.private_seg_size, 144
	.set _ZN9rocsolver6v33100L18getri_kernel_smallILi17EdPKPdEEvT1_iilPiilS6_bb.uses_vcc, 1
	.set _ZN9rocsolver6v33100L18getri_kernel_smallILi17EdPKPdEEvT1_iilPiilS6_bb.uses_flat_scratch, 0
	.set _ZN9rocsolver6v33100L18getri_kernel_smallILi17EdPKPdEEvT1_iilPiilS6_bb.has_dyn_sized_stack, 0
	.set _ZN9rocsolver6v33100L18getri_kernel_smallILi17EdPKPdEEvT1_iilPiilS6_bb.has_recursion, 0
	.set _ZN9rocsolver6v33100L18getri_kernel_smallILi17EdPKPdEEvT1_iilPiilS6_bb.has_indirect_call, 0
	.section	.AMDGPU.csdata,"",@progbits
; Kernel info:
; codeLenInByte = 12928
; TotalNumSgprs: 25
; NumVgprs: 72
; ScratchSize: 144
; MemoryBound: 0
; FloatMode: 240
; IeeeMode: 1
; LDSByteSize: 280 bytes/workgroup (compile time only)
; SGPRBlocks: 3
; VGPRBlocks: 17
; NumSGPRsForWavesPerEU: 25
; NumVGPRsForWavesPerEU: 72
; Occupancy: 3
; WaveLimiterHint : 1
; COMPUTE_PGM_RSRC2:SCRATCH_EN: 1
; COMPUTE_PGM_RSRC2:USER_SGPR: 6
; COMPUTE_PGM_RSRC2:TRAP_HANDLER: 0
; COMPUTE_PGM_RSRC2:TGID_X_EN: 1
; COMPUTE_PGM_RSRC2:TGID_Y_EN: 0
; COMPUTE_PGM_RSRC2:TGID_Z_EN: 0
; COMPUTE_PGM_RSRC2:TIDIG_COMP_CNT: 0
	.section	.text._ZN9rocsolver6v33100L18getri_kernel_smallILi18EdPKPdEEvT1_iilPiilS6_bb,"axG",@progbits,_ZN9rocsolver6v33100L18getri_kernel_smallILi18EdPKPdEEvT1_iilPiilS6_bb,comdat
	.globl	_ZN9rocsolver6v33100L18getri_kernel_smallILi18EdPKPdEEvT1_iilPiilS6_bb ; -- Begin function _ZN9rocsolver6v33100L18getri_kernel_smallILi18EdPKPdEEvT1_iilPiilS6_bb
	.p2align	8
	.type	_ZN9rocsolver6v33100L18getri_kernel_smallILi18EdPKPdEEvT1_iilPiilS6_bb,@function
_ZN9rocsolver6v33100L18getri_kernel_smallILi18EdPKPdEEvT1_iilPiilS6_bb: ; @_ZN9rocsolver6v33100L18getri_kernel_smallILi18EdPKPdEEvT1_iilPiilS6_bb
; %bb.0:
	s_add_u32 s0, s0, s7
	s_addc_u32 s1, s1, 0
	v_cmp_gt_u32_e32 vcc, 18, v0
	s_and_saveexec_b64 s[8:9], vcc
	s_cbranch_execz .LBB81_80
; %bb.1:
	s_load_dword s18, s[4:5], 0x38
	s_load_dwordx2 s[12:13], s[4:5], 0x0
	s_load_dwordx4 s[8:11], s[4:5], 0x28
	s_waitcnt lgkmcnt(0)
	s_bitcmp1_b32 s18, 8
	s_cselect_b64 s[14:15], -1, 0
	s_ashr_i32 s7, s6, 31
	s_lshl_b64 s[16:17], s[6:7], 3
	s_add_u32 s12, s12, s16
	s_addc_u32 s13, s13, s17
	s_load_dwordx2 s[16:17], s[12:13], 0x0
	s_bfe_u32 s12, s18, 0x10008
	s_cmp_eq_u32 s12, 0
                                        ; implicit-def: $sgpr12_sgpr13
	s_cbranch_scc1 .LBB81_3
; %bb.2:
	s_load_dword s12, s[4:5], 0x20
	s_load_dwordx2 s[18:19], s[4:5], 0x18
	s_mul_i32 s13, s8, s7
	s_mul_hi_u32 s20, s8, s6
	s_add_i32 s20, s20, s13
	s_mul_i32 s9, s9, s6
	s_add_i32 s9, s20, s9
	s_mul_i32 s8, s8, s6
	s_waitcnt lgkmcnt(0)
	s_ashr_i32 s13, s12, 31
	s_lshl_b64 s[8:9], s[8:9], 2
	s_add_u32 s18, s18, s8
	s_addc_u32 s19, s19, s9
	s_lshl_b64 s[8:9], s[12:13], 2
	s_add_u32 s12, s18, s8
	s_addc_u32 s13, s19, s9
.LBB81_3:
	s_load_dwordx2 s[8:9], s[4:5], 0x8
	s_load_dword s18, s[4:5], 0x38
	v_lshlrev_b32_e32 v39, 3, v0
	s_waitcnt lgkmcnt(0)
	s_ashr_i32 s5, s8, 31
	s_mov_b32 s4, s8
	s_lshl_b64 s[4:5], s[4:5], 3
	s_add_u32 s8, s16, s4
	s_addc_u32 s16, s17, s5
	v_mov_b32_e32 v2, s16
	v_add_co_u32_e32 v1, vcc, s8, v39
	v_addc_co_u32_e32 v2, vcc, 0, v2, vcc
	flat_load_dwordx2 v[5:6], v[1:2]
	s_mov_b32 s4, s9
	s_ashr_i32 s5, s9, 31
	s_lshl_b64 s[4:5], s[4:5], 3
	v_mov_b32_e32 v4, s5
	v_add_co_u32_e32 v3, vcc, s4, v1
	v_addc_co_u32_e32 v4, vcc, v2, v4, vcc
	s_add_i32 s4, s9, s9
	v_add_u32_e32 v9, s4, v0
	v_ashrrev_i32_e32 v10, 31, v9
	v_mov_b32_e32 v11, s16
	v_add_u32_e32 v12, s9, v9
	v_ashrrev_i32_e32 v13, 31, v12
	v_mov_b32_e32 v14, s16
	v_mov_b32_e32 v15, s16
	;; [unrolled: 1-line block ×14, first 2 shown]
	s_bitcmp0_b32 s18, 0
	s_waitcnt vmcnt(0) lgkmcnt(0)
	buffer_store_dword v6, off, s[0:3], 0 offset:4
	buffer_store_dword v5, off, s[0:3], 0
	flat_load_dwordx2 v[7:8], v[3:4]
	v_lshlrev_b64 v[5:6], 3, v[9:10]
	s_waitcnt vmcnt(0) lgkmcnt(0)
	buffer_store_dword v8, off, s[0:3], 0 offset:12
	buffer_store_dword v7, off, s[0:3], 0 offset:8
	v_add_co_u32_e32 v5, vcc, s8, v5
	v_addc_co_u32_e32 v6, vcc, v11, v6, vcc
	flat_load_dwordx2 v[10:11], v[5:6]
	v_lshlrev_b64 v[7:8], 3, v[12:13]
	s_waitcnt vmcnt(0) lgkmcnt(0)
	buffer_store_dword v11, off, s[0:3], 0 offset:20
	buffer_store_dword v10, off, s[0:3], 0 offset:16
	v_add_co_u32_e32 v7, vcc, s8, v7
	v_addc_co_u32_e32 v8, vcc, v14, v8, vcc
	flat_load_dwordx2 v[13:14], v[7:8]
	v_add_u32_e32 v11, s9, v12
	v_ashrrev_i32_e32 v12, 31, v11
	v_lshlrev_b64 v[9:10], 3, v[11:12]
	s_waitcnt vmcnt(0) lgkmcnt(0)
	buffer_store_dword v14, off, s[0:3], 0 offset:28
	buffer_store_dword v13, off, s[0:3], 0 offset:24
	v_add_co_u32_e32 v9, vcc, s8, v9
	v_addc_co_u32_e32 v10, vcc, v15, v10, vcc
	flat_load_dwordx2 v[13:14], v[9:10]
	v_add_u32_e32 v15, s9, v11
	v_ashrrev_i32_e32 v16, 31, v15
	v_lshlrev_b64 v[11:12], 3, v[15:16]
	v_add_u32_e32 v18, s9, v15
	v_add_co_u32_e32 v11, vcc, s8, v11
	v_addc_co_u32_e32 v12, vcc, v17, v12, vcc
	v_ashrrev_i32_e32 v19, 31, v18
	s_waitcnt vmcnt(0) lgkmcnt(0)
	buffer_store_dword v14, off, s[0:3], 0 offset:36
	buffer_store_dword v13, off, s[0:3], 0 offset:32
	flat_load_dwordx2 v[16:17], v[11:12]
	v_lshlrev_b64 v[13:14], 3, v[18:19]
	s_waitcnt vmcnt(0) lgkmcnt(0)
	buffer_store_dword v17, off, s[0:3], 0 offset:44
	buffer_store_dword v16, off, s[0:3], 0 offset:40
	v_add_co_u32_e32 v13, vcc, s8, v13
	v_addc_co_u32_e32 v14, vcc, v20, v14, vcc
	flat_load_dwordx2 v[19:20], v[13:14]
	v_add_u32_e32 v17, s9, v18
	v_ashrrev_i32_e32 v18, 31, v17
	v_lshlrev_b64 v[15:16], 3, v[17:18]
	s_waitcnt vmcnt(0) lgkmcnt(0)
	buffer_store_dword v20, off, s[0:3], 0 offset:52
	buffer_store_dword v19, off, s[0:3], 0 offset:48
	v_add_co_u32_e32 v15, vcc, s8, v15
	v_addc_co_u32_e32 v16, vcc, v21, v16, vcc
	flat_load_dwordx2 v[19:20], v[15:16]
	v_add_u32_e32 v21, s9, v17
	v_ashrrev_i32_e32 v22, 31, v21
	v_lshlrev_b64 v[17:18], 3, v[21:22]
	v_add_u32_e32 v24, s9, v21
	v_add_co_u32_e32 v17, vcc, s8, v17
	v_addc_co_u32_e32 v18, vcc, v23, v18, vcc
	v_ashrrev_i32_e32 v25, 31, v24
	s_waitcnt vmcnt(0) lgkmcnt(0)
	buffer_store_dword v20, off, s[0:3], 0 offset:60
	buffer_store_dword v19, off, s[0:3], 0 offset:56
	;; [unrolled: 27-line block ×4, first 2 shown]
	flat_load_dwordx2 v[34:35], v[29:30]
	v_lshlrev_b64 v[31:32], 3, v[36:37]
	s_waitcnt vmcnt(0) lgkmcnt(0)
	buffer_store_dword v35, off, s[0:3], 0 offset:116
	buffer_store_dword v34, off, s[0:3], 0 offset:112
	v_add_co_u32_e32 v31, vcc, s8, v31
	v_addc_co_u32_e32 v32, vcc, v38, v32, vcc
	flat_load_dwordx2 v[37:38], v[31:32]
	v_add_u32_e32 v35, s9, v36
	v_ashrrev_i32_e32 v36, 31, v35
	v_lshlrev_b64 v[33:34], 3, v[35:36]
	v_add_u32_e32 v35, s9, v35
	v_add_co_u32_e32 v33, vcc, s8, v33
	v_addc_co_u32_e32 v34, vcc, v40, v34, vcc
	v_ashrrev_i32_e32 v36, 31, v35
	v_lshlrev_b64 v[35:36], 3, v[35:36]
	s_waitcnt vmcnt(0) lgkmcnt(0)
	buffer_store_dword v38, off, s[0:3], 0 offset:124
	buffer_store_dword v37, off, s[0:3], 0 offset:120
	flat_load_dwordx2 v[37:38], v[33:34]
	v_add_co_u32_e32 v35, vcc, s8, v35
	v_addc_co_u32_e32 v36, vcc, v40, v36, vcc
	s_mov_b64 s[8:9], -1
	s_waitcnt vmcnt(0) lgkmcnt(0)
	buffer_store_dword v38, off, s[0:3], 0 offset:132
	buffer_store_dword v37, off, s[0:3], 0 offset:128
	flat_load_dwordx2 v[37:38], v[35:36]
	s_waitcnt vmcnt(0) lgkmcnt(0)
	buffer_store_dword v38, off, s[0:3], 0 offset:140
	buffer_store_dword v37, off, s[0:3], 0 offset:136
	s_cbranch_scc1 .LBB81_78
; %bb.4:
	v_cmp_eq_u32_e64 s[4:5], 0, v0
	s_and_saveexec_b64 s[8:9], s[4:5]
; %bb.5:
	v_mov_b32_e32 v37, 0
	ds_write_b32 v37, v37 offset:288
; %bb.6:
	s_or_b64 exec, exec, s[8:9]
	v_mov_b32_e32 v37, 0
	v_lshl_add_u32 v37, v0, 3, v37
	s_waitcnt lgkmcnt(0)
	; wave barrier
	buffer_load_dword v40, v37, s[0:3], 0 offen
	buffer_load_dword v41, v37, s[0:3], 0 offen offset:4
	s_waitcnt vmcnt(0)
	v_cmp_eq_f64_e32 vcc, 0, v[40:41]
	s_and_saveexec_b64 s[16:17], vcc
	s_cbranch_execz .LBB81_10
; %bb.7:
	v_mov_b32_e32 v38, 0
	ds_read_b32 v41, v38 offset:288
	v_add_u32_e32 v40, 1, v0
	s_waitcnt lgkmcnt(0)
	v_readfirstlane_b32 s8, v41
	s_cmp_eq_u32 s8, 0
	s_cselect_b64 s[18:19], -1, 0
	v_cmp_gt_i32_e32 vcc, s8, v40
	s_or_b64 s[18:19], s[18:19], vcc
	s_and_b64 exec, exec, s[18:19]
	s_cbranch_execz .LBB81_10
; %bb.8:
	s_mov_b64 s[18:19], 0
	v_mov_b32_e32 v41, s8
.LBB81_9:                               ; =>This Inner Loop Header: Depth=1
	ds_cmpst_rtn_b32 v41, v38, v41, v40 offset:288
	s_waitcnt lgkmcnt(0)
	v_cmp_ne_u32_e32 vcc, 0, v41
	v_cmp_le_i32_e64 s[8:9], v41, v40
	s_and_b64 s[8:9], vcc, s[8:9]
	s_and_b64 s[8:9], exec, s[8:9]
	s_or_b64 s[18:19], s[8:9], s[18:19]
	s_andn2_b64 exec, exec, s[18:19]
	s_cbranch_execnz .LBB81_9
.LBB81_10:
	s_or_b64 exec, exec, s[16:17]
	v_mov_b32_e32 v40, 0
	; wave barrier
	ds_read_b32 v38, v40 offset:288
	s_and_saveexec_b64 s[8:9], s[4:5]
	s_cbranch_execz .LBB81_12
; %bb.11:
	s_lshl_b64 s[16:17], s[6:7], 2
	s_add_u32 s16, s10, s16
	s_addc_u32 s17, s11, s17
	s_waitcnt lgkmcnt(0)
	global_store_dword v40, v38, s[16:17]
.LBB81_12:
	s_or_b64 exec, exec, s[8:9]
	s_waitcnt lgkmcnt(0)
	v_cmp_ne_u32_e32 vcc, 0, v38
	s_mov_b64 s[8:9], 0
	s_cbranch_vccnz .LBB81_78
; %bb.13:
	buffer_load_dword v40, v37, s[0:3], 0 offen
	buffer_load_dword v41, v37, s[0:3], 0 offen offset:4
	s_waitcnt vmcnt(0)
	v_div_scale_f64 v[42:43], s[8:9], v[40:41], v[40:41], 1.0
	v_rcp_f64_e32 v[44:45], v[42:43]
	v_fma_f64 v[46:47], -v[42:43], v[44:45], 1.0
	v_fma_f64 v[44:45], v[44:45], v[46:47], v[44:45]
	v_div_scale_f64 v[46:47], vcc, 1.0, v[40:41], 1.0
	v_fma_f64 v[48:49], -v[42:43], v[44:45], 1.0
	v_fma_f64 v[44:45], v[44:45], v[48:49], v[44:45]
	v_mul_f64 v[48:49], v[46:47], v[44:45]
	v_fma_f64 v[42:43], -v[42:43], v[48:49], v[46:47]
	v_div_fmas_f64 v[42:43], v[42:43], v[44:45], v[48:49]
	v_div_fixup_f64 v[41:42], v[42:43], v[40:41], 1.0
	v_add_u32_e32 v40, 0x90, v39
	buffer_store_dword v42, v37, s[0:3], 0 offen offset:4
	buffer_store_dword v41, v37, s[0:3], 0 offen
	buffer_load_dword v44, off, s[0:3], 0 offset:12
	buffer_load_dword v43, off, s[0:3], 0 offset:8
	v_xor_b32_e32 v42, 0x80000000, v42
	s_waitcnt vmcnt(0)
	ds_write2_b64 v39, v[41:42], v[43:44] offset1:18
	s_waitcnt lgkmcnt(0)
	; wave barrier
	s_and_saveexec_b64 s[8:9], s[4:5]
	s_cbranch_execz .LBB81_15
; %bb.14:
	buffer_load_dword v41, v37, s[0:3], 0 offen
	buffer_load_dword v42, v37, s[0:3], 0 offen offset:4
	ds_read_b64 v[43:44], v40
	v_mov_b32_e32 v38, 0
	ds_read_b64 v[45:46], v38 offset:8
	s_waitcnt vmcnt(0) lgkmcnt(1)
	v_fma_f64 v[41:42], v[41:42], v[43:44], 0
	s_waitcnt lgkmcnt(0)
	v_mul_f64 v[41:42], v[41:42], v[45:46]
	buffer_store_dword v41, off, s[0:3], 0 offset:8
	buffer_store_dword v42, off, s[0:3], 0 offset:12
.LBB81_15:
	s_or_b64 exec, exec, s[8:9]
	; wave barrier
	buffer_load_dword v41, off, s[0:3], 0 offset:16
	buffer_load_dword v42, off, s[0:3], 0 offset:20
	v_cmp_gt_u32_e32 vcc, 2, v0
	s_waitcnt vmcnt(0)
	ds_write_b64 v40, v[41:42]
	s_waitcnt lgkmcnt(0)
	; wave barrier
	s_and_saveexec_b64 s[8:9], vcc
	s_cbranch_execz .LBB81_17
; %bb.16:
	buffer_load_dword v41, v37, s[0:3], 0 offen
	buffer_load_dword v42, v37, s[0:3], 0 offen offset:4
                                        ; kill: killed $vgpr37
	s_nop 0
	buffer_load_dword v37, off, s[0:3], 0 offset:8
	buffer_load_dword v38, off, s[0:3], 0 offset:12
	ds_read_b64 v[43:44], v40
	s_waitcnt vmcnt(2) lgkmcnt(0)
	v_fma_f64 v[45:46], v[41:42], v[43:44], 0
	v_mov_b32_e32 v41, 0
	ds_read2_b64 v[41:44], v41 offset0:2 offset1:19
	s_waitcnt vmcnt(0) lgkmcnt(0)
	v_fma_f64 v[37:38], v[37:38], v[43:44], v[45:46]
	v_cndmask_b32_e64 v38, v46, v38, s[4:5]
	v_cndmask_b32_e64 v37, v45, v37, s[4:5]
	v_mul_f64 v[37:38], v[37:38], v[41:42]
	buffer_store_dword v38, off, s[0:3], 0 offset:20
	buffer_store_dword v37, off, s[0:3], 0 offset:16
.LBB81_17:
	s_or_b64 exec, exec, s[8:9]
	; wave barrier
	buffer_load_dword v37, off, s[0:3], 0 offset:24
	buffer_load_dword v38, off, s[0:3], 0 offset:28
	v_cmp_gt_u32_e32 vcc, 3, v0
	v_add_u32_e32 v41, -1, v0
	s_waitcnt vmcnt(0)
	ds_write_b64 v40, v[37:38]
	s_waitcnt lgkmcnt(0)
	; wave barrier
	s_and_saveexec_b64 s[4:5], vcc
	s_cbranch_execz .LBB81_21
; %bb.18:
	v_mov_b32_e32 v37, 0
	v_add_u32_e32 v42, -1, v0
	v_add_u32_e32 v43, 0x90, v39
	v_mov_b32_e32 v44, v39
	v_mov_b32_e32 v38, 0
	s_mov_b64 s[8:9], 0
.LBB81_19:                              ; =>This Inner Loop Header: Depth=1
	buffer_load_dword v45, v44, s[0:3], 0 offen
	buffer_load_dword v46, v44, s[0:3], 0 offen offset:4
	ds_read_b64 v[47:48], v43
	v_add_u32_e32 v42, 1, v42
	v_cmp_lt_u32_e32 vcc, 1, v42
	v_add_u32_e32 v43, 8, v43
	s_or_b64 s[8:9], vcc, s[8:9]
	v_add_u32_e32 v44, 8, v44
	s_waitcnt vmcnt(0) lgkmcnt(0)
	v_fma_f64 v[37:38], v[45:46], v[47:48], v[37:38]
	s_andn2_b64 exec, exec, s[8:9]
	s_cbranch_execnz .LBB81_19
; %bb.20:
	s_or_b64 exec, exec, s[8:9]
	v_mov_b32_e32 v42, 0
	ds_read_b64 v[42:43], v42 offset:24
	s_waitcnt lgkmcnt(0)
	v_mul_f64 v[37:38], v[37:38], v[42:43]
	buffer_store_dword v38, off, s[0:3], 0 offset:28
	buffer_store_dword v37, off, s[0:3], 0 offset:24
.LBB81_21:
	s_or_b64 exec, exec, s[4:5]
	; wave barrier
	buffer_load_dword v37, off, s[0:3], 0 offset:32
	buffer_load_dword v38, off, s[0:3], 0 offset:36
	v_cmp_gt_u32_e32 vcc, 4, v0
	s_waitcnt vmcnt(0)
	ds_write_b64 v40, v[37:38]
	s_waitcnt lgkmcnt(0)
	; wave barrier
	s_and_saveexec_b64 s[4:5], vcc
	s_cbranch_execz .LBB81_25
; %bb.22:
	v_mov_b32_e32 v37, 0
	v_add_u32_e32 v42, -1, v0
	v_add_u32_e32 v43, 0x90, v39
	v_mov_b32_e32 v44, v39
	v_mov_b32_e32 v38, 0
	s_mov_b64 s[8:9], 0
.LBB81_23:                              ; =>This Inner Loop Header: Depth=1
	buffer_load_dword v45, v44, s[0:3], 0 offen
	buffer_load_dword v46, v44, s[0:3], 0 offen offset:4
	ds_read_b64 v[47:48], v43
	v_add_u32_e32 v42, 1, v42
	v_cmp_lt_u32_e32 vcc, 2, v42
	v_add_u32_e32 v43, 8, v43
	s_or_b64 s[8:9], vcc, s[8:9]
	v_add_u32_e32 v44, 8, v44
	s_waitcnt vmcnt(0) lgkmcnt(0)
	v_fma_f64 v[37:38], v[45:46], v[47:48], v[37:38]
	s_andn2_b64 exec, exec, s[8:9]
	s_cbranch_execnz .LBB81_23
; %bb.24:
	s_or_b64 exec, exec, s[8:9]
	v_mov_b32_e32 v42, 0
	ds_read_b64 v[42:43], v42 offset:32
	s_waitcnt lgkmcnt(0)
	v_mul_f64 v[37:38], v[37:38], v[42:43]
	buffer_store_dword v38, off, s[0:3], 0 offset:36
	buffer_store_dword v37, off, s[0:3], 0 offset:32
.LBB81_25:
	s_or_b64 exec, exec, s[4:5]
	; wave barrier
	buffer_load_dword v37, off, s[0:3], 0 offset:40
	buffer_load_dword v38, off, s[0:3], 0 offset:44
	v_cmp_gt_u32_e32 vcc, 5, v0
	;; [unrolled: 40-line block ×13, first 2 shown]
	s_waitcnt vmcnt(0)
	ds_write_b64 v40, v[37:38]
	s_waitcnt lgkmcnt(0)
	; wave barrier
	s_and_saveexec_b64 s[4:5], vcc
	s_cbranch_execz .LBB81_73
; %bb.70:
	v_mov_b32_e32 v37, 0
	v_add_u32_e32 v42, -1, v0
	v_add_u32_e32 v43, 0x90, v39
	v_mov_b32_e32 v44, v39
	v_mov_b32_e32 v38, 0
	s_mov_b64 s[8:9], 0
.LBB81_71:                              ; =>This Inner Loop Header: Depth=1
	buffer_load_dword v45, v44, s[0:3], 0 offen
	buffer_load_dword v46, v44, s[0:3], 0 offen offset:4
	ds_read_b64 v[47:48], v43
	v_add_u32_e32 v42, 1, v42
	v_cmp_lt_u32_e32 vcc, 14, v42
	v_add_u32_e32 v43, 8, v43
	s_or_b64 s[8:9], vcc, s[8:9]
	v_add_u32_e32 v44, 8, v44
	s_waitcnt vmcnt(0) lgkmcnt(0)
	v_fma_f64 v[37:38], v[45:46], v[47:48], v[37:38]
	s_andn2_b64 exec, exec, s[8:9]
	s_cbranch_execnz .LBB81_71
; %bb.72:
	s_or_b64 exec, exec, s[8:9]
	v_mov_b32_e32 v42, 0
	ds_read_b64 v[42:43], v42 offset:128
	s_waitcnt lgkmcnt(0)
	v_mul_f64 v[37:38], v[37:38], v[42:43]
	buffer_store_dword v38, off, s[0:3], 0 offset:132
	buffer_store_dword v37, off, s[0:3], 0 offset:128
.LBB81_73:
	s_or_b64 exec, exec, s[4:5]
	; wave barrier
	buffer_load_dword v37, off, s[0:3], 0 offset:136
	buffer_load_dword v38, off, s[0:3], 0 offset:140
	v_cmp_ne_u32_e32 vcc, 17, v0
	s_waitcnt vmcnt(0)
	ds_write_b64 v40, v[37:38]
	s_waitcnt lgkmcnt(0)
	; wave barrier
	s_and_saveexec_b64 s[4:5], vcc
	s_cbranch_execz .LBB81_77
; %bb.74:
	v_mov_b32_e32 v37, 0
	v_add_u32_e32 v40, 0x90, v39
	v_mov_b32_e32 v38, 0
	s_mov_b64 s[8:9], 0
.LBB81_75:                              ; =>This Inner Loop Header: Depth=1
	buffer_load_dword v42, v39, s[0:3], 0 offen
	buffer_load_dword v43, v39, s[0:3], 0 offen offset:4
	ds_read_b64 v[44:45], v40
	v_add_u32_e32 v41, 1, v41
	v_cmp_lt_u32_e32 vcc, 15, v41
	v_add_u32_e32 v40, 8, v40
	s_or_b64 s[8:9], vcc, s[8:9]
	v_add_u32_e32 v39, 8, v39
	s_waitcnt vmcnt(0) lgkmcnt(0)
	v_fma_f64 v[37:38], v[42:43], v[44:45], v[37:38]
	s_andn2_b64 exec, exec, s[8:9]
	s_cbranch_execnz .LBB81_75
; %bb.76:
	s_or_b64 exec, exec, s[8:9]
	v_mov_b32_e32 v39, 0
	ds_read_b64 v[39:40], v39 offset:136
	s_waitcnt lgkmcnt(0)
	v_mul_f64 v[37:38], v[37:38], v[39:40]
	buffer_store_dword v38, off, s[0:3], 0 offset:140
	buffer_store_dword v37, off, s[0:3], 0 offset:136
.LBB81_77:
	s_or_b64 exec, exec, s[4:5]
	s_mov_b64 s[8:9], -1
	; wave barrier
.LBB81_78:
	s_and_b64 vcc, exec, s[8:9]
	s_cbranch_vccz .LBB81_80
; %bb.79:
	s_lshl_b64 s[4:5], s[6:7], 2
	s_add_u32 s4, s10, s4
	s_addc_u32 s5, s11, s5
	v_mov_b32_e32 v37, 0
	global_load_dword v37, v37, s[4:5]
	s_waitcnt vmcnt(0)
	v_cmp_ne_u32_e32 vcc, 0, v37
	s_cbranch_vccz .LBB81_81
.LBB81_80:
	s_endpgm
.LBB81_81:
	v_mov_b32_e32 v37, 0x90
	v_lshl_add_u32 v37, v0, 3, v37
	v_cmp_eq_u32_e32 vcc, 17, v0
	s_and_saveexec_b64 s[4:5], vcc
	s_cbranch_execz .LBB81_83
; %bb.82:
	buffer_load_dword v38, off, s[0:3], 0 offset:128
	buffer_load_dword v39, off, s[0:3], 0 offset:132
	v_mov_b32_e32 v40, 0
	buffer_store_dword v40, off, s[0:3], 0 offset:128
	buffer_store_dword v40, off, s[0:3], 0 offset:132
	s_waitcnt vmcnt(2)
	ds_write_b64 v37, v[38:39]
.LBB81_83:
	s_or_b64 exec, exec, s[4:5]
	s_waitcnt lgkmcnt(0)
	; wave barrier
	buffer_load_dword v39, off, s[0:3], 0 offset:136
	buffer_load_dword v40, off, s[0:3], 0 offset:140
	;; [unrolled: 1-line block ×4, first 2 shown]
	v_mov_b32_e32 v38, 0
	ds_read_b64 v[43:44], v38 offset:280
	v_cmp_lt_u32_e32 vcc, 15, v0
	s_waitcnt vmcnt(2) lgkmcnt(0)
	v_fma_f64 v[39:40], v[39:40], v[43:44], 0
	s_waitcnt vmcnt(0)
	v_add_f64 v[39:40], v[41:42], -v[39:40]
	buffer_store_dword v39, off, s[0:3], 0 offset:128
	buffer_store_dword v40, off, s[0:3], 0 offset:132
	s_and_saveexec_b64 s[4:5], vcc
	s_cbranch_execz .LBB81_85
; %bb.84:
	buffer_load_dword v39, off, s[0:3], 0 offset:120
	buffer_load_dword v40, off, s[0:3], 0 offset:124
	s_waitcnt vmcnt(0)
	ds_write_b64 v37, v[39:40]
	buffer_store_dword v38, off, s[0:3], 0 offset:120
	buffer_store_dword v38, off, s[0:3], 0 offset:124
.LBB81_85:
	s_or_b64 exec, exec, s[4:5]
	s_waitcnt lgkmcnt(0)
	; wave barrier
	buffer_load_dword v42, off, s[0:3], 0 offset:128
	buffer_load_dword v43, off, s[0:3], 0 offset:132
	;; [unrolled: 1-line block ×6, first 2 shown]
	ds_read_b128 v[38:41], v38 offset:272
	v_cmp_lt_u32_e32 vcc, 14, v0
	s_waitcnt vmcnt(4) lgkmcnt(0)
	v_fma_f64 v[38:39], v[42:43], v[38:39], 0
	s_waitcnt vmcnt(2)
	v_fma_f64 v[38:39], v[44:45], v[40:41], v[38:39]
	s_waitcnt vmcnt(0)
	v_add_f64 v[38:39], v[46:47], -v[38:39]
	buffer_store_dword v38, off, s[0:3], 0 offset:120
	buffer_store_dword v39, off, s[0:3], 0 offset:124
	s_and_saveexec_b64 s[4:5], vcc
	s_cbranch_execz .LBB81_87
; %bb.86:
	buffer_load_dword v38, off, s[0:3], 0 offset:112
	buffer_load_dword v39, off, s[0:3], 0 offset:116
	v_mov_b32_e32 v40, 0
	buffer_store_dword v40, off, s[0:3], 0 offset:112
	buffer_store_dword v40, off, s[0:3], 0 offset:116
	s_waitcnt vmcnt(2)
	ds_write_b64 v37, v[38:39]
.LBB81_87:
	s_or_b64 exec, exec, s[4:5]
	s_waitcnt lgkmcnt(0)
	; wave barrier
	buffer_load_dword v43, off, s[0:3], 0 offset:120
	buffer_load_dword v44, off, s[0:3], 0 offset:124
	;; [unrolled: 1-line block ×8, first 2 shown]
	v_mov_b32_e32 v38, 0
	ds_read2_b64 v[39:42], v38 offset0:33 offset1:34
	ds_read_b64 v[51:52], v38 offset:280
	v_cmp_lt_u32_e32 vcc, 13, v0
	s_waitcnt vmcnt(6) lgkmcnt(1)
	v_fma_f64 v[39:40], v[43:44], v[39:40], 0
	s_waitcnt vmcnt(4)
	v_fma_f64 v[39:40], v[45:46], v[41:42], v[39:40]
	s_waitcnt vmcnt(2) lgkmcnt(0)
	v_fma_f64 v[39:40], v[47:48], v[51:52], v[39:40]
	s_waitcnt vmcnt(0)
	v_add_f64 v[39:40], v[49:50], -v[39:40]
	buffer_store_dword v39, off, s[0:3], 0 offset:112
	buffer_store_dword v40, off, s[0:3], 0 offset:116
	s_and_saveexec_b64 s[4:5], vcc
	s_cbranch_execz .LBB81_89
; %bb.88:
	buffer_load_dword v39, off, s[0:3], 0 offset:104
	buffer_load_dword v40, off, s[0:3], 0 offset:108
	s_waitcnt vmcnt(0)
	ds_write_b64 v37, v[39:40]
	buffer_store_dword v38, off, s[0:3], 0 offset:104
	buffer_store_dword v38, off, s[0:3], 0 offset:108
.LBB81_89:
	s_or_b64 exec, exec, s[4:5]
	s_waitcnt lgkmcnt(0)
	; wave barrier
	buffer_load_dword v47, off, s[0:3], 0 offset:112
	buffer_load_dword v48, off, s[0:3], 0 offset:116
	buffer_load_dword v49, off, s[0:3], 0 offset:120
	buffer_load_dword v50, off, s[0:3], 0 offset:124
	buffer_load_dword v51, off, s[0:3], 0 offset:128
	buffer_load_dword v52, off, s[0:3], 0 offset:132
	buffer_load_dword v53, off, s[0:3], 0 offset:136
	buffer_load_dword v54, off, s[0:3], 0 offset:140
	buffer_load_dword v55, off, s[0:3], 0 offset:104
	buffer_load_dword v56, off, s[0:3], 0 offset:108
	ds_read_b128 v[39:42], v38 offset:256
	ds_read_b128 v[43:46], v38 offset:272
	v_cmp_lt_u32_e32 vcc, 12, v0
	s_waitcnt vmcnt(8) lgkmcnt(1)
	v_fma_f64 v[38:39], v[47:48], v[39:40], 0
	s_waitcnt vmcnt(6)
	v_fma_f64 v[38:39], v[49:50], v[41:42], v[38:39]
	s_waitcnt vmcnt(4) lgkmcnt(0)
	v_fma_f64 v[38:39], v[51:52], v[43:44], v[38:39]
	s_waitcnt vmcnt(2)
	v_fma_f64 v[38:39], v[53:54], v[45:46], v[38:39]
	s_waitcnt vmcnt(0)
	v_add_f64 v[38:39], v[55:56], -v[38:39]
	buffer_store_dword v38, off, s[0:3], 0 offset:104
	buffer_store_dword v39, off, s[0:3], 0 offset:108
	s_and_saveexec_b64 s[4:5], vcc
	s_cbranch_execz .LBB81_91
; %bb.90:
	buffer_load_dword v38, off, s[0:3], 0 offset:96
	buffer_load_dword v39, off, s[0:3], 0 offset:100
	v_mov_b32_e32 v40, 0
	buffer_store_dword v40, off, s[0:3], 0 offset:96
	buffer_store_dword v40, off, s[0:3], 0 offset:100
	s_waitcnt vmcnt(2)
	ds_write_b64 v37, v[38:39]
.LBB81_91:
	s_or_b64 exec, exec, s[4:5]
	s_waitcnt lgkmcnt(0)
	; wave barrier
	buffer_load_dword v47, off, s[0:3], 0 offset:104
	buffer_load_dword v48, off, s[0:3], 0 offset:108
	;; [unrolled: 1-line block ×12, first 2 shown]
	v_mov_b32_e32 v38, 0
	ds_read2_b64 v[39:42], v38 offset0:31 offset1:32
	ds_read2_b64 v[43:46], v38 offset0:33 offset1:34
	v_cmp_lt_u32_e32 vcc, 11, v0
	s_waitcnt vmcnt(10) lgkmcnt(1)
	v_fma_f64 v[39:40], v[47:48], v[39:40], 0
	s_waitcnt vmcnt(8)
	v_fma_f64 v[39:40], v[49:50], v[41:42], v[39:40]
	ds_read_b64 v[41:42], v38 offset:280
	s_waitcnt vmcnt(6) lgkmcnt(1)
	v_fma_f64 v[39:40], v[51:52], v[43:44], v[39:40]
	s_waitcnt vmcnt(4)
	v_fma_f64 v[39:40], v[53:54], v[45:46], v[39:40]
	s_waitcnt vmcnt(2) lgkmcnt(0)
	v_fma_f64 v[39:40], v[55:56], v[41:42], v[39:40]
	s_waitcnt vmcnt(0)
	v_add_f64 v[39:40], v[57:58], -v[39:40]
	buffer_store_dword v39, off, s[0:3], 0 offset:96
	buffer_store_dword v40, off, s[0:3], 0 offset:100
	s_and_saveexec_b64 s[4:5], vcc
	s_cbranch_execz .LBB81_93
; %bb.92:
	buffer_load_dword v39, off, s[0:3], 0 offset:88
	buffer_load_dword v40, off, s[0:3], 0 offset:92
	s_waitcnt vmcnt(0)
	ds_write_b64 v37, v[39:40]
	buffer_store_dword v38, off, s[0:3], 0 offset:88
	buffer_store_dword v38, off, s[0:3], 0 offset:92
.LBB81_93:
	s_or_b64 exec, exec, s[4:5]
	s_waitcnt lgkmcnt(0)
	; wave barrier
	buffer_load_dword v47, off, s[0:3], 0 offset:96
	buffer_load_dword v48, off, s[0:3], 0 offset:100
	;; [unrolled: 1-line block ×14, first 2 shown]
	ds_read_b128 v[39:42], v38 offset:240
	ds_read_b128 v[43:46], v38 offset:256
	v_cmp_lt_u32_e32 vcc, 10, v0
	s_waitcnt vmcnt(12) lgkmcnt(1)
	v_fma_f64 v[39:40], v[47:48], v[39:40], 0
	s_waitcnt vmcnt(10)
	v_fma_f64 v[39:40], v[49:50], v[41:42], v[39:40]
	s_waitcnt vmcnt(8) lgkmcnt(0)
	v_fma_f64 v[39:40], v[51:52], v[43:44], v[39:40]
	s_waitcnt vmcnt(6)
	v_fma_f64 v[42:43], v[53:54], v[45:46], v[39:40]
	ds_read_b128 v[38:41], v38 offset:272
	s_waitcnt vmcnt(4) lgkmcnt(0)
	v_fma_f64 v[38:39], v[55:56], v[38:39], v[42:43]
	s_waitcnt vmcnt(2)
	v_fma_f64 v[38:39], v[57:58], v[40:41], v[38:39]
	s_waitcnt vmcnt(0)
	v_add_f64 v[38:39], v[59:60], -v[38:39]
	buffer_store_dword v38, off, s[0:3], 0 offset:88
	buffer_store_dword v39, off, s[0:3], 0 offset:92
	s_and_saveexec_b64 s[4:5], vcc
	s_cbranch_execz .LBB81_95
; %bb.94:
	buffer_load_dword v38, off, s[0:3], 0 offset:80
	buffer_load_dword v39, off, s[0:3], 0 offset:84
	v_mov_b32_e32 v40, 0
	buffer_store_dword v40, off, s[0:3], 0 offset:80
	buffer_store_dword v40, off, s[0:3], 0 offset:84
	s_waitcnt vmcnt(2)
	ds_write_b64 v37, v[38:39]
.LBB81_95:
	s_or_b64 exec, exec, s[4:5]
	s_waitcnt lgkmcnt(0)
	; wave barrier
	buffer_load_dword v43, off, s[0:3], 0 offset:80
	buffer_load_dword v44, off, s[0:3], 0 offset:84
	;; [unrolled: 1-line block ×16, first 2 shown]
	v_mov_b32_e32 v38, 0
	ds_read2_b64 v[39:42], v38 offset0:29 offset1:30
	v_cmp_lt_u32_e32 vcc, 9, v0
	s_waitcnt vmcnt(12) lgkmcnt(0)
	v_fma_f64 v[39:40], v[45:46], v[39:40], 0
	s_waitcnt vmcnt(10)
	v_fma_f64 v[45:46], v[47:48], v[41:42], v[39:40]
	ds_read2_b64 v[39:42], v38 offset0:31 offset1:32
	s_waitcnt vmcnt(8) lgkmcnt(0)
	v_fma_f64 v[39:40], v[49:50], v[39:40], v[45:46]
	s_waitcnt vmcnt(6)
	v_fma_f64 v[45:46], v[51:52], v[41:42], v[39:40]
	ds_read2_b64 v[39:42], v38 offset0:33 offset1:34
	s_waitcnt vmcnt(4) lgkmcnt(0)
	v_fma_f64 v[39:40], v[53:54], v[39:40], v[45:46]
	s_waitcnt vmcnt(2)
	v_fma_f64 v[39:40], v[55:56], v[41:42], v[39:40]
	ds_read_b64 v[41:42], v38 offset:280
	s_waitcnt vmcnt(0) lgkmcnt(0)
	v_fma_f64 v[39:40], v[57:58], v[41:42], v[39:40]
	v_add_f64 v[39:40], v[43:44], -v[39:40]
	buffer_store_dword v39, off, s[0:3], 0 offset:80
	buffer_store_dword v40, off, s[0:3], 0 offset:84
	s_and_saveexec_b64 s[4:5], vcc
	s_cbranch_execz .LBB81_97
; %bb.96:
	buffer_load_dword v39, off, s[0:3], 0 offset:72
	buffer_load_dword v40, off, s[0:3], 0 offset:76
	s_waitcnt vmcnt(0)
	ds_write_b64 v37, v[39:40]
	buffer_store_dword v38, off, s[0:3], 0 offset:72
	buffer_store_dword v38, off, s[0:3], 0 offset:76
.LBB81_97:
	s_or_b64 exec, exec, s[4:5]
	s_waitcnt lgkmcnt(0)
	; wave barrier
	buffer_load_dword v43, off, s[0:3], 0 offset:80
	buffer_load_dword v44, off, s[0:3], 0 offset:84
	;; [unrolled: 1-line block ×18, first 2 shown]
	ds_read_b128 v[39:42], v38 offset:224
	v_cmp_lt_u32_e32 vcc, 8, v0
	s_waitcnt vmcnt(16) lgkmcnt(0)
	v_fma_f64 v[39:40], v[43:44], v[39:40], 0
	s_waitcnt vmcnt(14)
	v_fma_f64 v[43:44], v[45:46], v[41:42], v[39:40]
	ds_read_b128 v[39:42], v38 offset:240
	s_waitcnt vmcnt(12) lgkmcnt(0)
	v_fma_f64 v[39:40], v[47:48], v[39:40], v[43:44]
	s_waitcnt vmcnt(10)
	v_fma_f64 v[43:44], v[49:50], v[41:42], v[39:40]
	ds_read_b128 v[39:42], v38 offset:256
	;; [unrolled: 5-line block ×3, first 2 shown]
	s_waitcnt vmcnt(4) lgkmcnt(0)
	v_fma_f64 v[38:39], v[55:56], v[38:39], v[42:43]
	s_waitcnt vmcnt(2)
	v_fma_f64 v[38:39], v[57:58], v[40:41], v[38:39]
	s_waitcnt vmcnt(0)
	v_add_f64 v[38:39], v[59:60], -v[38:39]
	buffer_store_dword v38, off, s[0:3], 0 offset:72
	buffer_store_dword v39, off, s[0:3], 0 offset:76
	s_and_saveexec_b64 s[4:5], vcc
	s_cbranch_execz .LBB81_99
; %bb.98:
	buffer_load_dword v38, off, s[0:3], 0 offset:64
	buffer_load_dword v39, off, s[0:3], 0 offset:68
	v_mov_b32_e32 v40, 0
	buffer_store_dword v40, off, s[0:3], 0 offset:64
	buffer_store_dword v40, off, s[0:3], 0 offset:68
	s_waitcnt vmcnt(2)
	ds_write_b64 v37, v[38:39]
.LBB81_99:
	s_or_b64 exec, exec, s[4:5]
	s_waitcnt lgkmcnt(0)
	; wave barrier
	buffer_load_dword v43, off, s[0:3], 0 offset:72
	buffer_load_dword v44, off, s[0:3], 0 offset:76
	;; [unrolled: 1-line block ×20, first 2 shown]
	v_mov_b32_e32 v38, 0
	ds_read2_b64 v[39:42], v38 offset0:27 offset1:28
	v_cmp_lt_u32_e32 vcc, 7, v0
	s_waitcnt vmcnt(18) lgkmcnt(0)
	v_fma_f64 v[39:40], v[43:44], v[39:40], 0
	s_waitcnt vmcnt(16)
	v_fma_f64 v[43:44], v[45:46], v[41:42], v[39:40]
	ds_read2_b64 v[39:42], v38 offset0:29 offset1:30
	s_waitcnt vmcnt(14) lgkmcnt(0)
	v_fma_f64 v[39:40], v[47:48], v[39:40], v[43:44]
	s_waitcnt vmcnt(12)
	v_fma_f64 v[43:44], v[49:50], v[41:42], v[39:40]
	ds_read2_b64 v[39:42], v38 offset0:31 offset1:32
	;; [unrolled: 5-line block ×3, first 2 shown]
	s_waitcnt vmcnt(6) lgkmcnt(0)
	v_fma_f64 v[39:40], v[55:56], v[39:40], v[43:44]
	s_waitcnt vmcnt(4)
	v_fma_f64 v[39:40], v[57:58], v[41:42], v[39:40]
	ds_read_b64 v[41:42], v38 offset:280
	s_waitcnt vmcnt(2) lgkmcnt(0)
	v_fma_f64 v[39:40], v[59:60], v[41:42], v[39:40]
	s_waitcnt vmcnt(0)
	v_add_f64 v[39:40], v[61:62], -v[39:40]
	buffer_store_dword v39, off, s[0:3], 0 offset:64
	buffer_store_dword v40, off, s[0:3], 0 offset:68
	s_and_saveexec_b64 s[4:5], vcc
	s_cbranch_execz .LBB81_101
; %bb.100:
	buffer_load_dword v39, off, s[0:3], 0 offset:56
	buffer_load_dword v40, off, s[0:3], 0 offset:60
	s_waitcnt vmcnt(0)
	ds_write_b64 v37, v[39:40]
	buffer_store_dword v38, off, s[0:3], 0 offset:56
	buffer_store_dword v38, off, s[0:3], 0 offset:60
.LBB81_101:
	s_or_b64 exec, exec, s[4:5]
	s_waitcnt lgkmcnt(0)
	; wave barrier
	buffer_load_dword v47, off, s[0:3], 0 offset:64
	buffer_load_dword v48, off, s[0:3], 0 offset:68
	;; [unrolled: 1-line block ×20, first 2 shown]
	ds_read_b128 v[39:42], v38 offset:208
	buffer_load_dword v67, off, s[0:3], 0 offset:56
	buffer_load_dword v68, off, s[0:3], 0 offset:60
	ds_read_b128 v[43:46], v38 offset:224
	v_cmp_lt_u32_e32 vcc, 6, v0
	s_waitcnt vmcnt(20) lgkmcnt(1)
	v_fma_f64 v[39:40], v[47:48], v[39:40], 0
	s_waitcnt vmcnt(18)
	v_fma_f64 v[39:40], v[49:50], v[41:42], v[39:40]
	s_waitcnt vmcnt(16) lgkmcnt(0)
	v_fma_f64 v[39:40], v[51:52], v[43:44], v[39:40]
	s_waitcnt vmcnt(14)
	v_fma_f64 v[47:48], v[53:54], v[45:46], v[39:40]
	ds_read_b128 v[39:42], v38 offset:240
	ds_read_b128 v[43:46], v38 offset:256
	s_waitcnt vmcnt(12) lgkmcnt(1)
	v_fma_f64 v[39:40], v[55:56], v[39:40], v[47:48]
	s_waitcnt vmcnt(10)
	v_fma_f64 v[39:40], v[57:58], v[41:42], v[39:40]
	s_waitcnt vmcnt(8) lgkmcnt(0)
	v_fma_f64 v[39:40], v[59:60], v[43:44], v[39:40]
	s_waitcnt vmcnt(4)
	v_fma_f64 v[42:43], v[61:62], v[45:46], v[39:40]
	ds_read_b128 v[38:41], v38 offset:272
	s_waitcnt vmcnt(3) lgkmcnt(0)
	v_fma_f64 v[38:39], v[65:66], v[38:39], v[42:43]
	s_waitcnt vmcnt(2)
	v_fma_f64 v[38:39], v[63:64], v[40:41], v[38:39]
	s_waitcnt vmcnt(0)
	v_add_f64 v[38:39], v[67:68], -v[38:39]
	buffer_store_dword v38, off, s[0:3], 0 offset:56
	buffer_store_dword v39, off, s[0:3], 0 offset:60
	s_and_saveexec_b64 s[4:5], vcc
	s_cbranch_execz .LBB81_103
; %bb.102:
	buffer_load_dword v38, off, s[0:3], 0 offset:48
	buffer_load_dword v39, off, s[0:3], 0 offset:52
	v_mov_b32_e32 v40, 0
	buffer_store_dword v40, off, s[0:3], 0 offset:48
	buffer_store_dword v40, off, s[0:3], 0 offset:52
	s_waitcnt vmcnt(2)
	ds_write_b64 v37, v[38:39]
.LBB81_103:
	s_or_b64 exec, exec, s[4:5]
	s_waitcnt lgkmcnt(0)
	; wave barrier
	buffer_load_dword v47, off, s[0:3], 0 offset:56
	buffer_load_dword v48, off, s[0:3], 0 offset:60
	;; [unrolled: 1-line block ×21, first 2 shown]
	v_mov_b32_e32 v38, 0
	ds_read2_b64 v[39:42], v38 offset0:25 offset1:26
	ds_read2_b64 v[43:46], v38 offset0:27 offset1:28
	buffer_load_dword v64, off, s[0:3], 0 offset:140
	v_cmp_lt_u32_e32 vcc, 5, v0
	s_waitcnt vmcnt(20) lgkmcnt(1)
	v_fma_f64 v[39:40], v[47:48], v[39:40], 0
	buffer_load_dword v47, off, s[0:3], 0 offset:48
	buffer_load_dword v48, off, s[0:3], 0 offset:52
	s_waitcnt vmcnt(20)
	v_fma_f64 v[39:40], v[49:50], v[41:42], v[39:40]
	s_waitcnt vmcnt(18) lgkmcnt(0)
	v_fma_f64 v[39:40], v[51:52], v[43:44], v[39:40]
	s_waitcnt vmcnt(16)
	v_fma_f64 v[49:50], v[53:54], v[45:46], v[39:40]
	ds_read2_b64 v[39:42], v38 offset0:29 offset1:30
	ds_read2_b64 v[43:46], v38 offset0:31 offset1:32
	s_waitcnt vmcnt(14) lgkmcnt(1)
	v_fma_f64 v[39:40], v[55:56], v[39:40], v[49:50]
	s_waitcnt vmcnt(12)
	v_fma_f64 v[39:40], v[57:58], v[41:42], v[39:40]
	s_waitcnt vmcnt(10) lgkmcnt(0)
	v_fma_f64 v[39:40], v[59:60], v[43:44], v[39:40]
	s_waitcnt vmcnt(5)
	v_fma_f64 v[43:44], v[61:62], v[45:46], v[39:40]
	ds_read2_b64 v[39:42], v38 offset0:33 offset1:34
	ds_read_b64 v[45:46], v38 offset:280
	s_waitcnt vmcnt(4) lgkmcnt(1)
	v_fma_f64 v[39:40], v[67:68], v[39:40], v[43:44]
	s_waitcnt vmcnt(3)
	v_fma_f64 v[39:40], v[65:66], v[41:42], v[39:40]
	s_waitcnt vmcnt(2) lgkmcnt(0)
	v_fma_f64 v[39:40], v[63:64], v[45:46], v[39:40]
	s_waitcnt vmcnt(0)
	v_add_f64 v[39:40], v[47:48], -v[39:40]
	buffer_store_dword v40, off, s[0:3], 0 offset:52
	buffer_store_dword v39, off, s[0:3], 0 offset:48
	s_and_saveexec_b64 s[4:5], vcc
	s_cbranch_execz .LBB81_105
; %bb.104:
	buffer_load_dword v39, off, s[0:3], 0 offset:40
	buffer_load_dword v40, off, s[0:3], 0 offset:44
	s_waitcnt vmcnt(0)
	ds_write_b64 v37, v[39:40]
	buffer_store_dword v38, off, s[0:3], 0 offset:40
	buffer_store_dword v38, off, s[0:3], 0 offset:44
.LBB81_105:
	s_or_b64 exec, exec, s[4:5]
	s_waitcnt lgkmcnt(0)
	; wave barrier
	buffer_load_dword v47, off, s[0:3], 0 offset:48
	buffer_load_dword v48, off, s[0:3], 0 offset:52
	;; [unrolled: 1-line block ×21, first 2 shown]
	ds_read_b128 v[39:42], v38 offset:192
	ds_read_b128 v[43:46], v38 offset:208
	buffer_load_dword v64, off, s[0:3], 0 offset:132
	v_cmp_lt_u32_e32 vcc, 4, v0
	s_waitcnt vmcnt(20) lgkmcnt(1)
	v_fma_f64 v[39:40], v[47:48], v[39:40], 0
	buffer_load_dword v48, off, s[0:3], 0 offset:140
	buffer_load_dword v47, off, s[0:3], 0 offset:136
	s_waitcnt vmcnt(20)
	v_fma_f64 v[39:40], v[49:50], v[41:42], v[39:40]
	buffer_load_dword v49, off, s[0:3], 0 offset:40
	buffer_load_dword v50, off, s[0:3], 0 offset:44
	s_waitcnt vmcnt(20) lgkmcnt(0)
	v_fma_f64 v[39:40], v[51:52], v[43:44], v[39:40]
	s_waitcnt vmcnt(18)
	v_fma_f64 v[51:52], v[53:54], v[45:46], v[39:40]
	ds_read_b128 v[39:42], v38 offset:224
	ds_read_b128 v[43:46], v38 offset:240
	s_waitcnt vmcnt(16) lgkmcnt(1)
	v_fma_f64 v[39:40], v[55:56], v[39:40], v[51:52]
	s_waitcnt vmcnt(14)
	v_fma_f64 v[39:40], v[57:58], v[41:42], v[39:40]
	s_waitcnt vmcnt(12) lgkmcnt(0)
	v_fma_f64 v[39:40], v[59:60], v[43:44], v[39:40]
	s_waitcnt vmcnt(7)
	v_fma_f64 v[51:52], v[61:62], v[45:46], v[39:40]
	ds_read_b128 v[39:42], v38 offset:256
	ds_read_b128 v[43:46], v38 offset:272
	s_waitcnt vmcnt(6) lgkmcnt(1)
	v_fma_f64 v[38:39], v[67:68], v[39:40], v[51:52]
	s_waitcnt vmcnt(5)
	v_fma_f64 v[38:39], v[65:66], v[41:42], v[38:39]
	s_waitcnt vmcnt(4) lgkmcnt(0)
	v_fma_f64 v[38:39], v[63:64], v[43:44], v[38:39]
	s_waitcnt vmcnt(2)
	v_fma_f64 v[38:39], v[47:48], v[45:46], v[38:39]
	s_waitcnt vmcnt(0)
	v_add_f64 v[38:39], v[49:50], -v[38:39]
	buffer_store_dword v39, off, s[0:3], 0 offset:44
	buffer_store_dword v38, off, s[0:3], 0 offset:40
	s_and_saveexec_b64 s[4:5], vcc
	s_cbranch_execz .LBB81_107
; %bb.106:
	buffer_load_dword v38, off, s[0:3], 0 offset:32
	buffer_load_dword v39, off, s[0:3], 0 offset:36
	v_mov_b32_e32 v40, 0
	buffer_store_dword v40, off, s[0:3], 0 offset:32
	buffer_store_dword v40, off, s[0:3], 0 offset:36
	s_waitcnt vmcnt(2)
	ds_write_b64 v37, v[38:39]
.LBB81_107:
	s_or_b64 exec, exec, s[4:5]
	s_waitcnt lgkmcnt(0)
	; wave barrier
	buffer_load_dword v47, off, s[0:3], 0 offset:40
	buffer_load_dword v48, off, s[0:3], 0 offset:44
	;; [unrolled: 1-line block ×21, first 2 shown]
	v_mov_b32_e32 v38, 0
	ds_read2_b64 v[39:42], v38 offset0:23 offset1:24
	ds_read2_b64 v[43:46], v38 offset0:25 offset1:26
	buffer_load_dword v64, off, s[0:3], 0 offset:124
	v_cmp_lt_u32_e32 vcc, 3, v0
	s_waitcnt vmcnt(20) lgkmcnt(1)
	v_fma_f64 v[39:40], v[47:48], v[39:40], 0
	s_waitcnt vmcnt(18)
	v_fma_f64 v[39:40], v[49:50], v[41:42], v[39:40]
	buffer_load_dword v48, off, s[0:3], 0 offset:132
	buffer_load_dword v49, off, s[0:3], 0 offset:136
	;; [unrolled: 1-line block ×4, first 2 shown]
	s_waitcnt vmcnt(20) lgkmcnt(0)
	v_fma_f64 v[39:40], v[51:52], v[43:44], v[39:40]
	buffer_load_dword v51, off, s[0:3], 0 offset:32
	buffer_load_dword v52, off, s[0:3], 0 offset:36
	s_waitcnt vmcnt(20)
	v_fma_f64 v[53:54], v[53:54], v[45:46], v[39:40]
	ds_read2_b64 v[39:42], v38 offset0:27 offset1:28
	ds_read2_b64 v[43:46], v38 offset0:29 offset1:30
	s_waitcnt vmcnt(18) lgkmcnt(1)
	v_fma_f64 v[39:40], v[55:56], v[39:40], v[53:54]
	s_waitcnt vmcnt(16)
	v_fma_f64 v[39:40], v[57:58], v[41:42], v[39:40]
	s_waitcnt vmcnt(14) lgkmcnt(0)
	v_fma_f64 v[39:40], v[59:60], v[43:44], v[39:40]
	s_waitcnt vmcnt(9)
	v_fma_f64 v[53:54], v[61:62], v[45:46], v[39:40]
	ds_read2_b64 v[39:42], v38 offset0:31 offset1:32
	ds_read2_b64 v[43:46], v38 offset0:33 offset1:34
	s_waitcnt vmcnt(8) lgkmcnt(1)
	v_fma_f64 v[39:40], v[67:68], v[39:40], v[53:54]
	s_waitcnt vmcnt(7)
	v_fma_f64 v[39:40], v[65:66], v[41:42], v[39:40]
	ds_read_b64 v[41:42], v38 offset:280
	s_waitcnt vmcnt(6) lgkmcnt(1)
	v_fma_f64 v[39:40], v[63:64], v[43:44], v[39:40]
	s_waitcnt vmcnt(3)
	v_fma_f64 v[39:40], v[47:48], v[45:46], v[39:40]
	s_waitcnt vmcnt(2) lgkmcnt(0)
	v_fma_f64 v[39:40], v[49:50], v[41:42], v[39:40]
	s_waitcnt vmcnt(0)
	v_add_f64 v[39:40], v[51:52], -v[39:40]
	buffer_store_dword v40, off, s[0:3], 0 offset:36
	buffer_store_dword v39, off, s[0:3], 0 offset:32
	s_and_saveexec_b64 s[4:5], vcc
	s_cbranch_execz .LBB81_109
; %bb.108:
	buffer_load_dword v39, off, s[0:3], 0 offset:24
	buffer_load_dword v40, off, s[0:3], 0 offset:28
	s_waitcnt vmcnt(0)
	ds_write_b64 v37, v[39:40]
	buffer_store_dword v38, off, s[0:3], 0 offset:24
	buffer_store_dword v38, off, s[0:3], 0 offset:28
.LBB81_109:
	s_or_b64 exec, exec, s[4:5]
	s_waitcnt lgkmcnt(0)
	; wave barrier
	buffer_load_dword v47, off, s[0:3], 0 offset:32
	buffer_load_dword v48, off, s[0:3], 0 offset:36
	;; [unrolled: 1-line block ×22, first 2 shown]
	ds_read_b128 v[39:42], v38 offset:176
	ds_read_b128 v[43:46], v38 offset:192
	v_cmp_lt_u32_e32 vcc, 2, v0
	s_waitcnt vmcnt(20) lgkmcnt(1)
	v_fma_f64 v[39:40], v[47:48], v[39:40], 0
	s_waitcnt vmcnt(18)
	v_fma_f64 v[39:40], v[49:50], v[41:42], v[39:40]
	buffer_load_dword v48, off, s[0:3], 0 offset:124
	buffer_load_dword v49, off, s[0:3], 0 offset:136
	;; [unrolled: 1-line block ×6, first 2 shown]
	s_waitcnt vmcnt(22) lgkmcnt(0)
	v_fma_f64 v[39:40], v[51:52], v[43:44], v[39:40]
	s_waitcnt vmcnt(20)
	v_fma_f64 v[51:52], v[53:54], v[45:46], v[39:40]
	ds_read_b128 v[39:42], v38 offset:208
	buffer_load_dword v53, off, s[0:3], 0 offset:24
	buffer_load_dword v54, off, s[0:3], 0 offset:28
	ds_read_b128 v[43:46], v38 offset:224
	s_waitcnt vmcnt(20) lgkmcnt(1)
	v_fma_f64 v[39:40], v[55:56], v[39:40], v[51:52]
	s_waitcnt vmcnt(18)
	v_fma_f64 v[39:40], v[57:58], v[41:42], v[39:40]
	s_waitcnt vmcnt(16) lgkmcnt(0)
	v_fma_f64 v[39:40], v[59:60], v[43:44], v[39:40]
	s_waitcnt vmcnt(11)
	v_fma_f64 v[51:52], v[61:62], v[45:46], v[39:40]
	ds_read_b128 v[39:42], v38 offset:240
	ds_read_b128 v[43:46], v38 offset:256
	s_waitcnt vmcnt(10) lgkmcnt(1)
	v_fma_f64 v[39:40], v[67:68], v[39:40], v[51:52]
	s_waitcnt vmcnt(9)
	v_fma_f64 v[39:40], v[65:66], v[41:42], v[39:40]
	s_waitcnt vmcnt(8) lgkmcnt(0)
	v_fma_f64 v[39:40], v[63:64], v[43:44], v[39:40]
	s_waitcnt vmcnt(4)
	v_fma_f64 v[42:43], v[47:48], v[45:46], v[39:40]
	ds_read_b128 v[38:41], v38 offset:272
	s_waitcnt vmcnt(3) lgkmcnt(0)
	v_fma_f64 v[38:39], v[69:70], v[38:39], v[42:43]
	s_waitcnt vmcnt(2)
	v_fma_f64 v[38:39], v[49:50], v[40:41], v[38:39]
	s_waitcnt vmcnt(0)
	v_add_f64 v[38:39], v[53:54], -v[38:39]
	buffer_store_dword v39, off, s[0:3], 0 offset:28
	buffer_store_dword v38, off, s[0:3], 0 offset:24
	s_and_saveexec_b64 s[4:5], vcc
	s_cbranch_execz .LBB81_111
; %bb.110:
	buffer_load_dword v38, off, s[0:3], 0 offset:16
	buffer_load_dword v39, off, s[0:3], 0 offset:20
	v_mov_b32_e32 v40, 0
	buffer_store_dword v40, off, s[0:3], 0 offset:16
	buffer_store_dword v40, off, s[0:3], 0 offset:20
	s_waitcnt vmcnt(2)
	ds_write_b64 v37, v[38:39]
.LBB81_111:
	s_or_b64 exec, exec, s[4:5]
	s_waitcnt lgkmcnt(0)
	; wave barrier
	buffer_load_dword v47, off, s[0:3], 0 offset:24
	buffer_load_dword v48, off, s[0:3], 0 offset:28
	;; [unrolled: 1-line block ×22, first 2 shown]
	v_mov_b32_e32 v38, 0
	ds_read2_b64 v[39:42], v38 offset0:21 offset1:22
	ds_read2_b64 v[43:46], v38 offset0:23 offset1:24
	v_cmp_lt_u32_e32 vcc, 1, v0
	s_waitcnt vmcnt(20) lgkmcnt(1)
	v_fma_f64 v[39:40], v[47:48], v[39:40], 0
	s_waitcnt vmcnt(18)
	v_fma_f64 v[39:40], v[49:50], v[41:42], v[39:40]
	buffer_load_dword v48, off, s[0:3], 0 offset:116
	buffer_load_dword v49, off, s[0:3], 0 offset:136
	;; [unrolled: 1-line block ×8, first 2 shown]
	s_waitcnt vmcnt(24) lgkmcnt(0)
	v_fma_f64 v[39:40], v[51:52], v[43:44], v[39:40]
	s_waitcnt vmcnt(22)
	v_fma_f64 v[51:52], v[53:54], v[45:46], v[39:40]
	ds_read2_b64 v[39:42], v38 offset0:25 offset1:26
	ds_read2_b64 v[43:46], v38 offset0:27 offset1:28
	s_waitcnt vmcnt(20) lgkmcnt(1)
	v_fma_f64 v[39:40], v[55:56], v[39:40], v[51:52]
	buffer_load_dword v51, off, s[0:3], 0 offset:16
	buffer_load_dword v52, off, s[0:3], 0 offset:20
	s_waitcnt vmcnt(20)
	v_fma_f64 v[39:40], v[57:58], v[41:42], v[39:40]
	s_waitcnt vmcnt(18) lgkmcnt(0)
	v_fma_f64 v[39:40], v[59:60], v[43:44], v[39:40]
	s_waitcnt vmcnt(13)
	v_fma_f64 v[53:54], v[61:62], v[45:46], v[39:40]
	ds_read2_b64 v[39:42], v38 offset0:29 offset1:30
	ds_read2_b64 v[43:46], v38 offset0:31 offset1:32
	s_waitcnt vmcnt(12) lgkmcnt(1)
	v_fma_f64 v[39:40], v[67:68], v[39:40], v[53:54]
	s_waitcnt vmcnt(11)
	v_fma_f64 v[39:40], v[65:66], v[41:42], v[39:40]
	s_waitcnt vmcnt(10) lgkmcnt(0)
	v_fma_f64 v[39:40], v[63:64], v[43:44], v[39:40]
	s_waitcnt vmcnt(5)
	v_fma_f64 v[43:44], v[47:48], v[45:46], v[39:40]
	ds_read2_b64 v[39:42], v38 offset0:33 offset1:34
	ds_read_b64 v[45:46], v38 offset:280
	s_waitcnt vmcnt(4) lgkmcnt(1)
	v_fma_f64 v[39:40], v[71:72], v[39:40], v[43:44]
	s_waitcnt vmcnt(3)
	v_fma_f64 v[39:40], v[69:70], v[41:42], v[39:40]
	s_waitcnt vmcnt(2) lgkmcnt(0)
	v_fma_f64 v[39:40], v[49:50], v[45:46], v[39:40]
	s_waitcnt vmcnt(0)
	v_add_f64 v[39:40], v[51:52], -v[39:40]
	buffer_store_dword v40, off, s[0:3], 0 offset:20
	buffer_store_dword v39, off, s[0:3], 0 offset:16
	s_and_saveexec_b64 s[4:5], vcc
	s_cbranch_execz .LBB81_113
; %bb.112:
	buffer_load_dword v39, off, s[0:3], 0 offset:8
	buffer_load_dword v40, off, s[0:3], 0 offset:12
	s_waitcnt vmcnt(0)
	ds_write_b64 v37, v[39:40]
	buffer_store_dword v38, off, s[0:3], 0 offset:8
	buffer_store_dword v38, off, s[0:3], 0 offset:12
.LBB81_113:
	s_or_b64 exec, exec, s[4:5]
	s_waitcnt lgkmcnt(0)
	; wave barrier
	buffer_load_dword v47, off, s[0:3], 0 offset:16
	buffer_load_dword v48, off, s[0:3], 0 offset:20
	;; [unrolled: 1-line block ×22, first 2 shown]
	ds_read_b128 v[39:42], v38 offset:160
	ds_read_b128 v[43:46], v38 offset:176
	v_cmp_ne_u32_e32 vcc, 0, v0
	s_waitcnt vmcnt(20) lgkmcnt(1)
	v_fma_f64 v[39:40], v[47:48], v[39:40], 0
	s_waitcnt vmcnt(18)
	v_fma_f64 v[39:40], v[49:50], v[41:42], v[39:40]
	buffer_load_dword v48, off, s[0:3], 0 offset:108
	buffer_load_dword v49, off, s[0:3], 0 offset:128
	;; [unrolled: 1-line block ×8, first 2 shown]
	s_waitcnt vmcnt(24) lgkmcnt(0)
	v_fma_f64 v[39:40], v[51:52], v[43:44], v[39:40]
	s_waitcnt vmcnt(22)
	v_fma_f64 v[51:52], v[53:54], v[45:46], v[39:40]
	ds_read_b128 v[39:42], v38 offset:192
	ds_read_b128 v[43:46], v38 offset:208
	s_waitcnt vmcnt(20) lgkmcnt(1)
	v_fma_f64 v[39:40], v[55:56], v[39:40], v[51:52]
	buffer_load_dword v52, off, s[0:3], 0 offset:140
	buffer_load_dword v51, off, s[0:3], 0 offset:136
	;; [unrolled: 1-line block ×4, first 2 shown]
	s_waitcnt vmcnt(22)
	v_fma_f64 v[39:40], v[57:58], v[41:42], v[39:40]
	s_waitcnt vmcnt(20) lgkmcnt(0)
	v_fma_f64 v[39:40], v[59:60], v[43:44], v[39:40]
	s_waitcnt vmcnt(15)
	v_fma_f64 v[55:56], v[61:62], v[45:46], v[39:40]
	ds_read_b128 v[39:42], v38 offset:224
	ds_read_b128 v[43:46], v38 offset:240
	s_waitcnt vmcnt(14) lgkmcnt(1)
	v_fma_f64 v[39:40], v[67:68], v[39:40], v[55:56]
	s_waitcnt vmcnt(13)
	v_fma_f64 v[39:40], v[65:66], v[41:42], v[39:40]
	s_waitcnt vmcnt(12) lgkmcnt(0)
	v_fma_f64 v[39:40], v[63:64], v[43:44], v[39:40]
	s_waitcnt vmcnt(7)
	v_fma_f64 v[47:48], v[47:48], v[45:46], v[39:40]
	ds_read_b128 v[39:42], v38 offset:256
	ds_read_b128 v[43:46], v38 offset:272
	s_waitcnt vmcnt(6) lgkmcnt(1)
	v_fma_f64 v[38:39], v[71:72], v[39:40], v[47:48]
	s_waitcnt vmcnt(5)
	v_fma_f64 v[38:39], v[69:70], v[41:42], v[38:39]
	s_waitcnt vmcnt(4) lgkmcnt(0)
	v_fma_f64 v[38:39], v[49:50], v[43:44], v[38:39]
	s_waitcnt vmcnt(2)
	v_fma_f64 v[38:39], v[51:52], v[45:46], v[38:39]
	s_waitcnt vmcnt(0)
	v_add_f64 v[38:39], v[53:54], -v[38:39]
	buffer_store_dword v39, off, s[0:3], 0 offset:12
	buffer_store_dword v38, off, s[0:3], 0 offset:8
	s_and_saveexec_b64 s[4:5], vcc
	s_cbranch_execz .LBB81_115
; %bb.114:
	buffer_load_dword v38, off, s[0:3], 0
	buffer_load_dword v39, off, s[0:3], 0 offset:4
	v_mov_b32_e32 v0, 0
	buffer_store_dword v0, off, s[0:3], 0
	buffer_store_dword v0, off, s[0:3], 0 offset:4
	s_waitcnt vmcnt(2)
	ds_write_b64 v37, v[38:39]
.LBB81_115:
	s_or_b64 exec, exec, s[4:5]
	s_waitcnt lgkmcnt(0)
	; wave barrier
	buffer_load_dword v45, off, s[0:3], 0 offset:8
	buffer_load_dword v46, off, s[0:3], 0 offset:12
	;; [unrolled: 1-line block ×22, first 2 shown]
	v_mov_b32_e32 v0, 0
	ds_read2_b64 v[37:40], v0 offset0:19 offset1:20
	ds_read2_b64 v[41:44], v0 offset0:21 offset1:22
	s_and_b64 vcc, exec, s[14:15]
	s_waitcnt vmcnt(20) lgkmcnt(1)
	v_fma_f64 v[37:38], v[45:46], v[37:38], 0
	s_waitcnt vmcnt(18)
	v_fma_f64 v[37:38], v[47:48], v[39:40], v[37:38]
	buffer_load_dword v48, off, s[0:3], 0 offset:100
	buffer_load_dword v67, off, s[0:3], 0 offset:120
	;; [unrolled: 1-line block ×7, first 2 shown]
	s_waitcnt vmcnt(23) lgkmcnt(0)
	v_fma_f64 v[37:38], v[49:50], v[41:42], v[37:38]
	s_waitcnt vmcnt(21)
	v_fma_f64 v[45:46], v[51:52], v[43:44], v[37:38]
	ds_read2_b64 v[37:40], v0 offset0:23 offset1:24
	ds_read2_b64 v[41:44], v0 offset0:25 offset1:26
	buffer_load_dword v68, off, s[0:3], 0 offset:124
	s_waitcnt vmcnt(20) lgkmcnt(1)
	v_fma_f64 v[37:38], v[53:54], v[37:38], v[45:46]
	s_waitcnt vmcnt(18)
	v_fma_f64 v[39:40], v[55:56], v[39:40], v[37:38]
	buffer_load_dword v38, off, s[0:3], 0 offset:132
	buffer_load_dword v49, off, s[0:3], 0 offset:136
	;; [unrolled: 1-line block ×4, first 2 shown]
	buffer_load_dword v51, off, s[0:3], 0
	buffer_load_dword v52, off, s[0:3], 0 offset:4
	s_waitcnt vmcnt(22) lgkmcnt(0)
	v_fma_f64 v[39:40], v[57:58], v[41:42], v[39:40]
	s_waitcnt vmcnt(17)
	v_fma_f64 v[53:54], v[59:60], v[43:44], v[39:40]
	ds_read2_b64 v[39:42], v0 offset0:27 offset1:28
	ds_read2_b64 v[43:46], v0 offset0:29 offset1:30
	s_waitcnt vmcnt(16) lgkmcnt(1)
	v_fma_f64 v[39:40], v[65:66], v[39:40], v[53:54]
	s_waitcnt vmcnt(15)
	v_fma_f64 v[39:40], v[63:64], v[41:42], v[39:40]
	s_waitcnt vmcnt(14) lgkmcnt(0)
	v_fma_f64 v[39:40], v[61:62], v[43:44], v[39:40]
	s_waitcnt vmcnt(9)
	v_fma_f64 v[47:48], v[47:48], v[45:46], v[39:40]
	ds_read2_b64 v[39:42], v0 offset0:31 offset1:32
	ds_read2_b64 v[43:46], v0 offset0:33 offset1:34
	s_waitcnt vmcnt(8) lgkmcnt(1)
	v_fma_f64 v[39:40], v[71:72], v[39:40], v[47:48]
	s_waitcnt vmcnt(7)
	v_fma_f64 v[39:40], v[69:70], v[41:42], v[39:40]
	ds_read_b64 v[41:42], v0 offset:280
	s_waitcnt vmcnt(6) lgkmcnt(1)
	v_fma_f64 v[39:40], v[67:68], v[43:44], v[39:40]
	s_waitcnt vmcnt(3)
	v_fma_f64 v[39:40], v[37:38], v[45:46], v[39:40]
	s_waitcnt vmcnt(2) lgkmcnt(0)
	v_fma_f64 v[39:40], v[49:50], v[41:42], v[39:40]
	s_waitcnt vmcnt(0)
	v_add_f64 v[39:40], v[51:52], -v[39:40]
	buffer_store_dword v40, off, s[0:3], 0 offset:4
	buffer_store_dword v39, off, s[0:3], 0
	s_cbranch_vccz .LBB81_150
; %bb.116:
	global_load_dword v0, v0, s[12:13] offset:64
	s_waitcnt vmcnt(0)
	v_add_u32_e32 v0, -1, v0
	v_cmp_ne_u32_e32 vcc, 16, v0
	s_cbranch_vccz .LBB81_118
; %bb.117:
	v_lshlrev_b32_e32 v0, 3, v0
	buffer_load_dword v39, v0, s[0:3], 0 offen offset:4
	buffer_load_dword v40, v0, s[0:3], 0 offen
	s_waitcnt vmcnt(1)
	buffer_store_dword v39, off, s[0:3], 0 offset:132
	s_waitcnt vmcnt(1)
	buffer_store_dword v40, off, s[0:3], 0 offset:128
	buffer_store_dword v38, v0, s[0:3], 0 offen offset:4
	buffer_store_dword v37, v0, s[0:3], 0 offen
.LBB81_118:
	v_mov_b32_e32 v0, 0
	global_load_dword v37, v0, s[12:13] offset:60
	s_waitcnt vmcnt(0)
	v_add_u32_e32 v37, -1, v37
	v_cmp_eq_u32_e32 vcc, 15, v37
	s_cbranch_vccnz .LBB81_120
; %bb.119:
	v_lshlrev_b32_e32 v37, 3, v37
	buffer_load_dword v38, v37, s[0:3], 0 offen
	buffer_load_dword v39, v37, s[0:3], 0 offen offset:4
	buffer_load_dword v40, off, s[0:3], 0 offset:120
	buffer_load_dword v41, off, s[0:3], 0 offset:124
	s_waitcnt vmcnt(3)
	buffer_store_dword v38, off, s[0:3], 0 offset:120
	s_waitcnt vmcnt(3)
	buffer_store_dword v39, off, s[0:3], 0 offset:124
	s_waitcnt vmcnt(3)
	buffer_store_dword v40, v37, s[0:3], 0 offen
	s_waitcnt vmcnt(3)
	buffer_store_dword v41, v37, s[0:3], 0 offen offset:4
.LBB81_120:
	global_load_dword v0, v0, s[12:13] offset:56
	s_waitcnt vmcnt(0)
	v_add_u32_e32 v0, -1, v0
	v_cmp_eq_u32_e32 vcc, 14, v0
	s_cbranch_vccnz .LBB81_122
; %bb.121:
	v_lshlrev_b32_e32 v0, 3, v0
	buffer_load_dword v37, v0, s[0:3], 0 offen
	buffer_load_dword v38, v0, s[0:3], 0 offen offset:4
	buffer_load_dword v39, off, s[0:3], 0 offset:116
	buffer_load_dword v40, off, s[0:3], 0 offset:112
	s_waitcnt vmcnt(3)
	buffer_store_dword v37, off, s[0:3], 0 offset:112
	s_waitcnt vmcnt(3)
	buffer_store_dword v38, off, s[0:3], 0 offset:116
	s_waitcnt vmcnt(3)
	buffer_store_dword v39, v0, s[0:3], 0 offen offset:4
	s_waitcnt vmcnt(3)
	buffer_store_dword v40, v0, s[0:3], 0 offen
.LBB81_122:
	v_mov_b32_e32 v0, 0
	global_load_dword v37, v0, s[12:13] offset:52
	s_waitcnt vmcnt(0)
	v_add_u32_e32 v37, -1, v37
	v_cmp_eq_u32_e32 vcc, 13, v37
	s_cbranch_vccnz .LBB81_124
; %bb.123:
	v_lshlrev_b32_e32 v37, 3, v37
	buffer_load_dword v38, v37, s[0:3], 0 offen
	buffer_load_dword v39, v37, s[0:3], 0 offen offset:4
	buffer_load_dword v40, off, s[0:3], 0 offset:104
	buffer_load_dword v41, off, s[0:3], 0 offset:108
	s_waitcnt vmcnt(3)
	buffer_store_dword v38, off, s[0:3], 0 offset:104
	s_waitcnt vmcnt(3)
	buffer_store_dword v39, off, s[0:3], 0 offset:108
	s_waitcnt vmcnt(3)
	buffer_store_dword v40, v37, s[0:3], 0 offen
	s_waitcnt vmcnt(3)
	buffer_store_dword v41, v37, s[0:3], 0 offen offset:4
.LBB81_124:
	global_load_dword v0, v0, s[12:13] offset:48
	s_waitcnt vmcnt(0)
	v_add_u32_e32 v0, -1, v0
	v_cmp_eq_u32_e32 vcc, 12, v0
	s_cbranch_vccnz .LBB81_126
; %bb.125:
	v_lshlrev_b32_e32 v0, 3, v0
	buffer_load_dword v37, v0, s[0:3], 0 offen
	buffer_load_dword v38, v0, s[0:3], 0 offen offset:4
	buffer_load_dword v39, off, s[0:3], 0 offset:100
	buffer_load_dword v40, off, s[0:3], 0 offset:96
	s_waitcnt vmcnt(3)
	buffer_store_dword v37, off, s[0:3], 0 offset:96
	s_waitcnt vmcnt(3)
	buffer_store_dword v38, off, s[0:3], 0 offset:100
	s_waitcnt vmcnt(3)
	buffer_store_dword v39, v0, s[0:3], 0 offen offset:4
	s_waitcnt vmcnt(3)
	buffer_store_dword v40, v0, s[0:3], 0 offen
.LBB81_126:
	;; [unrolled: 41-line block ×7, first 2 shown]
	v_mov_b32_e32 v0, 0
	global_load_dword v37, v0, s[12:13] offset:4
	s_waitcnt vmcnt(0)
	v_add_u32_e32 v37, -1, v37
	v_cmp_eq_u32_e32 vcc, 1, v37
	s_cbranch_vccnz .LBB81_148
; %bb.147:
	v_lshlrev_b32_e32 v37, 3, v37
	buffer_load_dword v38, v37, s[0:3], 0 offen
	buffer_load_dword v39, v37, s[0:3], 0 offen offset:4
	buffer_load_dword v40, off, s[0:3], 0 offset:8
	buffer_load_dword v41, off, s[0:3], 0 offset:12
	s_waitcnt vmcnt(3)
	buffer_store_dword v38, off, s[0:3], 0 offset:8
	s_waitcnt vmcnt(3)
	buffer_store_dword v39, off, s[0:3], 0 offset:12
	s_waitcnt vmcnt(3)
	buffer_store_dword v40, v37, s[0:3], 0 offen
	s_waitcnt vmcnt(3)
	buffer_store_dword v41, v37, s[0:3], 0 offen offset:4
.LBB81_148:
	global_load_dword v0, v0, s[12:13]
	s_nop 0
	buffer_load_dword v39, off, s[0:3], 0
	buffer_load_dword v40, off, s[0:3], 0 offset:4
	s_waitcnt vmcnt(2)
	v_add_u32_e32 v0, -1, v0
	v_cmp_eq_u32_e32 vcc, 0, v0
	s_cbranch_vccnz .LBB81_150
; %bb.149:
	v_lshlrev_b32_e32 v0, 3, v0
	buffer_load_dword v37, v0, s[0:3], 0 offen offset:4
	buffer_load_dword v38, v0, s[0:3], 0 offen
	s_waitcnt vmcnt(1)
	buffer_store_dword v37, off, s[0:3], 0 offset:4
	s_waitcnt vmcnt(1)
	buffer_store_dword v38, off, s[0:3], 0
	buffer_store_dword v40, v0, s[0:3], 0 offen offset:4
	buffer_store_dword v39, v0, s[0:3], 0 offen
	buffer_load_dword v39, off, s[0:3], 0
	s_nop 0
	buffer_load_dword v40, off, s[0:3], 0 offset:4
.LBB81_150:
	s_waitcnt vmcnt(0)
	flat_store_dwordx2 v[1:2], v[39:40]
	buffer_load_dword v0, off, s[0:3], 0 offset:8
	s_nop 0
	buffer_load_dword v1, off, s[0:3], 0 offset:12
	s_waitcnt vmcnt(0)
	flat_store_dwordx2 v[3:4], v[0:1]
	buffer_load_dword v0, off, s[0:3], 0 offset:16
	s_nop 0
	buffer_load_dword v1, off, s[0:3], 0 offset:20
	;; [unrolled: 5-line block ×17, first 2 shown]
	s_waitcnt vmcnt(0)
	flat_store_dwordx2 v[35:36], v[0:1]
	s_endpgm
	.section	.rodata,"a",@progbits
	.p2align	6, 0x0
	.amdhsa_kernel _ZN9rocsolver6v33100L18getri_kernel_smallILi18EdPKPdEEvT1_iilPiilS6_bb
		.amdhsa_group_segment_fixed_size 296
		.amdhsa_private_segment_fixed_size 160
		.amdhsa_kernarg_size 60
		.amdhsa_user_sgpr_count 6
		.amdhsa_user_sgpr_private_segment_buffer 1
		.amdhsa_user_sgpr_dispatch_ptr 0
		.amdhsa_user_sgpr_queue_ptr 0
		.amdhsa_user_sgpr_kernarg_segment_ptr 1
		.amdhsa_user_sgpr_dispatch_id 0
		.amdhsa_user_sgpr_flat_scratch_init 0
		.amdhsa_user_sgpr_private_segment_size 0
		.amdhsa_uses_dynamic_stack 0
		.amdhsa_system_sgpr_private_segment_wavefront_offset 1
		.amdhsa_system_sgpr_workgroup_id_x 1
		.amdhsa_system_sgpr_workgroup_id_y 0
		.amdhsa_system_sgpr_workgroup_id_z 0
		.amdhsa_system_sgpr_workgroup_info 0
		.amdhsa_system_vgpr_workitem_id 0
		.amdhsa_next_free_vgpr 73
		.amdhsa_next_free_sgpr 21
		.amdhsa_reserve_vcc 1
		.amdhsa_reserve_flat_scratch 0
		.amdhsa_float_round_mode_32 0
		.amdhsa_float_round_mode_16_64 0
		.amdhsa_float_denorm_mode_32 3
		.amdhsa_float_denorm_mode_16_64 3
		.amdhsa_dx10_clamp 1
		.amdhsa_ieee_mode 1
		.amdhsa_fp16_overflow 0
		.amdhsa_exception_fp_ieee_invalid_op 0
		.amdhsa_exception_fp_denorm_src 0
		.amdhsa_exception_fp_ieee_div_zero 0
		.amdhsa_exception_fp_ieee_overflow 0
		.amdhsa_exception_fp_ieee_underflow 0
		.amdhsa_exception_fp_ieee_inexact 0
		.amdhsa_exception_int_div_zero 0
	.end_amdhsa_kernel
	.section	.text._ZN9rocsolver6v33100L18getri_kernel_smallILi18EdPKPdEEvT1_iilPiilS6_bb,"axG",@progbits,_ZN9rocsolver6v33100L18getri_kernel_smallILi18EdPKPdEEvT1_iilPiilS6_bb,comdat
.Lfunc_end81:
	.size	_ZN9rocsolver6v33100L18getri_kernel_smallILi18EdPKPdEEvT1_iilPiilS6_bb, .Lfunc_end81-_ZN9rocsolver6v33100L18getri_kernel_smallILi18EdPKPdEEvT1_iilPiilS6_bb
                                        ; -- End function
	.set _ZN9rocsolver6v33100L18getri_kernel_smallILi18EdPKPdEEvT1_iilPiilS6_bb.num_vgpr, 73
	.set _ZN9rocsolver6v33100L18getri_kernel_smallILi18EdPKPdEEvT1_iilPiilS6_bb.num_agpr, 0
	.set _ZN9rocsolver6v33100L18getri_kernel_smallILi18EdPKPdEEvT1_iilPiilS6_bb.numbered_sgpr, 21
	.set _ZN9rocsolver6v33100L18getri_kernel_smallILi18EdPKPdEEvT1_iilPiilS6_bb.num_named_barrier, 0
	.set _ZN9rocsolver6v33100L18getri_kernel_smallILi18EdPKPdEEvT1_iilPiilS6_bb.private_seg_size, 160
	.set _ZN9rocsolver6v33100L18getri_kernel_smallILi18EdPKPdEEvT1_iilPiilS6_bb.uses_vcc, 1
	.set _ZN9rocsolver6v33100L18getri_kernel_smallILi18EdPKPdEEvT1_iilPiilS6_bb.uses_flat_scratch, 0
	.set _ZN9rocsolver6v33100L18getri_kernel_smallILi18EdPKPdEEvT1_iilPiilS6_bb.has_dyn_sized_stack, 0
	.set _ZN9rocsolver6v33100L18getri_kernel_smallILi18EdPKPdEEvT1_iilPiilS6_bb.has_recursion, 0
	.set _ZN9rocsolver6v33100L18getri_kernel_smallILi18EdPKPdEEvT1_iilPiilS6_bb.has_indirect_call, 0
	.section	.AMDGPU.csdata,"",@progbits
; Kernel info:
; codeLenInByte = 13968
; TotalNumSgprs: 25
; NumVgprs: 73
; ScratchSize: 160
; MemoryBound: 0
; FloatMode: 240
; IeeeMode: 1
; LDSByteSize: 296 bytes/workgroup (compile time only)
; SGPRBlocks: 3
; VGPRBlocks: 18
; NumSGPRsForWavesPerEU: 25
; NumVGPRsForWavesPerEU: 73
; Occupancy: 3
; WaveLimiterHint : 1
; COMPUTE_PGM_RSRC2:SCRATCH_EN: 1
; COMPUTE_PGM_RSRC2:USER_SGPR: 6
; COMPUTE_PGM_RSRC2:TRAP_HANDLER: 0
; COMPUTE_PGM_RSRC2:TGID_X_EN: 1
; COMPUTE_PGM_RSRC2:TGID_Y_EN: 0
; COMPUTE_PGM_RSRC2:TGID_Z_EN: 0
; COMPUTE_PGM_RSRC2:TIDIG_COMP_CNT: 0
	.section	.text._ZN9rocsolver6v33100L18getri_kernel_smallILi19EdPKPdEEvT1_iilPiilS6_bb,"axG",@progbits,_ZN9rocsolver6v33100L18getri_kernel_smallILi19EdPKPdEEvT1_iilPiilS6_bb,comdat
	.globl	_ZN9rocsolver6v33100L18getri_kernel_smallILi19EdPKPdEEvT1_iilPiilS6_bb ; -- Begin function _ZN9rocsolver6v33100L18getri_kernel_smallILi19EdPKPdEEvT1_iilPiilS6_bb
	.p2align	8
	.type	_ZN9rocsolver6v33100L18getri_kernel_smallILi19EdPKPdEEvT1_iilPiilS6_bb,@function
_ZN9rocsolver6v33100L18getri_kernel_smallILi19EdPKPdEEvT1_iilPiilS6_bb: ; @_ZN9rocsolver6v33100L18getri_kernel_smallILi19EdPKPdEEvT1_iilPiilS6_bb
; %bb.0:
	s_add_u32 s0, s0, s7
	s_addc_u32 s1, s1, 0
	v_cmp_gt_u32_e32 vcc, 19, v0
	s_and_saveexec_b64 s[8:9], vcc
	s_cbranch_execz .LBB82_84
; %bb.1:
	s_load_dword s18, s[4:5], 0x38
	s_load_dwordx2 s[12:13], s[4:5], 0x0
	s_load_dwordx4 s[8:11], s[4:5], 0x28
	s_waitcnt lgkmcnt(0)
	s_bitcmp1_b32 s18, 8
	s_cselect_b64 s[14:15], -1, 0
	s_ashr_i32 s7, s6, 31
	s_lshl_b64 s[16:17], s[6:7], 3
	s_add_u32 s12, s12, s16
	s_addc_u32 s13, s13, s17
	s_load_dwordx2 s[16:17], s[12:13], 0x0
	s_bfe_u32 s12, s18, 0x10008
	s_cmp_eq_u32 s12, 0
                                        ; implicit-def: $sgpr12_sgpr13
	s_cbranch_scc1 .LBB82_3
; %bb.2:
	s_load_dword s12, s[4:5], 0x20
	s_load_dwordx2 s[18:19], s[4:5], 0x18
	s_mul_i32 s13, s8, s7
	s_mul_hi_u32 s20, s8, s6
	s_add_i32 s20, s20, s13
	s_mul_i32 s9, s9, s6
	s_add_i32 s9, s20, s9
	s_mul_i32 s8, s8, s6
	s_waitcnt lgkmcnt(0)
	s_ashr_i32 s13, s12, 31
	s_lshl_b64 s[8:9], s[8:9], 2
	s_add_u32 s18, s18, s8
	s_addc_u32 s19, s19, s9
	s_lshl_b64 s[8:9], s[12:13], 2
	s_add_u32 s12, s18, s8
	s_addc_u32 s13, s19, s9
.LBB82_3:
	s_load_dwordx2 s[8:9], s[4:5], 0x8
	s_load_dword s18, s[4:5], 0x38
	v_lshlrev_b32_e32 v41, 3, v0
	s_waitcnt lgkmcnt(0)
	s_ashr_i32 s5, s8, 31
	s_mov_b32 s4, s8
	s_lshl_b64 s[4:5], s[4:5], 3
	s_add_u32 s8, s16, s4
	s_addc_u32 s16, s17, s5
	v_mov_b32_e32 v2, s16
	v_add_co_u32_e32 v1, vcc, s8, v41
	v_addc_co_u32_e32 v2, vcc, 0, v2, vcc
	flat_load_dwordx2 v[5:6], v[1:2]
	s_mov_b32 s4, s9
	s_ashr_i32 s5, s9, 31
	s_lshl_b64 s[4:5], s[4:5], 3
	v_mov_b32_e32 v4, s5
	v_add_co_u32_e32 v3, vcc, s4, v1
	v_addc_co_u32_e32 v4, vcc, v2, v4, vcc
	s_add_i32 s4, s9, s9
	v_add_u32_e32 v9, s4, v0
	v_ashrrev_i32_e32 v10, 31, v9
	v_mov_b32_e32 v11, s16
	v_add_u32_e32 v12, s9, v9
	v_ashrrev_i32_e32 v13, 31, v12
	v_mov_b32_e32 v14, s16
	v_mov_b32_e32 v15, s16
	v_mov_b32_e32 v17, s16
	v_mov_b32_e32 v20, s16
	v_mov_b32_e32 v21, s16
	v_mov_b32_e32 v23, s16
	v_mov_b32_e32 v26, s16
	v_mov_b32_e32 v27, s16
	v_mov_b32_e32 v29, s16
	v_mov_b32_e32 v32, s16
	v_mov_b32_e32 v33, s16
	v_mov_b32_e32 v35, s16
	v_mov_b32_e32 v38, s16
	v_mov_b32_e32 v39, s16
	v_mov_b32_e32 v42, s16
	s_bitcmp0_b32 s18, 0
	s_waitcnt vmcnt(0) lgkmcnt(0)
	buffer_store_dword v6, off, s[0:3], 0 offset:4
	buffer_store_dword v5, off, s[0:3], 0
	flat_load_dwordx2 v[7:8], v[3:4]
	v_lshlrev_b64 v[5:6], 3, v[9:10]
	s_waitcnt vmcnt(0) lgkmcnt(0)
	buffer_store_dword v8, off, s[0:3], 0 offset:12
	buffer_store_dword v7, off, s[0:3], 0 offset:8
	v_add_co_u32_e32 v5, vcc, s8, v5
	v_addc_co_u32_e32 v6, vcc, v11, v6, vcc
	flat_load_dwordx2 v[10:11], v[5:6]
	v_lshlrev_b64 v[7:8], 3, v[12:13]
	s_waitcnt vmcnt(0) lgkmcnt(0)
	buffer_store_dword v11, off, s[0:3], 0 offset:20
	buffer_store_dword v10, off, s[0:3], 0 offset:16
	v_add_co_u32_e32 v7, vcc, s8, v7
	v_addc_co_u32_e32 v8, vcc, v14, v8, vcc
	flat_load_dwordx2 v[13:14], v[7:8]
	v_add_u32_e32 v11, s9, v12
	v_ashrrev_i32_e32 v12, 31, v11
	v_lshlrev_b64 v[9:10], 3, v[11:12]
	s_waitcnt vmcnt(0) lgkmcnt(0)
	buffer_store_dword v14, off, s[0:3], 0 offset:28
	buffer_store_dword v13, off, s[0:3], 0 offset:24
	v_add_co_u32_e32 v9, vcc, s8, v9
	v_addc_co_u32_e32 v10, vcc, v15, v10, vcc
	flat_load_dwordx2 v[13:14], v[9:10]
	v_add_u32_e32 v15, s9, v11
	v_ashrrev_i32_e32 v16, 31, v15
	v_lshlrev_b64 v[11:12], 3, v[15:16]
	v_add_u32_e32 v18, s9, v15
	v_add_co_u32_e32 v11, vcc, s8, v11
	v_addc_co_u32_e32 v12, vcc, v17, v12, vcc
	v_ashrrev_i32_e32 v19, 31, v18
	s_waitcnt vmcnt(0) lgkmcnt(0)
	buffer_store_dword v14, off, s[0:3], 0 offset:36
	buffer_store_dword v13, off, s[0:3], 0 offset:32
	flat_load_dwordx2 v[16:17], v[11:12]
	v_lshlrev_b64 v[13:14], 3, v[18:19]
	s_waitcnt vmcnt(0) lgkmcnt(0)
	buffer_store_dword v17, off, s[0:3], 0 offset:44
	buffer_store_dword v16, off, s[0:3], 0 offset:40
	v_add_co_u32_e32 v13, vcc, s8, v13
	v_addc_co_u32_e32 v14, vcc, v20, v14, vcc
	flat_load_dwordx2 v[19:20], v[13:14]
	v_add_u32_e32 v17, s9, v18
	v_ashrrev_i32_e32 v18, 31, v17
	v_lshlrev_b64 v[15:16], 3, v[17:18]
	s_waitcnt vmcnt(0) lgkmcnt(0)
	buffer_store_dword v20, off, s[0:3], 0 offset:52
	buffer_store_dword v19, off, s[0:3], 0 offset:48
	v_add_co_u32_e32 v15, vcc, s8, v15
	v_addc_co_u32_e32 v16, vcc, v21, v16, vcc
	flat_load_dwordx2 v[19:20], v[15:16]
	v_add_u32_e32 v21, s9, v17
	v_ashrrev_i32_e32 v22, 31, v21
	v_lshlrev_b64 v[17:18], 3, v[21:22]
	v_add_u32_e32 v24, s9, v21
	v_add_co_u32_e32 v17, vcc, s8, v17
	v_addc_co_u32_e32 v18, vcc, v23, v18, vcc
	v_ashrrev_i32_e32 v25, 31, v24
	s_waitcnt vmcnt(0) lgkmcnt(0)
	buffer_store_dword v20, off, s[0:3], 0 offset:60
	buffer_store_dword v19, off, s[0:3], 0 offset:56
	;; [unrolled: 27-line block ×4, first 2 shown]
	flat_load_dwordx2 v[34:35], v[29:30]
	v_lshlrev_b64 v[31:32], 3, v[36:37]
	s_waitcnt vmcnt(0) lgkmcnt(0)
	buffer_store_dword v35, off, s[0:3], 0 offset:116
	buffer_store_dword v34, off, s[0:3], 0 offset:112
	v_add_co_u32_e32 v31, vcc, s8, v31
	v_addc_co_u32_e32 v32, vcc, v38, v32, vcc
	flat_load_dwordx2 v[37:38], v[31:32]
	v_add_u32_e32 v35, s9, v36
	v_ashrrev_i32_e32 v36, 31, v35
	v_lshlrev_b64 v[33:34], 3, v[35:36]
	s_waitcnt vmcnt(0) lgkmcnt(0)
	buffer_store_dword v38, off, s[0:3], 0 offset:124
	buffer_store_dword v37, off, s[0:3], 0 offset:120
	v_add_co_u32_e32 v33, vcc, s8, v33
	v_addc_co_u32_e32 v34, vcc, v39, v34, vcc
	flat_load_dwordx2 v[37:38], v[33:34]
	v_add_u32_e32 v39, s9, v35
	v_ashrrev_i32_e32 v40, 31, v39
	v_lshlrev_b64 v[35:36], 3, v[39:40]
	v_mov_b32_e32 v40, s16
	v_add_co_u32_e32 v35, vcc, s8, v35
	v_addc_co_u32_e32 v36, vcc, v42, v36, vcc
	s_waitcnt vmcnt(0) lgkmcnt(0)
	buffer_store_dword v38, off, s[0:3], 0 offset:132
	buffer_store_dword v37, off, s[0:3], 0 offset:128
	flat_load_dwordx2 v[42:43], v[35:36]
	v_add_u32_e32 v37, s9, v39
	v_ashrrev_i32_e32 v38, 31, v37
	v_lshlrev_b64 v[37:38], 3, v[37:38]
	s_waitcnt vmcnt(0) lgkmcnt(0)
	buffer_store_dword v43, off, s[0:3], 0 offset:140
	buffer_store_dword v42, off, s[0:3], 0 offset:136
	v_add_co_u32_e32 v37, vcc, s8, v37
	v_addc_co_u32_e32 v38, vcc, v40, v38, vcc
	flat_load_dwordx2 v[39:40], v[37:38]
	s_mov_b64 s[8:9], -1
	s_waitcnt vmcnt(0) lgkmcnt(0)
	buffer_store_dword v40, off, s[0:3], 0 offset:148
	buffer_store_dword v39, off, s[0:3], 0 offset:144
	s_cbranch_scc1 .LBB82_82
; %bb.4:
	v_cmp_eq_u32_e64 s[4:5], 0, v0
	s_and_saveexec_b64 s[8:9], s[4:5]
; %bb.5:
	v_mov_b32_e32 v39, 0
	ds_write_b32 v39, v39 offset:152
; %bb.6:
	s_or_b64 exec, exec, s[8:9]
	v_mov_b32_e32 v39, 0
	v_lshl_add_u32 v39, v0, 3, v39
	s_waitcnt lgkmcnt(0)
	; wave barrier
	buffer_load_dword v42, v39, s[0:3], 0 offen
	buffer_load_dword v43, v39, s[0:3], 0 offen offset:4
	s_waitcnt vmcnt(0)
	v_cmp_eq_f64_e32 vcc, 0, v[42:43]
	s_and_saveexec_b64 s[16:17], vcc
	s_cbranch_execz .LBB82_10
; %bb.7:
	v_mov_b32_e32 v40, 0
	ds_read_b32 v43, v40 offset:152
	v_add_u32_e32 v42, 1, v0
	s_waitcnt lgkmcnt(0)
	v_readfirstlane_b32 s8, v43
	s_cmp_eq_u32 s8, 0
	s_cselect_b64 s[18:19], -1, 0
	v_cmp_gt_i32_e32 vcc, s8, v42
	s_or_b64 s[18:19], s[18:19], vcc
	s_and_b64 exec, exec, s[18:19]
	s_cbranch_execz .LBB82_10
; %bb.8:
	s_mov_b64 s[18:19], 0
	v_mov_b32_e32 v43, s8
.LBB82_9:                               ; =>This Inner Loop Header: Depth=1
	ds_cmpst_rtn_b32 v43, v40, v43, v42 offset:152
	s_waitcnt lgkmcnt(0)
	v_cmp_ne_u32_e32 vcc, 0, v43
	v_cmp_le_i32_e64 s[8:9], v43, v42
	s_and_b64 s[8:9], vcc, s[8:9]
	s_and_b64 s[8:9], exec, s[8:9]
	s_or_b64 s[18:19], s[8:9], s[18:19]
	s_andn2_b64 exec, exec, s[18:19]
	s_cbranch_execnz .LBB82_9
.LBB82_10:
	s_or_b64 exec, exec, s[16:17]
	v_mov_b32_e32 v42, 0
	; wave barrier
	ds_read_b32 v40, v42 offset:152
	s_and_saveexec_b64 s[8:9], s[4:5]
	s_cbranch_execz .LBB82_12
; %bb.11:
	s_lshl_b64 s[16:17], s[6:7], 2
	s_add_u32 s16, s10, s16
	s_addc_u32 s17, s11, s17
	s_waitcnt lgkmcnt(0)
	global_store_dword v42, v40, s[16:17]
.LBB82_12:
	s_or_b64 exec, exec, s[8:9]
	s_waitcnt lgkmcnt(0)
	v_cmp_ne_u32_e32 vcc, 0, v40
	s_mov_b64 s[8:9], 0
	s_cbranch_vccnz .LBB82_82
; %bb.13:
	buffer_load_dword v42, v39, s[0:3], 0 offen
	buffer_load_dword v43, v39, s[0:3], 0 offen offset:4
	s_waitcnt vmcnt(0)
	v_div_scale_f64 v[44:45], s[8:9], v[42:43], v[42:43], 1.0
	v_rcp_f64_e32 v[46:47], v[44:45]
	v_fma_f64 v[48:49], -v[44:45], v[46:47], 1.0
	v_fma_f64 v[46:47], v[46:47], v[48:49], v[46:47]
	v_div_scale_f64 v[48:49], vcc, 1.0, v[42:43], 1.0
	v_fma_f64 v[50:51], -v[44:45], v[46:47], 1.0
	v_fma_f64 v[46:47], v[46:47], v[50:51], v[46:47]
	v_mul_f64 v[50:51], v[48:49], v[46:47]
	v_fma_f64 v[44:45], -v[44:45], v[50:51], v[48:49]
	v_div_fmas_f64 v[44:45], v[44:45], v[46:47], v[50:51]
	v_div_fixup_f64 v[43:44], v[44:45], v[42:43], 1.0
	v_add_u32_e32 v42, 0xa0, v41
	buffer_store_dword v44, v39, s[0:3], 0 offen offset:4
	buffer_store_dword v43, v39, s[0:3], 0 offen
	buffer_load_dword v46, off, s[0:3], 0 offset:12
	buffer_load_dword v45, off, s[0:3], 0 offset:8
	v_xor_b32_e32 v44, 0x80000000, v44
	s_waitcnt vmcnt(0)
	ds_write2_b64 v41, v[43:44], v[45:46] offset1:20
	s_waitcnt lgkmcnt(0)
	; wave barrier
	s_and_saveexec_b64 s[8:9], s[4:5]
	s_cbranch_execz .LBB82_15
; %bb.14:
	buffer_load_dword v43, v39, s[0:3], 0 offen
	buffer_load_dword v44, v39, s[0:3], 0 offen offset:4
	ds_read_b64 v[45:46], v42
	v_mov_b32_e32 v40, 0
	ds_read_b64 v[47:48], v40 offset:8
	s_waitcnt vmcnt(0) lgkmcnt(1)
	v_fma_f64 v[43:44], v[43:44], v[45:46], 0
	s_waitcnt lgkmcnt(0)
	v_mul_f64 v[43:44], v[43:44], v[47:48]
	buffer_store_dword v43, off, s[0:3], 0 offset:8
	buffer_store_dword v44, off, s[0:3], 0 offset:12
.LBB82_15:
	s_or_b64 exec, exec, s[8:9]
	; wave barrier
	buffer_load_dword v43, off, s[0:3], 0 offset:16
	buffer_load_dword v44, off, s[0:3], 0 offset:20
	v_cmp_gt_u32_e32 vcc, 2, v0
	s_waitcnt vmcnt(0)
	ds_write_b64 v42, v[43:44]
	s_waitcnt lgkmcnt(0)
	; wave barrier
	s_and_saveexec_b64 s[8:9], vcc
	s_cbranch_execz .LBB82_17
; %bb.16:
	buffer_load_dword v43, v39, s[0:3], 0 offen
	buffer_load_dword v44, v39, s[0:3], 0 offen offset:4
                                        ; kill: killed $vgpr39
	s_nop 0
	buffer_load_dword v39, off, s[0:3], 0 offset:8
	buffer_load_dword v40, off, s[0:3], 0 offset:12
	ds_read_b64 v[45:46], v42
	s_waitcnt vmcnt(2) lgkmcnt(0)
	v_fma_f64 v[47:48], v[43:44], v[45:46], 0
	v_mov_b32_e32 v43, 0
	ds_read2_b64 v[43:46], v43 offset0:2 offset1:21
	s_waitcnt vmcnt(0) lgkmcnt(0)
	v_fma_f64 v[39:40], v[39:40], v[45:46], v[47:48]
	v_cndmask_b32_e64 v40, v48, v40, s[4:5]
	v_cndmask_b32_e64 v39, v47, v39, s[4:5]
	v_mul_f64 v[39:40], v[39:40], v[43:44]
	buffer_store_dword v40, off, s[0:3], 0 offset:20
	buffer_store_dword v39, off, s[0:3], 0 offset:16
.LBB82_17:
	s_or_b64 exec, exec, s[8:9]
	; wave barrier
	buffer_load_dword v39, off, s[0:3], 0 offset:24
	buffer_load_dword v40, off, s[0:3], 0 offset:28
	v_cmp_gt_u32_e32 vcc, 3, v0
	v_add_u32_e32 v43, -1, v0
	s_waitcnt vmcnt(0)
	ds_write_b64 v42, v[39:40]
	s_waitcnt lgkmcnt(0)
	; wave barrier
	s_and_saveexec_b64 s[4:5], vcc
	s_cbranch_execz .LBB82_21
; %bb.18:
	v_mov_b32_e32 v39, 0
	v_add_u32_e32 v44, -1, v0
	v_add_u32_e32 v45, 0xa0, v41
	v_mov_b32_e32 v46, v41
	v_mov_b32_e32 v40, 0
	s_mov_b64 s[8:9], 0
.LBB82_19:                              ; =>This Inner Loop Header: Depth=1
	buffer_load_dword v47, v46, s[0:3], 0 offen
	buffer_load_dword v48, v46, s[0:3], 0 offen offset:4
	ds_read_b64 v[49:50], v45
	v_add_u32_e32 v44, 1, v44
	v_cmp_lt_u32_e32 vcc, 1, v44
	v_add_u32_e32 v45, 8, v45
	s_or_b64 s[8:9], vcc, s[8:9]
	v_add_u32_e32 v46, 8, v46
	s_waitcnt vmcnt(0) lgkmcnt(0)
	v_fma_f64 v[39:40], v[47:48], v[49:50], v[39:40]
	s_andn2_b64 exec, exec, s[8:9]
	s_cbranch_execnz .LBB82_19
; %bb.20:
	s_or_b64 exec, exec, s[8:9]
	v_mov_b32_e32 v44, 0
	ds_read_b64 v[44:45], v44 offset:24
	s_waitcnt lgkmcnt(0)
	v_mul_f64 v[39:40], v[39:40], v[44:45]
	buffer_store_dword v40, off, s[0:3], 0 offset:28
	buffer_store_dword v39, off, s[0:3], 0 offset:24
.LBB82_21:
	s_or_b64 exec, exec, s[4:5]
	; wave barrier
	buffer_load_dword v39, off, s[0:3], 0 offset:32
	buffer_load_dword v40, off, s[0:3], 0 offset:36
	v_cmp_gt_u32_e32 vcc, 4, v0
	s_waitcnt vmcnt(0)
	ds_write_b64 v42, v[39:40]
	s_waitcnt lgkmcnt(0)
	; wave barrier
	s_and_saveexec_b64 s[4:5], vcc
	s_cbranch_execz .LBB82_25
; %bb.22:
	v_mov_b32_e32 v39, 0
	v_add_u32_e32 v44, -1, v0
	v_add_u32_e32 v45, 0xa0, v41
	v_mov_b32_e32 v46, v41
	v_mov_b32_e32 v40, 0
	s_mov_b64 s[8:9], 0
.LBB82_23:                              ; =>This Inner Loop Header: Depth=1
	buffer_load_dword v47, v46, s[0:3], 0 offen
	buffer_load_dword v48, v46, s[0:3], 0 offen offset:4
	ds_read_b64 v[49:50], v45
	v_add_u32_e32 v44, 1, v44
	v_cmp_lt_u32_e32 vcc, 2, v44
	v_add_u32_e32 v45, 8, v45
	s_or_b64 s[8:9], vcc, s[8:9]
	v_add_u32_e32 v46, 8, v46
	s_waitcnt vmcnt(0) lgkmcnt(0)
	v_fma_f64 v[39:40], v[47:48], v[49:50], v[39:40]
	s_andn2_b64 exec, exec, s[8:9]
	s_cbranch_execnz .LBB82_23
; %bb.24:
	s_or_b64 exec, exec, s[8:9]
	v_mov_b32_e32 v44, 0
	ds_read_b64 v[44:45], v44 offset:32
	s_waitcnt lgkmcnt(0)
	v_mul_f64 v[39:40], v[39:40], v[44:45]
	buffer_store_dword v40, off, s[0:3], 0 offset:36
	buffer_store_dword v39, off, s[0:3], 0 offset:32
.LBB82_25:
	s_or_b64 exec, exec, s[4:5]
	; wave barrier
	buffer_load_dword v39, off, s[0:3], 0 offset:40
	buffer_load_dword v40, off, s[0:3], 0 offset:44
	v_cmp_gt_u32_e32 vcc, 5, v0
	;; [unrolled: 40-line block ×14, first 2 shown]
	s_waitcnt vmcnt(0)
	ds_write_b64 v42, v[39:40]
	s_waitcnt lgkmcnt(0)
	; wave barrier
	s_and_saveexec_b64 s[4:5], vcc
	s_cbranch_execz .LBB82_77
; %bb.74:
	v_mov_b32_e32 v39, 0
	v_add_u32_e32 v44, -1, v0
	v_add_u32_e32 v45, 0xa0, v41
	v_mov_b32_e32 v46, v41
	v_mov_b32_e32 v40, 0
	s_mov_b64 s[8:9], 0
.LBB82_75:                              ; =>This Inner Loop Header: Depth=1
	buffer_load_dword v47, v46, s[0:3], 0 offen
	buffer_load_dword v48, v46, s[0:3], 0 offen offset:4
	ds_read_b64 v[49:50], v45
	v_add_u32_e32 v44, 1, v44
	v_cmp_lt_u32_e32 vcc, 15, v44
	v_add_u32_e32 v45, 8, v45
	s_or_b64 s[8:9], vcc, s[8:9]
	v_add_u32_e32 v46, 8, v46
	s_waitcnt vmcnt(0) lgkmcnt(0)
	v_fma_f64 v[39:40], v[47:48], v[49:50], v[39:40]
	s_andn2_b64 exec, exec, s[8:9]
	s_cbranch_execnz .LBB82_75
; %bb.76:
	s_or_b64 exec, exec, s[8:9]
	v_mov_b32_e32 v44, 0
	ds_read_b64 v[44:45], v44 offset:136
	s_waitcnt lgkmcnt(0)
	v_mul_f64 v[39:40], v[39:40], v[44:45]
	buffer_store_dword v40, off, s[0:3], 0 offset:140
	buffer_store_dword v39, off, s[0:3], 0 offset:136
.LBB82_77:
	s_or_b64 exec, exec, s[4:5]
	; wave barrier
	buffer_load_dword v39, off, s[0:3], 0 offset:144
	buffer_load_dword v40, off, s[0:3], 0 offset:148
	v_cmp_ne_u32_e32 vcc, 18, v0
	s_waitcnt vmcnt(0)
	ds_write_b64 v42, v[39:40]
	s_waitcnt lgkmcnt(0)
	; wave barrier
	s_and_saveexec_b64 s[4:5], vcc
	s_cbranch_execz .LBB82_81
; %bb.78:
	v_mov_b32_e32 v39, 0
	v_add_u32_e32 v42, 0xa0, v41
	v_mov_b32_e32 v40, 0
	s_mov_b64 s[8:9], 0
.LBB82_79:                              ; =>This Inner Loop Header: Depth=1
	buffer_load_dword v44, v41, s[0:3], 0 offen
	buffer_load_dword v45, v41, s[0:3], 0 offen offset:4
	ds_read_b64 v[46:47], v42
	v_add_u32_e32 v43, 1, v43
	v_cmp_lt_u32_e32 vcc, 16, v43
	v_add_u32_e32 v42, 8, v42
	s_or_b64 s[8:9], vcc, s[8:9]
	v_add_u32_e32 v41, 8, v41
	s_waitcnt vmcnt(0) lgkmcnt(0)
	v_fma_f64 v[39:40], v[44:45], v[46:47], v[39:40]
	s_andn2_b64 exec, exec, s[8:9]
	s_cbranch_execnz .LBB82_79
; %bb.80:
	s_or_b64 exec, exec, s[8:9]
	v_mov_b32_e32 v41, 0
	ds_read_b64 v[41:42], v41 offset:144
	s_waitcnt lgkmcnt(0)
	v_mul_f64 v[39:40], v[39:40], v[41:42]
	buffer_store_dword v40, off, s[0:3], 0 offset:148
	buffer_store_dword v39, off, s[0:3], 0 offset:144
.LBB82_81:
	s_or_b64 exec, exec, s[4:5]
	s_mov_b64 s[8:9], -1
	; wave barrier
.LBB82_82:
	s_and_b64 vcc, exec, s[8:9]
	s_cbranch_vccz .LBB82_84
; %bb.83:
	s_lshl_b64 s[4:5], s[6:7], 2
	s_add_u32 s4, s10, s4
	s_addc_u32 s5, s11, s5
	v_mov_b32_e32 v39, 0
	global_load_dword v39, v39, s[4:5]
	s_waitcnt vmcnt(0)
	v_cmp_ne_u32_e32 vcc, 0, v39
	s_cbranch_vccz .LBB82_85
.LBB82_84:
	s_endpgm
.LBB82_85:
	v_mov_b32_e32 v39, 0xa0
	v_lshl_add_u32 v39, v0, 3, v39
	v_cmp_eq_u32_e32 vcc, 18, v0
	s_and_saveexec_b64 s[4:5], vcc
	s_cbranch_execz .LBB82_87
; %bb.86:
	buffer_load_dword v40, off, s[0:3], 0 offset:136
	buffer_load_dword v41, off, s[0:3], 0 offset:140
	v_mov_b32_e32 v42, 0
	buffer_store_dword v42, off, s[0:3], 0 offset:136
	buffer_store_dword v42, off, s[0:3], 0 offset:140
	s_waitcnt vmcnt(2)
	ds_write_b64 v39, v[40:41]
.LBB82_87:
	s_or_b64 exec, exec, s[4:5]
	s_waitcnt lgkmcnt(0)
	; wave barrier
	buffer_load_dword v41, off, s[0:3], 0 offset:144
	buffer_load_dword v42, off, s[0:3], 0 offset:148
	;; [unrolled: 1-line block ×4, first 2 shown]
	v_mov_b32_e32 v40, 0
	ds_read_b64 v[45:46], v40 offset:304
	v_cmp_lt_u32_e32 vcc, 16, v0
	s_waitcnt vmcnt(2) lgkmcnt(0)
	v_fma_f64 v[41:42], v[41:42], v[45:46], 0
	s_waitcnt vmcnt(0)
	v_add_f64 v[41:42], v[43:44], -v[41:42]
	buffer_store_dword v41, off, s[0:3], 0 offset:136
	buffer_store_dword v42, off, s[0:3], 0 offset:140
	s_and_saveexec_b64 s[4:5], vcc
	s_cbranch_execz .LBB82_89
; %bb.88:
	buffer_load_dword v41, off, s[0:3], 0 offset:128
	buffer_load_dword v42, off, s[0:3], 0 offset:132
	s_waitcnt vmcnt(0)
	ds_write_b64 v39, v[41:42]
	buffer_store_dword v40, off, s[0:3], 0 offset:128
	buffer_store_dword v40, off, s[0:3], 0 offset:132
.LBB82_89:
	s_or_b64 exec, exec, s[4:5]
	s_waitcnt lgkmcnt(0)
	; wave barrier
	buffer_load_dword v44, off, s[0:3], 0 offset:136
	buffer_load_dword v45, off, s[0:3], 0 offset:140
	;; [unrolled: 1-line block ×6, first 2 shown]
	ds_read2_b64 v[40:43], v40 offset0:37 offset1:38
	v_cmp_lt_u32_e32 vcc, 15, v0
	s_waitcnt vmcnt(4) lgkmcnt(0)
	v_fma_f64 v[40:41], v[44:45], v[40:41], 0
	s_waitcnt vmcnt(2)
	v_fma_f64 v[40:41], v[46:47], v[42:43], v[40:41]
	s_waitcnt vmcnt(0)
	v_add_f64 v[40:41], v[48:49], -v[40:41]
	buffer_store_dword v40, off, s[0:3], 0 offset:128
	buffer_store_dword v41, off, s[0:3], 0 offset:132
	s_and_saveexec_b64 s[4:5], vcc
	s_cbranch_execz .LBB82_91
; %bb.90:
	buffer_load_dword v40, off, s[0:3], 0 offset:120
	buffer_load_dword v41, off, s[0:3], 0 offset:124
	v_mov_b32_e32 v42, 0
	buffer_store_dword v42, off, s[0:3], 0 offset:120
	buffer_store_dword v42, off, s[0:3], 0 offset:124
	s_waitcnt vmcnt(2)
	ds_write_b64 v39, v[40:41]
.LBB82_91:
	s_or_b64 exec, exec, s[4:5]
	s_waitcnt lgkmcnt(0)
	; wave barrier
	buffer_load_dword v45, off, s[0:3], 0 offset:128
	buffer_load_dword v46, off, s[0:3], 0 offset:132
	;; [unrolled: 1-line block ×8, first 2 shown]
	v_mov_b32_e32 v40, 0
	ds_read_b128 v[41:44], v40 offset:288
	ds_read_b64 v[53:54], v40 offset:304
	v_cmp_lt_u32_e32 vcc, 14, v0
	s_waitcnt vmcnt(6) lgkmcnt(1)
	v_fma_f64 v[41:42], v[45:46], v[41:42], 0
	s_waitcnt vmcnt(4)
	v_fma_f64 v[41:42], v[47:48], v[43:44], v[41:42]
	s_waitcnt vmcnt(2) lgkmcnt(0)
	v_fma_f64 v[41:42], v[49:50], v[53:54], v[41:42]
	s_waitcnt vmcnt(0)
	v_add_f64 v[41:42], v[51:52], -v[41:42]
	buffer_store_dword v41, off, s[0:3], 0 offset:120
	buffer_store_dword v42, off, s[0:3], 0 offset:124
	s_and_saveexec_b64 s[4:5], vcc
	s_cbranch_execz .LBB82_93
; %bb.92:
	buffer_load_dword v41, off, s[0:3], 0 offset:112
	buffer_load_dword v42, off, s[0:3], 0 offset:116
	s_waitcnt vmcnt(0)
	ds_write_b64 v39, v[41:42]
	buffer_store_dword v40, off, s[0:3], 0 offset:112
	buffer_store_dword v40, off, s[0:3], 0 offset:116
.LBB82_93:
	s_or_b64 exec, exec, s[4:5]
	s_waitcnt lgkmcnt(0)
	; wave barrier
	buffer_load_dword v49, off, s[0:3], 0 offset:120
	buffer_load_dword v50, off, s[0:3], 0 offset:124
	;; [unrolled: 1-line block ×10, first 2 shown]
	ds_read2_b64 v[41:44], v40 offset0:35 offset1:36
	ds_read2_b64 v[45:48], v40 offset0:37 offset1:38
	v_cmp_lt_u32_e32 vcc, 13, v0
	s_waitcnt vmcnt(8) lgkmcnt(1)
	v_fma_f64 v[40:41], v[49:50], v[41:42], 0
	s_waitcnt vmcnt(6)
	v_fma_f64 v[40:41], v[51:52], v[43:44], v[40:41]
	s_waitcnt vmcnt(4) lgkmcnt(0)
	v_fma_f64 v[40:41], v[53:54], v[45:46], v[40:41]
	s_waitcnt vmcnt(2)
	v_fma_f64 v[40:41], v[55:56], v[47:48], v[40:41]
	s_waitcnt vmcnt(0)
	v_add_f64 v[40:41], v[57:58], -v[40:41]
	buffer_store_dword v40, off, s[0:3], 0 offset:112
	buffer_store_dword v41, off, s[0:3], 0 offset:116
	s_and_saveexec_b64 s[4:5], vcc
	s_cbranch_execz .LBB82_95
; %bb.94:
	buffer_load_dword v40, off, s[0:3], 0 offset:104
	buffer_load_dword v41, off, s[0:3], 0 offset:108
	v_mov_b32_e32 v42, 0
	buffer_store_dword v42, off, s[0:3], 0 offset:104
	buffer_store_dword v42, off, s[0:3], 0 offset:108
	s_waitcnt vmcnt(2)
	ds_write_b64 v39, v[40:41]
.LBB82_95:
	s_or_b64 exec, exec, s[4:5]
	s_waitcnt lgkmcnt(0)
	; wave barrier
	buffer_load_dword v49, off, s[0:3], 0 offset:112
	buffer_load_dword v50, off, s[0:3], 0 offset:116
	;; [unrolled: 1-line block ×12, first 2 shown]
	v_mov_b32_e32 v40, 0
	ds_read_b128 v[41:44], v40 offset:272
	ds_read_b128 v[45:48], v40 offset:288
	v_cmp_lt_u32_e32 vcc, 12, v0
	s_waitcnt vmcnt(10) lgkmcnt(1)
	v_fma_f64 v[41:42], v[49:50], v[41:42], 0
	s_waitcnt vmcnt(8)
	v_fma_f64 v[41:42], v[51:52], v[43:44], v[41:42]
	ds_read_b64 v[43:44], v40 offset:304
	s_waitcnt vmcnt(6) lgkmcnt(1)
	v_fma_f64 v[41:42], v[53:54], v[45:46], v[41:42]
	s_waitcnt vmcnt(4)
	v_fma_f64 v[41:42], v[55:56], v[47:48], v[41:42]
	s_waitcnt vmcnt(2) lgkmcnt(0)
	v_fma_f64 v[41:42], v[57:58], v[43:44], v[41:42]
	s_waitcnt vmcnt(0)
	v_add_f64 v[41:42], v[59:60], -v[41:42]
	buffer_store_dword v41, off, s[0:3], 0 offset:104
	buffer_store_dword v42, off, s[0:3], 0 offset:108
	s_and_saveexec_b64 s[4:5], vcc
	s_cbranch_execz .LBB82_97
; %bb.96:
	buffer_load_dword v41, off, s[0:3], 0 offset:96
	buffer_load_dword v42, off, s[0:3], 0 offset:100
	s_waitcnt vmcnt(0)
	ds_write_b64 v39, v[41:42]
	buffer_store_dword v40, off, s[0:3], 0 offset:96
	buffer_store_dword v40, off, s[0:3], 0 offset:100
.LBB82_97:
	s_or_b64 exec, exec, s[4:5]
	s_waitcnt lgkmcnt(0)
	; wave barrier
	buffer_load_dword v45, off, s[0:3], 0 offset:96
	buffer_load_dword v46, off, s[0:3], 0 offset:100
	;; [unrolled: 1-line block ×14, first 2 shown]
	ds_read2_b64 v[41:44], v40 offset0:33 offset1:34
	v_cmp_lt_u32_e32 vcc, 11, v0
	s_waitcnt vmcnt(10) lgkmcnt(0)
	v_fma_f64 v[41:42], v[47:48], v[41:42], 0
	s_waitcnt vmcnt(8)
	v_fma_f64 v[47:48], v[49:50], v[43:44], v[41:42]
	ds_read2_b64 v[41:44], v40 offset0:35 offset1:36
	s_waitcnt vmcnt(6) lgkmcnt(0)
	v_fma_f64 v[41:42], v[51:52], v[41:42], v[47:48]
	s_waitcnt vmcnt(4)
	v_fma_f64 v[47:48], v[53:54], v[43:44], v[41:42]
	ds_read2_b64 v[40:43], v40 offset0:37 offset1:38
	s_waitcnt vmcnt(2) lgkmcnt(0)
	v_fma_f64 v[40:41], v[55:56], v[40:41], v[47:48]
	s_waitcnt vmcnt(0)
	v_fma_f64 v[40:41], v[57:58], v[42:43], v[40:41]
	v_add_f64 v[40:41], v[45:46], -v[40:41]
	buffer_store_dword v40, off, s[0:3], 0 offset:96
	buffer_store_dword v41, off, s[0:3], 0 offset:100
	s_and_saveexec_b64 s[4:5], vcc
	s_cbranch_execz .LBB82_99
; %bb.98:
	buffer_load_dword v40, off, s[0:3], 0 offset:88
	buffer_load_dword v41, off, s[0:3], 0 offset:92
	v_mov_b32_e32 v42, 0
	buffer_store_dword v42, off, s[0:3], 0 offset:88
	buffer_store_dword v42, off, s[0:3], 0 offset:92
	s_waitcnt vmcnt(2)
	ds_write_b64 v39, v[40:41]
.LBB82_99:
	s_or_b64 exec, exec, s[4:5]
	s_waitcnt lgkmcnt(0)
	; wave barrier
	buffer_load_dword v45, off, s[0:3], 0 offset:96
	buffer_load_dword v46, off, s[0:3], 0 offset:100
	;; [unrolled: 1-line block ×16, first 2 shown]
	v_mov_b32_e32 v40, 0
	ds_read_b128 v[41:44], v40 offset:256
	v_cmp_lt_u32_e32 vcc, 10, v0
	s_waitcnt vmcnt(14) lgkmcnt(0)
	v_fma_f64 v[41:42], v[45:46], v[41:42], 0
	s_waitcnt vmcnt(12)
	v_fma_f64 v[45:46], v[47:48], v[43:44], v[41:42]
	ds_read_b128 v[41:44], v40 offset:272
	s_waitcnt vmcnt(10) lgkmcnt(0)
	v_fma_f64 v[41:42], v[49:50], v[41:42], v[45:46]
	s_waitcnt vmcnt(8)
	v_fma_f64 v[45:46], v[51:52], v[43:44], v[41:42]
	ds_read_b128 v[41:44], v40 offset:288
	s_waitcnt vmcnt(6) lgkmcnt(0)
	v_fma_f64 v[41:42], v[53:54], v[41:42], v[45:46]
	s_waitcnt vmcnt(4)
	v_fma_f64 v[41:42], v[55:56], v[43:44], v[41:42]
	ds_read_b64 v[43:44], v40 offset:304
	s_waitcnt vmcnt(2) lgkmcnt(0)
	v_fma_f64 v[41:42], v[57:58], v[43:44], v[41:42]
	s_waitcnt vmcnt(0)
	v_add_f64 v[41:42], v[59:60], -v[41:42]
	buffer_store_dword v41, off, s[0:3], 0 offset:88
	buffer_store_dword v42, off, s[0:3], 0 offset:92
	s_and_saveexec_b64 s[4:5], vcc
	s_cbranch_execz .LBB82_101
; %bb.100:
	buffer_load_dword v41, off, s[0:3], 0 offset:80
	buffer_load_dword v42, off, s[0:3], 0 offset:84
	s_waitcnt vmcnt(0)
	ds_write_b64 v39, v[41:42]
	buffer_store_dword v40, off, s[0:3], 0 offset:80
	buffer_store_dword v40, off, s[0:3], 0 offset:84
.LBB82_101:
	s_or_b64 exec, exec, s[4:5]
	s_waitcnt lgkmcnt(0)
	; wave barrier
	buffer_load_dword v45, off, s[0:3], 0 offset:88
	buffer_load_dword v46, off, s[0:3], 0 offset:92
	;; [unrolled: 1-line block ×18, first 2 shown]
	ds_read2_b64 v[41:44], v40 offset0:31 offset1:32
	v_cmp_lt_u32_e32 vcc, 9, v0
	s_waitcnt vmcnt(16) lgkmcnt(0)
	v_fma_f64 v[41:42], v[45:46], v[41:42], 0
	s_waitcnt vmcnt(14)
	v_fma_f64 v[45:46], v[47:48], v[43:44], v[41:42]
	ds_read2_b64 v[41:44], v40 offset0:33 offset1:34
	s_waitcnt vmcnt(12) lgkmcnt(0)
	v_fma_f64 v[41:42], v[49:50], v[41:42], v[45:46]
	s_waitcnt vmcnt(10)
	v_fma_f64 v[45:46], v[51:52], v[43:44], v[41:42]
	ds_read2_b64 v[41:44], v40 offset0:35 offset1:36
	;; [unrolled: 5-line block ×3, first 2 shown]
	s_waitcnt vmcnt(4) lgkmcnt(0)
	v_fma_f64 v[40:41], v[57:58], v[40:41], v[44:45]
	s_waitcnt vmcnt(2)
	v_fma_f64 v[40:41], v[59:60], v[42:43], v[40:41]
	s_waitcnt vmcnt(0)
	v_add_f64 v[40:41], v[61:62], -v[40:41]
	buffer_store_dword v40, off, s[0:3], 0 offset:80
	buffer_store_dword v41, off, s[0:3], 0 offset:84
	s_and_saveexec_b64 s[4:5], vcc
	s_cbranch_execz .LBB82_103
; %bb.102:
	buffer_load_dword v40, off, s[0:3], 0 offset:72
	buffer_load_dword v41, off, s[0:3], 0 offset:76
	v_mov_b32_e32 v42, 0
	buffer_store_dword v42, off, s[0:3], 0 offset:72
	buffer_store_dword v42, off, s[0:3], 0 offset:76
	s_waitcnt vmcnt(2)
	ds_write_b64 v39, v[40:41]
.LBB82_103:
	s_or_b64 exec, exec, s[4:5]
	s_waitcnt lgkmcnt(0)
	; wave barrier
	buffer_load_dword v49, off, s[0:3], 0 offset:80
	buffer_load_dword v50, off, s[0:3], 0 offset:84
	;; [unrolled: 1-line block ×20, first 2 shown]
	v_mov_b32_e32 v40, 0
	ds_read_b128 v[41:44], v40 offset:240
	ds_read_b128 v[45:48], v40 offset:256
	v_cmp_lt_u32_e32 vcc, 8, v0
	s_waitcnt vmcnt(18) lgkmcnt(1)
	v_fma_f64 v[41:42], v[49:50], v[41:42], 0
	s_waitcnt vmcnt(16)
	v_fma_f64 v[41:42], v[51:52], v[43:44], v[41:42]
	s_waitcnt vmcnt(14) lgkmcnt(0)
	v_fma_f64 v[41:42], v[53:54], v[45:46], v[41:42]
	s_waitcnt vmcnt(12)
	v_fma_f64 v[49:50], v[55:56], v[47:48], v[41:42]
	ds_read_b128 v[41:44], v40 offset:272
	ds_read_b128 v[45:48], v40 offset:288
	s_waitcnt vmcnt(10) lgkmcnt(1)
	v_fma_f64 v[41:42], v[57:58], v[41:42], v[49:50]
	s_waitcnt vmcnt(8)
	v_fma_f64 v[41:42], v[59:60], v[43:44], v[41:42]
	ds_read_b64 v[43:44], v40 offset:304
	s_waitcnt vmcnt(6) lgkmcnt(1)
	v_fma_f64 v[41:42], v[61:62], v[45:46], v[41:42]
	s_waitcnt vmcnt(3)
	v_fma_f64 v[41:42], v[63:64], v[47:48], v[41:42]
	s_waitcnt vmcnt(2) lgkmcnt(0)
	v_fma_f64 v[41:42], v[65:66], v[43:44], v[41:42]
	s_waitcnt vmcnt(0)
	v_add_f64 v[41:42], v[67:68], -v[41:42]
	buffer_store_dword v41, off, s[0:3], 0 offset:72
	buffer_store_dword v42, off, s[0:3], 0 offset:76
	s_and_saveexec_b64 s[4:5], vcc
	s_cbranch_execz .LBB82_105
; %bb.104:
	buffer_load_dword v41, off, s[0:3], 0 offset:64
	buffer_load_dword v42, off, s[0:3], 0 offset:68
	s_waitcnt vmcnt(0)
	ds_write_b64 v39, v[41:42]
	buffer_store_dword v40, off, s[0:3], 0 offset:64
	buffer_store_dword v40, off, s[0:3], 0 offset:68
.LBB82_105:
	s_or_b64 exec, exec, s[4:5]
	s_waitcnt lgkmcnt(0)
	; wave barrier
	buffer_load_dword v49, off, s[0:3], 0 offset:72
	buffer_load_dword v50, off, s[0:3], 0 offset:76
	;; [unrolled: 1-line block ×20, first 2 shown]
	ds_read2_b64 v[41:44], v40 offset0:29 offset1:30
	buffer_load_dword v69, off, s[0:3], 0 offset:64
	buffer_load_dword v70, off, s[0:3], 0 offset:68
	ds_read2_b64 v[45:48], v40 offset0:31 offset1:32
	v_cmp_lt_u32_e32 vcc, 7, v0
	s_waitcnt vmcnt(20) lgkmcnt(1)
	v_fma_f64 v[41:42], v[49:50], v[41:42], 0
	s_waitcnt vmcnt(18)
	v_fma_f64 v[41:42], v[51:52], v[43:44], v[41:42]
	s_waitcnt vmcnt(16) lgkmcnt(0)
	v_fma_f64 v[41:42], v[53:54], v[45:46], v[41:42]
	s_waitcnt vmcnt(14)
	v_fma_f64 v[49:50], v[55:56], v[47:48], v[41:42]
	ds_read2_b64 v[41:44], v40 offset0:33 offset1:34
	ds_read2_b64 v[45:48], v40 offset0:35 offset1:36
	s_waitcnt vmcnt(12) lgkmcnt(1)
	v_fma_f64 v[41:42], v[57:58], v[41:42], v[49:50]
	s_waitcnt vmcnt(10)
	v_fma_f64 v[41:42], v[59:60], v[43:44], v[41:42]
	s_waitcnt vmcnt(8) lgkmcnt(0)
	v_fma_f64 v[41:42], v[61:62], v[45:46], v[41:42]
	s_waitcnt vmcnt(4)
	v_fma_f64 v[44:45], v[63:64], v[47:48], v[41:42]
	ds_read2_b64 v[40:43], v40 offset0:37 offset1:38
	s_waitcnt vmcnt(3) lgkmcnt(0)
	v_fma_f64 v[40:41], v[67:68], v[40:41], v[44:45]
	s_waitcnt vmcnt(2)
	v_fma_f64 v[40:41], v[65:66], v[42:43], v[40:41]
	s_waitcnt vmcnt(0)
	v_add_f64 v[40:41], v[69:70], -v[40:41]
	buffer_store_dword v40, off, s[0:3], 0 offset:64
	buffer_store_dword v41, off, s[0:3], 0 offset:68
	s_and_saveexec_b64 s[4:5], vcc
	s_cbranch_execz .LBB82_107
; %bb.106:
	buffer_load_dword v40, off, s[0:3], 0 offset:56
	buffer_load_dword v41, off, s[0:3], 0 offset:60
	v_mov_b32_e32 v42, 0
	buffer_store_dword v42, off, s[0:3], 0 offset:56
	buffer_store_dword v42, off, s[0:3], 0 offset:60
	s_waitcnt vmcnt(2)
	ds_write_b64 v39, v[40:41]
.LBB82_107:
	s_or_b64 exec, exec, s[4:5]
	s_waitcnt lgkmcnt(0)
	; wave barrier
	buffer_load_dword v49, off, s[0:3], 0 offset:64
	buffer_load_dword v50, off, s[0:3], 0 offset:68
	buffer_load_dword v51, off, s[0:3], 0 offset:72
	buffer_load_dword v52, off, s[0:3], 0 offset:76
	buffer_load_dword v53, off, s[0:3], 0 offset:80
	buffer_load_dword v54, off, s[0:3], 0 offset:84
	buffer_load_dword v55, off, s[0:3], 0 offset:88
	buffer_load_dword v56, off, s[0:3], 0 offset:92
	buffer_load_dword v57, off, s[0:3], 0 offset:96
	buffer_load_dword v58, off, s[0:3], 0 offset:100
	buffer_load_dword v59, off, s[0:3], 0 offset:104
	buffer_load_dword v60, off, s[0:3], 0 offset:108
	buffer_load_dword v61, off, s[0:3], 0 offset:112
	buffer_load_dword v62, off, s[0:3], 0 offset:116
	buffer_load_dword v64, off, s[0:3], 0 offset:124
	buffer_load_dword v65, off, s[0:3], 0 offset:144
	buffer_load_dword v67, off, s[0:3], 0 offset:136
	buffer_load_dword v69, off, s[0:3], 0 offset:128
	buffer_load_dword v63, off, s[0:3], 0 offset:120
	buffer_load_dword v70, off, s[0:3], 0 offset:132
	buffer_load_dword v68, off, s[0:3], 0 offset:140
	v_mov_b32_e32 v40, 0
	ds_read_b128 v[41:44], v40 offset:224
	ds_read_b128 v[45:48], v40 offset:240
	buffer_load_dword v66, off, s[0:3], 0 offset:148
	v_cmp_lt_u32_e32 vcc, 6, v0
	s_waitcnt vmcnt(20) lgkmcnt(1)
	v_fma_f64 v[41:42], v[49:50], v[41:42], 0
	buffer_load_dword v49, off, s[0:3], 0 offset:56
	buffer_load_dword v50, off, s[0:3], 0 offset:60
	s_waitcnt vmcnt(20)
	v_fma_f64 v[41:42], v[51:52], v[43:44], v[41:42]
	s_waitcnt vmcnt(18) lgkmcnt(0)
	v_fma_f64 v[41:42], v[53:54], v[45:46], v[41:42]
	s_waitcnt vmcnt(16)
	v_fma_f64 v[51:52], v[55:56], v[47:48], v[41:42]
	ds_read_b128 v[41:44], v40 offset:256
	ds_read_b128 v[45:48], v40 offset:272
	s_waitcnt vmcnt(14) lgkmcnt(1)
	v_fma_f64 v[41:42], v[57:58], v[41:42], v[51:52]
	s_waitcnt vmcnt(12)
	v_fma_f64 v[41:42], v[59:60], v[43:44], v[41:42]
	s_waitcnt vmcnt(10) lgkmcnt(0)
	v_fma_f64 v[41:42], v[61:62], v[45:46], v[41:42]
	s_waitcnt vmcnt(5)
	v_fma_f64 v[45:46], v[63:64], v[47:48], v[41:42]
	ds_read_b128 v[41:44], v40 offset:288
	ds_read_b64 v[47:48], v40 offset:304
	s_waitcnt vmcnt(4) lgkmcnt(1)
	v_fma_f64 v[41:42], v[69:70], v[41:42], v[45:46]
	s_waitcnt vmcnt(3)
	v_fma_f64 v[41:42], v[67:68], v[43:44], v[41:42]
	s_waitcnt vmcnt(2) lgkmcnt(0)
	v_fma_f64 v[41:42], v[65:66], v[47:48], v[41:42]
	s_waitcnt vmcnt(0)
	v_add_f64 v[41:42], v[49:50], -v[41:42]
	buffer_store_dword v42, off, s[0:3], 0 offset:60
	buffer_store_dword v41, off, s[0:3], 0 offset:56
	s_and_saveexec_b64 s[4:5], vcc
	s_cbranch_execz .LBB82_109
; %bb.108:
	buffer_load_dword v41, off, s[0:3], 0 offset:48
	buffer_load_dword v42, off, s[0:3], 0 offset:52
	s_waitcnt vmcnt(0)
	ds_write_b64 v39, v[41:42]
	buffer_store_dword v40, off, s[0:3], 0 offset:48
	buffer_store_dword v40, off, s[0:3], 0 offset:52
.LBB82_109:
	s_or_b64 exec, exec, s[4:5]
	s_waitcnt lgkmcnt(0)
	; wave barrier
	buffer_load_dword v49, off, s[0:3], 0 offset:56
	buffer_load_dword v50, off, s[0:3], 0 offset:60
	;; [unrolled: 1-line block ×21, first 2 shown]
	ds_read2_b64 v[41:44], v40 offset0:27 offset1:28
	ds_read2_b64 v[45:48], v40 offset0:29 offset1:30
	buffer_load_dword v66, off, s[0:3], 0 offset:140
	v_cmp_lt_u32_e32 vcc, 5, v0
	s_waitcnt vmcnt(20) lgkmcnt(1)
	v_fma_f64 v[41:42], v[49:50], v[41:42], 0
	buffer_load_dword v50, off, s[0:3], 0 offset:148
	buffer_load_dword v49, off, s[0:3], 0 offset:144
	s_waitcnt vmcnt(20)
	v_fma_f64 v[41:42], v[51:52], v[43:44], v[41:42]
	buffer_load_dword v51, off, s[0:3], 0 offset:48
	buffer_load_dword v52, off, s[0:3], 0 offset:52
	s_waitcnt vmcnt(20) lgkmcnt(0)
	v_fma_f64 v[41:42], v[53:54], v[45:46], v[41:42]
	s_waitcnt vmcnt(18)
	v_fma_f64 v[53:54], v[55:56], v[47:48], v[41:42]
	ds_read2_b64 v[41:44], v40 offset0:31 offset1:32
	ds_read2_b64 v[45:48], v40 offset0:33 offset1:34
	s_waitcnt vmcnt(16) lgkmcnt(1)
	v_fma_f64 v[41:42], v[57:58], v[41:42], v[53:54]
	s_waitcnt vmcnt(14)
	v_fma_f64 v[41:42], v[59:60], v[43:44], v[41:42]
	s_waitcnt vmcnt(12) lgkmcnt(0)
	v_fma_f64 v[41:42], v[61:62], v[45:46], v[41:42]
	s_waitcnt vmcnt(7)
	v_fma_f64 v[53:54], v[63:64], v[47:48], v[41:42]
	ds_read2_b64 v[41:44], v40 offset0:35 offset1:36
	ds_read2_b64 v[45:48], v40 offset0:37 offset1:38
	s_waitcnt vmcnt(6) lgkmcnt(1)
	v_fma_f64 v[40:41], v[69:70], v[41:42], v[53:54]
	s_waitcnt vmcnt(5)
	v_fma_f64 v[40:41], v[67:68], v[43:44], v[40:41]
	s_waitcnt vmcnt(4) lgkmcnt(0)
	v_fma_f64 v[40:41], v[65:66], v[45:46], v[40:41]
	s_waitcnt vmcnt(2)
	v_fma_f64 v[40:41], v[49:50], v[47:48], v[40:41]
	s_waitcnt vmcnt(0)
	v_add_f64 v[40:41], v[51:52], -v[40:41]
	buffer_store_dword v41, off, s[0:3], 0 offset:52
	buffer_store_dword v40, off, s[0:3], 0 offset:48
	s_and_saveexec_b64 s[4:5], vcc
	s_cbranch_execz .LBB82_111
; %bb.110:
	buffer_load_dword v40, off, s[0:3], 0 offset:40
	buffer_load_dword v41, off, s[0:3], 0 offset:44
	v_mov_b32_e32 v42, 0
	buffer_store_dword v42, off, s[0:3], 0 offset:40
	buffer_store_dword v42, off, s[0:3], 0 offset:44
	s_waitcnt vmcnt(2)
	ds_write_b64 v39, v[40:41]
.LBB82_111:
	s_or_b64 exec, exec, s[4:5]
	s_waitcnt lgkmcnt(0)
	; wave barrier
	buffer_load_dword v49, off, s[0:3], 0 offset:48
	buffer_load_dword v50, off, s[0:3], 0 offset:52
	;; [unrolled: 1-line block ×21, first 2 shown]
	v_mov_b32_e32 v40, 0
	ds_read_b128 v[41:44], v40 offset:208
	ds_read_b128 v[45:48], v40 offset:224
	buffer_load_dword v66, off, s[0:3], 0 offset:132
	v_cmp_lt_u32_e32 vcc, 4, v0
	s_waitcnt vmcnt(20) lgkmcnt(1)
	v_fma_f64 v[41:42], v[49:50], v[41:42], 0
	s_waitcnt vmcnt(18)
	v_fma_f64 v[41:42], v[51:52], v[43:44], v[41:42]
	buffer_load_dword v50, off, s[0:3], 0 offset:140
	buffer_load_dword v51, off, s[0:3], 0 offset:144
	;; [unrolled: 1-line block ×4, first 2 shown]
	s_waitcnt vmcnt(20) lgkmcnt(0)
	v_fma_f64 v[41:42], v[53:54], v[45:46], v[41:42]
	buffer_load_dword v53, off, s[0:3], 0 offset:40
	buffer_load_dword v54, off, s[0:3], 0 offset:44
	s_waitcnt vmcnt(20)
	v_fma_f64 v[55:56], v[55:56], v[47:48], v[41:42]
	ds_read_b128 v[41:44], v40 offset:240
	ds_read_b128 v[45:48], v40 offset:256
	s_waitcnt vmcnt(18) lgkmcnt(1)
	v_fma_f64 v[41:42], v[57:58], v[41:42], v[55:56]
	s_waitcnt vmcnt(16)
	v_fma_f64 v[41:42], v[59:60], v[43:44], v[41:42]
	s_waitcnt vmcnt(14) lgkmcnt(0)
	v_fma_f64 v[41:42], v[61:62], v[45:46], v[41:42]
	s_waitcnt vmcnt(9)
	v_fma_f64 v[55:56], v[63:64], v[47:48], v[41:42]
	ds_read_b128 v[41:44], v40 offset:272
	ds_read_b128 v[45:48], v40 offset:288
	s_waitcnt vmcnt(8) lgkmcnt(1)
	v_fma_f64 v[41:42], v[69:70], v[41:42], v[55:56]
	s_waitcnt vmcnt(7)
	v_fma_f64 v[41:42], v[67:68], v[43:44], v[41:42]
	ds_read_b64 v[43:44], v40 offset:304
	s_waitcnt vmcnt(6) lgkmcnt(1)
	v_fma_f64 v[41:42], v[65:66], v[45:46], v[41:42]
	s_waitcnt vmcnt(3)
	v_fma_f64 v[41:42], v[49:50], v[47:48], v[41:42]
	s_waitcnt vmcnt(2) lgkmcnt(0)
	v_fma_f64 v[41:42], v[51:52], v[43:44], v[41:42]
	s_waitcnt vmcnt(0)
	v_add_f64 v[41:42], v[53:54], -v[41:42]
	buffer_store_dword v42, off, s[0:3], 0 offset:44
	buffer_store_dword v41, off, s[0:3], 0 offset:40
	s_and_saveexec_b64 s[4:5], vcc
	s_cbranch_execz .LBB82_113
; %bb.112:
	buffer_load_dword v41, off, s[0:3], 0 offset:32
	buffer_load_dword v42, off, s[0:3], 0 offset:36
	s_waitcnt vmcnt(0)
	ds_write_b64 v39, v[41:42]
	buffer_store_dword v40, off, s[0:3], 0 offset:32
	buffer_store_dword v40, off, s[0:3], 0 offset:36
.LBB82_113:
	s_or_b64 exec, exec, s[4:5]
	s_waitcnt lgkmcnt(0)
	; wave barrier
	buffer_load_dword v49, off, s[0:3], 0 offset:40
	buffer_load_dword v50, off, s[0:3], 0 offset:44
	;; [unrolled: 1-line block ×22, first 2 shown]
	ds_read2_b64 v[41:44], v40 offset0:25 offset1:26
	ds_read2_b64 v[45:48], v40 offset0:27 offset1:28
	v_cmp_lt_u32_e32 vcc, 3, v0
	s_waitcnt vmcnt(20) lgkmcnt(1)
	v_fma_f64 v[41:42], v[49:50], v[41:42], 0
	s_waitcnt vmcnt(18)
	v_fma_f64 v[41:42], v[51:52], v[43:44], v[41:42]
	buffer_load_dword v50, off, s[0:3], 0 offset:132
	buffer_load_dword v51, off, s[0:3], 0 offset:144
	;; [unrolled: 1-line block ×6, first 2 shown]
	s_waitcnt vmcnt(22) lgkmcnt(0)
	v_fma_f64 v[41:42], v[53:54], v[45:46], v[41:42]
	s_waitcnt vmcnt(20)
	v_fma_f64 v[53:54], v[55:56], v[47:48], v[41:42]
	ds_read2_b64 v[41:44], v40 offset0:29 offset1:30
	buffer_load_dword v55, off, s[0:3], 0 offset:32
	buffer_load_dword v56, off, s[0:3], 0 offset:36
	ds_read2_b64 v[45:48], v40 offset0:31 offset1:32
	s_waitcnt vmcnt(20) lgkmcnt(1)
	v_fma_f64 v[41:42], v[57:58], v[41:42], v[53:54]
	s_waitcnt vmcnt(18)
	v_fma_f64 v[41:42], v[59:60], v[43:44], v[41:42]
	s_waitcnt vmcnt(16) lgkmcnt(0)
	v_fma_f64 v[41:42], v[61:62], v[45:46], v[41:42]
	s_waitcnt vmcnt(11)
	v_fma_f64 v[53:54], v[63:64], v[47:48], v[41:42]
	ds_read2_b64 v[41:44], v40 offset0:33 offset1:34
	ds_read2_b64 v[45:48], v40 offset0:35 offset1:36
	s_waitcnt vmcnt(10) lgkmcnt(1)
	v_fma_f64 v[41:42], v[69:70], v[41:42], v[53:54]
	s_waitcnt vmcnt(9)
	v_fma_f64 v[41:42], v[67:68], v[43:44], v[41:42]
	s_waitcnt vmcnt(8) lgkmcnt(0)
	v_fma_f64 v[41:42], v[65:66], v[45:46], v[41:42]
	s_waitcnt vmcnt(4)
	v_fma_f64 v[44:45], v[49:50], v[47:48], v[41:42]
	ds_read2_b64 v[40:43], v40 offset0:37 offset1:38
	s_waitcnt vmcnt(3) lgkmcnt(0)
	v_fma_f64 v[40:41], v[71:72], v[40:41], v[44:45]
	s_waitcnt vmcnt(2)
	v_fma_f64 v[40:41], v[51:52], v[42:43], v[40:41]
	s_waitcnt vmcnt(0)
	v_add_f64 v[40:41], v[55:56], -v[40:41]
	buffer_store_dword v41, off, s[0:3], 0 offset:36
	buffer_store_dword v40, off, s[0:3], 0 offset:32
	s_and_saveexec_b64 s[4:5], vcc
	s_cbranch_execz .LBB82_115
; %bb.114:
	buffer_load_dword v40, off, s[0:3], 0 offset:24
	buffer_load_dword v41, off, s[0:3], 0 offset:28
	v_mov_b32_e32 v42, 0
	buffer_store_dword v42, off, s[0:3], 0 offset:24
	buffer_store_dword v42, off, s[0:3], 0 offset:28
	s_waitcnt vmcnt(2)
	ds_write_b64 v39, v[40:41]
.LBB82_115:
	s_or_b64 exec, exec, s[4:5]
	s_waitcnt lgkmcnt(0)
	; wave barrier
	buffer_load_dword v49, off, s[0:3], 0 offset:32
	buffer_load_dword v50, off, s[0:3], 0 offset:36
	;; [unrolled: 1-line block ×22, first 2 shown]
	v_mov_b32_e32 v40, 0
	ds_read_b128 v[41:44], v40 offset:192
	ds_read_b128 v[45:48], v40 offset:208
	v_cmp_lt_u32_e32 vcc, 2, v0
	s_waitcnt vmcnt(20) lgkmcnt(1)
	v_fma_f64 v[41:42], v[49:50], v[41:42], 0
	s_waitcnt vmcnt(18)
	v_fma_f64 v[41:42], v[51:52], v[43:44], v[41:42]
	buffer_load_dword v50, off, s[0:3], 0 offset:124
	buffer_load_dword v51, off, s[0:3], 0 offset:144
	;; [unrolled: 1-line block ×8, first 2 shown]
	s_waitcnt vmcnt(24) lgkmcnt(0)
	v_fma_f64 v[41:42], v[53:54], v[45:46], v[41:42]
	s_waitcnt vmcnt(22)
	v_fma_f64 v[53:54], v[55:56], v[47:48], v[41:42]
	ds_read_b128 v[41:44], v40 offset:224
	ds_read_b128 v[45:48], v40 offset:240
	s_waitcnt vmcnt(20) lgkmcnt(1)
	v_fma_f64 v[41:42], v[57:58], v[41:42], v[53:54]
	buffer_load_dword v53, off, s[0:3], 0 offset:24
	buffer_load_dword v54, off, s[0:3], 0 offset:28
	s_waitcnt vmcnt(20)
	v_fma_f64 v[41:42], v[59:60], v[43:44], v[41:42]
	s_waitcnt vmcnt(18) lgkmcnt(0)
	v_fma_f64 v[41:42], v[61:62], v[45:46], v[41:42]
	s_waitcnt vmcnt(13)
	v_fma_f64 v[55:56], v[63:64], v[47:48], v[41:42]
	ds_read_b128 v[41:44], v40 offset:256
	ds_read_b128 v[45:48], v40 offset:272
	s_waitcnt vmcnt(12) lgkmcnt(1)
	v_fma_f64 v[41:42], v[69:70], v[41:42], v[55:56]
	s_waitcnt vmcnt(11)
	v_fma_f64 v[41:42], v[67:68], v[43:44], v[41:42]
	s_waitcnt vmcnt(10) lgkmcnt(0)
	v_fma_f64 v[41:42], v[65:66], v[45:46], v[41:42]
	s_waitcnt vmcnt(5)
	v_fma_f64 v[45:46], v[49:50], v[47:48], v[41:42]
	ds_read_b128 v[41:44], v40 offset:288
	ds_read_b64 v[47:48], v40 offset:304
	s_waitcnt vmcnt(4) lgkmcnt(1)
	v_fma_f64 v[41:42], v[73:74], v[41:42], v[45:46]
	s_waitcnt vmcnt(3)
	v_fma_f64 v[41:42], v[71:72], v[43:44], v[41:42]
	s_waitcnt vmcnt(2) lgkmcnt(0)
	v_fma_f64 v[41:42], v[51:52], v[47:48], v[41:42]
	s_waitcnt vmcnt(0)
	v_add_f64 v[41:42], v[53:54], -v[41:42]
	buffer_store_dword v42, off, s[0:3], 0 offset:28
	buffer_store_dword v41, off, s[0:3], 0 offset:24
	s_and_saveexec_b64 s[4:5], vcc
	s_cbranch_execz .LBB82_117
; %bb.116:
	buffer_load_dword v41, off, s[0:3], 0 offset:16
	buffer_load_dword v42, off, s[0:3], 0 offset:20
	s_waitcnt vmcnt(0)
	ds_write_b64 v39, v[41:42]
	buffer_store_dword v40, off, s[0:3], 0 offset:16
	buffer_store_dword v40, off, s[0:3], 0 offset:20
.LBB82_117:
	s_or_b64 exec, exec, s[4:5]
	s_waitcnt lgkmcnt(0)
	; wave barrier
	buffer_load_dword v49, off, s[0:3], 0 offset:24
	buffer_load_dword v50, off, s[0:3], 0 offset:28
	;; [unrolled: 1-line block ×22, first 2 shown]
	ds_read2_b64 v[41:44], v40 offset0:23 offset1:24
	ds_read2_b64 v[45:48], v40 offset0:25 offset1:26
	v_cmp_lt_u32_e32 vcc, 1, v0
	s_waitcnt vmcnt(20) lgkmcnt(1)
	v_fma_f64 v[41:42], v[49:50], v[41:42], 0
	s_waitcnt vmcnt(18)
	v_fma_f64 v[41:42], v[51:52], v[43:44], v[41:42]
	buffer_load_dword v50, off, s[0:3], 0 offset:116
	buffer_load_dword v51, off, s[0:3], 0 offset:136
	;; [unrolled: 1-line block ×8, first 2 shown]
	s_waitcnt vmcnt(24) lgkmcnt(0)
	v_fma_f64 v[41:42], v[53:54], v[45:46], v[41:42]
	s_waitcnt vmcnt(22)
	v_fma_f64 v[53:54], v[55:56], v[47:48], v[41:42]
	ds_read2_b64 v[41:44], v40 offset0:27 offset1:28
	ds_read2_b64 v[45:48], v40 offset0:29 offset1:30
	s_waitcnt vmcnt(20) lgkmcnt(1)
	v_fma_f64 v[41:42], v[57:58], v[41:42], v[53:54]
	buffer_load_dword v54, off, s[0:3], 0 offset:148
	buffer_load_dword v53, off, s[0:3], 0 offset:144
	;; [unrolled: 1-line block ×4, first 2 shown]
	s_waitcnt vmcnt(22)
	v_fma_f64 v[41:42], v[59:60], v[43:44], v[41:42]
	s_waitcnt vmcnt(20) lgkmcnt(0)
	v_fma_f64 v[41:42], v[61:62], v[45:46], v[41:42]
	s_waitcnt vmcnt(15)
	v_fma_f64 v[57:58], v[63:64], v[47:48], v[41:42]
	ds_read2_b64 v[41:44], v40 offset0:31 offset1:32
	ds_read2_b64 v[45:48], v40 offset0:33 offset1:34
	s_waitcnt vmcnt(14) lgkmcnt(1)
	v_fma_f64 v[41:42], v[69:70], v[41:42], v[57:58]
	s_waitcnt vmcnt(13)
	v_fma_f64 v[41:42], v[67:68], v[43:44], v[41:42]
	s_waitcnt vmcnt(12) lgkmcnt(0)
	v_fma_f64 v[41:42], v[65:66], v[45:46], v[41:42]
	s_waitcnt vmcnt(7)
	v_fma_f64 v[49:50], v[49:50], v[47:48], v[41:42]
	ds_read2_b64 v[41:44], v40 offset0:35 offset1:36
	ds_read2_b64 v[45:48], v40 offset0:37 offset1:38
	s_waitcnt vmcnt(6) lgkmcnt(1)
	v_fma_f64 v[40:41], v[73:74], v[41:42], v[49:50]
	s_waitcnt vmcnt(5)
	v_fma_f64 v[40:41], v[71:72], v[43:44], v[40:41]
	s_waitcnt vmcnt(4) lgkmcnt(0)
	v_fma_f64 v[40:41], v[51:52], v[45:46], v[40:41]
	s_waitcnt vmcnt(2)
	v_fma_f64 v[40:41], v[53:54], v[47:48], v[40:41]
	s_waitcnt vmcnt(0)
	v_add_f64 v[40:41], v[55:56], -v[40:41]
	buffer_store_dword v41, off, s[0:3], 0 offset:20
	buffer_store_dword v40, off, s[0:3], 0 offset:16
	s_and_saveexec_b64 s[4:5], vcc
	s_cbranch_execz .LBB82_119
; %bb.118:
	buffer_load_dword v40, off, s[0:3], 0 offset:8
	buffer_load_dword v41, off, s[0:3], 0 offset:12
	v_mov_b32_e32 v42, 0
	buffer_store_dword v42, off, s[0:3], 0 offset:8
	buffer_store_dword v42, off, s[0:3], 0 offset:12
	s_waitcnt vmcnt(2)
	ds_write_b64 v39, v[40:41]
.LBB82_119:
	s_or_b64 exec, exec, s[4:5]
	s_waitcnt lgkmcnt(0)
	; wave barrier
	buffer_load_dword v50, off, s[0:3], 0 offset:16
	buffer_load_dword v51, off, s[0:3], 0 offset:20
	;; [unrolled: 1-line block ×22, first 2 shown]
	v_mov_b32_e32 v41, 0
	ds_read_b128 v[42:45], v41 offset:176
	ds_read_b128 v[46:49], v41 offset:192
	v_cmp_ne_u32_e32 vcc, 0, v0
	s_waitcnt vmcnt(20) lgkmcnt(1)
	v_fma_f64 v[42:43], v[50:51], v[42:43], 0
	s_waitcnt vmcnt(18)
	v_fma_f64 v[42:43], v[52:53], v[44:45], v[42:43]
	buffer_load_dword v51, off, s[0:3], 0 offset:108
	buffer_load_dword v52, off, s[0:3], 0 offset:128
	;; [unrolled: 1-line block ×7, first 2 shown]
	s_waitcnt vmcnt(23) lgkmcnt(0)
	v_fma_f64 v[42:43], v[54:55], v[46:47], v[42:43]
	s_waitcnt vmcnt(21)
	v_fma_f64 v[53:54], v[56:57], v[48:49], v[42:43]
	ds_read_b128 v[42:45], v41 offset:208
	ds_read_b128 v[46:49], v41 offset:224
	s_waitcnt vmcnt(19) lgkmcnt(1)
	v_fma_f64 v[42:43], v[58:59], v[42:43], v[53:54]
	buffer_load_dword v53, off, s[0:3], 0 offset:132
	buffer_load_dword v55, off, s[0:3], 0 offset:140
	;; [unrolled: 1-line block ×7, first 2 shown]
	s_waitcnt vmcnt(24)
	v_fma_f64 v[42:43], v[60:61], v[44:45], v[42:43]
	s_waitcnt vmcnt(22) lgkmcnt(0)
	v_fma_f64 v[42:43], v[62:63], v[46:47], v[42:43]
	s_waitcnt vmcnt(17)
	v_fma_f64 v[60:61], v[64:65], v[48:49], v[42:43]
	ds_read_b128 v[42:45], v41 offset:240
	ds_read_b128 v[46:49], v41 offset:256
	s_waitcnt vmcnt(16) lgkmcnt(1)
	v_fma_f64 v[42:43], v[70:71], v[42:43], v[60:61]
	s_waitcnt vmcnt(15)
	v_fma_f64 v[42:43], v[68:69], v[44:45], v[42:43]
	s_waitcnt vmcnt(14) lgkmcnt(0)
	v_fma_f64 v[42:43], v[66:67], v[46:47], v[42:43]
	s_waitcnt vmcnt(9)
	v_fma_f64 v[50:51], v[50:51], v[48:49], v[42:43]
	ds_read_b128 v[42:45], v41 offset:272
	ds_read_b128 v[46:49], v41 offset:288
	s_waitcnt vmcnt(8) lgkmcnt(1)
	v_fma_f64 v[42:43], v[74:75], v[42:43], v[50:51]
	s_waitcnt vmcnt(7)
	v_fma_f64 v[42:43], v[72:73], v[44:45], v[42:43]
	ds_read_b64 v[44:45], v41 offset:304
	s_waitcnt vmcnt(6) lgkmcnt(1)
	v_fma_f64 v[42:43], v[52:53], v[46:47], v[42:43]
	s_waitcnt vmcnt(3)
	v_fma_f64 v[42:43], v[54:55], v[48:49], v[42:43]
	s_waitcnt vmcnt(2) lgkmcnt(0)
	v_fma_f64 v[42:43], v[56:57], v[44:45], v[42:43]
	s_waitcnt vmcnt(0)
	v_add_f64 v[42:43], v[58:59], -v[42:43]
	buffer_store_dword v43, off, s[0:3], 0 offset:12
	buffer_store_dword v42, off, s[0:3], 0 offset:8
	s_and_saveexec_b64 s[4:5], vcc
	s_cbranch_execz .LBB82_121
; %bb.120:
	buffer_load_dword v42, off, s[0:3], 0
	buffer_load_dword v43, off, s[0:3], 0 offset:4
	s_waitcnt vmcnt(0)
	ds_write_b64 v39, v[42:43]
	buffer_store_dword v41, off, s[0:3], 0
	buffer_store_dword v41, off, s[0:3], 0 offset:4
.LBB82_121:
	s_or_b64 exec, exec, s[4:5]
	s_waitcnt lgkmcnt(0)
	; wave barrier
	buffer_load_dword v39, off, s[0:3], 0 offset:8
	buffer_load_dword v40, off, s[0:3], 0 offset:12
	;; [unrolled: 1-line block ×22, first 2 shown]
	ds_read2_b64 v[42:45], v41 offset0:21 offset1:22
	ds_read2_b64 v[46:49], v41 offset0:23 offset1:24
	s_and_b64 vcc, exec, s[14:15]
	s_waitcnt vmcnt(20) lgkmcnt(1)
	v_fma_f64 v[39:40], v[39:40], v[42:43], 0
	s_waitcnt vmcnt(18)
	v_fma_f64 v[39:40], v[50:51], v[44:45], v[39:40]
	buffer_load_dword v51, off, s[0:3], 0 offset:100
	buffer_load_dword v70, off, s[0:3], 0 offset:120
	;; [unrolled: 1-line block ×8, first 2 shown]
	ds_read2_b64 v[42:45], v41 offset0:25 offset1:26
	s_waitcnt vmcnt(24) lgkmcnt(1)
	v_fma_f64 v[39:40], v[52:53], v[46:47], v[39:40]
	s_waitcnt vmcnt(22)
	v_fma_f64 v[39:40], v[54:55], v[48:49], v[39:40]
	ds_read2_b64 v[46:49], v41 offset0:27 offset1:28
	s_waitcnt vmcnt(20) lgkmcnt(1)
	v_fma_f64 v[39:40], v[56:57], v[42:43], v[39:40]
	s_waitcnt vmcnt(18)
	v_fma_f64 v[42:43], v[58:59], v[44:45], v[39:40]
	buffer_load_dword v53, off, s[0:3], 0 offset:132
	buffer_load_dword v54, off, s[0:3], 0 offset:144
	;; [unrolled: 1-line block ×6, first 2 shown]
	s_waitcnt vmcnt(22) lgkmcnt(0)
	v_fma_f64 v[42:43], v[60:61], v[46:47], v[42:43]
	s_waitcnt vmcnt(17)
	v_fma_f64 v[56:57], v[62:63], v[48:49], v[42:43]
	ds_read2_b64 v[42:45], v41 offset0:29 offset1:30
	buffer_load_dword v58, off, s[0:3], 0
	buffer_load_dword v59, off, s[0:3], 0 offset:4
	ds_read2_b64 v[46:49], v41 offset0:31 offset1:32
	s_waitcnt vmcnt(18) lgkmcnt(1)
	v_fma_f64 v[42:43], v[68:69], v[42:43], v[56:57]
	s_waitcnt vmcnt(17)
	v_fma_f64 v[42:43], v[66:67], v[44:45], v[42:43]
	s_waitcnt vmcnt(16) lgkmcnt(0)
	v_fma_f64 v[42:43], v[64:65], v[46:47], v[42:43]
	s_waitcnt vmcnt(11)
	v_fma_f64 v[50:51], v[50:51], v[48:49], v[42:43]
	ds_read2_b64 v[42:45], v41 offset0:33 offset1:34
	ds_read2_b64 v[46:49], v41 offset0:35 offset1:36
	s_waitcnt vmcnt(10) lgkmcnt(1)
	v_fma_f64 v[42:43], v[74:75], v[42:43], v[50:51]
	s_waitcnt vmcnt(9)
	v_fma_f64 v[42:43], v[72:73], v[44:45], v[42:43]
	s_waitcnt vmcnt(8) lgkmcnt(0)
	v_fma_f64 v[42:43], v[70:71], v[46:47], v[42:43]
	s_waitcnt vmcnt(4)
	v_fma_f64 v[45:46], v[52:53], v[48:49], v[42:43]
	ds_read2_b64 v[41:44], v41 offset0:37 offset1:38
	s_waitcnt vmcnt(3) lgkmcnt(0)
	v_fma_f64 v[41:42], v[39:40], v[41:42], v[45:46]
	s_waitcnt vmcnt(2)
	v_fma_f64 v[41:42], v[54:55], v[43:44], v[41:42]
	s_waitcnt vmcnt(0)
	v_add_f64 v[41:42], v[58:59], -v[41:42]
	buffer_store_dword v42, off, s[0:3], 0 offset:4
	buffer_store_dword v41, off, s[0:3], 0
	s_cbranch_vccz .LBB82_158
; %bb.122:
	v_mov_b32_e32 v0, 0
	global_load_dword v41, v0, s[12:13] offset:68
	s_waitcnt vmcnt(0)
	v_add_u32_e32 v41, -1, v41
	v_cmp_ne_u32_e32 vcc, 17, v41
	s_cbranch_vccz .LBB82_124
; %bb.123:
	v_lshlrev_b32_e32 v41, 3, v41
	buffer_load_dword v42, v41, s[0:3], 0 offen
	buffer_load_dword v43, v41, s[0:3], 0 offen offset:4
	s_waitcnt vmcnt(1)
	buffer_store_dword v42, off, s[0:3], 0 offset:136
	s_waitcnt vmcnt(1)
	buffer_store_dword v43, off, s[0:3], 0 offset:140
	buffer_store_dword v39, v41, s[0:3], 0 offen
	buffer_store_dword v40, v41, s[0:3], 0 offen offset:4
.LBB82_124:
	global_load_dword v0, v0, s[12:13] offset:64
	s_waitcnt vmcnt(0)
	v_add_u32_e32 v0, -1, v0
	v_cmp_eq_u32_e32 vcc, 16, v0
	s_cbranch_vccnz .LBB82_126
; %bb.125:
	v_lshlrev_b32_e32 v0, 3, v0
	buffer_load_dword v39, v0, s[0:3], 0 offen
	buffer_load_dword v40, v0, s[0:3], 0 offen offset:4
	buffer_load_dword v41, off, s[0:3], 0 offset:132
	buffer_load_dword v42, off, s[0:3], 0 offset:128
	s_waitcnt vmcnt(3)
	buffer_store_dword v39, off, s[0:3], 0 offset:128
	s_waitcnt vmcnt(3)
	buffer_store_dword v40, off, s[0:3], 0 offset:132
	s_waitcnt vmcnt(3)
	buffer_store_dword v41, v0, s[0:3], 0 offen offset:4
	s_waitcnt vmcnt(3)
	buffer_store_dword v42, v0, s[0:3], 0 offen
.LBB82_126:
	v_mov_b32_e32 v0, 0
	global_load_dword v39, v0, s[12:13] offset:60
	s_waitcnt vmcnt(0)
	v_add_u32_e32 v39, -1, v39
	v_cmp_eq_u32_e32 vcc, 15, v39
	s_cbranch_vccnz .LBB82_128
; %bb.127:
	v_lshlrev_b32_e32 v39, 3, v39
	buffer_load_dword v40, v39, s[0:3], 0 offen
	buffer_load_dword v41, v39, s[0:3], 0 offen offset:4
	buffer_load_dword v42, off, s[0:3], 0 offset:120
	buffer_load_dword v43, off, s[0:3], 0 offset:124
	s_waitcnt vmcnt(3)
	buffer_store_dword v40, off, s[0:3], 0 offset:120
	s_waitcnt vmcnt(3)
	buffer_store_dword v41, off, s[0:3], 0 offset:124
	s_waitcnt vmcnt(3)
	buffer_store_dword v42, v39, s[0:3], 0 offen
	s_waitcnt vmcnt(3)
	buffer_store_dword v43, v39, s[0:3], 0 offen offset:4
.LBB82_128:
	global_load_dword v0, v0, s[12:13] offset:56
	s_waitcnt vmcnt(0)
	v_add_u32_e32 v0, -1, v0
	v_cmp_eq_u32_e32 vcc, 14, v0
	s_cbranch_vccnz .LBB82_130
; %bb.129:
	v_lshlrev_b32_e32 v0, 3, v0
	buffer_load_dword v39, v0, s[0:3], 0 offen
	buffer_load_dword v40, v0, s[0:3], 0 offen offset:4
	buffer_load_dword v41, off, s[0:3], 0 offset:116
	buffer_load_dword v42, off, s[0:3], 0 offset:112
	s_waitcnt vmcnt(3)
	buffer_store_dword v39, off, s[0:3], 0 offset:112
	s_waitcnt vmcnt(3)
	buffer_store_dword v40, off, s[0:3], 0 offset:116
	s_waitcnt vmcnt(3)
	buffer_store_dword v41, v0, s[0:3], 0 offen offset:4
	s_waitcnt vmcnt(3)
	buffer_store_dword v42, v0, s[0:3], 0 offen
.LBB82_130:
	v_mov_b32_e32 v0, 0
	global_load_dword v39, v0, s[12:13] offset:52
	s_waitcnt vmcnt(0)
	v_add_u32_e32 v39, -1, v39
	v_cmp_eq_u32_e32 vcc, 13, v39
	s_cbranch_vccnz .LBB82_132
; %bb.131:
	v_lshlrev_b32_e32 v39, 3, v39
	buffer_load_dword v40, v39, s[0:3], 0 offen
	buffer_load_dword v41, v39, s[0:3], 0 offen offset:4
	buffer_load_dword v42, off, s[0:3], 0 offset:104
	buffer_load_dword v43, off, s[0:3], 0 offset:108
	s_waitcnt vmcnt(3)
	buffer_store_dword v40, off, s[0:3], 0 offset:104
	s_waitcnt vmcnt(3)
	buffer_store_dword v41, off, s[0:3], 0 offset:108
	s_waitcnt vmcnt(3)
	buffer_store_dword v42, v39, s[0:3], 0 offen
	s_waitcnt vmcnt(3)
	buffer_store_dword v43, v39, s[0:3], 0 offen offset:4
.LBB82_132:
	;; [unrolled: 41-line block ×8, first 2 shown]
	global_load_dword v0, v0, s[12:13]
	s_nop 0
	buffer_load_dword v41, off, s[0:3], 0
	buffer_load_dword v42, off, s[0:3], 0 offset:4
	s_waitcnt vmcnt(2)
	v_add_u32_e32 v0, -1, v0
	v_cmp_eq_u32_e32 vcc, 0, v0
	s_cbranch_vccnz .LBB82_158
; %bb.157:
	v_lshlrev_b32_e32 v0, 3, v0
	buffer_load_dword v39, v0, s[0:3], 0 offen offset:4
	buffer_load_dword v40, v0, s[0:3], 0 offen
	s_waitcnt vmcnt(1)
	buffer_store_dword v39, off, s[0:3], 0 offset:4
	s_waitcnt vmcnt(1)
	buffer_store_dword v40, off, s[0:3], 0
	buffer_store_dword v42, v0, s[0:3], 0 offen offset:4
	buffer_store_dword v41, v0, s[0:3], 0 offen
	buffer_load_dword v41, off, s[0:3], 0
	s_nop 0
	buffer_load_dword v42, off, s[0:3], 0 offset:4
.LBB82_158:
	s_waitcnt vmcnt(0)
	flat_store_dwordx2 v[1:2], v[41:42]
	buffer_load_dword v0, off, s[0:3], 0 offset:8
	s_nop 0
	buffer_load_dword v1, off, s[0:3], 0 offset:12
	s_waitcnt vmcnt(0)
	flat_store_dwordx2 v[3:4], v[0:1]
	buffer_load_dword v0, off, s[0:3], 0 offset:16
	s_nop 0
	buffer_load_dword v1, off, s[0:3], 0 offset:20
	s_waitcnt vmcnt(0)
	flat_store_dwordx2 v[5:6], v[0:1]
	buffer_load_dword v0, off, s[0:3], 0 offset:24
	s_nop 0
	buffer_load_dword v1, off, s[0:3], 0 offset:28
	s_waitcnt vmcnt(0)
	flat_store_dwordx2 v[7:8], v[0:1]
	buffer_load_dword v0, off, s[0:3], 0 offset:32
	s_nop 0
	buffer_load_dword v1, off, s[0:3], 0 offset:36
	s_waitcnt vmcnt(0)
	flat_store_dwordx2 v[9:10], v[0:1]
	buffer_load_dword v0, off, s[0:3], 0 offset:40
	s_nop 0
	buffer_load_dword v1, off, s[0:3], 0 offset:44
	s_waitcnt vmcnt(0)
	flat_store_dwordx2 v[11:12], v[0:1]
	buffer_load_dword v0, off, s[0:3], 0 offset:48
	s_nop 0
	buffer_load_dword v1, off, s[0:3], 0 offset:52
	s_waitcnt vmcnt(0)
	flat_store_dwordx2 v[13:14], v[0:1]
	buffer_load_dword v0, off, s[0:3], 0 offset:56
	s_nop 0
	buffer_load_dword v1, off, s[0:3], 0 offset:60
	s_waitcnt vmcnt(0)
	flat_store_dwordx2 v[15:16], v[0:1]
	buffer_load_dword v0, off, s[0:3], 0 offset:64
	s_nop 0
	buffer_load_dword v1, off, s[0:3], 0 offset:68
	s_waitcnt vmcnt(0)
	flat_store_dwordx2 v[17:18], v[0:1]
	buffer_load_dword v0, off, s[0:3], 0 offset:72
	s_nop 0
	buffer_load_dword v1, off, s[0:3], 0 offset:76
	s_waitcnt vmcnt(0)
	flat_store_dwordx2 v[19:20], v[0:1]
	buffer_load_dword v0, off, s[0:3], 0 offset:80
	s_nop 0
	buffer_load_dword v1, off, s[0:3], 0 offset:84
	s_waitcnt vmcnt(0)
	flat_store_dwordx2 v[21:22], v[0:1]
	buffer_load_dword v0, off, s[0:3], 0 offset:88
	s_nop 0
	buffer_load_dword v1, off, s[0:3], 0 offset:92
	s_waitcnt vmcnt(0)
	flat_store_dwordx2 v[23:24], v[0:1]
	buffer_load_dword v0, off, s[0:3], 0 offset:96
	s_nop 0
	buffer_load_dword v1, off, s[0:3], 0 offset:100
	s_waitcnt vmcnt(0)
	flat_store_dwordx2 v[25:26], v[0:1]
	buffer_load_dword v0, off, s[0:3], 0 offset:104
	s_nop 0
	buffer_load_dword v1, off, s[0:3], 0 offset:108
	s_waitcnt vmcnt(0)
	flat_store_dwordx2 v[27:28], v[0:1]
	buffer_load_dword v0, off, s[0:3], 0 offset:112
	s_nop 0
	buffer_load_dword v1, off, s[0:3], 0 offset:116
	s_waitcnt vmcnt(0)
	flat_store_dwordx2 v[29:30], v[0:1]
	buffer_load_dword v0, off, s[0:3], 0 offset:120
	s_nop 0
	buffer_load_dword v1, off, s[0:3], 0 offset:124
	s_waitcnt vmcnt(0)
	flat_store_dwordx2 v[31:32], v[0:1]
	buffer_load_dword v0, off, s[0:3], 0 offset:128
	s_nop 0
	buffer_load_dword v1, off, s[0:3], 0 offset:132
	s_waitcnt vmcnt(0)
	flat_store_dwordx2 v[33:34], v[0:1]
	buffer_load_dword v0, off, s[0:3], 0 offset:136
	s_nop 0
	buffer_load_dword v1, off, s[0:3], 0 offset:140
	s_waitcnt vmcnt(0)
	flat_store_dwordx2 v[35:36], v[0:1]
	buffer_load_dword v0, off, s[0:3], 0 offset:144
	s_nop 0
	buffer_load_dword v1, off, s[0:3], 0 offset:148
	s_waitcnt vmcnt(0)
	flat_store_dwordx2 v[37:38], v[0:1]
	s_endpgm
	.section	.rodata,"a",@progbits
	.p2align	6, 0x0
	.amdhsa_kernel _ZN9rocsolver6v33100L18getri_kernel_smallILi19EdPKPdEEvT1_iilPiilS6_bb
		.amdhsa_group_segment_fixed_size 312
		.amdhsa_private_segment_fixed_size 160
		.amdhsa_kernarg_size 60
		.amdhsa_user_sgpr_count 6
		.amdhsa_user_sgpr_private_segment_buffer 1
		.amdhsa_user_sgpr_dispatch_ptr 0
		.amdhsa_user_sgpr_queue_ptr 0
		.amdhsa_user_sgpr_kernarg_segment_ptr 1
		.amdhsa_user_sgpr_dispatch_id 0
		.amdhsa_user_sgpr_flat_scratch_init 0
		.amdhsa_user_sgpr_private_segment_size 0
		.amdhsa_uses_dynamic_stack 0
		.amdhsa_system_sgpr_private_segment_wavefront_offset 1
		.amdhsa_system_sgpr_workgroup_id_x 1
		.amdhsa_system_sgpr_workgroup_id_y 0
		.amdhsa_system_sgpr_workgroup_id_z 0
		.amdhsa_system_sgpr_workgroup_info 0
		.amdhsa_system_vgpr_workitem_id 0
		.amdhsa_next_free_vgpr 76
		.amdhsa_next_free_sgpr 21
		.amdhsa_reserve_vcc 1
		.amdhsa_reserve_flat_scratch 0
		.amdhsa_float_round_mode_32 0
		.amdhsa_float_round_mode_16_64 0
		.amdhsa_float_denorm_mode_32 3
		.amdhsa_float_denorm_mode_16_64 3
		.amdhsa_dx10_clamp 1
		.amdhsa_ieee_mode 1
		.amdhsa_fp16_overflow 0
		.amdhsa_exception_fp_ieee_invalid_op 0
		.amdhsa_exception_fp_denorm_src 0
		.amdhsa_exception_fp_ieee_div_zero 0
		.amdhsa_exception_fp_ieee_overflow 0
		.amdhsa_exception_fp_ieee_underflow 0
		.amdhsa_exception_fp_ieee_inexact 0
		.amdhsa_exception_int_div_zero 0
	.end_amdhsa_kernel
	.section	.text._ZN9rocsolver6v33100L18getri_kernel_smallILi19EdPKPdEEvT1_iilPiilS6_bb,"axG",@progbits,_ZN9rocsolver6v33100L18getri_kernel_smallILi19EdPKPdEEvT1_iilPiilS6_bb,comdat
.Lfunc_end82:
	.size	_ZN9rocsolver6v33100L18getri_kernel_smallILi19EdPKPdEEvT1_iilPiilS6_bb, .Lfunc_end82-_ZN9rocsolver6v33100L18getri_kernel_smallILi19EdPKPdEEvT1_iilPiilS6_bb
                                        ; -- End function
	.set _ZN9rocsolver6v33100L18getri_kernel_smallILi19EdPKPdEEvT1_iilPiilS6_bb.num_vgpr, 76
	.set _ZN9rocsolver6v33100L18getri_kernel_smallILi19EdPKPdEEvT1_iilPiilS6_bb.num_agpr, 0
	.set _ZN9rocsolver6v33100L18getri_kernel_smallILi19EdPKPdEEvT1_iilPiilS6_bb.numbered_sgpr, 21
	.set _ZN9rocsolver6v33100L18getri_kernel_smallILi19EdPKPdEEvT1_iilPiilS6_bb.num_named_barrier, 0
	.set _ZN9rocsolver6v33100L18getri_kernel_smallILi19EdPKPdEEvT1_iilPiilS6_bb.private_seg_size, 160
	.set _ZN9rocsolver6v33100L18getri_kernel_smallILi19EdPKPdEEvT1_iilPiilS6_bb.uses_vcc, 1
	.set _ZN9rocsolver6v33100L18getri_kernel_smallILi19EdPKPdEEvT1_iilPiilS6_bb.uses_flat_scratch, 0
	.set _ZN9rocsolver6v33100L18getri_kernel_smallILi19EdPKPdEEvT1_iilPiilS6_bb.has_dyn_sized_stack, 0
	.set _ZN9rocsolver6v33100L18getri_kernel_smallILi19EdPKPdEEvT1_iilPiilS6_bb.has_recursion, 0
	.set _ZN9rocsolver6v33100L18getri_kernel_smallILi19EdPKPdEEvT1_iilPiilS6_bb.has_indirect_call, 0
	.section	.AMDGPU.csdata,"",@progbits
; Kernel info:
; codeLenInByte = 15040
; TotalNumSgprs: 25
; NumVgprs: 76
; ScratchSize: 160
; MemoryBound: 0
; FloatMode: 240
; IeeeMode: 1
; LDSByteSize: 312 bytes/workgroup (compile time only)
; SGPRBlocks: 3
; VGPRBlocks: 18
; NumSGPRsForWavesPerEU: 25
; NumVGPRsForWavesPerEU: 76
; Occupancy: 3
; WaveLimiterHint : 1
; COMPUTE_PGM_RSRC2:SCRATCH_EN: 1
; COMPUTE_PGM_RSRC2:USER_SGPR: 6
; COMPUTE_PGM_RSRC2:TRAP_HANDLER: 0
; COMPUTE_PGM_RSRC2:TGID_X_EN: 1
; COMPUTE_PGM_RSRC2:TGID_Y_EN: 0
; COMPUTE_PGM_RSRC2:TGID_Z_EN: 0
; COMPUTE_PGM_RSRC2:TIDIG_COMP_CNT: 0
	.section	.text._ZN9rocsolver6v33100L18getri_kernel_smallILi20EdPKPdEEvT1_iilPiilS6_bb,"axG",@progbits,_ZN9rocsolver6v33100L18getri_kernel_smallILi20EdPKPdEEvT1_iilPiilS6_bb,comdat
	.globl	_ZN9rocsolver6v33100L18getri_kernel_smallILi20EdPKPdEEvT1_iilPiilS6_bb ; -- Begin function _ZN9rocsolver6v33100L18getri_kernel_smallILi20EdPKPdEEvT1_iilPiilS6_bb
	.p2align	8
	.type	_ZN9rocsolver6v33100L18getri_kernel_smallILi20EdPKPdEEvT1_iilPiilS6_bb,@function
_ZN9rocsolver6v33100L18getri_kernel_smallILi20EdPKPdEEvT1_iilPiilS6_bb: ; @_ZN9rocsolver6v33100L18getri_kernel_smallILi20EdPKPdEEvT1_iilPiilS6_bb
; %bb.0:
	s_add_u32 s0, s0, s7
	s_addc_u32 s1, s1, 0
	v_cmp_gt_u32_e32 vcc, 20, v0
	s_and_saveexec_b64 s[8:9], vcc
	s_cbranch_execz .LBB83_88
; %bb.1:
	s_load_dword s18, s[4:5], 0x38
	s_load_dwordx2 s[12:13], s[4:5], 0x0
	s_load_dwordx4 s[8:11], s[4:5], 0x28
	s_waitcnt lgkmcnt(0)
	s_bitcmp1_b32 s18, 8
	s_cselect_b64 s[14:15], -1, 0
	s_ashr_i32 s7, s6, 31
	s_lshl_b64 s[16:17], s[6:7], 3
	s_add_u32 s12, s12, s16
	s_addc_u32 s13, s13, s17
	s_load_dwordx2 s[16:17], s[12:13], 0x0
	s_bfe_u32 s12, s18, 0x10008
	s_cmp_eq_u32 s12, 0
                                        ; implicit-def: $sgpr12_sgpr13
	s_cbranch_scc1 .LBB83_3
; %bb.2:
	s_load_dword s12, s[4:5], 0x20
	s_load_dwordx2 s[18:19], s[4:5], 0x18
	s_mul_i32 s13, s8, s7
	s_mul_hi_u32 s20, s8, s6
	s_add_i32 s20, s20, s13
	s_mul_i32 s9, s9, s6
	s_add_i32 s9, s20, s9
	s_mul_i32 s8, s8, s6
	s_waitcnt lgkmcnt(0)
	s_ashr_i32 s13, s12, 31
	s_lshl_b64 s[8:9], s[8:9], 2
	s_add_u32 s18, s18, s8
	s_addc_u32 s19, s19, s9
	s_lshl_b64 s[8:9], s[12:13], 2
	s_add_u32 s12, s18, s8
	s_addc_u32 s13, s19, s9
.LBB83_3:
	s_load_dwordx2 s[8:9], s[4:5], 0x8
	s_load_dword s18, s[4:5], 0x38
	v_lshlrev_b32_e32 v43, 3, v0
	s_waitcnt lgkmcnt(0)
	s_ashr_i32 s5, s8, 31
	s_mov_b32 s4, s8
	s_lshl_b64 s[4:5], s[4:5], 3
	s_add_u32 s8, s16, s4
	s_addc_u32 s16, s17, s5
	v_mov_b32_e32 v2, s16
	v_add_co_u32_e32 v1, vcc, s8, v43
	v_addc_co_u32_e32 v2, vcc, 0, v2, vcc
	flat_load_dwordx2 v[5:6], v[1:2]
	s_mov_b32 s4, s9
	s_ashr_i32 s5, s9, 31
	s_lshl_b64 s[4:5], s[4:5], 3
	v_mov_b32_e32 v4, s5
	v_add_co_u32_e32 v3, vcc, s4, v1
	v_addc_co_u32_e32 v4, vcc, v2, v4, vcc
	s_add_i32 s4, s9, s9
	v_add_u32_e32 v9, s4, v0
	v_ashrrev_i32_e32 v10, 31, v9
	v_mov_b32_e32 v11, s16
	v_add_u32_e32 v12, s9, v9
	v_ashrrev_i32_e32 v13, 31, v12
	v_mov_b32_e32 v14, s16
	v_mov_b32_e32 v15, s16
	v_mov_b32_e32 v17, s16
	v_mov_b32_e32 v20, s16
	v_mov_b32_e32 v21, s16
	v_mov_b32_e32 v23, s16
	v_mov_b32_e32 v26, s16
	v_mov_b32_e32 v27, s16
	v_mov_b32_e32 v29, s16
	v_mov_b32_e32 v32, s16
	v_mov_b32_e32 v33, s16
	v_mov_b32_e32 v35, s16
	v_mov_b32_e32 v38, s16
	v_mov_b32_e32 v39, s16
	v_mov_b32_e32 v41, s16
	v_mov_b32_e32 v42, s16
	s_bitcmp0_b32 s18, 0
	s_waitcnt vmcnt(0) lgkmcnt(0)
	buffer_store_dword v6, off, s[0:3], 0 offset:4
	buffer_store_dword v5, off, s[0:3], 0
	flat_load_dwordx2 v[7:8], v[3:4]
	v_lshlrev_b64 v[5:6], 3, v[9:10]
	s_waitcnt vmcnt(0) lgkmcnt(0)
	buffer_store_dword v8, off, s[0:3], 0 offset:12
	buffer_store_dword v7, off, s[0:3], 0 offset:8
	v_add_co_u32_e32 v5, vcc, s8, v5
	v_addc_co_u32_e32 v6, vcc, v11, v6, vcc
	flat_load_dwordx2 v[10:11], v[5:6]
	v_lshlrev_b64 v[7:8], 3, v[12:13]
	s_waitcnt vmcnt(0) lgkmcnt(0)
	buffer_store_dword v11, off, s[0:3], 0 offset:20
	buffer_store_dword v10, off, s[0:3], 0 offset:16
	v_add_co_u32_e32 v7, vcc, s8, v7
	v_addc_co_u32_e32 v8, vcc, v14, v8, vcc
	flat_load_dwordx2 v[13:14], v[7:8]
	v_add_u32_e32 v11, s9, v12
	v_ashrrev_i32_e32 v12, 31, v11
	v_lshlrev_b64 v[9:10], 3, v[11:12]
	s_waitcnt vmcnt(0) lgkmcnt(0)
	buffer_store_dword v14, off, s[0:3], 0 offset:28
	buffer_store_dword v13, off, s[0:3], 0 offset:24
	v_add_co_u32_e32 v9, vcc, s8, v9
	v_addc_co_u32_e32 v10, vcc, v15, v10, vcc
	flat_load_dwordx2 v[13:14], v[9:10]
	v_add_u32_e32 v15, s9, v11
	v_ashrrev_i32_e32 v16, 31, v15
	v_lshlrev_b64 v[11:12], 3, v[15:16]
	v_add_u32_e32 v18, s9, v15
	v_add_co_u32_e32 v11, vcc, s8, v11
	v_addc_co_u32_e32 v12, vcc, v17, v12, vcc
	v_ashrrev_i32_e32 v19, 31, v18
	s_waitcnt vmcnt(0) lgkmcnt(0)
	buffer_store_dword v14, off, s[0:3], 0 offset:36
	buffer_store_dword v13, off, s[0:3], 0 offset:32
	flat_load_dwordx2 v[16:17], v[11:12]
	v_lshlrev_b64 v[13:14], 3, v[18:19]
	s_waitcnt vmcnt(0) lgkmcnt(0)
	buffer_store_dword v17, off, s[0:3], 0 offset:44
	buffer_store_dword v16, off, s[0:3], 0 offset:40
	v_add_co_u32_e32 v13, vcc, s8, v13
	v_addc_co_u32_e32 v14, vcc, v20, v14, vcc
	flat_load_dwordx2 v[19:20], v[13:14]
	v_add_u32_e32 v17, s9, v18
	v_ashrrev_i32_e32 v18, 31, v17
	v_lshlrev_b64 v[15:16], 3, v[17:18]
	s_waitcnt vmcnt(0) lgkmcnt(0)
	buffer_store_dword v20, off, s[0:3], 0 offset:52
	buffer_store_dword v19, off, s[0:3], 0 offset:48
	v_add_co_u32_e32 v15, vcc, s8, v15
	v_addc_co_u32_e32 v16, vcc, v21, v16, vcc
	flat_load_dwordx2 v[19:20], v[15:16]
	v_add_u32_e32 v21, s9, v17
	v_ashrrev_i32_e32 v22, 31, v21
	v_lshlrev_b64 v[17:18], 3, v[21:22]
	v_add_u32_e32 v24, s9, v21
	v_add_co_u32_e32 v17, vcc, s8, v17
	v_addc_co_u32_e32 v18, vcc, v23, v18, vcc
	v_ashrrev_i32_e32 v25, 31, v24
	s_waitcnt vmcnt(0) lgkmcnt(0)
	buffer_store_dword v20, off, s[0:3], 0 offset:60
	buffer_store_dword v19, off, s[0:3], 0 offset:56
	;; [unrolled: 27-line block ×4, first 2 shown]
	flat_load_dwordx2 v[34:35], v[29:30]
	v_lshlrev_b64 v[31:32], 3, v[36:37]
	s_waitcnt vmcnt(0) lgkmcnt(0)
	buffer_store_dword v35, off, s[0:3], 0 offset:116
	buffer_store_dword v34, off, s[0:3], 0 offset:112
	v_add_co_u32_e32 v31, vcc, s8, v31
	v_addc_co_u32_e32 v32, vcc, v38, v32, vcc
	flat_load_dwordx2 v[37:38], v[31:32]
	v_add_u32_e32 v35, s9, v36
	v_ashrrev_i32_e32 v36, 31, v35
	v_lshlrev_b64 v[33:34], 3, v[35:36]
	s_waitcnt vmcnt(0) lgkmcnt(0)
	buffer_store_dword v38, off, s[0:3], 0 offset:124
	buffer_store_dword v37, off, s[0:3], 0 offset:120
	v_add_co_u32_e32 v33, vcc, s8, v33
	v_addc_co_u32_e32 v34, vcc, v39, v34, vcc
	flat_load_dwordx2 v[37:38], v[33:34]
	v_add_u32_e32 v39, s9, v35
	v_ashrrev_i32_e32 v40, 31, v39
	v_lshlrev_b64 v[35:36], 3, v[39:40]
	v_add_u32_e32 v44, s9, v39
	v_add_co_u32_e32 v35, vcc, s8, v35
	v_addc_co_u32_e32 v36, vcc, v41, v36, vcc
	v_ashrrev_i32_e32 v45, 31, v44
	v_add_u32_e32 v39, s9, v44
	s_waitcnt vmcnt(0) lgkmcnt(0)
	buffer_store_dword v38, off, s[0:3], 0 offset:132
	buffer_store_dword v37, off, s[0:3], 0 offset:128
	flat_load_dwordx2 v[40:41], v[35:36]
	v_lshlrev_b64 v[37:38], 3, v[44:45]
	v_mov_b32_e32 v45, s16
	v_add_co_u32_e32 v37, vcc, s8, v37
	v_addc_co_u32_e32 v38, vcc, v42, v38, vcc
	s_waitcnt vmcnt(0) lgkmcnt(0)
	buffer_store_dword v41, off, s[0:3], 0 offset:140
	buffer_store_dword v40, off, s[0:3], 0 offset:136
	flat_load_dwordx2 v[41:42], v[37:38]
	v_ashrrev_i32_e32 v40, 31, v39
	v_lshlrev_b64 v[39:40], 3, v[39:40]
	s_waitcnt vmcnt(0) lgkmcnt(0)
	buffer_store_dword v42, off, s[0:3], 0 offset:148
	buffer_store_dword v41, off, s[0:3], 0 offset:144
	v_add_co_u32_e32 v39, vcc, s8, v39
	v_addc_co_u32_e32 v40, vcc, v45, v40, vcc
	flat_load_dwordx2 v[41:42], v[39:40]
	s_mov_b64 s[8:9], -1
	s_waitcnt vmcnt(0) lgkmcnt(0)
	buffer_store_dword v42, off, s[0:3], 0 offset:156
	buffer_store_dword v41, off, s[0:3], 0 offset:152
	s_cbranch_scc1 .LBB83_86
; %bb.4:
	v_cmp_eq_u32_e64 s[4:5], 0, v0
	s_and_saveexec_b64 s[8:9], s[4:5]
; %bb.5:
	v_mov_b32_e32 v41, 0
	ds_write_b32 v41, v41 offset:320
; %bb.6:
	s_or_b64 exec, exec, s[8:9]
	v_mov_b32_e32 v41, 0
	v_lshl_add_u32 v41, v0, 3, v41
	s_waitcnt lgkmcnt(0)
	; wave barrier
	buffer_load_dword v44, v41, s[0:3], 0 offen
	buffer_load_dword v45, v41, s[0:3], 0 offen offset:4
	s_waitcnt vmcnt(0)
	v_cmp_eq_f64_e32 vcc, 0, v[44:45]
	s_and_saveexec_b64 s[16:17], vcc
	s_cbranch_execz .LBB83_10
; %bb.7:
	v_mov_b32_e32 v42, 0
	ds_read_b32 v45, v42 offset:320
	v_add_u32_e32 v44, 1, v0
	s_waitcnt lgkmcnt(0)
	v_readfirstlane_b32 s8, v45
	s_cmp_eq_u32 s8, 0
	s_cselect_b64 s[18:19], -1, 0
	v_cmp_gt_i32_e32 vcc, s8, v44
	s_or_b64 s[18:19], s[18:19], vcc
	s_and_b64 exec, exec, s[18:19]
	s_cbranch_execz .LBB83_10
; %bb.8:
	s_mov_b64 s[18:19], 0
	v_mov_b32_e32 v45, s8
.LBB83_9:                               ; =>This Inner Loop Header: Depth=1
	ds_cmpst_rtn_b32 v45, v42, v45, v44 offset:320
	s_waitcnt lgkmcnt(0)
	v_cmp_ne_u32_e32 vcc, 0, v45
	v_cmp_le_i32_e64 s[8:9], v45, v44
	s_and_b64 s[8:9], vcc, s[8:9]
	s_and_b64 s[8:9], exec, s[8:9]
	s_or_b64 s[18:19], s[8:9], s[18:19]
	s_andn2_b64 exec, exec, s[18:19]
	s_cbranch_execnz .LBB83_9
.LBB83_10:
	s_or_b64 exec, exec, s[16:17]
	v_mov_b32_e32 v44, 0
	; wave barrier
	ds_read_b32 v42, v44 offset:320
	s_and_saveexec_b64 s[8:9], s[4:5]
	s_cbranch_execz .LBB83_12
; %bb.11:
	s_lshl_b64 s[16:17], s[6:7], 2
	s_add_u32 s16, s10, s16
	s_addc_u32 s17, s11, s17
	s_waitcnt lgkmcnt(0)
	global_store_dword v44, v42, s[16:17]
.LBB83_12:
	s_or_b64 exec, exec, s[8:9]
	s_waitcnt lgkmcnt(0)
	v_cmp_ne_u32_e32 vcc, 0, v42
	s_mov_b64 s[8:9], 0
	s_cbranch_vccnz .LBB83_86
; %bb.13:
	buffer_load_dword v44, v41, s[0:3], 0 offen
	buffer_load_dword v45, v41, s[0:3], 0 offen offset:4
	s_waitcnt vmcnt(0)
	v_div_scale_f64 v[46:47], s[8:9], v[44:45], v[44:45], 1.0
	v_rcp_f64_e32 v[48:49], v[46:47]
	v_fma_f64 v[50:51], -v[46:47], v[48:49], 1.0
	v_fma_f64 v[48:49], v[48:49], v[50:51], v[48:49]
	v_div_scale_f64 v[50:51], vcc, 1.0, v[44:45], 1.0
	v_fma_f64 v[52:53], -v[46:47], v[48:49], 1.0
	v_fma_f64 v[48:49], v[48:49], v[52:53], v[48:49]
	v_mul_f64 v[52:53], v[50:51], v[48:49]
	v_fma_f64 v[46:47], -v[46:47], v[52:53], v[50:51]
	v_div_fmas_f64 v[46:47], v[46:47], v[48:49], v[52:53]
	v_div_fixup_f64 v[45:46], v[46:47], v[44:45], 1.0
	v_add_u32_e32 v44, 0xa0, v43
	buffer_store_dword v46, v41, s[0:3], 0 offen offset:4
	buffer_store_dword v45, v41, s[0:3], 0 offen
	buffer_load_dword v48, off, s[0:3], 0 offset:12
	buffer_load_dword v47, off, s[0:3], 0 offset:8
	v_xor_b32_e32 v46, 0x80000000, v46
	s_waitcnt vmcnt(0)
	ds_write2_b64 v43, v[45:46], v[47:48] offset1:20
	s_waitcnt lgkmcnt(0)
	; wave barrier
	s_and_saveexec_b64 s[8:9], s[4:5]
	s_cbranch_execz .LBB83_15
; %bb.14:
	buffer_load_dword v45, v41, s[0:3], 0 offen
	buffer_load_dword v46, v41, s[0:3], 0 offen offset:4
	ds_read_b64 v[47:48], v44
	v_mov_b32_e32 v42, 0
	ds_read_b64 v[49:50], v42 offset:8
	s_waitcnt vmcnt(0) lgkmcnt(1)
	v_fma_f64 v[45:46], v[45:46], v[47:48], 0
	s_waitcnt lgkmcnt(0)
	v_mul_f64 v[45:46], v[45:46], v[49:50]
	buffer_store_dword v45, off, s[0:3], 0 offset:8
	buffer_store_dword v46, off, s[0:3], 0 offset:12
.LBB83_15:
	s_or_b64 exec, exec, s[8:9]
	; wave barrier
	buffer_load_dword v45, off, s[0:3], 0 offset:16
	buffer_load_dword v46, off, s[0:3], 0 offset:20
	v_cmp_gt_u32_e32 vcc, 2, v0
	s_waitcnt vmcnt(0)
	ds_write_b64 v44, v[45:46]
	s_waitcnt lgkmcnt(0)
	; wave barrier
	s_and_saveexec_b64 s[8:9], vcc
	s_cbranch_execz .LBB83_17
; %bb.16:
	buffer_load_dword v45, v41, s[0:3], 0 offen
	buffer_load_dword v46, v41, s[0:3], 0 offen offset:4
                                        ; kill: killed $vgpr41
	s_nop 0
	buffer_load_dword v41, off, s[0:3], 0 offset:8
	buffer_load_dword v42, off, s[0:3], 0 offset:12
	ds_read_b64 v[47:48], v44
	s_waitcnt vmcnt(2) lgkmcnt(0)
	v_fma_f64 v[49:50], v[45:46], v[47:48], 0
	v_mov_b32_e32 v45, 0
	ds_read2_b64 v[45:48], v45 offset0:2 offset1:21
	s_waitcnt vmcnt(0) lgkmcnt(0)
	v_fma_f64 v[41:42], v[41:42], v[47:48], v[49:50]
	v_cndmask_b32_e64 v42, v50, v42, s[4:5]
	v_cndmask_b32_e64 v41, v49, v41, s[4:5]
	v_mul_f64 v[41:42], v[41:42], v[45:46]
	buffer_store_dword v42, off, s[0:3], 0 offset:20
	buffer_store_dword v41, off, s[0:3], 0 offset:16
.LBB83_17:
	s_or_b64 exec, exec, s[8:9]
	; wave barrier
	buffer_load_dword v41, off, s[0:3], 0 offset:24
	buffer_load_dword v42, off, s[0:3], 0 offset:28
	v_cmp_gt_u32_e32 vcc, 3, v0
	v_add_u32_e32 v45, -1, v0
	s_waitcnt vmcnt(0)
	ds_write_b64 v44, v[41:42]
	s_waitcnt lgkmcnt(0)
	; wave barrier
	s_and_saveexec_b64 s[4:5], vcc
	s_cbranch_execz .LBB83_21
; %bb.18:
	v_mov_b32_e32 v41, 0
	v_add_u32_e32 v46, -1, v0
	v_add_u32_e32 v47, 0xa0, v43
	v_mov_b32_e32 v48, v43
	v_mov_b32_e32 v42, 0
	s_mov_b64 s[8:9], 0
.LBB83_19:                              ; =>This Inner Loop Header: Depth=1
	buffer_load_dword v49, v48, s[0:3], 0 offen
	buffer_load_dword v50, v48, s[0:3], 0 offen offset:4
	ds_read_b64 v[51:52], v47
	v_add_u32_e32 v46, 1, v46
	v_cmp_lt_u32_e32 vcc, 1, v46
	v_add_u32_e32 v47, 8, v47
	s_or_b64 s[8:9], vcc, s[8:9]
	v_add_u32_e32 v48, 8, v48
	s_waitcnt vmcnt(0) lgkmcnt(0)
	v_fma_f64 v[41:42], v[49:50], v[51:52], v[41:42]
	s_andn2_b64 exec, exec, s[8:9]
	s_cbranch_execnz .LBB83_19
; %bb.20:
	s_or_b64 exec, exec, s[8:9]
	v_mov_b32_e32 v46, 0
	ds_read_b64 v[46:47], v46 offset:24
	s_waitcnt lgkmcnt(0)
	v_mul_f64 v[41:42], v[41:42], v[46:47]
	buffer_store_dword v42, off, s[0:3], 0 offset:28
	buffer_store_dword v41, off, s[0:3], 0 offset:24
.LBB83_21:
	s_or_b64 exec, exec, s[4:5]
	; wave barrier
	buffer_load_dword v41, off, s[0:3], 0 offset:32
	buffer_load_dword v42, off, s[0:3], 0 offset:36
	v_cmp_gt_u32_e32 vcc, 4, v0
	s_waitcnt vmcnt(0)
	ds_write_b64 v44, v[41:42]
	s_waitcnt lgkmcnt(0)
	; wave barrier
	s_and_saveexec_b64 s[4:5], vcc
	s_cbranch_execz .LBB83_25
; %bb.22:
	v_mov_b32_e32 v41, 0
	v_add_u32_e32 v46, -1, v0
	v_add_u32_e32 v47, 0xa0, v43
	v_mov_b32_e32 v48, v43
	v_mov_b32_e32 v42, 0
	s_mov_b64 s[8:9], 0
.LBB83_23:                              ; =>This Inner Loop Header: Depth=1
	buffer_load_dword v49, v48, s[0:3], 0 offen
	buffer_load_dword v50, v48, s[0:3], 0 offen offset:4
	ds_read_b64 v[51:52], v47
	v_add_u32_e32 v46, 1, v46
	v_cmp_lt_u32_e32 vcc, 2, v46
	v_add_u32_e32 v47, 8, v47
	s_or_b64 s[8:9], vcc, s[8:9]
	v_add_u32_e32 v48, 8, v48
	s_waitcnt vmcnt(0) lgkmcnt(0)
	v_fma_f64 v[41:42], v[49:50], v[51:52], v[41:42]
	s_andn2_b64 exec, exec, s[8:9]
	s_cbranch_execnz .LBB83_23
; %bb.24:
	s_or_b64 exec, exec, s[8:9]
	v_mov_b32_e32 v46, 0
	ds_read_b64 v[46:47], v46 offset:32
	s_waitcnt lgkmcnt(0)
	v_mul_f64 v[41:42], v[41:42], v[46:47]
	buffer_store_dword v42, off, s[0:3], 0 offset:36
	buffer_store_dword v41, off, s[0:3], 0 offset:32
.LBB83_25:
	s_or_b64 exec, exec, s[4:5]
	; wave barrier
	buffer_load_dword v41, off, s[0:3], 0 offset:40
	buffer_load_dword v42, off, s[0:3], 0 offset:44
	v_cmp_gt_u32_e32 vcc, 5, v0
	;; [unrolled: 40-line block ×15, first 2 shown]
	s_waitcnt vmcnt(0)
	ds_write_b64 v44, v[41:42]
	s_waitcnt lgkmcnt(0)
	; wave barrier
	s_and_saveexec_b64 s[4:5], vcc
	s_cbranch_execz .LBB83_81
; %bb.78:
	v_mov_b32_e32 v41, 0
	v_add_u32_e32 v46, -1, v0
	v_add_u32_e32 v47, 0xa0, v43
	v_mov_b32_e32 v48, v43
	v_mov_b32_e32 v42, 0
	s_mov_b64 s[8:9], 0
.LBB83_79:                              ; =>This Inner Loop Header: Depth=1
	buffer_load_dword v49, v48, s[0:3], 0 offen
	buffer_load_dword v50, v48, s[0:3], 0 offen offset:4
	ds_read_b64 v[51:52], v47
	v_add_u32_e32 v46, 1, v46
	v_cmp_lt_u32_e32 vcc, 16, v46
	v_add_u32_e32 v47, 8, v47
	s_or_b64 s[8:9], vcc, s[8:9]
	v_add_u32_e32 v48, 8, v48
	s_waitcnt vmcnt(0) lgkmcnt(0)
	v_fma_f64 v[41:42], v[49:50], v[51:52], v[41:42]
	s_andn2_b64 exec, exec, s[8:9]
	s_cbranch_execnz .LBB83_79
; %bb.80:
	s_or_b64 exec, exec, s[8:9]
	v_mov_b32_e32 v46, 0
	ds_read_b64 v[46:47], v46 offset:144
	s_waitcnt lgkmcnt(0)
	v_mul_f64 v[41:42], v[41:42], v[46:47]
	buffer_store_dword v42, off, s[0:3], 0 offset:148
	buffer_store_dword v41, off, s[0:3], 0 offset:144
.LBB83_81:
	s_or_b64 exec, exec, s[4:5]
	; wave barrier
	buffer_load_dword v41, off, s[0:3], 0 offset:152
	buffer_load_dword v42, off, s[0:3], 0 offset:156
	v_cmp_ne_u32_e32 vcc, 19, v0
	s_waitcnt vmcnt(0)
	ds_write_b64 v44, v[41:42]
	s_waitcnt lgkmcnt(0)
	; wave barrier
	s_and_saveexec_b64 s[4:5], vcc
	s_cbranch_execz .LBB83_85
; %bb.82:
	v_mov_b32_e32 v41, 0
	v_add_u32_e32 v44, 0xa0, v43
	v_mov_b32_e32 v42, 0
	s_mov_b64 s[8:9], 0
.LBB83_83:                              ; =>This Inner Loop Header: Depth=1
	buffer_load_dword v46, v43, s[0:3], 0 offen
	buffer_load_dword v47, v43, s[0:3], 0 offen offset:4
	ds_read_b64 v[48:49], v44
	v_add_u32_e32 v45, 1, v45
	v_cmp_lt_u32_e32 vcc, 17, v45
	v_add_u32_e32 v44, 8, v44
	s_or_b64 s[8:9], vcc, s[8:9]
	v_add_u32_e32 v43, 8, v43
	s_waitcnt vmcnt(0) lgkmcnt(0)
	v_fma_f64 v[41:42], v[46:47], v[48:49], v[41:42]
	s_andn2_b64 exec, exec, s[8:9]
	s_cbranch_execnz .LBB83_83
; %bb.84:
	s_or_b64 exec, exec, s[8:9]
	v_mov_b32_e32 v43, 0
	ds_read_b64 v[43:44], v43 offset:152
	s_waitcnt lgkmcnt(0)
	v_mul_f64 v[41:42], v[41:42], v[43:44]
	buffer_store_dword v42, off, s[0:3], 0 offset:156
	buffer_store_dword v41, off, s[0:3], 0 offset:152
.LBB83_85:
	s_or_b64 exec, exec, s[4:5]
	s_mov_b64 s[8:9], -1
	; wave barrier
.LBB83_86:
	s_and_b64 vcc, exec, s[8:9]
	s_cbranch_vccz .LBB83_88
; %bb.87:
	s_lshl_b64 s[4:5], s[6:7], 2
	s_add_u32 s4, s10, s4
	s_addc_u32 s5, s11, s5
	v_mov_b32_e32 v41, 0
	global_load_dword v41, v41, s[4:5]
	s_waitcnt vmcnt(0)
	v_cmp_ne_u32_e32 vcc, 0, v41
	s_cbranch_vccz .LBB83_89
.LBB83_88:
	s_endpgm
.LBB83_89:
	v_mov_b32_e32 v41, 0xa0
	v_lshl_add_u32 v41, v0, 3, v41
	v_cmp_eq_u32_e32 vcc, 19, v0
	s_and_saveexec_b64 s[4:5], vcc
	s_cbranch_execz .LBB83_91
; %bb.90:
	buffer_load_dword v42, off, s[0:3], 0 offset:144
	buffer_load_dword v43, off, s[0:3], 0 offset:148
	v_mov_b32_e32 v44, 0
	buffer_store_dword v44, off, s[0:3], 0 offset:144
	buffer_store_dword v44, off, s[0:3], 0 offset:148
	s_waitcnt vmcnt(2)
	ds_write_b64 v41, v[42:43]
.LBB83_91:
	s_or_b64 exec, exec, s[4:5]
	s_waitcnt lgkmcnt(0)
	; wave barrier
	buffer_load_dword v43, off, s[0:3], 0 offset:152
	buffer_load_dword v44, off, s[0:3], 0 offset:156
	;; [unrolled: 1-line block ×4, first 2 shown]
	v_mov_b32_e32 v42, 0
	ds_read_b64 v[47:48], v42 offset:312
	v_cmp_lt_u32_e32 vcc, 17, v0
	s_waitcnt vmcnt(2) lgkmcnt(0)
	v_fma_f64 v[43:44], v[43:44], v[47:48], 0
	s_waitcnt vmcnt(0)
	v_add_f64 v[43:44], v[45:46], -v[43:44]
	buffer_store_dword v43, off, s[0:3], 0 offset:144
	buffer_store_dword v44, off, s[0:3], 0 offset:148
	s_and_saveexec_b64 s[4:5], vcc
	s_cbranch_execz .LBB83_93
; %bb.92:
	buffer_load_dword v43, off, s[0:3], 0 offset:136
	buffer_load_dword v44, off, s[0:3], 0 offset:140
	s_waitcnt vmcnt(0)
	ds_write_b64 v41, v[43:44]
	buffer_store_dword v42, off, s[0:3], 0 offset:136
	buffer_store_dword v42, off, s[0:3], 0 offset:140
.LBB83_93:
	s_or_b64 exec, exec, s[4:5]
	s_waitcnt lgkmcnt(0)
	; wave barrier
	buffer_load_dword v46, off, s[0:3], 0 offset:144
	buffer_load_dword v47, off, s[0:3], 0 offset:148
	;; [unrolled: 1-line block ×6, first 2 shown]
	ds_read_b128 v[42:45], v42 offset:304
	v_cmp_lt_u32_e32 vcc, 16, v0
	s_waitcnt vmcnt(4) lgkmcnt(0)
	v_fma_f64 v[42:43], v[46:47], v[42:43], 0
	s_waitcnt vmcnt(2)
	v_fma_f64 v[42:43], v[48:49], v[44:45], v[42:43]
	s_waitcnt vmcnt(0)
	v_add_f64 v[42:43], v[50:51], -v[42:43]
	buffer_store_dword v42, off, s[0:3], 0 offset:136
	buffer_store_dword v43, off, s[0:3], 0 offset:140
	s_and_saveexec_b64 s[4:5], vcc
	s_cbranch_execz .LBB83_95
; %bb.94:
	buffer_load_dword v42, off, s[0:3], 0 offset:128
	buffer_load_dword v43, off, s[0:3], 0 offset:132
	v_mov_b32_e32 v44, 0
	buffer_store_dword v44, off, s[0:3], 0 offset:128
	buffer_store_dword v44, off, s[0:3], 0 offset:132
	s_waitcnt vmcnt(2)
	ds_write_b64 v41, v[42:43]
.LBB83_95:
	s_or_b64 exec, exec, s[4:5]
	s_waitcnt lgkmcnt(0)
	; wave barrier
	buffer_load_dword v47, off, s[0:3], 0 offset:136
	buffer_load_dword v48, off, s[0:3], 0 offset:140
	;; [unrolled: 1-line block ×8, first 2 shown]
	v_mov_b32_e32 v42, 0
	ds_read2_b64 v[43:46], v42 offset0:37 offset1:38
	ds_read_b64 v[55:56], v42 offset:312
	v_cmp_lt_u32_e32 vcc, 15, v0
	s_waitcnt vmcnt(6) lgkmcnt(1)
	v_fma_f64 v[43:44], v[47:48], v[43:44], 0
	s_waitcnt vmcnt(4)
	v_fma_f64 v[43:44], v[49:50], v[45:46], v[43:44]
	s_waitcnt vmcnt(2) lgkmcnt(0)
	v_fma_f64 v[43:44], v[51:52], v[55:56], v[43:44]
	s_waitcnt vmcnt(0)
	v_add_f64 v[43:44], v[53:54], -v[43:44]
	buffer_store_dword v43, off, s[0:3], 0 offset:128
	buffer_store_dword v44, off, s[0:3], 0 offset:132
	s_and_saveexec_b64 s[4:5], vcc
	s_cbranch_execz .LBB83_97
; %bb.96:
	buffer_load_dword v43, off, s[0:3], 0 offset:120
	buffer_load_dword v44, off, s[0:3], 0 offset:124
	s_waitcnt vmcnt(0)
	ds_write_b64 v41, v[43:44]
	buffer_store_dword v42, off, s[0:3], 0 offset:120
	buffer_store_dword v42, off, s[0:3], 0 offset:124
.LBB83_97:
	s_or_b64 exec, exec, s[4:5]
	s_waitcnt lgkmcnt(0)
	; wave barrier
	buffer_load_dword v51, off, s[0:3], 0 offset:128
	buffer_load_dword v52, off, s[0:3], 0 offset:132
	;; [unrolled: 1-line block ×10, first 2 shown]
	ds_read_b128 v[43:46], v42 offset:288
	ds_read_b128 v[47:50], v42 offset:304
	v_cmp_lt_u32_e32 vcc, 14, v0
	s_waitcnt vmcnt(8) lgkmcnt(1)
	v_fma_f64 v[42:43], v[51:52], v[43:44], 0
	s_waitcnt vmcnt(6)
	v_fma_f64 v[42:43], v[53:54], v[45:46], v[42:43]
	s_waitcnt vmcnt(4) lgkmcnt(0)
	v_fma_f64 v[42:43], v[55:56], v[47:48], v[42:43]
	s_waitcnt vmcnt(2)
	v_fma_f64 v[42:43], v[57:58], v[49:50], v[42:43]
	s_waitcnt vmcnt(0)
	v_add_f64 v[42:43], v[59:60], -v[42:43]
	buffer_store_dword v42, off, s[0:3], 0 offset:120
	buffer_store_dword v43, off, s[0:3], 0 offset:124
	s_and_saveexec_b64 s[4:5], vcc
	s_cbranch_execz .LBB83_99
; %bb.98:
	buffer_load_dword v42, off, s[0:3], 0 offset:112
	buffer_load_dword v43, off, s[0:3], 0 offset:116
	v_mov_b32_e32 v44, 0
	buffer_store_dword v44, off, s[0:3], 0 offset:112
	buffer_store_dword v44, off, s[0:3], 0 offset:116
	s_waitcnt vmcnt(2)
	ds_write_b64 v41, v[42:43]
.LBB83_99:
	s_or_b64 exec, exec, s[4:5]
	s_waitcnt lgkmcnt(0)
	; wave barrier
	buffer_load_dword v47, off, s[0:3], 0 offset:112
	buffer_load_dword v48, off, s[0:3], 0 offset:116
	;; [unrolled: 1-line block ×12, first 2 shown]
	v_mov_b32_e32 v42, 0
	ds_read2_b64 v[43:46], v42 offset0:35 offset1:36
	v_cmp_lt_u32_e32 vcc, 13, v0
	s_waitcnt vmcnt(8) lgkmcnt(0)
	v_fma_f64 v[43:44], v[49:50], v[43:44], 0
	s_waitcnt vmcnt(6)
	v_fma_f64 v[49:50], v[51:52], v[45:46], v[43:44]
	ds_read2_b64 v[43:46], v42 offset0:37 offset1:38
	s_waitcnt vmcnt(4) lgkmcnt(0)
	v_fma_f64 v[43:44], v[53:54], v[43:44], v[49:50]
	s_waitcnt vmcnt(2)
	v_fma_f64 v[43:44], v[55:56], v[45:46], v[43:44]
	ds_read_b64 v[45:46], v42 offset:312
	s_waitcnt vmcnt(0) lgkmcnt(0)
	v_fma_f64 v[43:44], v[57:58], v[45:46], v[43:44]
	v_add_f64 v[43:44], v[47:48], -v[43:44]
	buffer_store_dword v43, off, s[0:3], 0 offset:112
	buffer_store_dword v44, off, s[0:3], 0 offset:116
	s_and_saveexec_b64 s[4:5], vcc
	s_cbranch_execz .LBB83_101
; %bb.100:
	buffer_load_dword v43, off, s[0:3], 0 offset:104
	buffer_load_dword v44, off, s[0:3], 0 offset:108
	s_waitcnt vmcnt(0)
	ds_write_b64 v41, v[43:44]
	buffer_store_dword v42, off, s[0:3], 0 offset:104
	buffer_store_dword v42, off, s[0:3], 0 offset:108
.LBB83_101:
	s_or_b64 exec, exec, s[4:5]
	s_waitcnt lgkmcnt(0)
	; wave barrier
	buffer_load_dword v47, off, s[0:3], 0 offset:112
	buffer_load_dword v48, off, s[0:3], 0 offset:116
	;; [unrolled: 1-line block ×14, first 2 shown]
	ds_read_b128 v[43:46], v42 offset:272
	v_cmp_lt_u32_e32 vcc, 12, v0
	s_waitcnt vmcnt(12) lgkmcnt(0)
	v_fma_f64 v[43:44], v[47:48], v[43:44], 0
	s_waitcnt vmcnt(10)
	v_fma_f64 v[47:48], v[49:50], v[45:46], v[43:44]
	ds_read_b128 v[43:46], v42 offset:288
	s_waitcnt vmcnt(8) lgkmcnt(0)
	v_fma_f64 v[43:44], v[51:52], v[43:44], v[47:48]
	s_waitcnt vmcnt(6)
	v_fma_f64 v[46:47], v[53:54], v[45:46], v[43:44]
	ds_read_b128 v[42:45], v42 offset:304
	s_waitcnt vmcnt(4) lgkmcnt(0)
	v_fma_f64 v[42:43], v[55:56], v[42:43], v[46:47]
	s_waitcnt vmcnt(2)
	v_fma_f64 v[42:43], v[57:58], v[44:45], v[42:43]
	s_waitcnt vmcnt(0)
	v_add_f64 v[42:43], v[59:60], -v[42:43]
	buffer_store_dword v42, off, s[0:3], 0 offset:104
	buffer_store_dword v43, off, s[0:3], 0 offset:108
	s_and_saveexec_b64 s[4:5], vcc
	s_cbranch_execz .LBB83_103
; %bb.102:
	buffer_load_dword v42, off, s[0:3], 0 offset:96
	buffer_load_dword v43, off, s[0:3], 0 offset:100
	v_mov_b32_e32 v44, 0
	buffer_store_dword v44, off, s[0:3], 0 offset:96
	buffer_store_dword v44, off, s[0:3], 0 offset:100
	s_waitcnt vmcnt(2)
	ds_write_b64 v41, v[42:43]
.LBB83_103:
	s_or_b64 exec, exec, s[4:5]
	s_waitcnt lgkmcnt(0)
	; wave barrier
	buffer_load_dword v47, off, s[0:3], 0 offset:104
	buffer_load_dword v48, off, s[0:3], 0 offset:108
	;; [unrolled: 1-line block ×16, first 2 shown]
	v_mov_b32_e32 v42, 0
	ds_read2_b64 v[43:46], v42 offset0:33 offset1:34
	v_cmp_lt_u32_e32 vcc, 11, v0
	s_waitcnt vmcnt(14) lgkmcnt(0)
	v_fma_f64 v[43:44], v[47:48], v[43:44], 0
	s_waitcnt vmcnt(12)
	v_fma_f64 v[47:48], v[49:50], v[45:46], v[43:44]
	ds_read2_b64 v[43:46], v42 offset0:35 offset1:36
	s_waitcnt vmcnt(10) lgkmcnt(0)
	v_fma_f64 v[43:44], v[51:52], v[43:44], v[47:48]
	s_waitcnt vmcnt(8)
	v_fma_f64 v[47:48], v[53:54], v[45:46], v[43:44]
	ds_read2_b64 v[43:46], v42 offset0:37 offset1:38
	s_waitcnt vmcnt(6) lgkmcnt(0)
	v_fma_f64 v[43:44], v[55:56], v[43:44], v[47:48]
	s_waitcnt vmcnt(4)
	v_fma_f64 v[43:44], v[57:58], v[45:46], v[43:44]
	ds_read_b64 v[45:46], v42 offset:312
	s_waitcnt vmcnt(2) lgkmcnt(0)
	v_fma_f64 v[43:44], v[59:60], v[45:46], v[43:44]
	s_waitcnt vmcnt(0)
	v_add_f64 v[43:44], v[61:62], -v[43:44]
	buffer_store_dword v43, off, s[0:3], 0 offset:96
	buffer_store_dword v44, off, s[0:3], 0 offset:100
	s_and_saveexec_b64 s[4:5], vcc
	s_cbranch_execz .LBB83_105
; %bb.104:
	buffer_load_dword v43, off, s[0:3], 0 offset:88
	buffer_load_dword v44, off, s[0:3], 0 offset:92
	s_waitcnt vmcnt(0)
	ds_write_b64 v41, v[43:44]
	buffer_store_dword v42, off, s[0:3], 0 offset:88
	buffer_store_dword v42, off, s[0:3], 0 offset:92
.LBB83_105:
	s_or_b64 exec, exec, s[4:5]
	s_waitcnt lgkmcnt(0)
	; wave barrier
	buffer_load_dword v51, off, s[0:3], 0 offset:96
	buffer_load_dword v52, off, s[0:3], 0 offset:100
	;; [unrolled: 1-line block ×18, first 2 shown]
	ds_read_b128 v[43:46], v42 offset:256
	ds_read_b128 v[47:50], v42 offset:272
	v_cmp_lt_u32_e32 vcc, 10, v0
	s_waitcnt vmcnt(16) lgkmcnt(1)
	v_fma_f64 v[43:44], v[51:52], v[43:44], 0
	s_waitcnt vmcnt(14)
	v_fma_f64 v[43:44], v[53:54], v[45:46], v[43:44]
	s_waitcnt vmcnt(12) lgkmcnt(0)
	v_fma_f64 v[43:44], v[55:56], v[47:48], v[43:44]
	s_waitcnt vmcnt(10)
	v_fma_f64 v[51:52], v[57:58], v[49:50], v[43:44]
	ds_read_b128 v[43:46], v42 offset:288
	ds_read_b128 v[47:50], v42 offset:304
	s_waitcnt vmcnt(8) lgkmcnt(1)
	v_fma_f64 v[42:43], v[59:60], v[43:44], v[51:52]
	s_waitcnt vmcnt(6)
	v_fma_f64 v[42:43], v[61:62], v[45:46], v[42:43]
	s_waitcnt vmcnt(4) lgkmcnt(0)
	v_fma_f64 v[42:43], v[63:64], v[47:48], v[42:43]
	s_waitcnt vmcnt(2)
	v_fma_f64 v[42:43], v[65:66], v[49:50], v[42:43]
	s_waitcnt vmcnt(0)
	v_add_f64 v[42:43], v[67:68], -v[42:43]
	buffer_store_dword v42, off, s[0:3], 0 offset:88
	buffer_store_dword v43, off, s[0:3], 0 offset:92
	s_and_saveexec_b64 s[4:5], vcc
	s_cbranch_execz .LBB83_107
; %bb.106:
	buffer_load_dword v42, off, s[0:3], 0 offset:80
	buffer_load_dword v43, off, s[0:3], 0 offset:84
	v_mov_b32_e32 v44, 0
	buffer_store_dword v44, off, s[0:3], 0 offset:80
	buffer_store_dword v44, off, s[0:3], 0 offset:84
	s_waitcnt vmcnt(2)
	ds_write_b64 v41, v[42:43]
.LBB83_107:
	s_or_b64 exec, exec, s[4:5]
	s_waitcnt lgkmcnt(0)
	; wave barrier
	buffer_load_dword v51, off, s[0:3], 0 offset:88
	buffer_load_dword v52, off, s[0:3], 0 offset:92
	;; [unrolled: 1-line block ×20, first 2 shown]
	v_mov_b32_e32 v42, 0
	ds_read2_b64 v[43:46], v42 offset0:31 offset1:32
	ds_read2_b64 v[47:50], v42 offset0:33 offset1:34
	v_cmp_lt_u32_e32 vcc, 9, v0
	s_waitcnt vmcnt(18) lgkmcnt(1)
	v_fma_f64 v[43:44], v[51:52], v[43:44], 0
	s_waitcnt vmcnt(16)
	v_fma_f64 v[43:44], v[53:54], v[45:46], v[43:44]
	s_waitcnt vmcnt(14) lgkmcnt(0)
	v_fma_f64 v[43:44], v[55:56], v[47:48], v[43:44]
	s_waitcnt vmcnt(12)
	v_fma_f64 v[51:52], v[57:58], v[49:50], v[43:44]
	ds_read2_b64 v[43:46], v42 offset0:35 offset1:36
	ds_read2_b64 v[47:50], v42 offset0:37 offset1:38
	s_waitcnt vmcnt(10) lgkmcnt(1)
	v_fma_f64 v[43:44], v[59:60], v[43:44], v[51:52]
	s_waitcnt vmcnt(8)
	v_fma_f64 v[43:44], v[61:62], v[45:46], v[43:44]
	ds_read_b64 v[45:46], v42 offset:312
	s_waitcnt vmcnt(6) lgkmcnt(1)
	v_fma_f64 v[43:44], v[63:64], v[47:48], v[43:44]
	s_waitcnt vmcnt(3)
	v_fma_f64 v[43:44], v[65:66], v[49:50], v[43:44]
	s_waitcnt vmcnt(2) lgkmcnt(0)
	v_fma_f64 v[43:44], v[67:68], v[45:46], v[43:44]
	s_waitcnt vmcnt(0)
	v_add_f64 v[43:44], v[69:70], -v[43:44]
	buffer_store_dword v43, off, s[0:3], 0 offset:80
	buffer_store_dword v44, off, s[0:3], 0 offset:84
	s_and_saveexec_b64 s[4:5], vcc
	s_cbranch_execz .LBB83_109
; %bb.108:
	buffer_load_dword v43, off, s[0:3], 0 offset:72
	buffer_load_dword v44, off, s[0:3], 0 offset:76
	s_waitcnt vmcnt(0)
	ds_write_b64 v41, v[43:44]
	buffer_store_dword v42, off, s[0:3], 0 offset:72
	buffer_store_dword v42, off, s[0:3], 0 offset:76
.LBB83_109:
	s_or_b64 exec, exec, s[4:5]
	s_waitcnt lgkmcnt(0)
	; wave barrier
	buffer_load_dword v51, off, s[0:3], 0 offset:80
	buffer_load_dword v52, off, s[0:3], 0 offset:84
	;; [unrolled: 1-line block ×20, first 2 shown]
	ds_read_b128 v[43:46], v42 offset:240
	buffer_load_dword v71, off, s[0:3], 0 offset:72
	buffer_load_dword v72, off, s[0:3], 0 offset:76
	ds_read_b128 v[47:50], v42 offset:256
	v_cmp_lt_u32_e32 vcc, 8, v0
	s_waitcnt vmcnt(20) lgkmcnt(1)
	v_fma_f64 v[43:44], v[51:52], v[43:44], 0
	s_waitcnt vmcnt(18)
	v_fma_f64 v[43:44], v[53:54], v[45:46], v[43:44]
	s_waitcnt vmcnt(16) lgkmcnt(0)
	v_fma_f64 v[43:44], v[55:56], v[47:48], v[43:44]
	s_waitcnt vmcnt(14)
	v_fma_f64 v[51:52], v[57:58], v[49:50], v[43:44]
	ds_read_b128 v[43:46], v42 offset:272
	ds_read_b128 v[47:50], v42 offset:288
	s_waitcnt vmcnt(12) lgkmcnt(1)
	v_fma_f64 v[43:44], v[59:60], v[43:44], v[51:52]
	s_waitcnt vmcnt(10)
	v_fma_f64 v[43:44], v[61:62], v[45:46], v[43:44]
	s_waitcnt vmcnt(8) lgkmcnt(0)
	v_fma_f64 v[43:44], v[63:64], v[47:48], v[43:44]
	s_waitcnt vmcnt(4)
	v_fma_f64 v[46:47], v[65:66], v[49:50], v[43:44]
	ds_read_b128 v[42:45], v42 offset:304
	s_waitcnt vmcnt(3) lgkmcnt(0)
	v_fma_f64 v[42:43], v[69:70], v[42:43], v[46:47]
	s_waitcnt vmcnt(2)
	v_fma_f64 v[42:43], v[67:68], v[44:45], v[42:43]
	s_waitcnt vmcnt(0)
	v_add_f64 v[42:43], v[71:72], -v[42:43]
	buffer_store_dword v42, off, s[0:3], 0 offset:72
	buffer_store_dword v43, off, s[0:3], 0 offset:76
	s_and_saveexec_b64 s[4:5], vcc
	s_cbranch_execz .LBB83_111
; %bb.110:
	buffer_load_dword v42, off, s[0:3], 0 offset:64
	buffer_load_dword v43, off, s[0:3], 0 offset:68
	v_mov_b32_e32 v44, 0
	buffer_store_dword v44, off, s[0:3], 0 offset:64
	buffer_store_dword v44, off, s[0:3], 0 offset:68
	s_waitcnt vmcnt(2)
	ds_write_b64 v41, v[42:43]
.LBB83_111:
	s_or_b64 exec, exec, s[4:5]
	s_waitcnt lgkmcnt(0)
	; wave barrier
	buffer_load_dword v51, off, s[0:3], 0 offset:72
	buffer_load_dword v52, off, s[0:3], 0 offset:76
	;; [unrolled: 1-line block ×21, first 2 shown]
	v_mov_b32_e32 v42, 0
	ds_read2_b64 v[43:46], v42 offset0:29 offset1:30
	ds_read2_b64 v[47:50], v42 offset0:31 offset1:32
	buffer_load_dword v68, off, s[0:3], 0 offset:156
	v_cmp_lt_u32_e32 vcc, 7, v0
	s_waitcnt vmcnt(20) lgkmcnt(1)
	v_fma_f64 v[43:44], v[51:52], v[43:44], 0
	buffer_load_dword v51, off, s[0:3], 0 offset:64
	buffer_load_dword v52, off, s[0:3], 0 offset:68
	s_waitcnt vmcnt(20)
	v_fma_f64 v[43:44], v[53:54], v[45:46], v[43:44]
	s_waitcnt vmcnt(18) lgkmcnt(0)
	v_fma_f64 v[43:44], v[55:56], v[47:48], v[43:44]
	s_waitcnt vmcnt(16)
	v_fma_f64 v[53:54], v[57:58], v[49:50], v[43:44]
	ds_read2_b64 v[43:46], v42 offset0:33 offset1:34
	ds_read2_b64 v[47:50], v42 offset0:35 offset1:36
	s_waitcnt vmcnt(14) lgkmcnt(1)
	v_fma_f64 v[43:44], v[59:60], v[43:44], v[53:54]
	s_waitcnt vmcnt(12)
	v_fma_f64 v[43:44], v[61:62], v[45:46], v[43:44]
	s_waitcnt vmcnt(10) lgkmcnt(0)
	v_fma_f64 v[43:44], v[63:64], v[47:48], v[43:44]
	s_waitcnt vmcnt(5)
	v_fma_f64 v[47:48], v[65:66], v[49:50], v[43:44]
	ds_read2_b64 v[43:46], v42 offset0:37 offset1:38
	ds_read_b64 v[49:50], v42 offset:312
	s_waitcnt vmcnt(4) lgkmcnt(1)
	v_fma_f64 v[43:44], v[71:72], v[43:44], v[47:48]
	s_waitcnt vmcnt(3)
	v_fma_f64 v[43:44], v[69:70], v[45:46], v[43:44]
	s_waitcnt vmcnt(2) lgkmcnt(0)
	v_fma_f64 v[43:44], v[67:68], v[49:50], v[43:44]
	s_waitcnt vmcnt(0)
	v_add_f64 v[43:44], v[51:52], -v[43:44]
	buffer_store_dword v44, off, s[0:3], 0 offset:68
	buffer_store_dword v43, off, s[0:3], 0 offset:64
	s_and_saveexec_b64 s[4:5], vcc
	s_cbranch_execz .LBB83_113
; %bb.112:
	buffer_load_dword v43, off, s[0:3], 0 offset:56
	buffer_load_dword v44, off, s[0:3], 0 offset:60
	s_waitcnt vmcnt(0)
	ds_write_b64 v41, v[43:44]
	buffer_store_dword v42, off, s[0:3], 0 offset:56
	buffer_store_dword v42, off, s[0:3], 0 offset:60
.LBB83_113:
	s_or_b64 exec, exec, s[4:5]
	s_waitcnt lgkmcnt(0)
	; wave barrier
	buffer_load_dword v51, off, s[0:3], 0 offset:64
	buffer_load_dword v52, off, s[0:3], 0 offset:68
	;; [unrolled: 1-line block ×21, first 2 shown]
	ds_read_b128 v[43:46], v42 offset:224
	ds_read_b128 v[47:50], v42 offset:240
	buffer_load_dword v68, off, s[0:3], 0 offset:148
	v_cmp_lt_u32_e32 vcc, 6, v0
	s_waitcnt vmcnt(20) lgkmcnt(1)
	v_fma_f64 v[43:44], v[51:52], v[43:44], 0
	buffer_load_dword v52, off, s[0:3], 0 offset:156
	buffer_load_dword v51, off, s[0:3], 0 offset:152
	s_waitcnt vmcnt(20)
	v_fma_f64 v[43:44], v[53:54], v[45:46], v[43:44]
	buffer_load_dword v53, off, s[0:3], 0 offset:56
	buffer_load_dword v54, off, s[0:3], 0 offset:60
	s_waitcnt vmcnt(20) lgkmcnt(0)
	v_fma_f64 v[43:44], v[55:56], v[47:48], v[43:44]
	s_waitcnt vmcnt(18)
	v_fma_f64 v[55:56], v[57:58], v[49:50], v[43:44]
	ds_read_b128 v[43:46], v42 offset:256
	ds_read_b128 v[47:50], v42 offset:272
	s_waitcnt vmcnt(16) lgkmcnt(1)
	v_fma_f64 v[43:44], v[59:60], v[43:44], v[55:56]
	s_waitcnt vmcnt(14)
	v_fma_f64 v[43:44], v[61:62], v[45:46], v[43:44]
	s_waitcnt vmcnt(12) lgkmcnt(0)
	v_fma_f64 v[43:44], v[63:64], v[47:48], v[43:44]
	s_waitcnt vmcnt(7)
	v_fma_f64 v[55:56], v[65:66], v[49:50], v[43:44]
	ds_read_b128 v[43:46], v42 offset:288
	ds_read_b128 v[47:50], v42 offset:304
	s_waitcnt vmcnt(6) lgkmcnt(1)
	v_fma_f64 v[42:43], v[71:72], v[43:44], v[55:56]
	s_waitcnt vmcnt(5)
	v_fma_f64 v[42:43], v[69:70], v[45:46], v[42:43]
	s_waitcnt vmcnt(4) lgkmcnt(0)
	v_fma_f64 v[42:43], v[67:68], v[47:48], v[42:43]
	s_waitcnt vmcnt(2)
	v_fma_f64 v[42:43], v[51:52], v[49:50], v[42:43]
	s_waitcnt vmcnt(0)
	v_add_f64 v[42:43], v[53:54], -v[42:43]
	buffer_store_dword v43, off, s[0:3], 0 offset:60
	buffer_store_dword v42, off, s[0:3], 0 offset:56
	s_and_saveexec_b64 s[4:5], vcc
	s_cbranch_execz .LBB83_115
; %bb.114:
	buffer_load_dword v42, off, s[0:3], 0 offset:48
	buffer_load_dword v43, off, s[0:3], 0 offset:52
	v_mov_b32_e32 v44, 0
	buffer_store_dword v44, off, s[0:3], 0 offset:48
	buffer_store_dword v44, off, s[0:3], 0 offset:52
	s_waitcnt vmcnt(2)
	ds_write_b64 v41, v[42:43]
.LBB83_115:
	s_or_b64 exec, exec, s[4:5]
	s_waitcnt lgkmcnt(0)
	; wave barrier
	buffer_load_dword v51, off, s[0:3], 0 offset:56
	buffer_load_dword v52, off, s[0:3], 0 offset:60
	;; [unrolled: 1-line block ×21, first 2 shown]
	v_mov_b32_e32 v42, 0
	ds_read2_b64 v[43:46], v42 offset0:27 offset1:28
	ds_read2_b64 v[47:50], v42 offset0:29 offset1:30
	buffer_load_dword v68, off, s[0:3], 0 offset:140
	v_cmp_lt_u32_e32 vcc, 5, v0
	s_waitcnt vmcnt(20) lgkmcnt(1)
	v_fma_f64 v[43:44], v[51:52], v[43:44], 0
	s_waitcnt vmcnt(18)
	v_fma_f64 v[43:44], v[53:54], v[45:46], v[43:44]
	buffer_load_dword v52, off, s[0:3], 0 offset:148
	buffer_load_dword v53, off, s[0:3], 0 offset:152
	buffer_load_dword v51, off, s[0:3], 0 offset:144
	buffer_load_dword v54, off, s[0:3], 0 offset:156
	s_waitcnt vmcnt(20) lgkmcnt(0)
	v_fma_f64 v[43:44], v[55:56], v[47:48], v[43:44]
	buffer_load_dword v55, off, s[0:3], 0 offset:48
	buffer_load_dword v56, off, s[0:3], 0 offset:52
	s_waitcnt vmcnt(20)
	v_fma_f64 v[57:58], v[57:58], v[49:50], v[43:44]
	ds_read2_b64 v[43:46], v42 offset0:31 offset1:32
	ds_read2_b64 v[47:50], v42 offset0:33 offset1:34
	s_waitcnt vmcnt(18) lgkmcnt(1)
	v_fma_f64 v[43:44], v[59:60], v[43:44], v[57:58]
	s_waitcnt vmcnt(16)
	v_fma_f64 v[43:44], v[61:62], v[45:46], v[43:44]
	s_waitcnt vmcnt(14) lgkmcnt(0)
	v_fma_f64 v[43:44], v[63:64], v[47:48], v[43:44]
	s_waitcnt vmcnt(9)
	v_fma_f64 v[57:58], v[65:66], v[49:50], v[43:44]
	ds_read2_b64 v[43:46], v42 offset0:35 offset1:36
	ds_read2_b64 v[47:50], v42 offset0:37 offset1:38
	s_waitcnt vmcnt(8) lgkmcnt(1)
	v_fma_f64 v[43:44], v[71:72], v[43:44], v[57:58]
	s_waitcnt vmcnt(7)
	v_fma_f64 v[43:44], v[69:70], v[45:46], v[43:44]
	ds_read_b64 v[45:46], v42 offset:312
	s_waitcnt vmcnt(6) lgkmcnt(1)
	v_fma_f64 v[43:44], v[67:68], v[47:48], v[43:44]
	s_waitcnt vmcnt(3)
	v_fma_f64 v[43:44], v[51:52], v[49:50], v[43:44]
	s_waitcnt vmcnt(2) lgkmcnt(0)
	v_fma_f64 v[43:44], v[53:54], v[45:46], v[43:44]
	s_waitcnt vmcnt(0)
	v_add_f64 v[43:44], v[55:56], -v[43:44]
	buffer_store_dword v44, off, s[0:3], 0 offset:52
	buffer_store_dword v43, off, s[0:3], 0 offset:48
	s_and_saveexec_b64 s[4:5], vcc
	s_cbranch_execz .LBB83_117
; %bb.116:
	buffer_load_dword v43, off, s[0:3], 0 offset:40
	buffer_load_dword v44, off, s[0:3], 0 offset:44
	s_waitcnt vmcnt(0)
	ds_write_b64 v41, v[43:44]
	buffer_store_dword v42, off, s[0:3], 0 offset:40
	buffer_store_dword v42, off, s[0:3], 0 offset:44
.LBB83_117:
	s_or_b64 exec, exec, s[4:5]
	s_waitcnt lgkmcnt(0)
	; wave barrier
	buffer_load_dword v51, off, s[0:3], 0 offset:48
	buffer_load_dword v52, off, s[0:3], 0 offset:52
	;; [unrolled: 1-line block ×22, first 2 shown]
	ds_read_b128 v[43:46], v42 offset:208
	ds_read_b128 v[47:50], v42 offset:224
	v_cmp_lt_u32_e32 vcc, 4, v0
	s_waitcnt vmcnt(20) lgkmcnt(1)
	v_fma_f64 v[43:44], v[51:52], v[43:44], 0
	s_waitcnt vmcnt(18)
	v_fma_f64 v[43:44], v[53:54], v[45:46], v[43:44]
	buffer_load_dword v52, off, s[0:3], 0 offset:140
	buffer_load_dword v53, off, s[0:3], 0 offset:152
	;; [unrolled: 1-line block ×6, first 2 shown]
	s_waitcnt vmcnt(22) lgkmcnt(0)
	v_fma_f64 v[43:44], v[55:56], v[47:48], v[43:44]
	s_waitcnt vmcnt(20)
	v_fma_f64 v[55:56], v[57:58], v[49:50], v[43:44]
	ds_read_b128 v[43:46], v42 offset:240
	buffer_load_dword v57, off, s[0:3], 0 offset:40
	buffer_load_dword v58, off, s[0:3], 0 offset:44
	ds_read_b128 v[47:50], v42 offset:256
	s_waitcnt vmcnt(20) lgkmcnt(1)
	v_fma_f64 v[43:44], v[59:60], v[43:44], v[55:56]
	s_waitcnt vmcnt(18)
	v_fma_f64 v[43:44], v[61:62], v[45:46], v[43:44]
	s_waitcnt vmcnt(16) lgkmcnt(0)
	v_fma_f64 v[43:44], v[63:64], v[47:48], v[43:44]
	s_waitcnt vmcnt(11)
	v_fma_f64 v[55:56], v[65:66], v[49:50], v[43:44]
	ds_read_b128 v[43:46], v42 offset:272
	ds_read_b128 v[47:50], v42 offset:288
	s_waitcnt vmcnt(10) lgkmcnt(1)
	v_fma_f64 v[43:44], v[71:72], v[43:44], v[55:56]
	s_waitcnt vmcnt(9)
	v_fma_f64 v[43:44], v[69:70], v[45:46], v[43:44]
	s_waitcnt vmcnt(8) lgkmcnt(0)
	v_fma_f64 v[43:44], v[67:68], v[47:48], v[43:44]
	s_waitcnt vmcnt(4)
	v_fma_f64 v[46:47], v[51:52], v[49:50], v[43:44]
	ds_read_b128 v[42:45], v42 offset:304
	s_waitcnt vmcnt(3) lgkmcnt(0)
	v_fma_f64 v[42:43], v[73:74], v[42:43], v[46:47]
	s_waitcnt vmcnt(2)
	v_fma_f64 v[42:43], v[53:54], v[44:45], v[42:43]
	s_waitcnt vmcnt(0)
	v_add_f64 v[42:43], v[57:58], -v[42:43]
	buffer_store_dword v43, off, s[0:3], 0 offset:44
	buffer_store_dword v42, off, s[0:3], 0 offset:40
	s_and_saveexec_b64 s[4:5], vcc
	s_cbranch_execz .LBB83_119
; %bb.118:
	buffer_load_dword v42, off, s[0:3], 0 offset:32
	buffer_load_dword v43, off, s[0:3], 0 offset:36
	v_mov_b32_e32 v44, 0
	buffer_store_dword v44, off, s[0:3], 0 offset:32
	buffer_store_dword v44, off, s[0:3], 0 offset:36
	s_waitcnt vmcnt(2)
	ds_write_b64 v41, v[42:43]
.LBB83_119:
	s_or_b64 exec, exec, s[4:5]
	s_waitcnt lgkmcnt(0)
	; wave barrier
	buffer_load_dword v51, off, s[0:3], 0 offset:40
	buffer_load_dword v52, off, s[0:3], 0 offset:44
	;; [unrolled: 1-line block ×22, first 2 shown]
	v_mov_b32_e32 v42, 0
	ds_read2_b64 v[43:46], v42 offset0:25 offset1:26
	ds_read2_b64 v[47:50], v42 offset0:27 offset1:28
	v_cmp_lt_u32_e32 vcc, 3, v0
	s_waitcnt vmcnt(20) lgkmcnt(1)
	v_fma_f64 v[43:44], v[51:52], v[43:44], 0
	s_waitcnt vmcnt(18)
	v_fma_f64 v[43:44], v[53:54], v[45:46], v[43:44]
	buffer_load_dword v52, off, s[0:3], 0 offset:132
	buffer_load_dword v53, off, s[0:3], 0 offset:152
	;; [unrolled: 1-line block ×8, first 2 shown]
	s_waitcnt vmcnt(24) lgkmcnt(0)
	v_fma_f64 v[43:44], v[55:56], v[47:48], v[43:44]
	s_waitcnt vmcnt(22)
	v_fma_f64 v[55:56], v[57:58], v[49:50], v[43:44]
	ds_read2_b64 v[43:46], v42 offset0:29 offset1:30
	ds_read2_b64 v[47:50], v42 offset0:31 offset1:32
	s_waitcnt vmcnt(20) lgkmcnt(1)
	v_fma_f64 v[43:44], v[59:60], v[43:44], v[55:56]
	buffer_load_dword v55, off, s[0:3], 0 offset:32
	buffer_load_dword v56, off, s[0:3], 0 offset:36
	s_waitcnt vmcnt(20)
	v_fma_f64 v[43:44], v[61:62], v[45:46], v[43:44]
	s_waitcnt vmcnt(18) lgkmcnt(0)
	v_fma_f64 v[43:44], v[63:64], v[47:48], v[43:44]
	s_waitcnt vmcnt(13)
	v_fma_f64 v[57:58], v[65:66], v[49:50], v[43:44]
	ds_read2_b64 v[43:46], v42 offset0:33 offset1:34
	ds_read2_b64 v[47:50], v42 offset0:35 offset1:36
	s_waitcnt vmcnt(12) lgkmcnt(1)
	v_fma_f64 v[43:44], v[71:72], v[43:44], v[57:58]
	s_waitcnt vmcnt(11)
	v_fma_f64 v[43:44], v[69:70], v[45:46], v[43:44]
	s_waitcnt vmcnt(10) lgkmcnt(0)
	v_fma_f64 v[43:44], v[67:68], v[47:48], v[43:44]
	s_waitcnt vmcnt(5)
	v_fma_f64 v[47:48], v[51:52], v[49:50], v[43:44]
	ds_read2_b64 v[43:46], v42 offset0:37 offset1:38
	ds_read_b64 v[49:50], v42 offset:312
	s_waitcnt vmcnt(4) lgkmcnt(1)
	v_fma_f64 v[43:44], v[75:76], v[43:44], v[47:48]
	s_waitcnt vmcnt(3)
	v_fma_f64 v[43:44], v[73:74], v[45:46], v[43:44]
	s_waitcnt vmcnt(2) lgkmcnt(0)
	v_fma_f64 v[43:44], v[53:54], v[49:50], v[43:44]
	s_waitcnt vmcnt(0)
	v_add_f64 v[43:44], v[55:56], -v[43:44]
	buffer_store_dword v44, off, s[0:3], 0 offset:36
	buffer_store_dword v43, off, s[0:3], 0 offset:32
	s_and_saveexec_b64 s[4:5], vcc
	s_cbranch_execz .LBB83_121
; %bb.120:
	buffer_load_dword v43, off, s[0:3], 0 offset:24
	buffer_load_dword v44, off, s[0:3], 0 offset:28
	s_waitcnt vmcnt(0)
	ds_write_b64 v41, v[43:44]
	buffer_store_dword v42, off, s[0:3], 0 offset:24
	buffer_store_dword v42, off, s[0:3], 0 offset:28
.LBB83_121:
	s_or_b64 exec, exec, s[4:5]
	s_waitcnt lgkmcnt(0)
	; wave barrier
	buffer_load_dword v51, off, s[0:3], 0 offset:32
	buffer_load_dword v52, off, s[0:3], 0 offset:36
	;; [unrolled: 1-line block ×22, first 2 shown]
	ds_read_b128 v[43:46], v42 offset:192
	ds_read_b128 v[47:50], v42 offset:208
	v_cmp_lt_u32_e32 vcc, 2, v0
	s_waitcnt vmcnt(20) lgkmcnt(1)
	v_fma_f64 v[43:44], v[51:52], v[43:44], 0
	s_waitcnt vmcnt(18)
	v_fma_f64 v[43:44], v[53:54], v[45:46], v[43:44]
	buffer_load_dword v52, off, s[0:3], 0 offset:124
	buffer_load_dword v53, off, s[0:3], 0 offset:144
	;; [unrolled: 1-line block ×8, first 2 shown]
	s_waitcnt vmcnt(24) lgkmcnt(0)
	v_fma_f64 v[43:44], v[55:56], v[47:48], v[43:44]
	s_waitcnt vmcnt(22)
	v_fma_f64 v[55:56], v[57:58], v[49:50], v[43:44]
	ds_read_b128 v[43:46], v42 offset:224
	ds_read_b128 v[47:50], v42 offset:240
	s_waitcnt vmcnt(20) lgkmcnt(1)
	v_fma_f64 v[43:44], v[59:60], v[43:44], v[55:56]
	buffer_load_dword v56, off, s[0:3], 0 offset:156
	buffer_load_dword v55, off, s[0:3], 0 offset:152
	;; [unrolled: 1-line block ×4, first 2 shown]
	s_waitcnt vmcnt(22)
	v_fma_f64 v[43:44], v[61:62], v[45:46], v[43:44]
	s_waitcnt vmcnt(20) lgkmcnt(0)
	v_fma_f64 v[43:44], v[63:64], v[47:48], v[43:44]
	s_waitcnt vmcnt(15)
	v_fma_f64 v[59:60], v[65:66], v[49:50], v[43:44]
	ds_read_b128 v[43:46], v42 offset:256
	ds_read_b128 v[47:50], v42 offset:272
	s_waitcnt vmcnt(14) lgkmcnt(1)
	v_fma_f64 v[43:44], v[71:72], v[43:44], v[59:60]
	s_waitcnt vmcnt(13)
	v_fma_f64 v[43:44], v[69:70], v[45:46], v[43:44]
	s_waitcnt vmcnt(12) lgkmcnt(0)
	v_fma_f64 v[43:44], v[67:68], v[47:48], v[43:44]
	s_waitcnt vmcnt(7)
	v_fma_f64 v[51:52], v[51:52], v[49:50], v[43:44]
	ds_read_b128 v[43:46], v42 offset:288
	ds_read_b128 v[47:50], v42 offset:304
	s_waitcnt vmcnt(6) lgkmcnt(1)
	v_fma_f64 v[42:43], v[75:76], v[43:44], v[51:52]
	s_waitcnt vmcnt(5)
	v_fma_f64 v[42:43], v[73:74], v[45:46], v[42:43]
	s_waitcnt vmcnt(4) lgkmcnt(0)
	v_fma_f64 v[42:43], v[53:54], v[47:48], v[42:43]
	s_waitcnt vmcnt(2)
	v_fma_f64 v[42:43], v[55:56], v[49:50], v[42:43]
	s_waitcnt vmcnt(0)
	v_add_f64 v[42:43], v[57:58], -v[42:43]
	buffer_store_dword v43, off, s[0:3], 0 offset:28
	buffer_store_dword v42, off, s[0:3], 0 offset:24
	s_and_saveexec_b64 s[4:5], vcc
	s_cbranch_execz .LBB83_123
; %bb.122:
	buffer_load_dword v42, off, s[0:3], 0 offset:16
	buffer_load_dword v43, off, s[0:3], 0 offset:20
	v_mov_b32_e32 v44, 0
	buffer_store_dword v44, off, s[0:3], 0 offset:16
	buffer_store_dword v44, off, s[0:3], 0 offset:20
	s_waitcnt vmcnt(2)
	ds_write_b64 v41, v[42:43]
.LBB83_123:
	s_or_b64 exec, exec, s[4:5]
	s_waitcnt lgkmcnt(0)
	; wave barrier
	buffer_load_dword v51, off, s[0:3], 0 offset:24
	buffer_load_dword v52, off, s[0:3], 0 offset:28
	;; [unrolled: 1-line block ×22, first 2 shown]
	v_mov_b32_e32 v42, 0
	ds_read2_b64 v[43:46], v42 offset0:23 offset1:24
	ds_read2_b64 v[47:50], v42 offset0:25 offset1:26
	v_cmp_lt_u32_e32 vcc, 1, v0
	s_waitcnt vmcnt(20) lgkmcnt(1)
	v_fma_f64 v[43:44], v[51:52], v[43:44], 0
	s_waitcnt vmcnt(18)
	v_fma_f64 v[43:44], v[53:54], v[45:46], v[43:44]
	buffer_load_dword v52, off, s[0:3], 0 offset:116
	buffer_load_dword v53, off, s[0:3], 0 offset:136
	;; [unrolled: 1-line block ×7, first 2 shown]
	s_waitcnt vmcnt(23) lgkmcnt(0)
	v_fma_f64 v[43:44], v[55:56], v[47:48], v[43:44]
	s_waitcnt vmcnt(21)
	v_fma_f64 v[54:55], v[57:58], v[49:50], v[43:44]
	ds_read2_b64 v[43:46], v42 offset0:27 offset1:28
	ds_read2_b64 v[47:50], v42 offset0:29 offset1:30
	s_waitcnt vmcnt(19) lgkmcnt(1)
	v_fma_f64 v[43:44], v[59:60], v[43:44], v[54:55]
	buffer_load_dword v54, off, s[0:3], 0 offset:140
	buffer_load_dword v56, off, s[0:3], 0 offset:148
	;; [unrolled: 1-line block ×7, first 2 shown]
	s_waitcnt vmcnt(24)
	v_fma_f64 v[43:44], v[61:62], v[45:46], v[43:44]
	s_waitcnt vmcnt(22) lgkmcnt(0)
	v_fma_f64 v[43:44], v[63:64], v[47:48], v[43:44]
	s_waitcnt vmcnt(17)
	v_fma_f64 v[61:62], v[65:66], v[49:50], v[43:44]
	ds_read2_b64 v[43:46], v42 offset0:31 offset1:32
	ds_read2_b64 v[47:50], v42 offset0:33 offset1:34
	s_waitcnt vmcnt(16) lgkmcnt(1)
	v_fma_f64 v[43:44], v[71:72], v[43:44], v[61:62]
	s_waitcnt vmcnt(15)
	v_fma_f64 v[43:44], v[69:70], v[45:46], v[43:44]
	s_waitcnt vmcnt(14) lgkmcnt(0)
	v_fma_f64 v[43:44], v[67:68], v[47:48], v[43:44]
	s_waitcnt vmcnt(9)
	v_fma_f64 v[51:52], v[51:52], v[49:50], v[43:44]
	ds_read2_b64 v[43:46], v42 offset0:35 offset1:36
	ds_read2_b64 v[47:50], v42 offset0:37 offset1:38
	s_waitcnt vmcnt(8) lgkmcnt(1)
	v_fma_f64 v[43:44], v[75:76], v[43:44], v[51:52]
	s_waitcnt vmcnt(7)
	v_fma_f64 v[43:44], v[73:74], v[45:46], v[43:44]
	ds_read_b64 v[45:46], v42 offset:312
	s_waitcnt vmcnt(6) lgkmcnt(1)
	v_fma_f64 v[43:44], v[53:54], v[47:48], v[43:44]
	s_waitcnt vmcnt(3)
	v_fma_f64 v[43:44], v[55:56], v[49:50], v[43:44]
	s_waitcnt vmcnt(2) lgkmcnt(0)
	v_fma_f64 v[43:44], v[57:58], v[45:46], v[43:44]
	s_waitcnt vmcnt(0)
	v_add_f64 v[43:44], v[59:60], -v[43:44]
	buffer_store_dword v44, off, s[0:3], 0 offset:20
	buffer_store_dword v43, off, s[0:3], 0 offset:16
	s_and_saveexec_b64 s[4:5], vcc
	s_cbranch_execz .LBB83_125
; %bb.124:
	buffer_load_dword v43, off, s[0:3], 0 offset:8
	buffer_load_dword v44, off, s[0:3], 0 offset:12
	s_waitcnt vmcnt(0)
	ds_write_b64 v41, v[43:44]
	buffer_store_dword v42, off, s[0:3], 0 offset:8
	buffer_store_dword v42, off, s[0:3], 0 offset:12
.LBB83_125:
	s_or_b64 exec, exec, s[4:5]
	s_waitcnt lgkmcnt(0)
	; wave barrier
	buffer_load_dword v51, off, s[0:3], 0 offset:16
	buffer_load_dword v52, off, s[0:3], 0 offset:20
	;; [unrolled: 1-line block ×22, first 2 shown]
	ds_read_b128 v[43:46], v42 offset:176
	ds_read_b128 v[47:50], v42 offset:192
	v_cmp_ne_u32_e32 vcc, 0, v0
	s_waitcnt vmcnt(20) lgkmcnt(1)
	v_fma_f64 v[43:44], v[51:52], v[43:44], 0
	s_waitcnt vmcnt(18)
	v_fma_f64 v[43:44], v[53:54], v[45:46], v[43:44]
	buffer_load_dword v52, off, s[0:3], 0 offset:108
	buffer_load_dword v53, off, s[0:3], 0 offset:128
	;; [unrolled: 1-line block ×7, first 2 shown]
	s_waitcnt vmcnt(23) lgkmcnt(0)
	v_fma_f64 v[43:44], v[55:56], v[47:48], v[43:44]
	s_waitcnt vmcnt(21)
	v_fma_f64 v[54:55], v[57:58], v[49:50], v[43:44]
	ds_read_b128 v[43:46], v42 offset:208
	ds_read_b128 v[47:50], v42 offset:224
	s_waitcnt vmcnt(19) lgkmcnt(1)
	v_fma_f64 v[43:44], v[59:60], v[43:44], v[54:55]
	buffer_load_dword v54, off, s[0:3], 0 offset:132
	buffer_load_dword v56, off, s[0:3], 0 offset:140
	;; [unrolled: 1-line block ×7, first 2 shown]
	s_waitcnt vmcnt(24)
	v_fma_f64 v[43:44], v[61:62], v[45:46], v[43:44]
	s_waitcnt vmcnt(22) lgkmcnt(0)
	v_fma_f64 v[43:44], v[63:64], v[47:48], v[43:44]
	s_waitcnt vmcnt(17)
	v_fma_f64 v[61:62], v[65:66], v[49:50], v[43:44]
	ds_read_b128 v[43:46], v42 offset:240
	buffer_load_dword v63, off, s[0:3], 0 offset:8
	buffer_load_dword v64, off, s[0:3], 0 offset:12
	ds_read_b128 v[47:50], v42 offset:256
	s_waitcnt vmcnt(18) lgkmcnt(1)
	v_fma_f64 v[43:44], v[71:72], v[43:44], v[61:62]
	s_waitcnt vmcnt(17)
	v_fma_f64 v[43:44], v[69:70], v[45:46], v[43:44]
	s_waitcnt vmcnt(16) lgkmcnt(0)
	v_fma_f64 v[43:44], v[67:68], v[47:48], v[43:44]
	s_waitcnt vmcnt(11)
	v_fma_f64 v[51:52], v[51:52], v[49:50], v[43:44]
	ds_read_b128 v[43:46], v42 offset:272
	ds_read_b128 v[47:50], v42 offset:288
	s_waitcnt vmcnt(10) lgkmcnt(1)
	v_fma_f64 v[43:44], v[75:76], v[43:44], v[51:52]
	s_waitcnt vmcnt(9)
	v_fma_f64 v[43:44], v[73:74], v[45:46], v[43:44]
	s_waitcnt vmcnt(8) lgkmcnt(0)
	v_fma_f64 v[43:44], v[53:54], v[47:48], v[43:44]
	s_waitcnt vmcnt(4)
	v_fma_f64 v[46:47], v[55:56], v[49:50], v[43:44]
	ds_read_b128 v[42:45], v42 offset:304
	s_waitcnt vmcnt(3) lgkmcnt(0)
	v_fma_f64 v[42:43], v[59:60], v[42:43], v[46:47]
	s_waitcnt vmcnt(2)
	v_fma_f64 v[42:43], v[57:58], v[44:45], v[42:43]
	s_waitcnt vmcnt(0)
	v_add_f64 v[42:43], v[63:64], -v[42:43]
	buffer_store_dword v43, off, s[0:3], 0 offset:12
	buffer_store_dword v42, off, s[0:3], 0 offset:8
	s_and_saveexec_b64 s[4:5], vcc
	s_cbranch_execz .LBB83_127
; %bb.126:
	buffer_load_dword v42, off, s[0:3], 0
	buffer_load_dword v43, off, s[0:3], 0 offset:4
	v_mov_b32_e32 v0, 0
	buffer_store_dword v0, off, s[0:3], 0
	buffer_store_dword v0, off, s[0:3], 0 offset:4
	s_waitcnt vmcnt(2)
	ds_write_b64 v41, v[42:43]
.LBB83_127:
	s_or_b64 exec, exec, s[4:5]
	s_waitcnt lgkmcnt(0)
	; wave barrier
	buffer_load_dword v49, off, s[0:3], 0 offset:8
	buffer_load_dword v50, off, s[0:3], 0 offset:12
	;; [unrolled: 1-line block ×22, first 2 shown]
	v_mov_b32_e32 v0, 0
	ds_read2_b64 v[41:44], v0 offset0:21 offset1:22
	ds_read2_b64 v[45:48], v0 offset0:23 offset1:24
	s_and_b64 vcc, exec, s[14:15]
	s_waitcnt vmcnt(20) lgkmcnt(1)
	v_fma_f64 v[41:42], v[49:50], v[41:42], 0
	s_waitcnt vmcnt(18)
	v_fma_f64 v[41:42], v[51:52], v[43:44], v[41:42]
	buffer_load_dword v52, off, s[0:3], 0 offset:100
	buffer_load_dword v71, off, s[0:3], 0 offset:120
	;; [unrolled: 1-line block ×8, first 2 shown]
	s_waitcnt vmcnt(24) lgkmcnt(0)
	v_fma_f64 v[41:42], v[53:54], v[45:46], v[41:42]
	s_waitcnt vmcnt(22)
	v_fma_f64 v[49:50], v[55:56], v[47:48], v[41:42]
	ds_read2_b64 v[41:44], v0 offset0:25 offset1:26
	ds_read2_b64 v[45:48], v0 offset0:27 offset1:28
	s_waitcnt vmcnt(20) lgkmcnt(1)
	v_fma_f64 v[41:42], v[57:58], v[41:42], v[49:50]
	s_waitcnt vmcnt(18)
	v_fma_f64 v[42:43], v[59:60], v[43:44], v[41:42]
	buffer_load_dword v54, off, s[0:3], 0 offset:132
	buffer_load_dword v55, off, s[0:3], 0 offset:152
	;; [unrolled: 1-line block ×5, first 2 shown]
	s_waitcnt vmcnt(21) lgkmcnt(0)
	v_fma_f64 v[43:44], v[61:62], v[45:46], v[42:43]
	buffer_load_dword v58, off, s[0:3], 0 offset:140
	buffer_load_dword v42, off, s[0:3], 0 offset:148
	;; [unrolled: 1-line block ×3, first 2 shown]
	s_waitcnt vmcnt(19)
	v_fma_f64 v[59:60], v[63:64], v[47:48], v[43:44]
	ds_read2_b64 v[43:46], v0 offset0:29 offset1:30
	ds_read2_b64 v[47:50], v0 offset0:31 offset1:32
	s_waitcnt vmcnt(18) lgkmcnt(1)
	v_fma_f64 v[43:44], v[69:70], v[43:44], v[59:60]
	buffer_load_dword v59, off, s[0:3], 0
	buffer_load_dword v60, off, s[0:3], 0 offset:4
	s_waitcnt vmcnt(19)
	v_fma_f64 v[43:44], v[67:68], v[45:46], v[43:44]
	s_waitcnt vmcnt(18) lgkmcnt(0)
	v_fma_f64 v[43:44], v[65:66], v[47:48], v[43:44]
	s_waitcnt vmcnt(13)
	v_fma_f64 v[51:52], v[51:52], v[49:50], v[43:44]
	ds_read2_b64 v[43:46], v0 offset0:33 offset1:34
	ds_read2_b64 v[47:50], v0 offset0:35 offset1:36
	s_waitcnt vmcnt(12) lgkmcnt(1)
	v_fma_f64 v[43:44], v[75:76], v[43:44], v[51:52]
	s_waitcnt vmcnt(11)
	v_fma_f64 v[43:44], v[73:74], v[45:46], v[43:44]
	s_waitcnt vmcnt(10) lgkmcnt(0)
	v_fma_f64 v[43:44], v[71:72], v[47:48], v[43:44]
	s_waitcnt vmcnt(5)
	v_fma_f64 v[47:48], v[53:54], v[49:50], v[43:44]
	ds_read2_b64 v[43:46], v0 offset0:37 offset1:38
	ds_read_b64 v[49:50], v0 offset:312
	s_waitcnt vmcnt(4) lgkmcnt(1)
	v_fma_f64 v[43:44], v[57:58], v[43:44], v[47:48]
	s_waitcnt vmcnt(3)
	v_fma_f64 v[43:44], v[41:42], v[45:46], v[43:44]
	s_waitcnt vmcnt(2) lgkmcnt(0)
	v_fma_f64 v[43:44], v[55:56], v[49:50], v[43:44]
	s_waitcnt vmcnt(0)
	v_add_f64 v[43:44], v[59:60], -v[43:44]
	buffer_store_dword v44, off, s[0:3], 0 offset:4
	buffer_store_dword v43, off, s[0:3], 0
	s_cbranch_vccz .LBB83_166
; %bb.128:
	global_load_dword v0, v0, s[12:13] offset:72
	s_waitcnt vmcnt(0)
	v_add_u32_e32 v0, -1, v0
	v_cmp_ne_u32_e32 vcc, 18, v0
	s_cbranch_vccz .LBB83_130
; %bb.129:
	v_lshlrev_b32_e32 v0, 3, v0
	buffer_load_dword v43, v0, s[0:3], 0 offen offset:4
	buffer_load_dword v44, v0, s[0:3], 0 offen
	s_waitcnt vmcnt(1)
	buffer_store_dword v43, off, s[0:3], 0 offset:148
	s_waitcnt vmcnt(1)
	buffer_store_dword v44, off, s[0:3], 0 offset:144
	buffer_store_dword v42, v0, s[0:3], 0 offen offset:4
	buffer_store_dword v41, v0, s[0:3], 0 offen
.LBB83_130:
	v_mov_b32_e32 v0, 0
	global_load_dword v41, v0, s[12:13] offset:68
	s_waitcnt vmcnt(0)
	v_add_u32_e32 v41, -1, v41
	v_cmp_eq_u32_e32 vcc, 17, v41
	s_cbranch_vccnz .LBB83_132
; %bb.131:
	v_lshlrev_b32_e32 v41, 3, v41
	buffer_load_dword v42, v41, s[0:3], 0 offen
	buffer_load_dword v43, v41, s[0:3], 0 offen offset:4
	buffer_load_dword v44, off, s[0:3], 0 offset:136
	buffer_load_dword v45, off, s[0:3], 0 offset:140
	s_waitcnt vmcnt(3)
	buffer_store_dword v42, off, s[0:3], 0 offset:136
	s_waitcnt vmcnt(3)
	buffer_store_dword v43, off, s[0:3], 0 offset:140
	s_waitcnt vmcnt(3)
	buffer_store_dword v44, v41, s[0:3], 0 offen
	s_waitcnt vmcnt(3)
	buffer_store_dword v45, v41, s[0:3], 0 offen offset:4
.LBB83_132:
	global_load_dword v0, v0, s[12:13] offset:64
	s_waitcnt vmcnt(0)
	v_add_u32_e32 v0, -1, v0
	v_cmp_eq_u32_e32 vcc, 16, v0
	s_cbranch_vccnz .LBB83_134
; %bb.133:
	v_lshlrev_b32_e32 v0, 3, v0
	buffer_load_dword v41, v0, s[0:3], 0 offen
	buffer_load_dword v42, v0, s[0:3], 0 offen offset:4
	buffer_load_dword v43, off, s[0:3], 0 offset:132
	buffer_load_dword v44, off, s[0:3], 0 offset:128
	s_waitcnt vmcnt(3)
	buffer_store_dword v41, off, s[0:3], 0 offset:128
	s_waitcnt vmcnt(3)
	buffer_store_dword v42, off, s[0:3], 0 offset:132
	s_waitcnt vmcnt(3)
	buffer_store_dword v43, v0, s[0:3], 0 offen offset:4
	s_waitcnt vmcnt(3)
	buffer_store_dword v44, v0, s[0:3], 0 offen
.LBB83_134:
	v_mov_b32_e32 v0, 0
	global_load_dword v41, v0, s[12:13] offset:60
	s_waitcnt vmcnt(0)
	v_add_u32_e32 v41, -1, v41
	v_cmp_eq_u32_e32 vcc, 15, v41
	s_cbranch_vccnz .LBB83_136
; %bb.135:
	v_lshlrev_b32_e32 v41, 3, v41
	buffer_load_dword v42, v41, s[0:3], 0 offen
	buffer_load_dword v43, v41, s[0:3], 0 offen offset:4
	buffer_load_dword v44, off, s[0:3], 0 offset:120
	buffer_load_dword v45, off, s[0:3], 0 offset:124
	s_waitcnt vmcnt(3)
	buffer_store_dword v42, off, s[0:3], 0 offset:120
	s_waitcnt vmcnt(3)
	buffer_store_dword v43, off, s[0:3], 0 offset:124
	s_waitcnt vmcnt(3)
	buffer_store_dword v44, v41, s[0:3], 0 offen
	s_waitcnt vmcnt(3)
	buffer_store_dword v45, v41, s[0:3], 0 offen offset:4
.LBB83_136:
	global_load_dword v0, v0, s[12:13] offset:56
	s_waitcnt vmcnt(0)
	v_add_u32_e32 v0, -1, v0
	v_cmp_eq_u32_e32 vcc, 14, v0
	s_cbranch_vccnz .LBB83_138
; %bb.137:
	v_lshlrev_b32_e32 v0, 3, v0
	buffer_load_dword v41, v0, s[0:3], 0 offen
	buffer_load_dword v42, v0, s[0:3], 0 offen offset:4
	buffer_load_dword v43, off, s[0:3], 0 offset:116
	buffer_load_dword v44, off, s[0:3], 0 offset:112
	s_waitcnt vmcnt(3)
	buffer_store_dword v41, off, s[0:3], 0 offset:112
	s_waitcnt vmcnt(3)
	buffer_store_dword v42, off, s[0:3], 0 offset:116
	s_waitcnt vmcnt(3)
	buffer_store_dword v43, v0, s[0:3], 0 offen offset:4
	s_waitcnt vmcnt(3)
	buffer_store_dword v44, v0, s[0:3], 0 offen
.LBB83_138:
	;; [unrolled: 41-line block ×8, first 2 shown]
	v_mov_b32_e32 v0, 0
	global_load_dword v41, v0, s[12:13] offset:4
	s_waitcnt vmcnt(0)
	v_add_u32_e32 v41, -1, v41
	v_cmp_eq_u32_e32 vcc, 1, v41
	s_cbranch_vccnz .LBB83_164
; %bb.163:
	v_lshlrev_b32_e32 v41, 3, v41
	buffer_load_dword v42, v41, s[0:3], 0 offen
	buffer_load_dword v43, v41, s[0:3], 0 offen offset:4
	buffer_load_dword v44, off, s[0:3], 0 offset:8
	buffer_load_dword v45, off, s[0:3], 0 offset:12
	s_waitcnt vmcnt(3)
	buffer_store_dword v42, off, s[0:3], 0 offset:8
	s_waitcnt vmcnt(3)
	buffer_store_dword v43, off, s[0:3], 0 offset:12
	s_waitcnt vmcnt(3)
	buffer_store_dword v44, v41, s[0:3], 0 offen
	s_waitcnt vmcnt(3)
	buffer_store_dword v45, v41, s[0:3], 0 offen offset:4
.LBB83_164:
	global_load_dword v0, v0, s[12:13]
	s_nop 0
	buffer_load_dword v43, off, s[0:3], 0
	buffer_load_dword v44, off, s[0:3], 0 offset:4
	s_waitcnt vmcnt(2)
	v_add_u32_e32 v0, -1, v0
	v_cmp_eq_u32_e32 vcc, 0, v0
	s_cbranch_vccnz .LBB83_166
; %bb.165:
	v_lshlrev_b32_e32 v0, 3, v0
	buffer_load_dword v41, v0, s[0:3], 0 offen offset:4
	buffer_load_dword v42, v0, s[0:3], 0 offen
	s_waitcnt vmcnt(1)
	buffer_store_dword v41, off, s[0:3], 0 offset:4
	s_waitcnt vmcnt(1)
	buffer_store_dword v42, off, s[0:3], 0
	buffer_store_dword v44, v0, s[0:3], 0 offen offset:4
	buffer_store_dword v43, v0, s[0:3], 0 offen
	buffer_load_dword v43, off, s[0:3], 0
	s_nop 0
	buffer_load_dword v44, off, s[0:3], 0 offset:4
.LBB83_166:
	s_waitcnt vmcnt(0)
	flat_store_dwordx2 v[1:2], v[43:44]
	buffer_load_dword v0, off, s[0:3], 0 offset:8
	s_nop 0
	buffer_load_dword v1, off, s[0:3], 0 offset:12
	s_waitcnt vmcnt(0)
	flat_store_dwordx2 v[3:4], v[0:1]
	buffer_load_dword v0, off, s[0:3], 0 offset:16
	s_nop 0
	buffer_load_dword v1, off, s[0:3], 0 offset:20
	;; [unrolled: 5-line block ×19, first 2 shown]
	s_waitcnt vmcnt(0)
	flat_store_dwordx2 v[39:40], v[0:1]
	s_endpgm
	.section	.rodata,"a",@progbits
	.p2align	6, 0x0
	.amdhsa_kernel _ZN9rocsolver6v33100L18getri_kernel_smallILi20EdPKPdEEvT1_iilPiilS6_bb
		.amdhsa_group_segment_fixed_size 328
		.amdhsa_private_segment_fixed_size 176
		.amdhsa_kernarg_size 60
		.amdhsa_user_sgpr_count 6
		.amdhsa_user_sgpr_private_segment_buffer 1
		.amdhsa_user_sgpr_dispatch_ptr 0
		.amdhsa_user_sgpr_queue_ptr 0
		.amdhsa_user_sgpr_kernarg_segment_ptr 1
		.amdhsa_user_sgpr_dispatch_id 0
		.amdhsa_user_sgpr_flat_scratch_init 0
		.amdhsa_user_sgpr_private_segment_size 0
		.amdhsa_uses_dynamic_stack 0
		.amdhsa_system_sgpr_private_segment_wavefront_offset 1
		.amdhsa_system_sgpr_workgroup_id_x 1
		.amdhsa_system_sgpr_workgroup_id_y 0
		.amdhsa_system_sgpr_workgroup_id_z 0
		.amdhsa_system_sgpr_workgroup_info 0
		.amdhsa_system_vgpr_workitem_id 0
		.amdhsa_next_free_vgpr 77
		.amdhsa_next_free_sgpr 21
		.amdhsa_reserve_vcc 1
		.amdhsa_reserve_flat_scratch 0
		.amdhsa_float_round_mode_32 0
		.amdhsa_float_round_mode_16_64 0
		.amdhsa_float_denorm_mode_32 3
		.amdhsa_float_denorm_mode_16_64 3
		.amdhsa_dx10_clamp 1
		.amdhsa_ieee_mode 1
		.amdhsa_fp16_overflow 0
		.amdhsa_exception_fp_ieee_invalid_op 0
		.amdhsa_exception_fp_denorm_src 0
		.amdhsa_exception_fp_ieee_div_zero 0
		.amdhsa_exception_fp_ieee_overflow 0
		.amdhsa_exception_fp_ieee_underflow 0
		.amdhsa_exception_fp_ieee_inexact 0
		.amdhsa_exception_int_div_zero 0
	.end_amdhsa_kernel
	.section	.text._ZN9rocsolver6v33100L18getri_kernel_smallILi20EdPKPdEEvT1_iilPiilS6_bb,"axG",@progbits,_ZN9rocsolver6v33100L18getri_kernel_smallILi20EdPKPdEEvT1_iilPiilS6_bb,comdat
.Lfunc_end83:
	.size	_ZN9rocsolver6v33100L18getri_kernel_smallILi20EdPKPdEEvT1_iilPiilS6_bb, .Lfunc_end83-_ZN9rocsolver6v33100L18getri_kernel_smallILi20EdPKPdEEvT1_iilPiilS6_bb
                                        ; -- End function
	.set _ZN9rocsolver6v33100L18getri_kernel_smallILi20EdPKPdEEvT1_iilPiilS6_bb.num_vgpr, 77
	.set _ZN9rocsolver6v33100L18getri_kernel_smallILi20EdPKPdEEvT1_iilPiilS6_bb.num_agpr, 0
	.set _ZN9rocsolver6v33100L18getri_kernel_smallILi20EdPKPdEEvT1_iilPiilS6_bb.numbered_sgpr, 21
	.set _ZN9rocsolver6v33100L18getri_kernel_smallILi20EdPKPdEEvT1_iilPiilS6_bb.num_named_barrier, 0
	.set _ZN9rocsolver6v33100L18getri_kernel_smallILi20EdPKPdEEvT1_iilPiilS6_bb.private_seg_size, 176
	.set _ZN9rocsolver6v33100L18getri_kernel_smallILi20EdPKPdEEvT1_iilPiilS6_bb.uses_vcc, 1
	.set _ZN9rocsolver6v33100L18getri_kernel_smallILi20EdPKPdEEvT1_iilPiilS6_bb.uses_flat_scratch, 0
	.set _ZN9rocsolver6v33100L18getri_kernel_smallILi20EdPKPdEEvT1_iilPiilS6_bb.has_dyn_sized_stack, 0
	.set _ZN9rocsolver6v33100L18getri_kernel_smallILi20EdPKPdEEvT1_iilPiilS6_bb.has_recursion, 0
	.set _ZN9rocsolver6v33100L18getri_kernel_smallILi20EdPKPdEEvT1_iilPiilS6_bb.has_indirect_call, 0
	.section	.AMDGPU.csdata,"",@progbits
; Kernel info:
; codeLenInByte = 16148
; TotalNumSgprs: 25
; NumVgprs: 77
; ScratchSize: 176
; MemoryBound: 0
; FloatMode: 240
; IeeeMode: 1
; LDSByteSize: 328 bytes/workgroup (compile time only)
; SGPRBlocks: 3
; VGPRBlocks: 19
; NumSGPRsForWavesPerEU: 25
; NumVGPRsForWavesPerEU: 77
; Occupancy: 3
; WaveLimiterHint : 1
; COMPUTE_PGM_RSRC2:SCRATCH_EN: 1
; COMPUTE_PGM_RSRC2:USER_SGPR: 6
; COMPUTE_PGM_RSRC2:TRAP_HANDLER: 0
; COMPUTE_PGM_RSRC2:TGID_X_EN: 1
; COMPUTE_PGM_RSRC2:TGID_Y_EN: 0
; COMPUTE_PGM_RSRC2:TGID_Z_EN: 0
; COMPUTE_PGM_RSRC2:TIDIG_COMP_CNT: 0
	.section	.text._ZN9rocsolver6v33100L18getri_kernel_smallILi21EdPKPdEEvT1_iilPiilS6_bb,"axG",@progbits,_ZN9rocsolver6v33100L18getri_kernel_smallILi21EdPKPdEEvT1_iilPiilS6_bb,comdat
	.globl	_ZN9rocsolver6v33100L18getri_kernel_smallILi21EdPKPdEEvT1_iilPiilS6_bb ; -- Begin function _ZN9rocsolver6v33100L18getri_kernel_smallILi21EdPKPdEEvT1_iilPiilS6_bb
	.p2align	8
	.type	_ZN9rocsolver6v33100L18getri_kernel_smallILi21EdPKPdEEvT1_iilPiilS6_bb,@function
_ZN9rocsolver6v33100L18getri_kernel_smallILi21EdPKPdEEvT1_iilPiilS6_bb: ; @_ZN9rocsolver6v33100L18getri_kernel_smallILi21EdPKPdEEvT1_iilPiilS6_bb
; %bb.0:
	s_add_u32 s0, s0, s7
	s_addc_u32 s1, s1, 0
	v_cmp_gt_u32_e32 vcc, 21, v0
	s_and_saveexec_b64 s[8:9], vcc
	s_cbranch_execz .LBB84_92
; %bb.1:
	s_load_dword s18, s[4:5], 0x38
	s_load_dwordx2 s[12:13], s[4:5], 0x0
	s_load_dwordx4 s[8:11], s[4:5], 0x28
	s_waitcnt lgkmcnt(0)
	s_bitcmp1_b32 s18, 8
	s_cselect_b64 s[14:15], -1, 0
	s_ashr_i32 s7, s6, 31
	s_lshl_b64 s[16:17], s[6:7], 3
	s_add_u32 s12, s12, s16
	s_addc_u32 s13, s13, s17
	s_load_dwordx2 s[16:17], s[12:13], 0x0
	s_bfe_u32 s12, s18, 0x10008
	s_cmp_eq_u32 s12, 0
                                        ; implicit-def: $sgpr12_sgpr13
	s_cbranch_scc1 .LBB84_3
; %bb.2:
	s_load_dword s12, s[4:5], 0x20
	s_load_dwordx2 s[18:19], s[4:5], 0x18
	s_mul_i32 s13, s8, s7
	s_mul_hi_u32 s20, s8, s6
	s_add_i32 s20, s20, s13
	s_mul_i32 s9, s9, s6
	s_add_i32 s9, s20, s9
	s_mul_i32 s8, s8, s6
	s_waitcnt lgkmcnt(0)
	s_ashr_i32 s13, s12, 31
	s_lshl_b64 s[8:9], s[8:9], 2
	s_add_u32 s18, s18, s8
	s_addc_u32 s19, s19, s9
	s_lshl_b64 s[8:9], s[12:13], 2
	s_add_u32 s12, s18, s8
	s_addc_u32 s13, s19, s9
.LBB84_3:
	s_load_dwordx2 s[8:9], s[4:5], 0x8
	s_load_dword s18, s[4:5], 0x38
	v_lshlrev_b32_e32 v45, 3, v0
	s_waitcnt lgkmcnt(0)
	s_ashr_i32 s5, s8, 31
	s_mov_b32 s4, s8
	s_lshl_b64 s[4:5], s[4:5], 3
	s_add_u32 s8, s16, s4
	s_addc_u32 s16, s17, s5
	v_mov_b32_e32 v2, s16
	v_add_co_u32_e32 v1, vcc, s8, v45
	v_addc_co_u32_e32 v2, vcc, 0, v2, vcc
	flat_load_dwordx2 v[5:6], v[1:2]
	s_mov_b32 s4, s9
	s_ashr_i32 s5, s9, 31
	s_lshl_b64 s[4:5], s[4:5], 3
	v_mov_b32_e32 v4, s5
	v_add_co_u32_e32 v3, vcc, s4, v1
	v_addc_co_u32_e32 v4, vcc, v2, v4, vcc
	s_add_i32 s4, s9, s9
	v_add_u32_e32 v9, s4, v0
	v_ashrrev_i32_e32 v10, 31, v9
	v_mov_b32_e32 v11, s16
	v_add_u32_e32 v12, s9, v9
	v_ashrrev_i32_e32 v13, 31, v12
	v_mov_b32_e32 v14, s16
	v_mov_b32_e32 v15, s16
	;; [unrolled: 1-line block ×17, first 2 shown]
	s_bitcmp0_b32 s18, 0
	s_waitcnt vmcnt(0) lgkmcnt(0)
	buffer_store_dword v6, off, s[0:3], 0 offset:4
	buffer_store_dword v5, off, s[0:3], 0
	flat_load_dwordx2 v[7:8], v[3:4]
	v_lshlrev_b64 v[5:6], 3, v[9:10]
	s_waitcnt vmcnt(0) lgkmcnt(0)
	buffer_store_dword v8, off, s[0:3], 0 offset:12
	buffer_store_dword v7, off, s[0:3], 0 offset:8
	v_add_co_u32_e32 v5, vcc, s8, v5
	v_addc_co_u32_e32 v6, vcc, v11, v6, vcc
	flat_load_dwordx2 v[10:11], v[5:6]
	v_lshlrev_b64 v[7:8], 3, v[12:13]
	s_waitcnt vmcnt(0) lgkmcnt(0)
	buffer_store_dword v11, off, s[0:3], 0 offset:20
	buffer_store_dword v10, off, s[0:3], 0 offset:16
	v_add_co_u32_e32 v7, vcc, s8, v7
	v_addc_co_u32_e32 v8, vcc, v14, v8, vcc
	flat_load_dwordx2 v[13:14], v[7:8]
	v_add_u32_e32 v11, s9, v12
	v_ashrrev_i32_e32 v12, 31, v11
	v_lshlrev_b64 v[9:10], 3, v[11:12]
	s_waitcnt vmcnt(0) lgkmcnt(0)
	buffer_store_dword v14, off, s[0:3], 0 offset:28
	buffer_store_dword v13, off, s[0:3], 0 offset:24
	v_add_co_u32_e32 v9, vcc, s8, v9
	v_addc_co_u32_e32 v10, vcc, v15, v10, vcc
	flat_load_dwordx2 v[13:14], v[9:10]
	v_add_u32_e32 v15, s9, v11
	v_ashrrev_i32_e32 v16, 31, v15
	v_lshlrev_b64 v[11:12], 3, v[15:16]
	v_add_u32_e32 v18, s9, v15
	v_add_co_u32_e32 v11, vcc, s8, v11
	v_addc_co_u32_e32 v12, vcc, v17, v12, vcc
	v_ashrrev_i32_e32 v19, 31, v18
	s_waitcnt vmcnt(0) lgkmcnt(0)
	buffer_store_dword v14, off, s[0:3], 0 offset:36
	buffer_store_dword v13, off, s[0:3], 0 offset:32
	flat_load_dwordx2 v[16:17], v[11:12]
	v_lshlrev_b64 v[13:14], 3, v[18:19]
	s_waitcnt vmcnt(0) lgkmcnt(0)
	buffer_store_dword v17, off, s[0:3], 0 offset:44
	buffer_store_dword v16, off, s[0:3], 0 offset:40
	v_add_co_u32_e32 v13, vcc, s8, v13
	v_addc_co_u32_e32 v14, vcc, v20, v14, vcc
	flat_load_dwordx2 v[19:20], v[13:14]
	v_add_u32_e32 v17, s9, v18
	v_ashrrev_i32_e32 v18, 31, v17
	v_lshlrev_b64 v[15:16], 3, v[17:18]
	s_waitcnt vmcnt(0) lgkmcnt(0)
	buffer_store_dword v20, off, s[0:3], 0 offset:52
	buffer_store_dword v19, off, s[0:3], 0 offset:48
	v_add_co_u32_e32 v15, vcc, s8, v15
	v_addc_co_u32_e32 v16, vcc, v21, v16, vcc
	flat_load_dwordx2 v[19:20], v[15:16]
	v_add_u32_e32 v21, s9, v17
	v_ashrrev_i32_e32 v22, 31, v21
	v_lshlrev_b64 v[17:18], 3, v[21:22]
	v_add_u32_e32 v24, s9, v21
	v_add_co_u32_e32 v17, vcc, s8, v17
	v_addc_co_u32_e32 v18, vcc, v23, v18, vcc
	v_ashrrev_i32_e32 v25, 31, v24
	s_waitcnt vmcnt(0) lgkmcnt(0)
	buffer_store_dword v20, off, s[0:3], 0 offset:60
	buffer_store_dword v19, off, s[0:3], 0 offset:56
	;; [unrolled: 27-line block ×5, first 2 shown]
	flat_load_dwordx2 v[40:41], v[35:36]
	v_lshlrev_b64 v[37:38], 3, v[42:43]
	s_waitcnt vmcnt(0) lgkmcnt(0)
	buffer_store_dword v41, off, s[0:3], 0 offset:140
	buffer_store_dword v40, off, s[0:3], 0 offset:136
	v_add_co_u32_e32 v37, vcc, s8, v37
	v_addc_co_u32_e32 v38, vcc, v44, v38, vcc
	flat_load_dwordx2 v[43:44], v[37:38]
	v_add_u32_e32 v41, s9, v42
	v_ashrrev_i32_e32 v42, 31, v41
	v_lshlrev_b64 v[39:40], 3, v[41:42]
	v_add_u32_e32 v41, s9, v41
	v_add_co_u32_e32 v39, vcc, s8, v39
	v_addc_co_u32_e32 v40, vcc, v46, v40, vcc
	v_ashrrev_i32_e32 v42, 31, v41
	v_lshlrev_b64 v[41:42], 3, v[41:42]
	s_waitcnt vmcnt(0) lgkmcnt(0)
	buffer_store_dword v44, off, s[0:3], 0 offset:148
	buffer_store_dword v43, off, s[0:3], 0 offset:144
	flat_load_dwordx2 v[43:44], v[39:40]
	v_add_co_u32_e32 v41, vcc, s8, v41
	v_addc_co_u32_e32 v42, vcc, v46, v42, vcc
	s_mov_b64 s[8:9], -1
	s_waitcnt vmcnt(0) lgkmcnt(0)
	buffer_store_dword v44, off, s[0:3], 0 offset:156
	buffer_store_dword v43, off, s[0:3], 0 offset:152
	flat_load_dwordx2 v[43:44], v[41:42]
	s_waitcnt vmcnt(0) lgkmcnt(0)
	buffer_store_dword v44, off, s[0:3], 0 offset:164
	buffer_store_dword v43, off, s[0:3], 0 offset:160
	s_cbranch_scc1 .LBB84_90
; %bb.4:
	v_cmp_eq_u32_e64 s[4:5], 0, v0
	s_and_saveexec_b64 s[8:9], s[4:5]
; %bb.5:
	v_mov_b32_e32 v43, 0
	ds_write_b32 v43, v43 offset:168
; %bb.6:
	s_or_b64 exec, exec, s[8:9]
	v_mov_b32_e32 v43, 0
	v_lshl_add_u32 v43, v0, 3, v43
	s_waitcnt lgkmcnt(0)
	; wave barrier
	buffer_load_dword v46, v43, s[0:3], 0 offen
	buffer_load_dword v47, v43, s[0:3], 0 offen offset:4
	s_waitcnt vmcnt(0)
	v_cmp_eq_f64_e32 vcc, 0, v[46:47]
	s_and_saveexec_b64 s[16:17], vcc
	s_cbranch_execz .LBB84_10
; %bb.7:
	v_mov_b32_e32 v44, 0
	ds_read_b32 v47, v44 offset:168
	v_add_u32_e32 v46, 1, v0
	s_waitcnt lgkmcnt(0)
	v_readfirstlane_b32 s8, v47
	s_cmp_eq_u32 s8, 0
	s_cselect_b64 s[18:19], -1, 0
	v_cmp_gt_i32_e32 vcc, s8, v46
	s_or_b64 s[18:19], s[18:19], vcc
	s_and_b64 exec, exec, s[18:19]
	s_cbranch_execz .LBB84_10
; %bb.8:
	s_mov_b64 s[18:19], 0
	v_mov_b32_e32 v47, s8
.LBB84_9:                               ; =>This Inner Loop Header: Depth=1
	ds_cmpst_rtn_b32 v47, v44, v47, v46 offset:168
	s_waitcnt lgkmcnt(0)
	v_cmp_ne_u32_e32 vcc, 0, v47
	v_cmp_le_i32_e64 s[8:9], v47, v46
	s_and_b64 s[8:9], vcc, s[8:9]
	s_and_b64 s[8:9], exec, s[8:9]
	s_or_b64 s[18:19], s[8:9], s[18:19]
	s_andn2_b64 exec, exec, s[18:19]
	s_cbranch_execnz .LBB84_9
.LBB84_10:
	s_or_b64 exec, exec, s[16:17]
	v_mov_b32_e32 v46, 0
	; wave barrier
	ds_read_b32 v44, v46 offset:168
	s_and_saveexec_b64 s[8:9], s[4:5]
	s_cbranch_execz .LBB84_12
; %bb.11:
	s_lshl_b64 s[16:17], s[6:7], 2
	s_add_u32 s16, s10, s16
	s_addc_u32 s17, s11, s17
	s_waitcnt lgkmcnt(0)
	global_store_dword v46, v44, s[16:17]
.LBB84_12:
	s_or_b64 exec, exec, s[8:9]
	s_waitcnt lgkmcnt(0)
	v_cmp_ne_u32_e32 vcc, 0, v44
	s_mov_b64 s[8:9], 0
	s_cbranch_vccnz .LBB84_90
; %bb.13:
	buffer_load_dword v46, v43, s[0:3], 0 offen
	buffer_load_dword v47, v43, s[0:3], 0 offen offset:4
	s_waitcnt vmcnt(0)
	v_div_scale_f64 v[48:49], s[8:9], v[46:47], v[46:47], 1.0
	v_rcp_f64_e32 v[50:51], v[48:49]
	v_fma_f64 v[52:53], -v[48:49], v[50:51], 1.0
	v_fma_f64 v[50:51], v[50:51], v[52:53], v[50:51]
	v_div_scale_f64 v[52:53], vcc, 1.0, v[46:47], 1.0
	v_fma_f64 v[54:55], -v[48:49], v[50:51], 1.0
	v_fma_f64 v[50:51], v[50:51], v[54:55], v[50:51]
	v_mul_f64 v[54:55], v[52:53], v[50:51]
	v_fma_f64 v[48:49], -v[48:49], v[54:55], v[52:53]
	v_div_fmas_f64 v[48:49], v[48:49], v[50:51], v[54:55]
	v_div_fixup_f64 v[47:48], v[48:49], v[46:47], 1.0
	v_add_u32_e32 v46, 0xb0, v45
	buffer_store_dword v48, v43, s[0:3], 0 offen offset:4
	buffer_store_dword v47, v43, s[0:3], 0 offen
	buffer_load_dword v50, off, s[0:3], 0 offset:12
	buffer_load_dword v49, off, s[0:3], 0 offset:8
	v_xor_b32_e32 v48, 0x80000000, v48
	s_waitcnt vmcnt(0)
	ds_write2_b64 v45, v[47:48], v[49:50] offset1:22
	s_waitcnt lgkmcnt(0)
	; wave barrier
	s_and_saveexec_b64 s[8:9], s[4:5]
	s_cbranch_execz .LBB84_15
; %bb.14:
	buffer_load_dword v47, v43, s[0:3], 0 offen
	buffer_load_dword v48, v43, s[0:3], 0 offen offset:4
	ds_read_b64 v[49:50], v46
	v_mov_b32_e32 v44, 0
	ds_read_b64 v[51:52], v44 offset:8
	s_waitcnt vmcnt(0) lgkmcnt(1)
	v_fma_f64 v[47:48], v[47:48], v[49:50], 0
	s_waitcnt lgkmcnt(0)
	v_mul_f64 v[47:48], v[47:48], v[51:52]
	buffer_store_dword v47, off, s[0:3], 0 offset:8
	buffer_store_dword v48, off, s[0:3], 0 offset:12
.LBB84_15:
	s_or_b64 exec, exec, s[8:9]
	; wave barrier
	buffer_load_dword v47, off, s[0:3], 0 offset:16
	buffer_load_dword v48, off, s[0:3], 0 offset:20
	v_cmp_gt_u32_e32 vcc, 2, v0
	s_waitcnt vmcnt(0)
	ds_write_b64 v46, v[47:48]
	s_waitcnt lgkmcnt(0)
	; wave barrier
	s_and_saveexec_b64 s[8:9], vcc
	s_cbranch_execz .LBB84_17
; %bb.16:
	buffer_load_dword v47, v43, s[0:3], 0 offen
	buffer_load_dword v48, v43, s[0:3], 0 offen offset:4
                                        ; kill: killed $vgpr43
	s_nop 0
	buffer_load_dword v43, off, s[0:3], 0 offset:8
	buffer_load_dword v44, off, s[0:3], 0 offset:12
	ds_read_b64 v[49:50], v46
	s_waitcnt vmcnt(2) lgkmcnt(0)
	v_fma_f64 v[51:52], v[47:48], v[49:50], 0
	v_mov_b32_e32 v47, 0
	ds_read2_b64 v[47:50], v47 offset0:2 offset1:23
	s_waitcnt vmcnt(0) lgkmcnt(0)
	v_fma_f64 v[43:44], v[43:44], v[49:50], v[51:52]
	v_cndmask_b32_e64 v44, v52, v44, s[4:5]
	v_cndmask_b32_e64 v43, v51, v43, s[4:5]
	v_mul_f64 v[43:44], v[43:44], v[47:48]
	buffer_store_dword v44, off, s[0:3], 0 offset:20
	buffer_store_dword v43, off, s[0:3], 0 offset:16
.LBB84_17:
	s_or_b64 exec, exec, s[8:9]
	; wave barrier
	buffer_load_dword v43, off, s[0:3], 0 offset:24
	buffer_load_dword v44, off, s[0:3], 0 offset:28
	v_cmp_gt_u32_e32 vcc, 3, v0
	v_add_u32_e32 v47, -1, v0
	s_waitcnt vmcnt(0)
	ds_write_b64 v46, v[43:44]
	s_waitcnt lgkmcnt(0)
	; wave barrier
	s_and_saveexec_b64 s[4:5], vcc
	s_cbranch_execz .LBB84_21
; %bb.18:
	v_mov_b32_e32 v43, 0
	v_add_u32_e32 v48, -1, v0
	v_add_u32_e32 v49, 0xb0, v45
	v_mov_b32_e32 v50, v45
	v_mov_b32_e32 v44, 0
	s_mov_b64 s[8:9], 0
.LBB84_19:                              ; =>This Inner Loop Header: Depth=1
	buffer_load_dword v51, v50, s[0:3], 0 offen
	buffer_load_dword v52, v50, s[0:3], 0 offen offset:4
	ds_read_b64 v[53:54], v49
	v_add_u32_e32 v48, 1, v48
	v_cmp_lt_u32_e32 vcc, 1, v48
	v_add_u32_e32 v49, 8, v49
	s_or_b64 s[8:9], vcc, s[8:9]
	v_add_u32_e32 v50, 8, v50
	s_waitcnt vmcnt(0) lgkmcnt(0)
	v_fma_f64 v[43:44], v[51:52], v[53:54], v[43:44]
	s_andn2_b64 exec, exec, s[8:9]
	s_cbranch_execnz .LBB84_19
; %bb.20:
	s_or_b64 exec, exec, s[8:9]
	v_mov_b32_e32 v48, 0
	ds_read_b64 v[48:49], v48 offset:24
	s_waitcnt lgkmcnt(0)
	v_mul_f64 v[43:44], v[43:44], v[48:49]
	buffer_store_dword v44, off, s[0:3], 0 offset:28
	buffer_store_dword v43, off, s[0:3], 0 offset:24
.LBB84_21:
	s_or_b64 exec, exec, s[4:5]
	; wave barrier
	buffer_load_dword v43, off, s[0:3], 0 offset:32
	buffer_load_dword v44, off, s[0:3], 0 offset:36
	v_cmp_gt_u32_e32 vcc, 4, v0
	s_waitcnt vmcnt(0)
	ds_write_b64 v46, v[43:44]
	s_waitcnt lgkmcnt(0)
	; wave barrier
	s_and_saveexec_b64 s[4:5], vcc
	s_cbranch_execz .LBB84_25
; %bb.22:
	v_mov_b32_e32 v43, 0
	v_add_u32_e32 v48, -1, v0
	v_add_u32_e32 v49, 0xb0, v45
	v_mov_b32_e32 v50, v45
	v_mov_b32_e32 v44, 0
	s_mov_b64 s[8:9], 0
.LBB84_23:                              ; =>This Inner Loop Header: Depth=1
	buffer_load_dword v51, v50, s[0:3], 0 offen
	buffer_load_dword v52, v50, s[0:3], 0 offen offset:4
	ds_read_b64 v[53:54], v49
	v_add_u32_e32 v48, 1, v48
	v_cmp_lt_u32_e32 vcc, 2, v48
	v_add_u32_e32 v49, 8, v49
	s_or_b64 s[8:9], vcc, s[8:9]
	v_add_u32_e32 v50, 8, v50
	s_waitcnt vmcnt(0) lgkmcnt(0)
	v_fma_f64 v[43:44], v[51:52], v[53:54], v[43:44]
	s_andn2_b64 exec, exec, s[8:9]
	s_cbranch_execnz .LBB84_23
; %bb.24:
	s_or_b64 exec, exec, s[8:9]
	v_mov_b32_e32 v48, 0
	ds_read_b64 v[48:49], v48 offset:32
	s_waitcnt lgkmcnt(0)
	v_mul_f64 v[43:44], v[43:44], v[48:49]
	buffer_store_dword v44, off, s[0:3], 0 offset:36
	buffer_store_dword v43, off, s[0:3], 0 offset:32
.LBB84_25:
	s_or_b64 exec, exec, s[4:5]
	; wave barrier
	buffer_load_dword v43, off, s[0:3], 0 offset:40
	buffer_load_dword v44, off, s[0:3], 0 offset:44
	v_cmp_gt_u32_e32 vcc, 5, v0
	;; [unrolled: 40-line block ×16, first 2 shown]
	s_waitcnt vmcnt(0)
	ds_write_b64 v46, v[43:44]
	s_waitcnt lgkmcnt(0)
	; wave barrier
	s_and_saveexec_b64 s[4:5], vcc
	s_cbranch_execz .LBB84_85
; %bb.82:
	v_mov_b32_e32 v43, 0
	v_add_u32_e32 v48, -1, v0
	v_add_u32_e32 v49, 0xb0, v45
	v_mov_b32_e32 v50, v45
	v_mov_b32_e32 v44, 0
	s_mov_b64 s[8:9], 0
.LBB84_83:                              ; =>This Inner Loop Header: Depth=1
	buffer_load_dword v51, v50, s[0:3], 0 offen
	buffer_load_dword v52, v50, s[0:3], 0 offen offset:4
	ds_read_b64 v[53:54], v49
	v_add_u32_e32 v48, 1, v48
	v_cmp_lt_u32_e32 vcc, 17, v48
	v_add_u32_e32 v49, 8, v49
	s_or_b64 s[8:9], vcc, s[8:9]
	v_add_u32_e32 v50, 8, v50
	s_waitcnt vmcnt(0) lgkmcnt(0)
	v_fma_f64 v[43:44], v[51:52], v[53:54], v[43:44]
	s_andn2_b64 exec, exec, s[8:9]
	s_cbranch_execnz .LBB84_83
; %bb.84:
	s_or_b64 exec, exec, s[8:9]
	v_mov_b32_e32 v48, 0
	ds_read_b64 v[48:49], v48 offset:152
	s_waitcnt lgkmcnt(0)
	v_mul_f64 v[43:44], v[43:44], v[48:49]
	buffer_store_dword v44, off, s[0:3], 0 offset:156
	buffer_store_dword v43, off, s[0:3], 0 offset:152
.LBB84_85:
	s_or_b64 exec, exec, s[4:5]
	; wave barrier
	buffer_load_dword v43, off, s[0:3], 0 offset:160
	buffer_load_dword v44, off, s[0:3], 0 offset:164
	v_cmp_ne_u32_e32 vcc, 20, v0
	s_waitcnt vmcnt(0)
	ds_write_b64 v46, v[43:44]
	s_waitcnt lgkmcnt(0)
	; wave barrier
	s_and_saveexec_b64 s[4:5], vcc
	s_cbranch_execz .LBB84_89
; %bb.86:
	v_mov_b32_e32 v43, 0
	v_add_u32_e32 v46, 0xb0, v45
	v_mov_b32_e32 v44, 0
	s_mov_b64 s[8:9], 0
.LBB84_87:                              ; =>This Inner Loop Header: Depth=1
	buffer_load_dword v48, v45, s[0:3], 0 offen
	buffer_load_dword v49, v45, s[0:3], 0 offen offset:4
	ds_read_b64 v[50:51], v46
	v_add_u32_e32 v47, 1, v47
	v_cmp_lt_u32_e32 vcc, 18, v47
	v_add_u32_e32 v46, 8, v46
	s_or_b64 s[8:9], vcc, s[8:9]
	v_add_u32_e32 v45, 8, v45
	s_waitcnt vmcnt(0) lgkmcnt(0)
	v_fma_f64 v[43:44], v[48:49], v[50:51], v[43:44]
	s_andn2_b64 exec, exec, s[8:9]
	s_cbranch_execnz .LBB84_87
; %bb.88:
	s_or_b64 exec, exec, s[8:9]
	v_mov_b32_e32 v45, 0
	ds_read_b64 v[45:46], v45 offset:160
	s_waitcnt lgkmcnt(0)
	v_mul_f64 v[43:44], v[43:44], v[45:46]
	buffer_store_dword v44, off, s[0:3], 0 offset:164
	buffer_store_dword v43, off, s[0:3], 0 offset:160
.LBB84_89:
	s_or_b64 exec, exec, s[4:5]
	s_mov_b64 s[8:9], -1
	; wave barrier
.LBB84_90:
	s_and_b64 vcc, exec, s[8:9]
	s_cbranch_vccz .LBB84_92
; %bb.91:
	s_lshl_b64 s[4:5], s[6:7], 2
	s_add_u32 s4, s10, s4
	s_addc_u32 s5, s11, s5
	v_mov_b32_e32 v43, 0
	global_load_dword v43, v43, s[4:5]
	s_waitcnt vmcnt(0)
	v_cmp_ne_u32_e32 vcc, 0, v43
	s_cbranch_vccz .LBB84_93
.LBB84_92:
	s_endpgm
.LBB84_93:
	v_mov_b32_e32 v43, 0xb0
	v_lshl_add_u32 v43, v0, 3, v43
	v_cmp_eq_u32_e32 vcc, 20, v0
	s_and_saveexec_b64 s[4:5], vcc
	s_cbranch_execz .LBB84_95
; %bb.94:
	buffer_load_dword v44, off, s[0:3], 0 offset:152
	buffer_load_dword v45, off, s[0:3], 0 offset:156
	v_mov_b32_e32 v46, 0
	buffer_store_dword v46, off, s[0:3], 0 offset:152
	buffer_store_dword v46, off, s[0:3], 0 offset:156
	s_waitcnt vmcnt(2)
	ds_write_b64 v43, v[44:45]
.LBB84_95:
	s_or_b64 exec, exec, s[4:5]
	s_waitcnt lgkmcnt(0)
	; wave barrier
	buffer_load_dword v45, off, s[0:3], 0 offset:160
	buffer_load_dword v46, off, s[0:3], 0 offset:164
	;; [unrolled: 1-line block ×4, first 2 shown]
	v_mov_b32_e32 v44, 0
	ds_read_b64 v[49:50], v44 offset:336
	v_cmp_lt_u32_e32 vcc, 18, v0
	s_waitcnt vmcnt(2) lgkmcnt(0)
	v_fma_f64 v[45:46], v[45:46], v[49:50], 0
	s_waitcnt vmcnt(0)
	v_add_f64 v[45:46], v[47:48], -v[45:46]
	buffer_store_dword v45, off, s[0:3], 0 offset:152
	buffer_store_dword v46, off, s[0:3], 0 offset:156
	s_and_saveexec_b64 s[4:5], vcc
	s_cbranch_execz .LBB84_97
; %bb.96:
	buffer_load_dword v45, off, s[0:3], 0 offset:144
	buffer_load_dword v46, off, s[0:3], 0 offset:148
	s_waitcnt vmcnt(0)
	ds_write_b64 v43, v[45:46]
	buffer_store_dword v44, off, s[0:3], 0 offset:144
	buffer_store_dword v44, off, s[0:3], 0 offset:148
.LBB84_97:
	s_or_b64 exec, exec, s[4:5]
	s_waitcnt lgkmcnt(0)
	; wave barrier
	buffer_load_dword v48, off, s[0:3], 0 offset:152
	buffer_load_dword v49, off, s[0:3], 0 offset:156
	;; [unrolled: 1-line block ×6, first 2 shown]
	ds_read2_b64 v[44:47], v44 offset0:41 offset1:42
	v_cmp_lt_u32_e32 vcc, 17, v0
	s_waitcnt vmcnt(4) lgkmcnt(0)
	v_fma_f64 v[44:45], v[48:49], v[44:45], 0
	s_waitcnt vmcnt(2)
	v_fma_f64 v[44:45], v[50:51], v[46:47], v[44:45]
	s_waitcnt vmcnt(0)
	v_add_f64 v[44:45], v[52:53], -v[44:45]
	buffer_store_dword v44, off, s[0:3], 0 offset:144
	buffer_store_dword v45, off, s[0:3], 0 offset:148
	s_and_saveexec_b64 s[4:5], vcc
	s_cbranch_execz .LBB84_99
; %bb.98:
	buffer_load_dword v44, off, s[0:3], 0 offset:136
	buffer_load_dword v45, off, s[0:3], 0 offset:140
	v_mov_b32_e32 v46, 0
	buffer_store_dword v46, off, s[0:3], 0 offset:136
	buffer_store_dword v46, off, s[0:3], 0 offset:140
	s_waitcnt vmcnt(2)
	ds_write_b64 v43, v[44:45]
.LBB84_99:
	s_or_b64 exec, exec, s[4:5]
	s_waitcnt lgkmcnt(0)
	; wave barrier
	buffer_load_dword v49, off, s[0:3], 0 offset:144
	buffer_load_dword v50, off, s[0:3], 0 offset:148
	;; [unrolled: 1-line block ×8, first 2 shown]
	v_mov_b32_e32 v44, 0
	ds_read_b128 v[45:48], v44 offset:320
	ds_read_b64 v[57:58], v44 offset:336
	v_cmp_lt_u32_e32 vcc, 16, v0
	s_waitcnt vmcnt(6) lgkmcnt(1)
	v_fma_f64 v[45:46], v[49:50], v[45:46], 0
	s_waitcnt vmcnt(4)
	v_fma_f64 v[45:46], v[51:52], v[47:48], v[45:46]
	s_waitcnt vmcnt(2) lgkmcnt(0)
	v_fma_f64 v[45:46], v[53:54], v[57:58], v[45:46]
	s_waitcnt vmcnt(0)
	v_add_f64 v[45:46], v[55:56], -v[45:46]
	buffer_store_dword v45, off, s[0:3], 0 offset:136
	buffer_store_dword v46, off, s[0:3], 0 offset:140
	s_and_saveexec_b64 s[4:5], vcc
	s_cbranch_execz .LBB84_101
; %bb.100:
	buffer_load_dword v45, off, s[0:3], 0 offset:128
	buffer_load_dword v46, off, s[0:3], 0 offset:132
	s_waitcnt vmcnt(0)
	ds_write_b64 v43, v[45:46]
	buffer_store_dword v44, off, s[0:3], 0 offset:128
	buffer_store_dword v44, off, s[0:3], 0 offset:132
.LBB84_101:
	s_or_b64 exec, exec, s[4:5]
	s_waitcnt lgkmcnt(0)
	; wave barrier
	buffer_load_dword v53, off, s[0:3], 0 offset:136
	buffer_load_dword v54, off, s[0:3], 0 offset:140
	;; [unrolled: 1-line block ×10, first 2 shown]
	ds_read2_b64 v[45:48], v44 offset0:39 offset1:40
	ds_read2_b64 v[49:52], v44 offset0:41 offset1:42
	v_cmp_lt_u32_e32 vcc, 15, v0
	s_waitcnt vmcnt(8) lgkmcnt(1)
	v_fma_f64 v[44:45], v[53:54], v[45:46], 0
	s_waitcnt vmcnt(6)
	v_fma_f64 v[44:45], v[55:56], v[47:48], v[44:45]
	s_waitcnt vmcnt(4) lgkmcnt(0)
	v_fma_f64 v[44:45], v[57:58], v[49:50], v[44:45]
	s_waitcnt vmcnt(2)
	v_fma_f64 v[44:45], v[59:60], v[51:52], v[44:45]
	s_waitcnt vmcnt(0)
	v_add_f64 v[44:45], v[61:62], -v[44:45]
	buffer_store_dword v44, off, s[0:3], 0 offset:128
	buffer_store_dword v45, off, s[0:3], 0 offset:132
	s_and_saveexec_b64 s[4:5], vcc
	s_cbranch_execz .LBB84_103
; %bb.102:
	buffer_load_dword v44, off, s[0:3], 0 offset:120
	buffer_load_dword v45, off, s[0:3], 0 offset:124
	v_mov_b32_e32 v46, 0
	buffer_store_dword v46, off, s[0:3], 0 offset:120
	buffer_store_dword v46, off, s[0:3], 0 offset:124
	s_waitcnt vmcnt(2)
	ds_write_b64 v43, v[44:45]
.LBB84_103:
	s_or_b64 exec, exec, s[4:5]
	s_waitcnt lgkmcnt(0)
	; wave barrier
	buffer_load_dword v49, off, s[0:3], 0 offset:128
	buffer_load_dword v50, off, s[0:3], 0 offset:132
	;; [unrolled: 1-line block ×12, first 2 shown]
	v_mov_b32_e32 v44, 0
	ds_read_b128 v[45:48], v44 offset:304
	v_cmp_lt_u32_e32 vcc, 14, v0
	s_waitcnt vmcnt(10) lgkmcnt(0)
	v_fma_f64 v[45:46], v[49:50], v[45:46], 0
	s_waitcnt vmcnt(8)
	v_fma_f64 v[49:50], v[51:52], v[47:48], v[45:46]
	ds_read_b128 v[45:48], v44 offset:320
	s_waitcnt vmcnt(6) lgkmcnt(0)
	v_fma_f64 v[45:46], v[53:54], v[45:46], v[49:50]
	s_waitcnt vmcnt(4)
	v_fma_f64 v[45:46], v[55:56], v[47:48], v[45:46]
	ds_read_b64 v[47:48], v44 offset:336
	s_waitcnt vmcnt(2) lgkmcnt(0)
	v_fma_f64 v[45:46], v[57:58], v[47:48], v[45:46]
	s_waitcnt vmcnt(0)
	v_add_f64 v[45:46], v[59:60], -v[45:46]
	buffer_store_dword v45, off, s[0:3], 0 offset:120
	buffer_store_dword v46, off, s[0:3], 0 offset:124
	s_and_saveexec_b64 s[4:5], vcc
	s_cbranch_execz .LBB84_105
; %bb.104:
	buffer_load_dword v45, off, s[0:3], 0 offset:112
	buffer_load_dword v46, off, s[0:3], 0 offset:116
	s_waitcnt vmcnt(0)
	ds_write_b64 v43, v[45:46]
	buffer_store_dword v44, off, s[0:3], 0 offset:112
	buffer_store_dword v44, off, s[0:3], 0 offset:116
.LBB84_105:
	s_or_b64 exec, exec, s[4:5]
	s_waitcnt lgkmcnt(0)
	; wave barrier
	buffer_load_dword v49, off, s[0:3], 0 offset:120
	buffer_load_dword v50, off, s[0:3], 0 offset:124
	;; [unrolled: 1-line block ×14, first 2 shown]
	ds_read2_b64 v[45:48], v44 offset0:37 offset1:38
	v_cmp_lt_u32_e32 vcc, 13, v0
	s_waitcnt vmcnt(12) lgkmcnt(0)
	v_fma_f64 v[45:46], v[49:50], v[45:46], 0
	s_waitcnt vmcnt(10)
	v_fma_f64 v[49:50], v[51:52], v[47:48], v[45:46]
	ds_read2_b64 v[45:48], v44 offset0:39 offset1:40
	s_waitcnt vmcnt(8) lgkmcnt(0)
	v_fma_f64 v[45:46], v[53:54], v[45:46], v[49:50]
	s_waitcnt vmcnt(6)
	v_fma_f64 v[48:49], v[55:56], v[47:48], v[45:46]
	ds_read2_b64 v[44:47], v44 offset0:41 offset1:42
	s_waitcnt vmcnt(4) lgkmcnt(0)
	v_fma_f64 v[44:45], v[57:58], v[44:45], v[48:49]
	s_waitcnt vmcnt(2)
	v_fma_f64 v[44:45], v[59:60], v[46:47], v[44:45]
	s_waitcnt vmcnt(0)
	v_add_f64 v[44:45], v[61:62], -v[44:45]
	buffer_store_dword v44, off, s[0:3], 0 offset:112
	buffer_store_dword v45, off, s[0:3], 0 offset:116
	s_and_saveexec_b64 s[4:5], vcc
	s_cbranch_execz .LBB84_107
; %bb.106:
	buffer_load_dword v44, off, s[0:3], 0 offset:104
	buffer_load_dword v45, off, s[0:3], 0 offset:108
	v_mov_b32_e32 v46, 0
	buffer_store_dword v46, off, s[0:3], 0 offset:104
	buffer_store_dword v46, off, s[0:3], 0 offset:108
	s_waitcnt vmcnt(2)
	ds_write_b64 v43, v[44:45]
.LBB84_107:
	s_or_b64 exec, exec, s[4:5]
	s_waitcnt lgkmcnt(0)
	; wave barrier
	buffer_load_dword v53, off, s[0:3], 0 offset:112
	buffer_load_dword v54, off, s[0:3], 0 offset:116
	;; [unrolled: 1-line block ×16, first 2 shown]
	v_mov_b32_e32 v44, 0
	ds_read_b128 v[45:48], v44 offset:288
	ds_read_b128 v[49:52], v44 offset:304
	v_cmp_lt_u32_e32 vcc, 12, v0
	s_waitcnt vmcnt(14) lgkmcnt(1)
	v_fma_f64 v[45:46], v[53:54], v[45:46], 0
	s_waitcnt vmcnt(12)
	v_fma_f64 v[45:46], v[55:56], v[47:48], v[45:46]
	s_waitcnt vmcnt(10) lgkmcnt(0)
	v_fma_f64 v[45:46], v[57:58], v[49:50], v[45:46]
	s_waitcnt vmcnt(8)
	v_fma_f64 v[49:50], v[59:60], v[51:52], v[45:46]
	ds_read_b128 v[45:48], v44 offset:320
	ds_read_b64 v[51:52], v44 offset:336
	s_waitcnt vmcnt(6) lgkmcnt(1)
	v_fma_f64 v[45:46], v[61:62], v[45:46], v[49:50]
	s_waitcnt vmcnt(4)
	v_fma_f64 v[45:46], v[63:64], v[47:48], v[45:46]
	s_waitcnt vmcnt(2) lgkmcnt(0)
	v_fma_f64 v[45:46], v[65:66], v[51:52], v[45:46]
	s_waitcnt vmcnt(0)
	v_add_f64 v[45:46], v[67:68], -v[45:46]
	buffer_store_dword v45, off, s[0:3], 0 offset:104
	buffer_store_dword v46, off, s[0:3], 0 offset:108
	s_and_saveexec_b64 s[4:5], vcc
	s_cbranch_execz .LBB84_109
; %bb.108:
	buffer_load_dword v45, off, s[0:3], 0 offset:96
	buffer_load_dword v46, off, s[0:3], 0 offset:100
	s_waitcnt vmcnt(0)
	ds_write_b64 v43, v[45:46]
	buffer_store_dword v44, off, s[0:3], 0 offset:96
	buffer_store_dword v44, off, s[0:3], 0 offset:100
.LBB84_109:
	s_or_b64 exec, exec, s[4:5]
	s_waitcnt lgkmcnt(0)
	; wave barrier
	buffer_load_dword v53, off, s[0:3], 0 offset:104
	buffer_load_dword v54, off, s[0:3], 0 offset:108
	;; [unrolled: 1-line block ×18, first 2 shown]
	ds_read2_b64 v[45:48], v44 offset0:35 offset1:36
	ds_read2_b64 v[49:52], v44 offset0:37 offset1:38
	v_cmp_lt_u32_e32 vcc, 11, v0
	s_waitcnt vmcnt(16) lgkmcnt(1)
	v_fma_f64 v[45:46], v[53:54], v[45:46], 0
	s_waitcnt vmcnt(14)
	v_fma_f64 v[45:46], v[55:56], v[47:48], v[45:46]
	s_waitcnt vmcnt(12) lgkmcnt(0)
	v_fma_f64 v[45:46], v[57:58], v[49:50], v[45:46]
	s_waitcnt vmcnt(10)
	v_fma_f64 v[53:54], v[59:60], v[51:52], v[45:46]
	ds_read2_b64 v[45:48], v44 offset0:39 offset1:40
	ds_read2_b64 v[49:52], v44 offset0:41 offset1:42
	s_waitcnt vmcnt(8) lgkmcnt(1)
	v_fma_f64 v[44:45], v[61:62], v[45:46], v[53:54]
	s_waitcnt vmcnt(6)
	v_fma_f64 v[44:45], v[63:64], v[47:48], v[44:45]
	s_waitcnt vmcnt(4) lgkmcnt(0)
	v_fma_f64 v[44:45], v[65:66], v[49:50], v[44:45]
	s_waitcnt vmcnt(2)
	v_fma_f64 v[44:45], v[67:68], v[51:52], v[44:45]
	s_waitcnt vmcnt(0)
	v_add_f64 v[44:45], v[69:70], -v[44:45]
	buffer_store_dword v44, off, s[0:3], 0 offset:96
	buffer_store_dword v45, off, s[0:3], 0 offset:100
	s_and_saveexec_b64 s[4:5], vcc
	s_cbranch_execz .LBB84_111
; %bb.110:
	buffer_load_dword v44, off, s[0:3], 0 offset:88
	buffer_load_dword v45, off, s[0:3], 0 offset:92
	v_mov_b32_e32 v46, 0
	buffer_store_dword v46, off, s[0:3], 0 offset:88
	buffer_store_dword v46, off, s[0:3], 0 offset:92
	s_waitcnt vmcnt(2)
	ds_write_b64 v43, v[44:45]
.LBB84_111:
	s_or_b64 exec, exec, s[4:5]
	s_waitcnt lgkmcnt(0)
	; wave barrier
	buffer_load_dword v53, off, s[0:3], 0 offset:96
	buffer_load_dword v54, off, s[0:3], 0 offset:100
	;; [unrolled: 1-line block ×20, first 2 shown]
	v_mov_b32_e32 v44, 0
	ds_read_b128 v[45:48], v44 offset:272
	ds_read_b128 v[49:52], v44 offset:288
	v_cmp_lt_u32_e32 vcc, 10, v0
	s_waitcnt vmcnt(18) lgkmcnt(1)
	v_fma_f64 v[45:46], v[53:54], v[45:46], 0
	s_waitcnt vmcnt(16)
	v_fma_f64 v[45:46], v[55:56], v[47:48], v[45:46]
	s_waitcnt vmcnt(14) lgkmcnt(0)
	v_fma_f64 v[45:46], v[57:58], v[49:50], v[45:46]
	s_waitcnt vmcnt(12)
	v_fma_f64 v[53:54], v[59:60], v[51:52], v[45:46]
	ds_read_b128 v[45:48], v44 offset:304
	ds_read_b128 v[49:52], v44 offset:320
	s_waitcnt vmcnt(10) lgkmcnt(1)
	v_fma_f64 v[45:46], v[61:62], v[45:46], v[53:54]
	s_waitcnt vmcnt(8)
	v_fma_f64 v[45:46], v[63:64], v[47:48], v[45:46]
	ds_read_b64 v[47:48], v44 offset:336
	s_waitcnt vmcnt(6) lgkmcnt(1)
	v_fma_f64 v[45:46], v[65:66], v[49:50], v[45:46]
	s_waitcnt vmcnt(3)
	v_fma_f64 v[45:46], v[67:68], v[51:52], v[45:46]
	s_waitcnt vmcnt(2) lgkmcnt(0)
	v_fma_f64 v[45:46], v[69:70], v[47:48], v[45:46]
	s_waitcnt vmcnt(0)
	v_add_f64 v[45:46], v[71:72], -v[45:46]
	buffer_store_dword v45, off, s[0:3], 0 offset:88
	buffer_store_dword v46, off, s[0:3], 0 offset:92
	s_and_saveexec_b64 s[4:5], vcc
	s_cbranch_execz .LBB84_113
; %bb.112:
	buffer_load_dword v45, off, s[0:3], 0 offset:80
	buffer_load_dword v46, off, s[0:3], 0 offset:84
	s_waitcnt vmcnt(0)
	ds_write_b64 v43, v[45:46]
	buffer_store_dword v44, off, s[0:3], 0 offset:80
	buffer_store_dword v44, off, s[0:3], 0 offset:84
.LBB84_113:
	s_or_b64 exec, exec, s[4:5]
	s_waitcnt lgkmcnt(0)
	; wave barrier
	buffer_load_dword v53, off, s[0:3], 0 offset:88
	buffer_load_dword v54, off, s[0:3], 0 offset:92
	;; [unrolled: 1-line block ×20, first 2 shown]
	ds_read2_b64 v[45:48], v44 offset0:33 offset1:34
	buffer_load_dword v73, off, s[0:3], 0 offset:80
	buffer_load_dword v74, off, s[0:3], 0 offset:84
	ds_read2_b64 v[49:52], v44 offset0:35 offset1:36
	v_cmp_lt_u32_e32 vcc, 9, v0
	s_waitcnt vmcnt(20) lgkmcnt(1)
	v_fma_f64 v[45:46], v[53:54], v[45:46], 0
	s_waitcnt vmcnt(18)
	v_fma_f64 v[45:46], v[55:56], v[47:48], v[45:46]
	s_waitcnt vmcnt(16) lgkmcnt(0)
	v_fma_f64 v[45:46], v[57:58], v[49:50], v[45:46]
	s_waitcnt vmcnt(14)
	v_fma_f64 v[53:54], v[59:60], v[51:52], v[45:46]
	ds_read2_b64 v[45:48], v44 offset0:37 offset1:38
	ds_read2_b64 v[49:52], v44 offset0:39 offset1:40
	s_waitcnt vmcnt(12) lgkmcnt(1)
	v_fma_f64 v[45:46], v[61:62], v[45:46], v[53:54]
	s_waitcnt vmcnt(10)
	v_fma_f64 v[45:46], v[63:64], v[47:48], v[45:46]
	s_waitcnt vmcnt(8) lgkmcnt(0)
	v_fma_f64 v[45:46], v[65:66], v[49:50], v[45:46]
	s_waitcnt vmcnt(4)
	v_fma_f64 v[48:49], v[67:68], v[51:52], v[45:46]
	ds_read2_b64 v[44:47], v44 offset0:41 offset1:42
	s_waitcnt vmcnt(3) lgkmcnt(0)
	v_fma_f64 v[44:45], v[71:72], v[44:45], v[48:49]
	s_waitcnt vmcnt(2)
	v_fma_f64 v[44:45], v[69:70], v[46:47], v[44:45]
	s_waitcnt vmcnt(0)
	v_add_f64 v[44:45], v[73:74], -v[44:45]
	buffer_store_dword v44, off, s[0:3], 0 offset:80
	buffer_store_dword v45, off, s[0:3], 0 offset:84
	s_and_saveexec_b64 s[4:5], vcc
	s_cbranch_execz .LBB84_115
; %bb.114:
	buffer_load_dword v44, off, s[0:3], 0 offset:72
	buffer_load_dword v45, off, s[0:3], 0 offset:76
	v_mov_b32_e32 v46, 0
	buffer_store_dword v46, off, s[0:3], 0 offset:72
	buffer_store_dword v46, off, s[0:3], 0 offset:76
	s_waitcnt vmcnt(2)
	ds_write_b64 v43, v[44:45]
.LBB84_115:
	s_or_b64 exec, exec, s[4:5]
	s_waitcnt lgkmcnt(0)
	; wave barrier
	buffer_load_dword v53, off, s[0:3], 0 offset:80
	buffer_load_dword v54, off, s[0:3], 0 offset:84
	;; [unrolled: 1-line block ×21, first 2 shown]
	v_mov_b32_e32 v44, 0
	ds_read_b128 v[45:48], v44 offset:256
	ds_read_b128 v[49:52], v44 offset:272
	buffer_load_dword v70, off, s[0:3], 0 offset:164
	v_cmp_lt_u32_e32 vcc, 8, v0
	s_waitcnt vmcnt(20) lgkmcnt(1)
	v_fma_f64 v[45:46], v[53:54], v[45:46], 0
	buffer_load_dword v53, off, s[0:3], 0 offset:72
	buffer_load_dword v54, off, s[0:3], 0 offset:76
	s_waitcnt vmcnt(20)
	v_fma_f64 v[45:46], v[55:56], v[47:48], v[45:46]
	s_waitcnt vmcnt(18) lgkmcnt(0)
	v_fma_f64 v[45:46], v[57:58], v[49:50], v[45:46]
	s_waitcnt vmcnt(16)
	v_fma_f64 v[55:56], v[59:60], v[51:52], v[45:46]
	ds_read_b128 v[45:48], v44 offset:288
	ds_read_b128 v[49:52], v44 offset:304
	s_waitcnt vmcnt(14) lgkmcnt(1)
	v_fma_f64 v[45:46], v[61:62], v[45:46], v[55:56]
	s_waitcnt vmcnt(12)
	v_fma_f64 v[45:46], v[63:64], v[47:48], v[45:46]
	s_waitcnt vmcnt(10) lgkmcnt(0)
	v_fma_f64 v[45:46], v[65:66], v[49:50], v[45:46]
	s_waitcnt vmcnt(5)
	v_fma_f64 v[49:50], v[67:68], v[51:52], v[45:46]
	ds_read_b128 v[45:48], v44 offset:320
	ds_read_b64 v[51:52], v44 offset:336
	s_waitcnt vmcnt(4) lgkmcnt(1)
	v_fma_f64 v[45:46], v[73:74], v[45:46], v[49:50]
	s_waitcnt vmcnt(3)
	v_fma_f64 v[45:46], v[71:72], v[47:48], v[45:46]
	s_waitcnt vmcnt(2) lgkmcnt(0)
	v_fma_f64 v[45:46], v[69:70], v[51:52], v[45:46]
	s_waitcnt vmcnt(0)
	v_add_f64 v[45:46], v[53:54], -v[45:46]
	buffer_store_dword v46, off, s[0:3], 0 offset:76
	buffer_store_dword v45, off, s[0:3], 0 offset:72
	s_and_saveexec_b64 s[4:5], vcc
	s_cbranch_execz .LBB84_117
; %bb.116:
	buffer_load_dword v45, off, s[0:3], 0 offset:64
	buffer_load_dword v46, off, s[0:3], 0 offset:68
	s_waitcnt vmcnt(0)
	ds_write_b64 v43, v[45:46]
	buffer_store_dword v44, off, s[0:3], 0 offset:64
	buffer_store_dword v44, off, s[0:3], 0 offset:68
.LBB84_117:
	s_or_b64 exec, exec, s[4:5]
	s_waitcnt lgkmcnt(0)
	; wave barrier
	buffer_load_dword v53, off, s[0:3], 0 offset:72
	buffer_load_dword v54, off, s[0:3], 0 offset:76
	;; [unrolled: 1-line block ×21, first 2 shown]
	ds_read2_b64 v[45:48], v44 offset0:31 offset1:32
	ds_read2_b64 v[49:52], v44 offset0:33 offset1:34
	buffer_load_dword v70, off, s[0:3], 0 offset:156
	v_cmp_lt_u32_e32 vcc, 7, v0
	s_waitcnt vmcnt(20) lgkmcnt(1)
	v_fma_f64 v[45:46], v[53:54], v[45:46], 0
	buffer_load_dword v54, off, s[0:3], 0 offset:164
	buffer_load_dword v53, off, s[0:3], 0 offset:160
	s_waitcnt vmcnt(20)
	v_fma_f64 v[45:46], v[55:56], v[47:48], v[45:46]
	buffer_load_dword v55, off, s[0:3], 0 offset:64
	buffer_load_dword v56, off, s[0:3], 0 offset:68
	s_waitcnt vmcnt(20) lgkmcnt(0)
	v_fma_f64 v[45:46], v[57:58], v[49:50], v[45:46]
	s_waitcnt vmcnt(18)
	v_fma_f64 v[57:58], v[59:60], v[51:52], v[45:46]
	ds_read2_b64 v[45:48], v44 offset0:35 offset1:36
	ds_read2_b64 v[49:52], v44 offset0:37 offset1:38
	s_waitcnt vmcnt(16) lgkmcnt(1)
	v_fma_f64 v[45:46], v[61:62], v[45:46], v[57:58]
	s_waitcnt vmcnt(14)
	v_fma_f64 v[45:46], v[63:64], v[47:48], v[45:46]
	s_waitcnt vmcnt(12) lgkmcnt(0)
	v_fma_f64 v[45:46], v[65:66], v[49:50], v[45:46]
	s_waitcnt vmcnt(7)
	v_fma_f64 v[57:58], v[67:68], v[51:52], v[45:46]
	ds_read2_b64 v[45:48], v44 offset0:39 offset1:40
	ds_read2_b64 v[49:52], v44 offset0:41 offset1:42
	s_waitcnt vmcnt(6) lgkmcnt(1)
	v_fma_f64 v[44:45], v[73:74], v[45:46], v[57:58]
	s_waitcnt vmcnt(5)
	v_fma_f64 v[44:45], v[71:72], v[47:48], v[44:45]
	s_waitcnt vmcnt(4) lgkmcnt(0)
	v_fma_f64 v[44:45], v[69:70], v[49:50], v[44:45]
	s_waitcnt vmcnt(2)
	v_fma_f64 v[44:45], v[53:54], v[51:52], v[44:45]
	s_waitcnt vmcnt(0)
	v_add_f64 v[44:45], v[55:56], -v[44:45]
	buffer_store_dword v45, off, s[0:3], 0 offset:68
	buffer_store_dword v44, off, s[0:3], 0 offset:64
	s_and_saveexec_b64 s[4:5], vcc
	s_cbranch_execz .LBB84_119
; %bb.118:
	buffer_load_dword v44, off, s[0:3], 0 offset:56
	buffer_load_dword v45, off, s[0:3], 0 offset:60
	v_mov_b32_e32 v46, 0
	buffer_store_dword v46, off, s[0:3], 0 offset:56
	buffer_store_dword v46, off, s[0:3], 0 offset:60
	s_waitcnt vmcnt(2)
	ds_write_b64 v43, v[44:45]
.LBB84_119:
	s_or_b64 exec, exec, s[4:5]
	s_waitcnt lgkmcnt(0)
	; wave barrier
	buffer_load_dword v53, off, s[0:3], 0 offset:64
	buffer_load_dword v54, off, s[0:3], 0 offset:68
	;; [unrolled: 1-line block ×21, first 2 shown]
	v_mov_b32_e32 v44, 0
	ds_read_b128 v[45:48], v44 offset:240
	ds_read_b128 v[49:52], v44 offset:256
	buffer_load_dword v70, off, s[0:3], 0 offset:148
	v_cmp_lt_u32_e32 vcc, 6, v0
	s_waitcnt vmcnt(20) lgkmcnt(1)
	v_fma_f64 v[45:46], v[53:54], v[45:46], 0
	s_waitcnt vmcnt(18)
	v_fma_f64 v[45:46], v[55:56], v[47:48], v[45:46]
	buffer_load_dword v54, off, s[0:3], 0 offset:156
	buffer_load_dword v55, off, s[0:3], 0 offset:160
	;; [unrolled: 1-line block ×4, first 2 shown]
	s_waitcnt vmcnt(20) lgkmcnt(0)
	v_fma_f64 v[45:46], v[57:58], v[49:50], v[45:46]
	buffer_load_dword v57, off, s[0:3], 0 offset:56
	buffer_load_dword v58, off, s[0:3], 0 offset:60
	s_waitcnt vmcnt(20)
	v_fma_f64 v[59:60], v[59:60], v[51:52], v[45:46]
	ds_read_b128 v[45:48], v44 offset:272
	ds_read_b128 v[49:52], v44 offset:288
	s_waitcnt vmcnt(18) lgkmcnt(1)
	v_fma_f64 v[45:46], v[61:62], v[45:46], v[59:60]
	s_waitcnt vmcnt(16)
	v_fma_f64 v[45:46], v[63:64], v[47:48], v[45:46]
	s_waitcnt vmcnt(14) lgkmcnt(0)
	v_fma_f64 v[45:46], v[65:66], v[49:50], v[45:46]
	s_waitcnt vmcnt(9)
	v_fma_f64 v[59:60], v[67:68], v[51:52], v[45:46]
	ds_read_b128 v[45:48], v44 offset:304
	ds_read_b128 v[49:52], v44 offset:320
	s_waitcnt vmcnt(8) lgkmcnt(1)
	v_fma_f64 v[45:46], v[73:74], v[45:46], v[59:60]
	s_waitcnt vmcnt(7)
	v_fma_f64 v[45:46], v[71:72], v[47:48], v[45:46]
	ds_read_b64 v[47:48], v44 offset:336
	s_waitcnt vmcnt(6) lgkmcnt(1)
	v_fma_f64 v[45:46], v[69:70], v[49:50], v[45:46]
	s_waitcnt vmcnt(3)
	v_fma_f64 v[45:46], v[53:54], v[51:52], v[45:46]
	s_waitcnt vmcnt(2) lgkmcnt(0)
	v_fma_f64 v[45:46], v[55:56], v[47:48], v[45:46]
	s_waitcnt vmcnt(0)
	v_add_f64 v[45:46], v[57:58], -v[45:46]
	buffer_store_dword v46, off, s[0:3], 0 offset:60
	buffer_store_dword v45, off, s[0:3], 0 offset:56
	s_and_saveexec_b64 s[4:5], vcc
	s_cbranch_execz .LBB84_121
; %bb.120:
	buffer_load_dword v45, off, s[0:3], 0 offset:48
	buffer_load_dword v46, off, s[0:3], 0 offset:52
	s_waitcnt vmcnt(0)
	ds_write_b64 v43, v[45:46]
	buffer_store_dword v44, off, s[0:3], 0 offset:48
	buffer_store_dword v44, off, s[0:3], 0 offset:52
.LBB84_121:
	s_or_b64 exec, exec, s[4:5]
	s_waitcnt lgkmcnt(0)
	; wave barrier
	buffer_load_dword v53, off, s[0:3], 0 offset:56
	buffer_load_dword v54, off, s[0:3], 0 offset:60
	;; [unrolled: 1-line block ×22, first 2 shown]
	ds_read2_b64 v[45:48], v44 offset0:29 offset1:30
	ds_read2_b64 v[49:52], v44 offset0:31 offset1:32
	v_cmp_lt_u32_e32 vcc, 5, v0
	s_waitcnt vmcnt(20) lgkmcnt(1)
	v_fma_f64 v[45:46], v[53:54], v[45:46], 0
	s_waitcnt vmcnt(18)
	v_fma_f64 v[45:46], v[55:56], v[47:48], v[45:46]
	buffer_load_dword v54, off, s[0:3], 0 offset:148
	buffer_load_dword v55, off, s[0:3], 0 offset:160
	;; [unrolled: 1-line block ×6, first 2 shown]
	s_waitcnt vmcnt(22) lgkmcnt(0)
	v_fma_f64 v[45:46], v[57:58], v[49:50], v[45:46]
	s_waitcnt vmcnt(20)
	v_fma_f64 v[57:58], v[59:60], v[51:52], v[45:46]
	ds_read2_b64 v[45:48], v44 offset0:33 offset1:34
	buffer_load_dword v59, off, s[0:3], 0 offset:48
	buffer_load_dword v60, off, s[0:3], 0 offset:52
	ds_read2_b64 v[49:52], v44 offset0:35 offset1:36
	s_waitcnt vmcnt(20) lgkmcnt(1)
	v_fma_f64 v[45:46], v[61:62], v[45:46], v[57:58]
	s_waitcnt vmcnt(18)
	v_fma_f64 v[45:46], v[63:64], v[47:48], v[45:46]
	s_waitcnt vmcnt(16) lgkmcnt(0)
	v_fma_f64 v[45:46], v[65:66], v[49:50], v[45:46]
	s_waitcnt vmcnt(11)
	v_fma_f64 v[57:58], v[67:68], v[51:52], v[45:46]
	ds_read2_b64 v[45:48], v44 offset0:37 offset1:38
	ds_read2_b64 v[49:52], v44 offset0:39 offset1:40
	s_waitcnt vmcnt(10) lgkmcnt(1)
	v_fma_f64 v[45:46], v[73:74], v[45:46], v[57:58]
	s_waitcnt vmcnt(9)
	v_fma_f64 v[45:46], v[71:72], v[47:48], v[45:46]
	s_waitcnt vmcnt(8) lgkmcnt(0)
	v_fma_f64 v[45:46], v[69:70], v[49:50], v[45:46]
	s_waitcnt vmcnt(4)
	v_fma_f64 v[48:49], v[53:54], v[51:52], v[45:46]
	ds_read2_b64 v[44:47], v44 offset0:41 offset1:42
	s_waitcnt vmcnt(3) lgkmcnt(0)
	v_fma_f64 v[44:45], v[75:76], v[44:45], v[48:49]
	s_waitcnt vmcnt(2)
	v_fma_f64 v[44:45], v[55:56], v[46:47], v[44:45]
	s_waitcnt vmcnt(0)
	v_add_f64 v[44:45], v[59:60], -v[44:45]
	buffer_store_dword v45, off, s[0:3], 0 offset:52
	buffer_store_dword v44, off, s[0:3], 0 offset:48
	s_and_saveexec_b64 s[4:5], vcc
	s_cbranch_execz .LBB84_123
; %bb.122:
	buffer_load_dword v44, off, s[0:3], 0 offset:40
	buffer_load_dword v45, off, s[0:3], 0 offset:44
	v_mov_b32_e32 v46, 0
	buffer_store_dword v46, off, s[0:3], 0 offset:40
	buffer_store_dword v46, off, s[0:3], 0 offset:44
	s_waitcnt vmcnt(2)
	ds_write_b64 v43, v[44:45]
.LBB84_123:
	s_or_b64 exec, exec, s[4:5]
	s_waitcnt lgkmcnt(0)
	; wave barrier
	buffer_load_dword v53, off, s[0:3], 0 offset:48
	buffer_load_dword v54, off, s[0:3], 0 offset:52
	;; [unrolled: 1-line block ×22, first 2 shown]
	v_mov_b32_e32 v44, 0
	ds_read_b128 v[45:48], v44 offset:224
	ds_read_b128 v[49:52], v44 offset:240
	v_cmp_lt_u32_e32 vcc, 4, v0
	s_waitcnt vmcnt(20) lgkmcnt(1)
	v_fma_f64 v[45:46], v[53:54], v[45:46], 0
	s_waitcnt vmcnt(18)
	v_fma_f64 v[45:46], v[55:56], v[47:48], v[45:46]
	buffer_load_dword v54, off, s[0:3], 0 offset:140
	buffer_load_dword v55, off, s[0:3], 0 offset:160
	;; [unrolled: 1-line block ×8, first 2 shown]
	s_waitcnt vmcnt(24) lgkmcnt(0)
	v_fma_f64 v[45:46], v[57:58], v[49:50], v[45:46]
	s_waitcnt vmcnt(22)
	v_fma_f64 v[57:58], v[59:60], v[51:52], v[45:46]
	ds_read_b128 v[45:48], v44 offset:256
	ds_read_b128 v[49:52], v44 offset:272
	s_waitcnt vmcnt(20) lgkmcnt(1)
	v_fma_f64 v[45:46], v[61:62], v[45:46], v[57:58]
	buffer_load_dword v57, off, s[0:3], 0 offset:40
	buffer_load_dword v58, off, s[0:3], 0 offset:44
	s_waitcnt vmcnt(20)
	v_fma_f64 v[45:46], v[63:64], v[47:48], v[45:46]
	s_waitcnt vmcnt(18) lgkmcnt(0)
	v_fma_f64 v[45:46], v[65:66], v[49:50], v[45:46]
	s_waitcnt vmcnt(13)
	v_fma_f64 v[59:60], v[67:68], v[51:52], v[45:46]
	ds_read_b128 v[45:48], v44 offset:288
	ds_read_b128 v[49:52], v44 offset:304
	s_waitcnt vmcnt(12) lgkmcnt(1)
	v_fma_f64 v[45:46], v[73:74], v[45:46], v[59:60]
	s_waitcnt vmcnt(11)
	v_fma_f64 v[45:46], v[71:72], v[47:48], v[45:46]
	s_waitcnt vmcnt(10) lgkmcnt(0)
	v_fma_f64 v[45:46], v[69:70], v[49:50], v[45:46]
	s_waitcnt vmcnt(5)
	v_fma_f64 v[49:50], v[53:54], v[51:52], v[45:46]
	ds_read_b128 v[45:48], v44 offset:320
	ds_read_b64 v[51:52], v44 offset:336
	s_waitcnt vmcnt(4) lgkmcnt(1)
	v_fma_f64 v[45:46], v[77:78], v[45:46], v[49:50]
	s_waitcnt vmcnt(3)
	v_fma_f64 v[45:46], v[75:76], v[47:48], v[45:46]
	s_waitcnt vmcnt(2) lgkmcnt(0)
	v_fma_f64 v[45:46], v[55:56], v[51:52], v[45:46]
	s_waitcnt vmcnt(0)
	v_add_f64 v[45:46], v[57:58], -v[45:46]
	buffer_store_dword v46, off, s[0:3], 0 offset:44
	buffer_store_dword v45, off, s[0:3], 0 offset:40
	s_and_saveexec_b64 s[4:5], vcc
	s_cbranch_execz .LBB84_125
; %bb.124:
	buffer_load_dword v45, off, s[0:3], 0 offset:32
	buffer_load_dword v46, off, s[0:3], 0 offset:36
	s_waitcnt vmcnt(0)
	ds_write_b64 v43, v[45:46]
	buffer_store_dword v44, off, s[0:3], 0 offset:32
	buffer_store_dword v44, off, s[0:3], 0 offset:36
.LBB84_125:
	s_or_b64 exec, exec, s[4:5]
	s_waitcnt lgkmcnt(0)
	; wave barrier
	buffer_load_dword v53, off, s[0:3], 0 offset:40
	buffer_load_dword v54, off, s[0:3], 0 offset:44
	;; [unrolled: 1-line block ×22, first 2 shown]
	ds_read2_b64 v[45:48], v44 offset0:27 offset1:28
	ds_read2_b64 v[49:52], v44 offset0:29 offset1:30
	v_cmp_lt_u32_e32 vcc, 3, v0
	s_waitcnt vmcnt(20) lgkmcnt(1)
	v_fma_f64 v[45:46], v[53:54], v[45:46], 0
	s_waitcnt vmcnt(18)
	v_fma_f64 v[45:46], v[55:56], v[47:48], v[45:46]
	buffer_load_dword v54, off, s[0:3], 0 offset:132
	buffer_load_dword v55, off, s[0:3], 0 offset:152
	;; [unrolled: 1-line block ×8, first 2 shown]
	s_waitcnt vmcnt(24) lgkmcnt(0)
	v_fma_f64 v[45:46], v[57:58], v[49:50], v[45:46]
	s_waitcnt vmcnt(22)
	v_fma_f64 v[57:58], v[59:60], v[51:52], v[45:46]
	ds_read2_b64 v[45:48], v44 offset0:31 offset1:32
	ds_read2_b64 v[49:52], v44 offset0:33 offset1:34
	s_waitcnt vmcnt(20) lgkmcnt(1)
	v_fma_f64 v[45:46], v[61:62], v[45:46], v[57:58]
	buffer_load_dword v58, off, s[0:3], 0 offset:164
	buffer_load_dword v57, off, s[0:3], 0 offset:160
	;; [unrolled: 1-line block ×4, first 2 shown]
	s_waitcnt vmcnt(22)
	v_fma_f64 v[45:46], v[63:64], v[47:48], v[45:46]
	s_waitcnt vmcnt(20) lgkmcnt(0)
	v_fma_f64 v[45:46], v[65:66], v[49:50], v[45:46]
	s_waitcnt vmcnt(15)
	v_fma_f64 v[61:62], v[67:68], v[51:52], v[45:46]
	ds_read2_b64 v[45:48], v44 offset0:35 offset1:36
	ds_read2_b64 v[49:52], v44 offset0:37 offset1:38
	s_waitcnt vmcnt(14) lgkmcnt(1)
	v_fma_f64 v[45:46], v[73:74], v[45:46], v[61:62]
	s_waitcnt vmcnt(13)
	v_fma_f64 v[45:46], v[71:72], v[47:48], v[45:46]
	s_waitcnt vmcnt(12) lgkmcnt(0)
	v_fma_f64 v[45:46], v[69:70], v[49:50], v[45:46]
	s_waitcnt vmcnt(7)
	v_fma_f64 v[53:54], v[53:54], v[51:52], v[45:46]
	ds_read2_b64 v[45:48], v44 offset0:39 offset1:40
	ds_read2_b64 v[49:52], v44 offset0:41 offset1:42
	s_waitcnt vmcnt(6) lgkmcnt(1)
	v_fma_f64 v[44:45], v[77:78], v[45:46], v[53:54]
	s_waitcnt vmcnt(5)
	v_fma_f64 v[44:45], v[75:76], v[47:48], v[44:45]
	s_waitcnt vmcnt(4) lgkmcnt(0)
	v_fma_f64 v[44:45], v[55:56], v[49:50], v[44:45]
	s_waitcnt vmcnt(2)
	v_fma_f64 v[44:45], v[57:58], v[51:52], v[44:45]
	s_waitcnt vmcnt(0)
	v_add_f64 v[44:45], v[59:60], -v[44:45]
	buffer_store_dword v45, off, s[0:3], 0 offset:36
	buffer_store_dword v44, off, s[0:3], 0 offset:32
	s_and_saveexec_b64 s[4:5], vcc
	s_cbranch_execz .LBB84_127
; %bb.126:
	buffer_load_dword v44, off, s[0:3], 0 offset:24
	buffer_load_dword v45, off, s[0:3], 0 offset:28
	v_mov_b32_e32 v46, 0
	buffer_store_dword v46, off, s[0:3], 0 offset:24
	buffer_store_dword v46, off, s[0:3], 0 offset:28
	s_waitcnt vmcnt(2)
	ds_write_b64 v43, v[44:45]
.LBB84_127:
	s_or_b64 exec, exec, s[4:5]
	s_waitcnt lgkmcnt(0)
	; wave barrier
	buffer_load_dword v53, off, s[0:3], 0 offset:32
	buffer_load_dword v54, off, s[0:3], 0 offset:36
	;; [unrolled: 1-line block ×22, first 2 shown]
	v_mov_b32_e32 v44, 0
	ds_read_b128 v[45:48], v44 offset:208
	ds_read_b128 v[49:52], v44 offset:224
	v_cmp_lt_u32_e32 vcc, 2, v0
	s_waitcnt vmcnt(20) lgkmcnt(1)
	v_fma_f64 v[45:46], v[53:54], v[45:46], 0
	s_waitcnt vmcnt(18)
	v_fma_f64 v[45:46], v[55:56], v[47:48], v[45:46]
	buffer_load_dword v54, off, s[0:3], 0 offset:124
	buffer_load_dword v55, off, s[0:3], 0 offset:144
	;; [unrolled: 1-line block ×7, first 2 shown]
	s_waitcnt vmcnt(23) lgkmcnt(0)
	v_fma_f64 v[45:46], v[57:58], v[49:50], v[45:46]
	s_waitcnt vmcnt(21)
	v_fma_f64 v[56:57], v[59:60], v[51:52], v[45:46]
	ds_read_b128 v[45:48], v44 offset:240
	ds_read_b128 v[49:52], v44 offset:256
	s_waitcnt vmcnt(19) lgkmcnt(1)
	v_fma_f64 v[45:46], v[61:62], v[45:46], v[56:57]
	buffer_load_dword v56, off, s[0:3], 0 offset:148
	buffer_load_dword v58, off, s[0:3], 0 offset:156
	;; [unrolled: 1-line block ×7, first 2 shown]
	s_waitcnt vmcnt(24)
	v_fma_f64 v[45:46], v[63:64], v[47:48], v[45:46]
	s_waitcnt vmcnt(22) lgkmcnt(0)
	v_fma_f64 v[45:46], v[65:66], v[49:50], v[45:46]
	s_waitcnt vmcnt(17)
	v_fma_f64 v[63:64], v[67:68], v[51:52], v[45:46]
	ds_read_b128 v[45:48], v44 offset:272
	ds_read_b128 v[49:52], v44 offset:288
	s_waitcnt vmcnt(16) lgkmcnt(1)
	v_fma_f64 v[45:46], v[73:74], v[45:46], v[63:64]
	s_waitcnt vmcnt(15)
	v_fma_f64 v[45:46], v[71:72], v[47:48], v[45:46]
	s_waitcnt vmcnt(14) lgkmcnt(0)
	v_fma_f64 v[45:46], v[69:70], v[49:50], v[45:46]
	s_waitcnt vmcnt(9)
	v_fma_f64 v[53:54], v[53:54], v[51:52], v[45:46]
	ds_read_b128 v[45:48], v44 offset:304
	ds_read_b128 v[49:52], v44 offset:320
	s_waitcnt vmcnt(8) lgkmcnt(1)
	v_fma_f64 v[45:46], v[77:78], v[45:46], v[53:54]
	s_waitcnt vmcnt(7)
	v_fma_f64 v[45:46], v[75:76], v[47:48], v[45:46]
	ds_read_b64 v[47:48], v44 offset:336
	s_waitcnt vmcnt(6) lgkmcnt(1)
	v_fma_f64 v[45:46], v[55:56], v[49:50], v[45:46]
	s_waitcnt vmcnt(3)
	v_fma_f64 v[45:46], v[57:58], v[51:52], v[45:46]
	s_waitcnt vmcnt(2) lgkmcnt(0)
	v_fma_f64 v[45:46], v[59:60], v[47:48], v[45:46]
	s_waitcnt vmcnt(0)
	v_add_f64 v[45:46], v[61:62], -v[45:46]
	buffer_store_dword v46, off, s[0:3], 0 offset:28
	buffer_store_dword v45, off, s[0:3], 0 offset:24
	s_and_saveexec_b64 s[4:5], vcc
	s_cbranch_execz .LBB84_129
; %bb.128:
	buffer_load_dword v45, off, s[0:3], 0 offset:16
	buffer_load_dword v46, off, s[0:3], 0 offset:20
	s_waitcnt vmcnt(0)
	ds_write_b64 v43, v[45:46]
	buffer_store_dword v44, off, s[0:3], 0 offset:16
	buffer_store_dword v44, off, s[0:3], 0 offset:20
.LBB84_129:
	s_or_b64 exec, exec, s[4:5]
	s_waitcnt lgkmcnt(0)
	; wave barrier
	buffer_load_dword v53, off, s[0:3], 0 offset:24
	buffer_load_dword v54, off, s[0:3], 0 offset:28
	;; [unrolled: 1-line block ×22, first 2 shown]
	ds_read2_b64 v[45:48], v44 offset0:25 offset1:26
	ds_read2_b64 v[49:52], v44 offset0:27 offset1:28
	v_cmp_lt_u32_e32 vcc, 1, v0
	s_waitcnt vmcnt(20) lgkmcnt(1)
	v_fma_f64 v[45:46], v[53:54], v[45:46], 0
	s_waitcnt vmcnt(18)
	v_fma_f64 v[45:46], v[55:56], v[47:48], v[45:46]
	buffer_load_dword v54, off, s[0:3], 0 offset:116
	buffer_load_dword v55, off, s[0:3], 0 offset:136
	;; [unrolled: 1-line block ×7, first 2 shown]
	s_waitcnt vmcnt(23) lgkmcnt(0)
	v_fma_f64 v[45:46], v[57:58], v[49:50], v[45:46]
	s_waitcnt vmcnt(21)
	v_fma_f64 v[56:57], v[59:60], v[51:52], v[45:46]
	ds_read2_b64 v[45:48], v44 offset0:29 offset1:30
	ds_read2_b64 v[49:52], v44 offset0:31 offset1:32
	s_waitcnt vmcnt(19) lgkmcnt(1)
	v_fma_f64 v[45:46], v[61:62], v[45:46], v[56:57]
	buffer_load_dword v56, off, s[0:3], 0 offset:140
	buffer_load_dword v58, off, s[0:3], 0 offset:148
	;; [unrolled: 1-line block ×7, first 2 shown]
	s_waitcnt vmcnt(24)
	v_fma_f64 v[45:46], v[63:64], v[47:48], v[45:46]
	s_waitcnt vmcnt(22) lgkmcnt(0)
	v_fma_f64 v[45:46], v[65:66], v[49:50], v[45:46]
	s_waitcnt vmcnt(17)
	v_fma_f64 v[63:64], v[67:68], v[51:52], v[45:46]
	ds_read2_b64 v[45:48], v44 offset0:33 offset1:34
	buffer_load_dword v65, off, s[0:3], 0 offset:16
	buffer_load_dword v66, off, s[0:3], 0 offset:20
	ds_read2_b64 v[49:52], v44 offset0:35 offset1:36
	s_waitcnt vmcnt(18) lgkmcnt(1)
	v_fma_f64 v[45:46], v[73:74], v[45:46], v[63:64]
	s_waitcnt vmcnt(17)
	v_fma_f64 v[45:46], v[71:72], v[47:48], v[45:46]
	s_waitcnt vmcnt(16) lgkmcnt(0)
	v_fma_f64 v[45:46], v[69:70], v[49:50], v[45:46]
	s_waitcnt vmcnt(11)
	v_fma_f64 v[53:54], v[53:54], v[51:52], v[45:46]
	ds_read2_b64 v[45:48], v44 offset0:37 offset1:38
	ds_read2_b64 v[49:52], v44 offset0:39 offset1:40
	s_waitcnt vmcnt(10) lgkmcnt(1)
	v_fma_f64 v[45:46], v[77:78], v[45:46], v[53:54]
	s_waitcnt vmcnt(9)
	v_fma_f64 v[45:46], v[75:76], v[47:48], v[45:46]
	s_waitcnt vmcnt(8) lgkmcnt(0)
	v_fma_f64 v[45:46], v[55:56], v[49:50], v[45:46]
	s_waitcnt vmcnt(4)
	v_fma_f64 v[48:49], v[57:58], v[51:52], v[45:46]
	ds_read2_b64 v[44:47], v44 offset0:41 offset1:42
	s_waitcnt vmcnt(3) lgkmcnt(0)
	v_fma_f64 v[44:45], v[61:62], v[44:45], v[48:49]
	s_waitcnt vmcnt(2)
	v_fma_f64 v[44:45], v[59:60], v[46:47], v[44:45]
	s_waitcnt vmcnt(0)
	v_add_f64 v[44:45], v[65:66], -v[44:45]
	buffer_store_dword v45, off, s[0:3], 0 offset:20
	buffer_store_dword v44, off, s[0:3], 0 offset:16
	s_and_saveexec_b64 s[4:5], vcc
	s_cbranch_execz .LBB84_131
; %bb.130:
	buffer_load_dword v44, off, s[0:3], 0 offset:8
	buffer_load_dword v45, off, s[0:3], 0 offset:12
	v_mov_b32_e32 v46, 0
	buffer_store_dword v46, off, s[0:3], 0 offset:8
	buffer_store_dword v46, off, s[0:3], 0 offset:12
	s_waitcnt vmcnt(2)
	ds_write_b64 v43, v[44:45]
.LBB84_131:
	s_or_b64 exec, exec, s[4:5]
	s_waitcnt lgkmcnt(0)
	; wave barrier
	buffer_load_dword v54, off, s[0:3], 0 offset:16
	buffer_load_dword v55, off, s[0:3], 0 offset:20
	;; [unrolled: 1-line block ×22, first 2 shown]
	v_mov_b32_e32 v45, 0
	ds_read_b128 v[46:49], v45 offset:192
	ds_read_b128 v[50:53], v45 offset:208
	v_cmp_ne_u32_e32 vcc, 0, v0
	s_waitcnt vmcnt(20) lgkmcnt(1)
	v_fma_f64 v[46:47], v[54:55], v[46:47], 0
	s_waitcnt vmcnt(18)
	v_fma_f64 v[46:47], v[56:57], v[48:49], v[46:47]
	buffer_load_dword v55, off, s[0:3], 0 offset:108
	buffer_load_dword v56, off, s[0:3], 0 offset:128
	;; [unrolled: 1-line block ×7, first 2 shown]
	s_waitcnt vmcnt(23) lgkmcnt(0)
	v_fma_f64 v[46:47], v[58:59], v[50:51], v[46:47]
	s_waitcnt vmcnt(21)
	v_fma_f64 v[57:58], v[60:61], v[52:53], v[46:47]
	ds_read_b128 v[46:49], v45 offset:224
	ds_read_b128 v[50:53], v45 offset:240
	s_waitcnt vmcnt(19) lgkmcnt(1)
	v_fma_f64 v[46:47], v[62:63], v[46:47], v[57:58]
	buffer_load_dword v57, off, s[0:3], 0 offset:132
	s_waitcnt vmcnt(18)
	v_fma_f64 v[46:47], v[64:65], v[48:49], v[46:47]
	buffer_load_dword v59, off, s[0:3], 0 offset:140
	buffer_load_dword v60, off, s[0:3], 0 offset:160
	;; [unrolled: 1-line block ×8, first 2 shown]
	s_waitcnt vmcnt(24) lgkmcnt(0)
	v_fma_f64 v[46:47], v[66:67], v[50:51], v[46:47]
	s_waitcnt vmcnt(19)
	v_fma_f64 v[66:67], v[68:69], v[52:53], v[46:47]
	ds_read_b128 v[46:49], v45 offset:256
	ds_read_b128 v[50:53], v45 offset:272
	s_waitcnt vmcnt(18) lgkmcnt(1)
	v_fma_f64 v[46:47], v[74:75], v[46:47], v[66:67]
	buffer_load_dword v66, off, s[0:3], 0 offset:8
	buffer_load_dword v67, off, s[0:3], 0 offset:12
	s_waitcnt vmcnt(19)
	v_fma_f64 v[46:47], v[72:73], v[48:49], v[46:47]
	s_waitcnt vmcnt(18) lgkmcnt(0)
	v_fma_f64 v[46:47], v[70:71], v[50:51], v[46:47]
	s_waitcnt vmcnt(13)
	v_fma_f64 v[54:55], v[54:55], v[52:53], v[46:47]
	ds_read_b128 v[46:49], v45 offset:288
	ds_read_b128 v[50:53], v45 offset:304
	s_waitcnt vmcnt(12) lgkmcnt(1)
	v_fma_f64 v[46:47], v[78:79], v[46:47], v[54:55]
	s_waitcnt vmcnt(11)
	v_fma_f64 v[46:47], v[76:77], v[48:49], v[46:47]
	s_waitcnt vmcnt(10) lgkmcnt(0)
	v_fma_f64 v[46:47], v[56:57], v[50:51], v[46:47]
	s_waitcnt vmcnt(5)
	v_fma_f64 v[50:51], v[58:59], v[52:53], v[46:47]
	ds_read_b128 v[46:49], v45 offset:320
	ds_read_b64 v[52:53], v45 offset:336
	s_waitcnt vmcnt(4) lgkmcnt(1)
	v_fma_f64 v[46:47], v[64:65], v[46:47], v[50:51]
	s_waitcnt vmcnt(3)
	v_fma_f64 v[46:47], v[62:63], v[48:49], v[46:47]
	s_waitcnt vmcnt(2) lgkmcnt(0)
	v_fma_f64 v[46:47], v[60:61], v[52:53], v[46:47]
	s_waitcnt vmcnt(0)
	v_add_f64 v[46:47], v[66:67], -v[46:47]
	buffer_store_dword v47, off, s[0:3], 0 offset:12
	buffer_store_dword v46, off, s[0:3], 0 offset:8
	s_and_saveexec_b64 s[4:5], vcc
	s_cbranch_execz .LBB84_133
; %bb.132:
	buffer_load_dword v46, off, s[0:3], 0
	buffer_load_dword v47, off, s[0:3], 0 offset:4
	s_waitcnt vmcnt(0)
	ds_write_b64 v43, v[46:47]
	buffer_store_dword v45, off, s[0:3], 0
	buffer_store_dword v45, off, s[0:3], 0 offset:4
.LBB84_133:
	s_or_b64 exec, exec, s[4:5]
	s_waitcnt lgkmcnt(0)
	; wave barrier
	buffer_load_dword v43, off, s[0:3], 0 offset:8
	buffer_load_dword v44, off, s[0:3], 0 offset:12
	;; [unrolled: 1-line block ×22, first 2 shown]
	ds_read2_b64 v[46:49], v45 offset0:23 offset1:24
	ds_read2_b64 v[50:53], v45 offset0:25 offset1:26
	s_and_b64 vcc, exec, s[14:15]
	s_waitcnt vmcnt(20) lgkmcnt(1)
	v_fma_f64 v[43:44], v[43:44], v[46:47], 0
	s_waitcnt vmcnt(18)
	v_fma_f64 v[43:44], v[54:55], v[48:49], v[43:44]
	buffer_load_dword v55, off, s[0:3], 0 offset:100
	buffer_load_dword v74, off, s[0:3], 0 offset:120
	;; [unrolled: 1-line block ×8, first 2 shown]
	ds_read2_b64 v[46:49], v45 offset0:27 offset1:28
	s_waitcnt vmcnt(24) lgkmcnt(1)
	v_fma_f64 v[43:44], v[56:57], v[50:51], v[43:44]
	s_waitcnt vmcnt(22)
	v_fma_f64 v[43:44], v[58:59], v[52:53], v[43:44]
	ds_read2_b64 v[50:53], v45 offset0:29 offset1:30
	s_waitcnt vmcnt(20) lgkmcnt(1)
	v_fma_f64 v[43:44], v[60:61], v[46:47], v[43:44]
	s_waitcnt vmcnt(18)
	v_fma_f64 v[46:47], v[62:63], v[48:49], v[43:44]
	buffer_load_dword v57, off, s[0:3], 0 offset:132
	buffer_load_dword v43, off, s[0:3], 0 offset:152
	;; [unrolled: 1-line block ×8, first 2 shown]
	s_waitcnt vmcnt(24) lgkmcnt(0)
	v_fma_f64 v[46:47], v[64:65], v[50:51], v[46:47]
	s_waitcnt vmcnt(19)
	v_fma_f64 v[62:63], v[66:67], v[52:53], v[46:47]
	ds_read2_b64 v[46:49], v45 offset0:31 offset1:32
	ds_read2_b64 v[50:53], v45 offset0:33 offset1:34
	s_waitcnt vmcnt(18) lgkmcnt(1)
	v_fma_f64 v[46:47], v[72:73], v[46:47], v[62:63]
	buffer_load_dword v63, off, s[0:3], 0 offset:164
	buffer_load_dword v62, off, s[0:3], 0 offset:160
	buffer_load_dword v64, off, s[0:3], 0
	buffer_load_dword v65, off, s[0:3], 0 offset:4
	s_waitcnt vmcnt(21)
	v_fma_f64 v[46:47], v[70:71], v[48:49], v[46:47]
	s_waitcnt vmcnt(20) lgkmcnt(0)
	v_fma_f64 v[46:47], v[68:69], v[50:51], v[46:47]
	s_waitcnt vmcnt(15)
	v_fma_f64 v[54:55], v[54:55], v[52:53], v[46:47]
	ds_read2_b64 v[46:49], v45 offset0:35 offset1:36
	ds_read2_b64 v[50:53], v45 offset0:37 offset1:38
	s_waitcnt vmcnt(14) lgkmcnt(1)
	v_fma_f64 v[46:47], v[78:79], v[46:47], v[54:55]
	s_waitcnt vmcnt(13)
	v_fma_f64 v[46:47], v[76:77], v[48:49], v[46:47]
	s_waitcnt vmcnt(12) lgkmcnt(0)
	v_fma_f64 v[46:47], v[74:75], v[50:51], v[46:47]
	s_waitcnt vmcnt(7)
	v_fma_f64 v[54:55], v[56:57], v[52:53], v[46:47]
	ds_read2_b64 v[46:49], v45 offset0:39 offset1:40
	ds_read2_b64 v[50:53], v45 offset0:41 offset1:42
	s_waitcnt vmcnt(6) lgkmcnt(1)
	v_fma_f64 v[45:46], v[60:61], v[46:47], v[54:55]
	s_waitcnt vmcnt(5)
	v_fma_f64 v[45:46], v[58:59], v[48:49], v[45:46]
	s_waitcnt vmcnt(4) lgkmcnt(0)
	v_fma_f64 v[45:46], v[43:44], v[50:51], v[45:46]
	s_waitcnt vmcnt(2)
	v_fma_f64 v[45:46], v[62:63], v[52:53], v[45:46]
	s_waitcnt vmcnt(0)
	v_add_f64 v[45:46], v[64:65], -v[45:46]
	buffer_store_dword v46, off, s[0:3], 0 offset:4
	buffer_store_dword v45, off, s[0:3], 0
	s_cbranch_vccz .LBB84_174
; %bb.134:
	v_mov_b32_e32 v0, 0
	global_load_dword v45, v0, s[12:13] offset:76
	s_waitcnt vmcnt(0)
	v_add_u32_e32 v45, -1, v45
	v_cmp_ne_u32_e32 vcc, 19, v45
	s_cbranch_vccz .LBB84_136
; %bb.135:
	v_lshlrev_b32_e32 v45, 3, v45
	buffer_load_dword v46, v45, s[0:3], 0 offen
	buffer_load_dword v47, v45, s[0:3], 0 offen offset:4
	s_waitcnt vmcnt(1)
	buffer_store_dword v46, off, s[0:3], 0 offset:152
	s_waitcnt vmcnt(1)
	buffer_store_dword v47, off, s[0:3], 0 offset:156
	buffer_store_dword v43, v45, s[0:3], 0 offen
	buffer_store_dword v44, v45, s[0:3], 0 offen offset:4
.LBB84_136:
	global_load_dword v0, v0, s[12:13] offset:72
	s_waitcnt vmcnt(0)
	v_add_u32_e32 v0, -1, v0
	v_cmp_eq_u32_e32 vcc, 18, v0
	s_cbranch_vccnz .LBB84_138
; %bb.137:
	v_lshlrev_b32_e32 v0, 3, v0
	buffer_load_dword v43, v0, s[0:3], 0 offen
	buffer_load_dword v44, v0, s[0:3], 0 offen offset:4
	buffer_load_dword v45, off, s[0:3], 0 offset:148
	buffer_load_dword v46, off, s[0:3], 0 offset:144
	s_waitcnt vmcnt(3)
	buffer_store_dword v43, off, s[0:3], 0 offset:144
	s_waitcnt vmcnt(3)
	buffer_store_dword v44, off, s[0:3], 0 offset:148
	s_waitcnt vmcnt(3)
	buffer_store_dword v45, v0, s[0:3], 0 offen offset:4
	s_waitcnt vmcnt(3)
	buffer_store_dword v46, v0, s[0:3], 0 offen
.LBB84_138:
	v_mov_b32_e32 v0, 0
	global_load_dword v43, v0, s[12:13] offset:68
	s_waitcnt vmcnt(0)
	v_add_u32_e32 v43, -1, v43
	v_cmp_eq_u32_e32 vcc, 17, v43
	s_cbranch_vccnz .LBB84_140
; %bb.139:
	v_lshlrev_b32_e32 v43, 3, v43
	buffer_load_dword v44, v43, s[0:3], 0 offen
	buffer_load_dword v45, v43, s[0:3], 0 offen offset:4
	buffer_load_dword v46, off, s[0:3], 0 offset:136
	buffer_load_dword v47, off, s[0:3], 0 offset:140
	s_waitcnt vmcnt(3)
	buffer_store_dword v44, off, s[0:3], 0 offset:136
	s_waitcnt vmcnt(3)
	buffer_store_dword v45, off, s[0:3], 0 offset:140
	s_waitcnt vmcnt(3)
	buffer_store_dword v46, v43, s[0:3], 0 offen
	s_waitcnt vmcnt(3)
	buffer_store_dword v47, v43, s[0:3], 0 offen offset:4
.LBB84_140:
	global_load_dword v0, v0, s[12:13] offset:64
	s_waitcnt vmcnt(0)
	v_add_u32_e32 v0, -1, v0
	v_cmp_eq_u32_e32 vcc, 16, v0
	s_cbranch_vccnz .LBB84_142
; %bb.141:
	v_lshlrev_b32_e32 v0, 3, v0
	buffer_load_dword v43, v0, s[0:3], 0 offen
	buffer_load_dword v44, v0, s[0:3], 0 offen offset:4
	buffer_load_dword v45, off, s[0:3], 0 offset:132
	buffer_load_dword v46, off, s[0:3], 0 offset:128
	s_waitcnt vmcnt(3)
	buffer_store_dword v43, off, s[0:3], 0 offset:128
	s_waitcnt vmcnt(3)
	buffer_store_dword v44, off, s[0:3], 0 offset:132
	s_waitcnt vmcnt(3)
	buffer_store_dword v45, v0, s[0:3], 0 offen offset:4
	s_waitcnt vmcnt(3)
	buffer_store_dword v46, v0, s[0:3], 0 offen
.LBB84_142:
	v_mov_b32_e32 v0, 0
	global_load_dword v43, v0, s[12:13] offset:60
	s_waitcnt vmcnt(0)
	v_add_u32_e32 v43, -1, v43
	v_cmp_eq_u32_e32 vcc, 15, v43
	s_cbranch_vccnz .LBB84_144
; %bb.143:
	v_lshlrev_b32_e32 v43, 3, v43
	buffer_load_dword v44, v43, s[0:3], 0 offen
	buffer_load_dword v45, v43, s[0:3], 0 offen offset:4
	buffer_load_dword v46, off, s[0:3], 0 offset:120
	buffer_load_dword v47, off, s[0:3], 0 offset:124
	s_waitcnt vmcnt(3)
	buffer_store_dword v44, off, s[0:3], 0 offset:120
	s_waitcnt vmcnt(3)
	buffer_store_dword v45, off, s[0:3], 0 offset:124
	s_waitcnt vmcnt(3)
	buffer_store_dword v46, v43, s[0:3], 0 offen
	s_waitcnt vmcnt(3)
	buffer_store_dword v47, v43, s[0:3], 0 offen offset:4
.LBB84_144:
	;; [unrolled: 41-line block ×9, first 2 shown]
	global_load_dword v0, v0, s[12:13]
	s_nop 0
	buffer_load_dword v45, off, s[0:3], 0
	buffer_load_dword v46, off, s[0:3], 0 offset:4
	s_waitcnt vmcnt(2)
	v_add_u32_e32 v0, -1, v0
	v_cmp_eq_u32_e32 vcc, 0, v0
	s_cbranch_vccnz .LBB84_174
; %bb.173:
	v_lshlrev_b32_e32 v0, 3, v0
	buffer_load_dword v43, v0, s[0:3], 0 offen offset:4
	buffer_load_dword v44, v0, s[0:3], 0 offen
	s_waitcnt vmcnt(1)
	buffer_store_dword v43, off, s[0:3], 0 offset:4
	s_waitcnt vmcnt(1)
	buffer_store_dword v44, off, s[0:3], 0
	buffer_store_dword v46, v0, s[0:3], 0 offen offset:4
	buffer_store_dword v45, v0, s[0:3], 0 offen
	buffer_load_dword v45, off, s[0:3], 0
	s_nop 0
	buffer_load_dword v46, off, s[0:3], 0 offset:4
.LBB84_174:
	s_waitcnt vmcnt(0)
	flat_store_dwordx2 v[1:2], v[45:46]
	buffer_load_dword v0, off, s[0:3], 0 offset:8
	s_nop 0
	buffer_load_dword v1, off, s[0:3], 0 offset:12
	s_waitcnt vmcnt(0)
	flat_store_dwordx2 v[3:4], v[0:1]
	buffer_load_dword v0, off, s[0:3], 0 offset:16
	s_nop 0
	buffer_load_dword v1, off, s[0:3], 0 offset:20
	;; [unrolled: 5-line block ×20, first 2 shown]
	s_waitcnt vmcnt(0)
	flat_store_dwordx2 v[41:42], v[0:1]
	s_endpgm
	.section	.rodata,"a",@progbits
	.p2align	6, 0x0
	.amdhsa_kernel _ZN9rocsolver6v33100L18getri_kernel_smallILi21EdPKPdEEvT1_iilPiilS6_bb
		.amdhsa_group_segment_fixed_size 344
		.amdhsa_private_segment_fixed_size 176
		.amdhsa_kernarg_size 60
		.amdhsa_user_sgpr_count 6
		.amdhsa_user_sgpr_private_segment_buffer 1
		.amdhsa_user_sgpr_dispatch_ptr 0
		.amdhsa_user_sgpr_queue_ptr 0
		.amdhsa_user_sgpr_kernarg_segment_ptr 1
		.amdhsa_user_sgpr_dispatch_id 0
		.amdhsa_user_sgpr_flat_scratch_init 0
		.amdhsa_user_sgpr_private_segment_size 0
		.amdhsa_uses_dynamic_stack 0
		.amdhsa_system_sgpr_private_segment_wavefront_offset 1
		.amdhsa_system_sgpr_workgroup_id_x 1
		.amdhsa_system_sgpr_workgroup_id_y 0
		.amdhsa_system_sgpr_workgroup_id_z 0
		.amdhsa_system_sgpr_workgroup_info 0
		.amdhsa_system_vgpr_workitem_id 0
		.amdhsa_next_free_vgpr 80
		.amdhsa_next_free_sgpr 21
		.amdhsa_reserve_vcc 1
		.amdhsa_reserve_flat_scratch 0
		.amdhsa_float_round_mode_32 0
		.amdhsa_float_round_mode_16_64 0
		.amdhsa_float_denorm_mode_32 3
		.amdhsa_float_denorm_mode_16_64 3
		.amdhsa_dx10_clamp 1
		.amdhsa_ieee_mode 1
		.amdhsa_fp16_overflow 0
		.amdhsa_exception_fp_ieee_invalid_op 0
		.amdhsa_exception_fp_denorm_src 0
		.amdhsa_exception_fp_ieee_div_zero 0
		.amdhsa_exception_fp_ieee_overflow 0
		.amdhsa_exception_fp_ieee_underflow 0
		.amdhsa_exception_fp_ieee_inexact 0
		.amdhsa_exception_int_div_zero 0
	.end_amdhsa_kernel
	.section	.text._ZN9rocsolver6v33100L18getri_kernel_smallILi21EdPKPdEEvT1_iilPiilS6_bb,"axG",@progbits,_ZN9rocsolver6v33100L18getri_kernel_smallILi21EdPKPdEEvT1_iilPiilS6_bb,comdat
.Lfunc_end84:
	.size	_ZN9rocsolver6v33100L18getri_kernel_smallILi21EdPKPdEEvT1_iilPiilS6_bb, .Lfunc_end84-_ZN9rocsolver6v33100L18getri_kernel_smallILi21EdPKPdEEvT1_iilPiilS6_bb
                                        ; -- End function
	.set _ZN9rocsolver6v33100L18getri_kernel_smallILi21EdPKPdEEvT1_iilPiilS6_bb.num_vgpr, 80
	.set _ZN9rocsolver6v33100L18getri_kernel_smallILi21EdPKPdEEvT1_iilPiilS6_bb.num_agpr, 0
	.set _ZN9rocsolver6v33100L18getri_kernel_smallILi21EdPKPdEEvT1_iilPiilS6_bb.numbered_sgpr, 21
	.set _ZN9rocsolver6v33100L18getri_kernel_smallILi21EdPKPdEEvT1_iilPiilS6_bb.num_named_barrier, 0
	.set _ZN9rocsolver6v33100L18getri_kernel_smallILi21EdPKPdEEvT1_iilPiilS6_bb.private_seg_size, 176
	.set _ZN9rocsolver6v33100L18getri_kernel_smallILi21EdPKPdEEvT1_iilPiilS6_bb.uses_vcc, 1
	.set _ZN9rocsolver6v33100L18getri_kernel_smallILi21EdPKPdEEvT1_iilPiilS6_bb.uses_flat_scratch, 0
	.set _ZN9rocsolver6v33100L18getri_kernel_smallILi21EdPKPdEEvT1_iilPiilS6_bb.has_dyn_sized_stack, 0
	.set _ZN9rocsolver6v33100L18getri_kernel_smallILi21EdPKPdEEvT1_iilPiilS6_bb.has_recursion, 0
	.set _ZN9rocsolver6v33100L18getri_kernel_smallILi21EdPKPdEEvT1_iilPiilS6_bb.has_indirect_call, 0
	.section	.AMDGPU.csdata,"",@progbits
; Kernel info:
; codeLenInByte = 17280
; TotalNumSgprs: 25
; NumVgprs: 80
; ScratchSize: 176
; MemoryBound: 0
; FloatMode: 240
; IeeeMode: 1
; LDSByteSize: 344 bytes/workgroup (compile time only)
; SGPRBlocks: 3
; VGPRBlocks: 19
; NumSGPRsForWavesPerEU: 25
; NumVGPRsForWavesPerEU: 80
; Occupancy: 3
; WaveLimiterHint : 1
; COMPUTE_PGM_RSRC2:SCRATCH_EN: 1
; COMPUTE_PGM_RSRC2:USER_SGPR: 6
; COMPUTE_PGM_RSRC2:TRAP_HANDLER: 0
; COMPUTE_PGM_RSRC2:TGID_X_EN: 1
; COMPUTE_PGM_RSRC2:TGID_Y_EN: 0
; COMPUTE_PGM_RSRC2:TGID_Z_EN: 0
; COMPUTE_PGM_RSRC2:TIDIG_COMP_CNT: 0
	.section	.text._ZN9rocsolver6v33100L18getri_kernel_smallILi22EdPKPdEEvT1_iilPiilS6_bb,"axG",@progbits,_ZN9rocsolver6v33100L18getri_kernel_smallILi22EdPKPdEEvT1_iilPiilS6_bb,comdat
	.globl	_ZN9rocsolver6v33100L18getri_kernel_smallILi22EdPKPdEEvT1_iilPiilS6_bb ; -- Begin function _ZN9rocsolver6v33100L18getri_kernel_smallILi22EdPKPdEEvT1_iilPiilS6_bb
	.p2align	8
	.type	_ZN9rocsolver6v33100L18getri_kernel_smallILi22EdPKPdEEvT1_iilPiilS6_bb,@function
_ZN9rocsolver6v33100L18getri_kernel_smallILi22EdPKPdEEvT1_iilPiilS6_bb: ; @_ZN9rocsolver6v33100L18getri_kernel_smallILi22EdPKPdEEvT1_iilPiilS6_bb
; %bb.0:
	s_add_u32 s0, s0, s7
	s_addc_u32 s1, s1, 0
	v_cmp_gt_u32_e32 vcc, 22, v0
	s_and_saveexec_b64 s[8:9], vcc
	s_cbranch_execz .LBB85_96
; %bb.1:
	s_load_dword s18, s[4:5], 0x38
	s_load_dwordx2 s[12:13], s[4:5], 0x0
	s_load_dwordx4 s[8:11], s[4:5], 0x28
	s_waitcnt lgkmcnt(0)
	s_bitcmp1_b32 s18, 8
	s_cselect_b64 s[14:15], -1, 0
	s_ashr_i32 s7, s6, 31
	s_lshl_b64 s[16:17], s[6:7], 3
	s_add_u32 s12, s12, s16
	s_addc_u32 s13, s13, s17
	s_load_dwordx2 s[16:17], s[12:13], 0x0
	s_bfe_u32 s12, s18, 0x10008
	s_cmp_eq_u32 s12, 0
                                        ; implicit-def: $sgpr12_sgpr13
	s_cbranch_scc1 .LBB85_3
; %bb.2:
	s_load_dword s12, s[4:5], 0x20
	s_load_dwordx2 s[18:19], s[4:5], 0x18
	s_mul_i32 s13, s8, s7
	s_mul_hi_u32 s20, s8, s6
	s_add_i32 s20, s20, s13
	s_mul_i32 s9, s9, s6
	s_add_i32 s9, s20, s9
	s_mul_i32 s8, s8, s6
	s_waitcnt lgkmcnt(0)
	s_ashr_i32 s13, s12, 31
	s_lshl_b64 s[8:9], s[8:9], 2
	s_add_u32 s18, s18, s8
	s_addc_u32 s19, s19, s9
	s_lshl_b64 s[8:9], s[12:13], 2
	s_add_u32 s12, s18, s8
	s_addc_u32 s13, s19, s9
.LBB85_3:
	s_load_dwordx2 s[8:9], s[4:5], 0x8
	s_load_dword s18, s[4:5], 0x38
	v_lshlrev_b32_e32 v47, 3, v0
	s_waitcnt lgkmcnt(0)
	s_ashr_i32 s5, s8, 31
	s_mov_b32 s4, s8
	s_lshl_b64 s[4:5], s[4:5], 3
	s_add_u32 s8, s16, s4
	s_addc_u32 s16, s17, s5
	v_mov_b32_e32 v2, s16
	v_add_co_u32_e32 v1, vcc, s8, v47
	v_addc_co_u32_e32 v2, vcc, 0, v2, vcc
	flat_load_dwordx2 v[5:6], v[1:2]
	s_mov_b32 s4, s9
	s_ashr_i32 s5, s9, 31
	s_lshl_b64 s[4:5], s[4:5], 3
	v_mov_b32_e32 v4, s5
	v_add_co_u32_e32 v3, vcc, s4, v1
	v_addc_co_u32_e32 v4, vcc, v2, v4, vcc
	s_add_i32 s4, s9, s9
	v_add_u32_e32 v9, s4, v0
	v_ashrrev_i32_e32 v10, 31, v9
	v_mov_b32_e32 v11, s16
	v_add_u32_e32 v12, s9, v9
	v_ashrrev_i32_e32 v13, 31, v12
	v_mov_b32_e32 v14, s16
	v_mov_b32_e32 v15, s16
	;; [unrolled: 1-line block ×18, first 2 shown]
	s_bitcmp0_b32 s18, 0
	s_waitcnt vmcnt(0) lgkmcnt(0)
	buffer_store_dword v6, off, s[0:3], 0 offset:4
	buffer_store_dword v5, off, s[0:3], 0
	flat_load_dwordx2 v[7:8], v[3:4]
	v_lshlrev_b64 v[5:6], 3, v[9:10]
	s_waitcnt vmcnt(0) lgkmcnt(0)
	buffer_store_dword v8, off, s[0:3], 0 offset:12
	buffer_store_dword v7, off, s[0:3], 0 offset:8
	v_add_co_u32_e32 v5, vcc, s8, v5
	v_addc_co_u32_e32 v6, vcc, v11, v6, vcc
	flat_load_dwordx2 v[10:11], v[5:6]
	v_lshlrev_b64 v[7:8], 3, v[12:13]
	s_waitcnt vmcnt(0) lgkmcnt(0)
	buffer_store_dword v11, off, s[0:3], 0 offset:20
	buffer_store_dword v10, off, s[0:3], 0 offset:16
	v_add_co_u32_e32 v7, vcc, s8, v7
	v_addc_co_u32_e32 v8, vcc, v14, v8, vcc
	flat_load_dwordx2 v[13:14], v[7:8]
	v_add_u32_e32 v11, s9, v12
	v_ashrrev_i32_e32 v12, 31, v11
	v_lshlrev_b64 v[9:10], 3, v[11:12]
	s_waitcnt vmcnt(0) lgkmcnt(0)
	buffer_store_dword v14, off, s[0:3], 0 offset:28
	buffer_store_dword v13, off, s[0:3], 0 offset:24
	v_add_co_u32_e32 v9, vcc, s8, v9
	v_addc_co_u32_e32 v10, vcc, v15, v10, vcc
	flat_load_dwordx2 v[13:14], v[9:10]
	v_add_u32_e32 v15, s9, v11
	v_ashrrev_i32_e32 v16, 31, v15
	v_lshlrev_b64 v[11:12], 3, v[15:16]
	v_add_u32_e32 v18, s9, v15
	v_add_co_u32_e32 v11, vcc, s8, v11
	v_addc_co_u32_e32 v12, vcc, v17, v12, vcc
	v_ashrrev_i32_e32 v19, 31, v18
	s_waitcnt vmcnt(0) lgkmcnt(0)
	buffer_store_dword v14, off, s[0:3], 0 offset:36
	buffer_store_dword v13, off, s[0:3], 0 offset:32
	flat_load_dwordx2 v[16:17], v[11:12]
	v_lshlrev_b64 v[13:14], 3, v[18:19]
	s_waitcnt vmcnt(0) lgkmcnt(0)
	buffer_store_dword v17, off, s[0:3], 0 offset:44
	buffer_store_dword v16, off, s[0:3], 0 offset:40
	v_add_co_u32_e32 v13, vcc, s8, v13
	v_addc_co_u32_e32 v14, vcc, v20, v14, vcc
	flat_load_dwordx2 v[19:20], v[13:14]
	v_add_u32_e32 v17, s9, v18
	v_ashrrev_i32_e32 v18, 31, v17
	v_lshlrev_b64 v[15:16], 3, v[17:18]
	s_waitcnt vmcnt(0) lgkmcnt(0)
	buffer_store_dword v20, off, s[0:3], 0 offset:52
	buffer_store_dword v19, off, s[0:3], 0 offset:48
	v_add_co_u32_e32 v15, vcc, s8, v15
	v_addc_co_u32_e32 v16, vcc, v21, v16, vcc
	flat_load_dwordx2 v[19:20], v[15:16]
	v_add_u32_e32 v21, s9, v17
	v_ashrrev_i32_e32 v22, 31, v21
	v_lshlrev_b64 v[17:18], 3, v[21:22]
	v_add_u32_e32 v24, s9, v21
	v_add_co_u32_e32 v17, vcc, s8, v17
	v_addc_co_u32_e32 v18, vcc, v23, v18, vcc
	v_ashrrev_i32_e32 v25, 31, v24
	s_waitcnt vmcnt(0) lgkmcnt(0)
	buffer_store_dword v20, off, s[0:3], 0 offset:60
	buffer_store_dword v19, off, s[0:3], 0 offset:56
	flat_load_dwordx2 v[22:23], v[17:18]
	v_lshlrev_b64 v[19:20], 3, v[24:25]
	s_waitcnt vmcnt(0) lgkmcnt(0)
	buffer_store_dword v23, off, s[0:3], 0 offset:68
	buffer_store_dword v22, off, s[0:3], 0 offset:64
	v_add_co_u32_e32 v19, vcc, s8, v19
	v_addc_co_u32_e32 v20, vcc, v26, v20, vcc
	flat_load_dwordx2 v[25:26], v[19:20]
	v_add_u32_e32 v23, s9, v24
	v_ashrrev_i32_e32 v24, 31, v23
	v_lshlrev_b64 v[21:22], 3, v[23:24]
	s_waitcnt vmcnt(0) lgkmcnt(0)
	buffer_store_dword v26, off, s[0:3], 0 offset:76
	buffer_store_dword v25, off, s[0:3], 0 offset:72
	v_add_co_u32_e32 v21, vcc, s8, v21
	v_addc_co_u32_e32 v22, vcc, v27, v22, vcc
	flat_load_dwordx2 v[25:26], v[21:22]
	v_add_u32_e32 v27, s9, v23
	v_ashrrev_i32_e32 v28, 31, v27
	v_lshlrev_b64 v[23:24], 3, v[27:28]
	v_add_u32_e32 v30, s9, v27
	v_add_co_u32_e32 v23, vcc, s8, v23
	v_addc_co_u32_e32 v24, vcc, v29, v24, vcc
	v_ashrrev_i32_e32 v31, 31, v30
	s_waitcnt vmcnt(0) lgkmcnt(0)
	buffer_store_dword v26, off, s[0:3], 0 offset:84
	buffer_store_dword v25, off, s[0:3], 0 offset:80
	flat_load_dwordx2 v[28:29], v[23:24]
	v_lshlrev_b64 v[25:26], 3, v[30:31]
	s_waitcnt vmcnt(0) lgkmcnt(0)
	buffer_store_dword v29, off, s[0:3], 0 offset:92
	buffer_store_dword v28, off, s[0:3], 0 offset:88
	v_add_co_u32_e32 v25, vcc, s8, v25
	v_addc_co_u32_e32 v26, vcc, v32, v26, vcc
	flat_load_dwordx2 v[31:32], v[25:26]
	v_add_u32_e32 v29, s9, v30
	v_ashrrev_i32_e32 v30, 31, v29
	v_lshlrev_b64 v[27:28], 3, v[29:30]
	s_waitcnt vmcnt(0) lgkmcnt(0)
	buffer_store_dword v32, off, s[0:3], 0 offset:100
	buffer_store_dword v31, off, s[0:3], 0 offset:96
	v_add_co_u32_e32 v27, vcc, s8, v27
	v_addc_co_u32_e32 v28, vcc, v33, v28, vcc
	flat_load_dwordx2 v[31:32], v[27:28]
	v_add_u32_e32 v33, s9, v29
	v_ashrrev_i32_e32 v34, 31, v33
	v_lshlrev_b64 v[29:30], 3, v[33:34]
	v_add_u32_e32 v36, s9, v33
	v_add_co_u32_e32 v29, vcc, s8, v29
	v_addc_co_u32_e32 v30, vcc, v35, v30, vcc
	v_ashrrev_i32_e32 v37, 31, v36
	s_waitcnt vmcnt(0) lgkmcnt(0)
	buffer_store_dword v32, off, s[0:3], 0 offset:108
	buffer_store_dword v31, off, s[0:3], 0 offset:104
	flat_load_dwordx2 v[34:35], v[29:30]
	v_lshlrev_b64 v[31:32], 3, v[36:37]
	s_waitcnt vmcnt(0) lgkmcnt(0)
	buffer_store_dword v35, off, s[0:3], 0 offset:116
	buffer_store_dword v34, off, s[0:3], 0 offset:112
	v_add_co_u32_e32 v31, vcc, s8, v31
	v_addc_co_u32_e32 v32, vcc, v38, v32, vcc
	flat_load_dwordx2 v[37:38], v[31:32]
	v_add_u32_e32 v35, s9, v36
	v_ashrrev_i32_e32 v36, 31, v35
	v_lshlrev_b64 v[33:34], 3, v[35:36]
	s_waitcnt vmcnt(0) lgkmcnt(0)
	buffer_store_dword v38, off, s[0:3], 0 offset:124
	buffer_store_dword v37, off, s[0:3], 0 offset:120
	v_add_co_u32_e32 v33, vcc, s8, v33
	v_addc_co_u32_e32 v34, vcc, v39, v34, vcc
	flat_load_dwordx2 v[37:38], v[33:34]
	v_add_u32_e32 v39, s9, v35
	v_ashrrev_i32_e32 v40, 31, v39
	v_lshlrev_b64 v[35:36], 3, v[39:40]
	v_add_u32_e32 v42, s9, v39
	v_add_co_u32_e32 v35, vcc, s8, v35
	v_addc_co_u32_e32 v36, vcc, v41, v36, vcc
	v_ashrrev_i32_e32 v43, 31, v42
	s_waitcnt vmcnt(0) lgkmcnt(0)
	buffer_store_dword v38, off, s[0:3], 0 offset:132
	buffer_store_dword v37, off, s[0:3], 0 offset:128
	flat_load_dwordx2 v[40:41], v[35:36]
	v_lshlrev_b64 v[37:38], 3, v[42:43]
	s_waitcnt vmcnt(0) lgkmcnt(0)
	buffer_store_dword v41, off, s[0:3], 0 offset:140
	buffer_store_dword v40, off, s[0:3], 0 offset:136
	v_add_co_u32_e32 v37, vcc, s8, v37
	v_addc_co_u32_e32 v38, vcc, v44, v38, vcc
	flat_load_dwordx2 v[43:44], v[37:38]
	v_add_u32_e32 v41, s9, v42
	v_ashrrev_i32_e32 v42, 31, v41
	v_lshlrev_b64 v[39:40], 3, v[41:42]
	s_waitcnt vmcnt(0) lgkmcnt(0)
	buffer_store_dword v44, off, s[0:3], 0 offset:148
	buffer_store_dword v43, off, s[0:3], 0 offset:144
	v_add_co_u32_e32 v39, vcc, s8, v39
	v_addc_co_u32_e32 v40, vcc, v45, v40, vcc
	flat_load_dwordx2 v[43:44], v[39:40]
	v_add_u32_e32 v45, s9, v41
	v_ashrrev_i32_e32 v46, 31, v45
	v_lshlrev_b64 v[41:42], 3, v[45:46]
	v_mov_b32_e32 v46, s16
	v_add_co_u32_e32 v41, vcc, s8, v41
	v_addc_co_u32_e32 v42, vcc, v48, v42, vcc
	s_waitcnt vmcnt(0) lgkmcnt(0)
	buffer_store_dword v44, off, s[0:3], 0 offset:156
	buffer_store_dword v43, off, s[0:3], 0 offset:152
	flat_load_dwordx2 v[48:49], v[41:42]
	v_add_u32_e32 v43, s9, v45
	v_ashrrev_i32_e32 v44, 31, v43
	v_lshlrev_b64 v[43:44], 3, v[43:44]
	s_waitcnt vmcnt(0) lgkmcnt(0)
	buffer_store_dword v49, off, s[0:3], 0 offset:164
	buffer_store_dword v48, off, s[0:3], 0 offset:160
	v_add_co_u32_e32 v43, vcc, s8, v43
	v_addc_co_u32_e32 v44, vcc, v46, v44, vcc
	flat_load_dwordx2 v[45:46], v[43:44]
	s_mov_b64 s[8:9], -1
	s_waitcnt vmcnt(0) lgkmcnt(0)
	buffer_store_dword v46, off, s[0:3], 0 offset:172
	buffer_store_dword v45, off, s[0:3], 0 offset:168
	s_cbranch_scc1 .LBB85_94
; %bb.4:
	v_cmp_eq_u32_e64 s[4:5], 0, v0
	s_and_saveexec_b64 s[8:9], s[4:5]
; %bb.5:
	v_mov_b32_e32 v45, 0
	ds_write_b32 v45, v45 offset:352
; %bb.6:
	s_or_b64 exec, exec, s[8:9]
	v_mov_b32_e32 v45, 0
	v_lshl_add_u32 v45, v0, 3, v45
	s_waitcnt lgkmcnt(0)
	; wave barrier
	buffer_load_dword v48, v45, s[0:3], 0 offen
	buffer_load_dword v49, v45, s[0:3], 0 offen offset:4
	s_waitcnt vmcnt(0)
	v_cmp_eq_f64_e32 vcc, 0, v[48:49]
	s_and_saveexec_b64 s[16:17], vcc
	s_cbranch_execz .LBB85_10
; %bb.7:
	v_mov_b32_e32 v46, 0
	ds_read_b32 v49, v46 offset:352
	v_add_u32_e32 v48, 1, v0
	s_waitcnt lgkmcnt(0)
	v_readfirstlane_b32 s8, v49
	s_cmp_eq_u32 s8, 0
	s_cselect_b64 s[18:19], -1, 0
	v_cmp_gt_i32_e32 vcc, s8, v48
	s_or_b64 s[18:19], s[18:19], vcc
	s_and_b64 exec, exec, s[18:19]
	s_cbranch_execz .LBB85_10
; %bb.8:
	s_mov_b64 s[18:19], 0
	v_mov_b32_e32 v49, s8
.LBB85_9:                               ; =>This Inner Loop Header: Depth=1
	ds_cmpst_rtn_b32 v49, v46, v49, v48 offset:352
	s_waitcnt lgkmcnt(0)
	v_cmp_ne_u32_e32 vcc, 0, v49
	v_cmp_le_i32_e64 s[8:9], v49, v48
	s_and_b64 s[8:9], vcc, s[8:9]
	s_and_b64 s[8:9], exec, s[8:9]
	s_or_b64 s[18:19], s[8:9], s[18:19]
	s_andn2_b64 exec, exec, s[18:19]
	s_cbranch_execnz .LBB85_9
.LBB85_10:
	s_or_b64 exec, exec, s[16:17]
	v_mov_b32_e32 v48, 0
	; wave barrier
	ds_read_b32 v46, v48 offset:352
	s_and_saveexec_b64 s[8:9], s[4:5]
	s_cbranch_execz .LBB85_12
; %bb.11:
	s_lshl_b64 s[16:17], s[6:7], 2
	s_add_u32 s16, s10, s16
	s_addc_u32 s17, s11, s17
	s_waitcnt lgkmcnt(0)
	global_store_dword v48, v46, s[16:17]
.LBB85_12:
	s_or_b64 exec, exec, s[8:9]
	s_waitcnt lgkmcnt(0)
	v_cmp_ne_u32_e32 vcc, 0, v46
	s_mov_b64 s[8:9], 0
	s_cbranch_vccnz .LBB85_94
; %bb.13:
	buffer_load_dword v48, v45, s[0:3], 0 offen
	buffer_load_dword v49, v45, s[0:3], 0 offen offset:4
	s_waitcnt vmcnt(0)
	v_div_scale_f64 v[50:51], s[8:9], v[48:49], v[48:49], 1.0
	v_rcp_f64_e32 v[52:53], v[50:51]
	v_fma_f64 v[54:55], -v[50:51], v[52:53], 1.0
	v_fma_f64 v[52:53], v[52:53], v[54:55], v[52:53]
	v_div_scale_f64 v[54:55], vcc, 1.0, v[48:49], 1.0
	v_fma_f64 v[56:57], -v[50:51], v[52:53], 1.0
	v_fma_f64 v[52:53], v[52:53], v[56:57], v[52:53]
	v_mul_f64 v[56:57], v[54:55], v[52:53]
	v_fma_f64 v[50:51], -v[50:51], v[56:57], v[54:55]
	v_div_fmas_f64 v[50:51], v[50:51], v[52:53], v[56:57]
	v_div_fixup_f64 v[49:50], v[50:51], v[48:49], 1.0
	v_add_u32_e32 v48, 0xb0, v47
	buffer_store_dword v50, v45, s[0:3], 0 offen offset:4
	buffer_store_dword v49, v45, s[0:3], 0 offen
	buffer_load_dword v52, off, s[0:3], 0 offset:12
	buffer_load_dword v51, off, s[0:3], 0 offset:8
	v_xor_b32_e32 v50, 0x80000000, v50
	s_waitcnt vmcnt(0)
	ds_write2_b64 v47, v[49:50], v[51:52] offset1:22
	s_waitcnt lgkmcnt(0)
	; wave barrier
	s_and_saveexec_b64 s[8:9], s[4:5]
	s_cbranch_execz .LBB85_15
; %bb.14:
	buffer_load_dword v49, v45, s[0:3], 0 offen
	buffer_load_dword v50, v45, s[0:3], 0 offen offset:4
	ds_read_b64 v[51:52], v48
	v_mov_b32_e32 v46, 0
	ds_read_b64 v[53:54], v46 offset:8
	s_waitcnt vmcnt(0) lgkmcnt(1)
	v_fma_f64 v[49:50], v[49:50], v[51:52], 0
	s_waitcnt lgkmcnt(0)
	v_mul_f64 v[49:50], v[49:50], v[53:54]
	buffer_store_dword v49, off, s[0:3], 0 offset:8
	buffer_store_dword v50, off, s[0:3], 0 offset:12
.LBB85_15:
	s_or_b64 exec, exec, s[8:9]
	; wave barrier
	buffer_load_dword v49, off, s[0:3], 0 offset:16
	buffer_load_dword v50, off, s[0:3], 0 offset:20
	v_cmp_gt_u32_e32 vcc, 2, v0
	s_waitcnt vmcnt(0)
	ds_write_b64 v48, v[49:50]
	s_waitcnt lgkmcnt(0)
	; wave barrier
	s_and_saveexec_b64 s[8:9], vcc
	s_cbranch_execz .LBB85_17
; %bb.16:
	buffer_load_dword v49, v45, s[0:3], 0 offen
	buffer_load_dword v50, v45, s[0:3], 0 offen offset:4
                                        ; kill: killed $vgpr45
	s_nop 0
	buffer_load_dword v45, off, s[0:3], 0 offset:8
	buffer_load_dword v46, off, s[0:3], 0 offset:12
	ds_read_b64 v[51:52], v48
	s_waitcnt vmcnt(2) lgkmcnt(0)
	v_fma_f64 v[53:54], v[49:50], v[51:52], 0
	v_mov_b32_e32 v49, 0
	ds_read2_b64 v[49:52], v49 offset0:2 offset1:23
	s_waitcnt vmcnt(0) lgkmcnt(0)
	v_fma_f64 v[45:46], v[45:46], v[51:52], v[53:54]
	v_cndmask_b32_e64 v46, v54, v46, s[4:5]
	v_cndmask_b32_e64 v45, v53, v45, s[4:5]
	v_mul_f64 v[45:46], v[45:46], v[49:50]
	buffer_store_dword v46, off, s[0:3], 0 offset:20
	buffer_store_dword v45, off, s[0:3], 0 offset:16
.LBB85_17:
	s_or_b64 exec, exec, s[8:9]
	; wave barrier
	buffer_load_dword v45, off, s[0:3], 0 offset:24
	buffer_load_dword v46, off, s[0:3], 0 offset:28
	v_cmp_gt_u32_e32 vcc, 3, v0
	v_add_u32_e32 v49, -1, v0
	s_waitcnt vmcnt(0)
	ds_write_b64 v48, v[45:46]
	s_waitcnt lgkmcnt(0)
	; wave barrier
	s_and_saveexec_b64 s[4:5], vcc
	s_cbranch_execz .LBB85_21
; %bb.18:
	v_mov_b32_e32 v45, 0
	v_add_u32_e32 v50, -1, v0
	v_add_u32_e32 v51, 0xb0, v47
	v_mov_b32_e32 v52, v47
	v_mov_b32_e32 v46, 0
	s_mov_b64 s[8:9], 0
.LBB85_19:                              ; =>This Inner Loop Header: Depth=1
	buffer_load_dword v53, v52, s[0:3], 0 offen
	buffer_load_dword v54, v52, s[0:3], 0 offen offset:4
	ds_read_b64 v[55:56], v51
	v_add_u32_e32 v50, 1, v50
	v_cmp_lt_u32_e32 vcc, 1, v50
	v_add_u32_e32 v51, 8, v51
	s_or_b64 s[8:9], vcc, s[8:9]
	v_add_u32_e32 v52, 8, v52
	s_waitcnt vmcnt(0) lgkmcnt(0)
	v_fma_f64 v[45:46], v[53:54], v[55:56], v[45:46]
	s_andn2_b64 exec, exec, s[8:9]
	s_cbranch_execnz .LBB85_19
; %bb.20:
	s_or_b64 exec, exec, s[8:9]
	v_mov_b32_e32 v50, 0
	ds_read_b64 v[50:51], v50 offset:24
	s_waitcnt lgkmcnt(0)
	v_mul_f64 v[45:46], v[45:46], v[50:51]
	buffer_store_dword v46, off, s[0:3], 0 offset:28
	buffer_store_dword v45, off, s[0:3], 0 offset:24
.LBB85_21:
	s_or_b64 exec, exec, s[4:5]
	; wave barrier
	buffer_load_dword v45, off, s[0:3], 0 offset:32
	buffer_load_dword v46, off, s[0:3], 0 offset:36
	v_cmp_gt_u32_e32 vcc, 4, v0
	s_waitcnt vmcnt(0)
	ds_write_b64 v48, v[45:46]
	s_waitcnt lgkmcnt(0)
	; wave barrier
	s_and_saveexec_b64 s[4:5], vcc
	s_cbranch_execz .LBB85_25
; %bb.22:
	v_mov_b32_e32 v45, 0
	v_add_u32_e32 v50, -1, v0
	v_add_u32_e32 v51, 0xb0, v47
	v_mov_b32_e32 v52, v47
	v_mov_b32_e32 v46, 0
	s_mov_b64 s[8:9], 0
.LBB85_23:                              ; =>This Inner Loop Header: Depth=1
	buffer_load_dword v53, v52, s[0:3], 0 offen
	buffer_load_dword v54, v52, s[0:3], 0 offen offset:4
	ds_read_b64 v[55:56], v51
	v_add_u32_e32 v50, 1, v50
	v_cmp_lt_u32_e32 vcc, 2, v50
	v_add_u32_e32 v51, 8, v51
	s_or_b64 s[8:9], vcc, s[8:9]
	v_add_u32_e32 v52, 8, v52
	s_waitcnt vmcnt(0) lgkmcnt(0)
	v_fma_f64 v[45:46], v[53:54], v[55:56], v[45:46]
	s_andn2_b64 exec, exec, s[8:9]
	s_cbranch_execnz .LBB85_23
; %bb.24:
	s_or_b64 exec, exec, s[8:9]
	v_mov_b32_e32 v50, 0
	ds_read_b64 v[50:51], v50 offset:32
	s_waitcnt lgkmcnt(0)
	v_mul_f64 v[45:46], v[45:46], v[50:51]
	buffer_store_dword v46, off, s[0:3], 0 offset:36
	buffer_store_dword v45, off, s[0:3], 0 offset:32
.LBB85_25:
	s_or_b64 exec, exec, s[4:5]
	; wave barrier
	buffer_load_dword v45, off, s[0:3], 0 offset:40
	buffer_load_dword v46, off, s[0:3], 0 offset:44
	v_cmp_gt_u32_e32 vcc, 5, v0
	;; [unrolled: 40-line block ×17, first 2 shown]
	s_waitcnt vmcnt(0)
	ds_write_b64 v48, v[45:46]
	s_waitcnt lgkmcnt(0)
	; wave barrier
	s_and_saveexec_b64 s[4:5], vcc
	s_cbranch_execz .LBB85_89
; %bb.86:
	v_mov_b32_e32 v45, 0
	v_add_u32_e32 v50, -1, v0
	v_add_u32_e32 v51, 0xb0, v47
	v_mov_b32_e32 v52, v47
	v_mov_b32_e32 v46, 0
	s_mov_b64 s[8:9], 0
.LBB85_87:                              ; =>This Inner Loop Header: Depth=1
	buffer_load_dword v53, v52, s[0:3], 0 offen
	buffer_load_dword v54, v52, s[0:3], 0 offen offset:4
	ds_read_b64 v[55:56], v51
	v_add_u32_e32 v50, 1, v50
	v_cmp_lt_u32_e32 vcc, 18, v50
	v_add_u32_e32 v51, 8, v51
	s_or_b64 s[8:9], vcc, s[8:9]
	v_add_u32_e32 v52, 8, v52
	s_waitcnt vmcnt(0) lgkmcnt(0)
	v_fma_f64 v[45:46], v[53:54], v[55:56], v[45:46]
	s_andn2_b64 exec, exec, s[8:9]
	s_cbranch_execnz .LBB85_87
; %bb.88:
	s_or_b64 exec, exec, s[8:9]
	v_mov_b32_e32 v50, 0
	ds_read_b64 v[50:51], v50 offset:160
	s_waitcnt lgkmcnt(0)
	v_mul_f64 v[45:46], v[45:46], v[50:51]
	buffer_store_dword v46, off, s[0:3], 0 offset:164
	buffer_store_dword v45, off, s[0:3], 0 offset:160
.LBB85_89:
	s_or_b64 exec, exec, s[4:5]
	; wave barrier
	buffer_load_dword v45, off, s[0:3], 0 offset:168
	buffer_load_dword v46, off, s[0:3], 0 offset:172
	v_cmp_ne_u32_e32 vcc, 21, v0
	s_waitcnt vmcnt(0)
	ds_write_b64 v48, v[45:46]
	s_waitcnt lgkmcnt(0)
	; wave barrier
	s_and_saveexec_b64 s[4:5], vcc
	s_cbranch_execz .LBB85_93
; %bb.90:
	v_mov_b32_e32 v45, 0
	v_add_u32_e32 v48, 0xb0, v47
	v_mov_b32_e32 v46, 0
	s_mov_b64 s[8:9], 0
.LBB85_91:                              ; =>This Inner Loop Header: Depth=1
	buffer_load_dword v50, v47, s[0:3], 0 offen
	buffer_load_dword v51, v47, s[0:3], 0 offen offset:4
	ds_read_b64 v[52:53], v48
	v_add_u32_e32 v49, 1, v49
	v_cmp_lt_u32_e32 vcc, 19, v49
	v_add_u32_e32 v48, 8, v48
	s_or_b64 s[8:9], vcc, s[8:9]
	v_add_u32_e32 v47, 8, v47
	s_waitcnt vmcnt(0) lgkmcnt(0)
	v_fma_f64 v[45:46], v[50:51], v[52:53], v[45:46]
	s_andn2_b64 exec, exec, s[8:9]
	s_cbranch_execnz .LBB85_91
; %bb.92:
	s_or_b64 exec, exec, s[8:9]
	v_mov_b32_e32 v47, 0
	ds_read_b64 v[47:48], v47 offset:168
	s_waitcnt lgkmcnt(0)
	v_mul_f64 v[45:46], v[45:46], v[47:48]
	buffer_store_dword v46, off, s[0:3], 0 offset:172
	buffer_store_dword v45, off, s[0:3], 0 offset:168
.LBB85_93:
	s_or_b64 exec, exec, s[4:5]
	s_mov_b64 s[8:9], -1
	; wave barrier
.LBB85_94:
	s_and_b64 vcc, exec, s[8:9]
	s_cbranch_vccz .LBB85_96
; %bb.95:
	s_lshl_b64 s[4:5], s[6:7], 2
	s_add_u32 s4, s10, s4
	s_addc_u32 s5, s11, s5
	v_mov_b32_e32 v45, 0
	global_load_dword v45, v45, s[4:5]
	s_waitcnt vmcnt(0)
	v_cmp_ne_u32_e32 vcc, 0, v45
	s_cbranch_vccz .LBB85_97
.LBB85_96:
	s_endpgm
.LBB85_97:
	v_mov_b32_e32 v45, 0xb0
	v_lshl_add_u32 v45, v0, 3, v45
	v_cmp_eq_u32_e32 vcc, 21, v0
	s_and_saveexec_b64 s[4:5], vcc
	s_cbranch_execz .LBB85_99
; %bb.98:
	buffer_load_dword v46, off, s[0:3], 0 offset:160
	buffer_load_dword v47, off, s[0:3], 0 offset:164
	v_mov_b32_e32 v48, 0
	buffer_store_dword v48, off, s[0:3], 0 offset:160
	buffer_store_dword v48, off, s[0:3], 0 offset:164
	s_waitcnt vmcnt(2)
	ds_write_b64 v45, v[46:47]
.LBB85_99:
	s_or_b64 exec, exec, s[4:5]
	s_waitcnt lgkmcnt(0)
	; wave barrier
	buffer_load_dword v47, off, s[0:3], 0 offset:168
	buffer_load_dword v48, off, s[0:3], 0 offset:172
	;; [unrolled: 1-line block ×4, first 2 shown]
	v_mov_b32_e32 v46, 0
	ds_read_b64 v[51:52], v46 offset:344
	v_cmp_lt_u32_e32 vcc, 19, v0
	s_waitcnt vmcnt(2) lgkmcnt(0)
	v_fma_f64 v[47:48], v[47:48], v[51:52], 0
	s_waitcnt vmcnt(0)
	v_add_f64 v[47:48], v[49:50], -v[47:48]
	buffer_store_dword v47, off, s[0:3], 0 offset:160
	buffer_store_dword v48, off, s[0:3], 0 offset:164
	s_and_saveexec_b64 s[4:5], vcc
	s_cbranch_execz .LBB85_101
; %bb.100:
	buffer_load_dword v47, off, s[0:3], 0 offset:152
	buffer_load_dword v48, off, s[0:3], 0 offset:156
	s_waitcnt vmcnt(0)
	ds_write_b64 v45, v[47:48]
	buffer_store_dword v46, off, s[0:3], 0 offset:152
	buffer_store_dword v46, off, s[0:3], 0 offset:156
.LBB85_101:
	s_or_b64 exec, exec, s[4:5]
	s_waitcnt lgkmcnt(0)
	; wave barrier
	buffer_load_dword v50, off, s[0:3], 0 offset:160
	buffer_load_dword v51, off, s[0:3], 0 offset:164
	;; [unrolled: 1-line block ×6, first 2 shown]
	ds_read_b128 v[46:49], v46 offset:336
	v_cmp_lt_u32_e32 vcc, 18, v0
	s_waitcnt vmcnt(4) lgkmcnt(0)
	v_fma_f64 v[46:47], v[50:51], v[46:47], 0
	s_waitcnt vmcnt(2)
	v_fma_f64 v[46:47], v[52:53], v[48:49], v[46:47]
	s_waitcnt vmcnt(0)
	v_add_f64 v[46:47], v[54:55], -v[46:47]
	buffer_store_dword v46, off, s[0:3], 0 offset:152
	buffer_store_dword v47, off, s[0:3], 0 offset:156
	s_and_saveexec_b64 s[4:5], vcc
	s_cbranch_execz .LBB85_103
; %bb.102:
	buffer_load_dword v46, off, s[0:3], 0 offset:144
	buffer_load_dword v47, off, s[0:3], 0 offset:148
	v_mov_b32_e32 v48, 0
	buffer_store_dword v48, off, s[0:3], 0 offset:144
	buffer_store_dword v48, off, s[0:3], 0 offset:148
	s_waitcnt vmcnt(2)
	ds_write_b64 v45, v[46:47]
.LBB85_103:
	s_or_b64 exec, exec, s[4:5]
	s_waitcnt lgkmcnt(0)
	; wave barrier
	buffer_load_dword v51, off, s[0:3], 0 offset:152
	buffer_load_dword v52, off, s[0:3], 0 offset:156
	;; [unrolled: 1-line block ×8, first 2 shown]
	v_mov_b32_e32 v46, 0
	ds_read2_b64 v[47:50], v46 offset0:41 offset1:42
	ds_read_b64 v[59:60], v46 offset:344
	v_cmp_lt_u32_e32 vcc, 17, v0
	s_waitcnt vmcnt(6) lgkmcnt(1)
	v_fma_f64 v[47:48], v[51:52], v[47:48], 0
	s_waitcnt vmcnt(4)
	v_fma_f64 v[47:48], v[53:54], v[49:50], v[47:48]
	s_waitcnt vmcnt(2) lgkmcnt(0)
	v_fma_f64 v[47:48], v[55:56], v[59:60], v[47:48]
	s_waitcnt vmcnt(0)
	v_add_f64 v[47:48], v[57:58], -v[47:48]
	buffer_store_dword v47, off, s[0:3], 0 offset:144
	buffer_store_dword v48, off, s[0:3], 0 offset:148
	s_and_saveexec_b64 s[4:5], vcc
	s_cbranch_execz .LBB85_105
; %bb.104:
	buffer_load_dword v47, off, s[0:3], 0 offset:136
	buffer_load_dword v48, off, s[0:3], 0 offset:140
	s_waitcnt vmcnt(0)
	ds_write_b64 v45, v[47:48]
	buffer_store_dword v46, off, s[0:3], 0 offset:136
	buffer_store_dword v46, off, s[0:3], 0 offset:140
.LBB85_105:
	s_or_b64 exec, exec, s[4:5]
	s_waitcnt lgkmcnt(0)
	; wave barrier
	buffer_load_dword v51, off, s[0:3], 0 offset:144
	buffer_load_dword v52, off, s[0:3], 0 offset:148
	;; [unrolled: 1-line block ×10, first 2 shown]
	ds_read_b128 v[47:50], v46 offset:320
	v_cmp_lt_u32_e32 vcc, 16, v0
	s_waitcnt vmcnt(8) lgkmcnt(0)
	v_fma_f64 v[47:48], v[51:52], v[47:48], 0
	s_waitcnt vmcnt(6)
	v_fma_f64 v[50:51], v[53:54], v[49:50], v[47:48]
	ds_read_b128 v[46:49], v46 offset:336
	s_waitcnt vmcnt(4) lgkmcnt(0)
	v_fma_f64 v[46:47], v[55:56], v[46:47], v[50:51]
	s_waitcnt vmcnt(2)
	v_fma_f64 v[46:47], v[57:58], v[48:49], v[46:47]
	s_waitcnt vmcnt(0)
	v_add_f64 v[46:47], v[59:60], -v[46:47]
	buffer_store_dword v46, off, s[0:3], 0 offset:136
	buffer_store_dword v47, off, s[0:3], 0 offset:140
	s_and_saveexec_b64 s[4:5], vcc
	s_cbranch_execz .LBB85_107
; %bb.106:
	buffer_load_dword v46, off, s[0:3], 0 offset:128
	buffer_load_dword v47, off, s[0:3], 0 offset:132
	v_mov_b32_e32 v48, 0
	buffer_store_dword v48, off, s[0:3], 0 offset:128
	buffer_store_dword v48, off, s[0:3], 0 offset:132
	s_waitcnt vmcnt(2)
	ds_write_b64 v45, v[46:47]
.LBB85_107:
	s_or_b64 exec, exec, s[4:5]
	s_waitcnt lgkmcnt(0)
	; wave barrier
	buffer_load_dword v51, off, s[0:3], 0 offset:136
	buffer_load_dword v52, off, s[0:3], 0 offset:140
	buffer_load_dword v53, off, s[0:3], 0 offset:144
	buffer_load_dword v54, off, s[0:3], 0 offset:148
	buffer_load_dword v55, off, s[0:3], 0 offset:152
	buffer_load_dword v56, off, s[0:3], 0 offset:156
	buffer_load_dword v57, off, s[0:3], 0 offset:160
	buffer_load_dword v58, off, s[0:3], 0 offset:164
	buffer_load_dword v59, off, s[0:3], 0 offset:168
	buffer_load_dword v60, off, s[0:3], 0 offset:172
	buffer_load_dword v61, off, s[0:3], 0 offset:128
	buffer_load_dword v62, off, s[0:3], 0 offset:132
	v_mov_b32_e32 v46, 0
	ds_read2_b64 v[47:50], v46 offset0:39 offset1:40
	v_cmp_lt_u32_e32 vcc, 15, v0
	s_waitcnt vmcnt(10) lgkmcnt(0)
	v_fma_f64 v[47:48], v[51:52], v[47:48], 0
	s_waitcnt vmcnt(8)
	v_fma_f64 v[51:52], v[53:54], v[49:50], v[47:48]
	ds_read2_b64 v[47:50], v46 offset0:41 offset1:42
	s_waitcnt vmcnt(6) lgkmcnt(0)
	v_fma_f64 v[47:48], v[55:56], v[47:48], v[51:52]
	s_waitcnt vmcnt(4)
	v_fma_f64 v[47:48], v[57:58], v[49:50], v[47:48]
	ds_read_b64 v[49:50], v46 offset:344
	s_waitcnt vmcnt(2) lgkmcnt(0)
	v_fma_f64 v[47:48], v[59:60], v[49:50], v[47:48]
	s_waitcnt vmcnt(0)
	v_add_f64 v[47:48], v[61:62], -v[47:48]
	buffer_store_dword v47, off, s[0:3], 0 offset:128
	buffer_store_dword v48, off, s[0:3], 0 offset:132
	s_and_saveexec_b64 s[4:5], vcc
	s_cbranch_execz .LBB85_109
; %bb.108:
	buffer_load_dword v47, off, s[0:3], 0 offset:120
	buffer_load_dword v48, off, s[0:3], 0 offset:124
	s_waitcnt vmcnt(0)
	ds_write_b64 v45, v[47:48]
	buffer_store_dword v46, off, s[0:3], 0 offset:120
	buffer_store_dword v46, off, s[0:3], 0 offset:124
.LBB85_109:
	s_or_b64 exec, exec, s[4:5]
	s_waitcnt lgkmcnt(0)
	; wave barrier
	buffer_load_dword v55, off, s[0:3], 0 offset:128
	buffer_load_dword v56, off, s[0:3], 0 offset:132
	;; [unrolled: 1-line block ×14, first 2 shown]
	ds_read_b128 v[47:50], v46 offset:304
	ds_read_b128 v[51:54], v46 offset:320
	v_cmp_lt_u32_e32 vcc, 14, v0
	s_waitcnt vmcnt(12) lgkmcnt(1)
	v_fma_f64 v[47:48], v[55:56], v[47:48], 0
	s_waitcnt vmcnt(10)
	v_fma_f64 v[47:48], v[57:58], v[49:50], v[47:48]
	s_waitcnt vmcnt(8) lgkmcnt(0)
	v_fma_f64 v[47:48], v[59:60], v[51:52], v[47:48]
	s_waitcnt vmcnt(6)
	v_fma_f64 v[50:51], v[61:62], v[53:54], v[47:48]
	ds_read_b128 v[46:49], v46 offset:336
	s_waitcnt vmcnt(4) lgkmcnt(0)
	v_fma_f64 v[46:47], v[63:64], v[46:47], v[50:51]
	s_waitcnt vmcnt(2)
	v_fma_f64 v[46:47], v[65:66], v[48:49], v[46:47]
	s_waitcnt vmcnt(0)
	v_add_f64 v[46:47], v[67:68], -v[46:47]
	buffer_store_dword v46, off, s[0:3], 0 offset:120
	buffer_store_dword v47, off, s[0:3], 0 offset:124
	s_and_saveexec_b64 s[4:5], vcc
	s_cbranch_execz .LBB85_111
; %bb.110:
	buffer_load_dword v46, off, s[0:3], 0 offset:112
	buffer_load_dword v47, off, s[0:3], 0 offset:116
	v_mov_b32_e32 v48, 0
	buffer_store_dword v48, off, s[0:3], 0 offset:112
	buffer_store_dword v48, off, s[0:3], 0 offset:116
	s_waitcnt vmcnt(2)
	ds_write_b64 v45, v[46:47]
.LBB85_111:
	s_or_b64 exec, exec, s[4:5]
	s_waitcnt lgkmcnt(0)
	; wave barrier
	buffer_load_dword v55, off, s[0:3], 0 offset:120
	buffer_load_dword v56, off, s[0:3], 0 offset:124
	;; [unrolled: 1-line block ×16, first 2 shown]
	v_mov_b32_e32 v46, 0
	ds_read2_b64 v[47:50], v46 offset0:37 offset1:38
	ds_read2_b64 v[51:54], v46 offset0:39 offset1:40
	v_cmp_lt_u32_e32 vcc, 13, v0
	s_waitcnt vmcnt(14) lgkmcnt(1)
	v_fma_f64 v[47:48], v[55:56], v[47:48], 0
	s_waitcnt vmcnt(12)
	v_fma_f64 v[47:48], v[57:58], v[49:50], v[47:48]
	s_waitcnt vmcnt(10) lgkmcnt(0)
	v_fma_f64 v[47:48], v[59:60], v[51:52], v[47:48]
	s_waitcnt vmcnt(8)
	v_fma_f64 v[51:52], v[61:62], v[53:54], v[47:48]
	ds_read2_b64 v[47:50], v46 offset0:41 offset1:42
	ds_read_b64 v[53:54], v46 offset:344
	s_waitcnt vmcnt(6) lgkmcnt(1)
	v_fma_f64 v[47:48], v[63:64], v[47:48], v[51:52]
	s_waitcnt vmcnt(4)
	v_fma_f64 v[47:48], v[65:66], v[49:50], v[47:48]
	s_waitcnt vmcnt(2) lgkmcnt(0)
	v_fma_f64 v[47:48], v[67:68], v[53:54], v[47:48]
	s_waitcnt vmcnt(0)
	v_add_f64 v[47:48], v[69:70], -v[47:48]
	buffer_store_dword v47, off, s[0:3], 0 offset:112
	buffer_store_dword v48, off, s[0:3], 0 offset:116
	s_and_saveexec_b64 s[4:5], vcc
	s_cbranch_execz .LBB85_113
; %bb.112:
	buffer_load_dword v47, off, s[0:3], 0 offset:104
	buffer_load_dword v48, off, s[0:3], 0 offset:108
	s_waitcnt vmcnt(0)
	ds_write_b64 v45, v[47:48]
	buffer_store_dword v46, off, s[0:3], 0 offset:104
	buffer_store_dword v46, off, s[0:3], 0 offset:108
.LBB85_113:
	s_or_b64 exec, exec, s[4:5]
	s_waitcnt lgkmcnt(0)
	; wave barrier
	buffer_load_dword v55, off, s[0:3], 0 offset:112
	buffer_load_dword v56, off, s[0:3], 0 offset:116
	;; [unrolled: 1-line block ×18, first 2 shown]
	ds_read_b128 v[47:50], v46 offset:288
	ds_read_b128 v[51:54], v46 offset:304
	v_cmp_lt_u32_e32 vcc, 12, v0
	s_waitcnt vmcnt(16) lgkmcnt(1)
	v_fma_f64 v[47:48], v[55:56], v[47:48], 0
	s_waitcnt vmcnt(14)
	v_fma_f64 v[47:48], v[57:58], v[49:50], v[47:48]
	s_waitcnt vmcnt(12) lgkmcnt(0)
	v_fma_f64 v[47:48], v[59:60], v[51:52], v[47:48]
	s_waitcnt vmcnt(10)
	v_fma_f64 v[55:56], v[61:62], v[53:54], v[47:48]
	ds_read_b128 v[47:50], v46 offset:320
	ds_read_b128 v[51:54], v46 offset:336
	s_waitcnt vmcnt(8) lgkmcnt(1)
	v_fma_f64 v[46:47], v[63:64], v[47:48], v[55:56]
	s_waitcnt vmcnt(6)
	v_fma_f64 v[46:47], v[65:66], v[49:50], v[46:47]
	s_waitcnt vmcnt(4) lgkmcnt(0)
	v_fma_f64 v[46:47], v[67:68], v[51:52], v[46:47]
	s_waitcnt vmcnt(2)
	v_fma_f64 v[46:47], v[69:70], v[53:54], v[46:47]
	s_waitcnt vmcnt(0)
	v_add_f64 v[46:47], v[71:72], -v[46:47]
	buffer_store_dword v46, off, s[0:3], 0 offset:104
	buffer_store_dword v47, off, s[0:3], 0 offset:108
	s_and_saveexec_b64 s[4:5], vcc
	s_cbranch_execz .LBB85_115
; %bb.114:
	buffer_load_dword v46, off, s[0:3], 0 offset:96
	buffer_load_dword v47, off, s[0:3], 0 offset:100
	v_mov_b32_e32 v48, 0
	buffer_store_dword v48, off, s[0:3], 0 offset:96
	buffer_store_dword v48, off, s[0:3], 0 offset:100
	s_waitcnt vmcnt(2)
	ds_write_b64 v45, v[46:47]
.LBB85_115:
	s_or_b64 exec, exec, s[4:5]
	s_waitcnt lgkmcnt(0)
	; wave barrier
	buffer_load_dword v55, off, s[0:3], 0 offset:104
	buffer_load_dword v56, off, s[0:3], 0 offset:108
	;; [unrolled: 1-line block ×20, first 2 shown]
	v_mov_b32_e32 v46, 0
	ds_read2_b64 v[47:50], v46 offset0:35 offset1:36
	ds_read2_b64 v[51:54], v46 offset0:37 offset1:38
	v_cmp_lt_u32_e32 vcc, 11, v0
	s_waitcnt vmcnt(18) lgkmcnt(1)
	v_fma_f64 v[47:48], v[55:56], v[47:48], 0
	s_waitcnt vmcnt(16)
	v_fma_f64 v[47:48], v[57:58], v[49:50], v[47:48]
	s_waitcnt vmcnt(14) lgkmcnt(0)
	v_fma_f64 v[47:48], v[59:60], v[51:52], v[47:48]
	s_waitcnt vmcnt(12)
	v_fma_f64 v[55:56], v[61:62], v[53:54], v[47:48]
	ds_read2_b64 v[47:50], v46 offset0:39 offset1:40
	ds_read2_b64 v[51:54], v46 offset0:41 offset1:42
	s_waitcnt vmcnt(10) lgkmcnt(1)
	v_fma_f64 v[47:48], v[63:64], v[47:48], v[55:56]
	s_waitcnt vmcnt(8)
	v_fma_f64 v[47:48], v[65:66], v[49:50], v[47:48]
	ds_read_b64 v[49:50], v46 offset:344
	s_waitcnt vmcnt(6) lgkmcnt(1)
	v_fma_f64 v[47:48], v[67:68], v[51:52], v[47:48]
	s_waitcnt vmcnt(3)
	v_fma_f64 v[47:48], v[69:70], v[53:54], v[47:48]
	s_waitcnt vmcnt(2) lgkmcnt(0)
	v_fma_f64 v[47:48], v[71:72], v[49:50], v[47:48]
	s_waitcnt vmcnt(0)
	v_add_f64 v[47:48], v[73:74], -v[47:48]
	buffer_store_dword v47, off, s[0:3], 0 offset:96
	buffer_store_dword v48, off, s[0:3], 0 offset:100
	s_and_saveexec_b64 s[4:5], vcc
	s_cbranch_execz .LBB85_117
; %bb.116:
	buffer_load_dword v47, off, s[0:3], 0 offset:88
	buffer_load_dword v48, off, s[0:3], 0 offset:92
	s_waitcnt vmcnt(0)
	ds_write_b64 v45, v[47:48]
	buffer_store_dword v46, off, s[0:3], 0 offset:88
	buffer_store_dword v46, off, s[0:3], 0 offset:92
.LBB85_117:
	s_or_b64 exec, exec, s[4:5]
	s_waitcnt lgkmcnt(0)
	; wave barrier
	buffer_load_dword v55, off, s[0:3], 0 offset:96
	buffer_load_dword v56, off, s[0:3], 0 offset:100
	;; [unrolled: 1-line block ×20, first 2 shown]
	ds_read_b128 v[47:50], v46 offset:272
	buffer_load_dword v75, off, s[0:3], 0 offset:88
	buffer_load_dword v76, off, s[0:3], 0 offset:92
	ds_read_b128 v[51:54], v46 offset:288
	v_cmp_lt_u32_e32 vcc, 10, v0
	s_waitcnt vmcnt(20) lgkmcnt(1)
	v_fma_f64 v[47:48], v[55:56], v[47:48], 0
	s_waitcnt vmcnt(18)
	v_fma_f64 v[47:48], v[57:58], v[49:50], v[47:48]
	s_waitcnt vmcnt(16) lgkmcnt(0)
	v_fma_f64 v[47:48], v[59:60], v[51:52], v[47:48]
	s_waitcnt vmcnt(14)
	v_fma_f64 v[55:56], v[61:62], v[53:54], v[47:48]
	ds_read_b128 v[47:50], v46 offset:304
	ds_read_b128 v[51:54], v46 offset:320
	s_waitcnt vmcnt(12) lgkmcnt(1)
	v_fma_f64 v[47:48], v[63:64], v[47:48], v[55:56]
	s_waitcnt vmcnt(10)
	v_fma_f64 v[47:48], v[65:66], v[49:50], v[47:48]
	s_waitcnt vmcnt(8) lgkmcnt(0)
	v_fma_f64 v[47:48], v[67:68], v[51:52], v[47:48]
	s_waitcnt vmcnt(4)
	v_fma_f64 v[50:51], v[69:70], v[53:54], v[47:48]
	ds_read_b128 v[46:49], v46 offset:336
	s_waitcnt vmcnt(3) lgkmcnt(0)
	v_fma_f64 v[46:47], v[73:74], v[46:47], v[50:51]
	s_waitcnt vmcnt(2)
	v_fma_f64 v[46:47], v[71:72], v[48:49], v[46:47]
	s_waitcnt vmcnt(0)
	v_add_f64 v[46:47], v[75:76], -v[46:47]
	buffer_store_dword v46, off, s[0:3], 0 offset:88
	buffer_store_dword v47, off, s[0:3], 0 offset:92
	s_and_saveexec_b64 s[4:5], vcc
	s_cbranch_execz .LBB85_119
; %bb.118:
	buffer_load_dword v46, off, s[0:3], 0 offset:80
	buffer_load_dword v47, off, s[0:3], 0 offset:84
	v_mov_b32_e32 v48, 0
	buffer_store_dword v48, off, s[0:3], 0 offset:80
	buffer_store_dword v48, off, s[0:3], 0 offset:84
	s_waitcnt vmcnt(2)
	ds_write_b64 v45, v[46:47]
.LBB85_119:
	s_or_b64 exec, exec, s[4:5]
	s_waitcnt lgkmcnt(0)
	; wave barrier
	buffer_load_dword v55, off, s[0:3], 0 offset:88
	buffer_load_dword v56, off, s[0:3], 0 offset:92
	;; [unrolled: 1-line block ×21, first 2 shown]
	v_mov_b32_e32 v46, 0
	ds_read2_b64 v[47:50], v46 offset0:33 offset1:34
	ds_read2_b64 v[51:54], v46 offset0:35 offset1:36
	buffer_load_dword v72, off, s[0:3], 0 offset:172
	v_cmp_lt_u32_e32 vcc, 9, v0
	s_waitcnt vmcnt(20) lgkmcnt(1)
	v_fma_f64 v[47:48], v[55:56], v[47:48], 0
	buffer_load_dword v55, off, s[0:3], 0 offset:80
	buffer_load_dword v56, off, s[0:3], 0 offset:84
	s_waitcnt vmcnt(20)
	v_fma_f64 v[47:48], v[57:58], v[49:50], v[47:48]
	s_waitcnt vmcnt(18) lgkmcnt(0)
	v_fma_f64 v[47:48], v[59:60], v[51:52], v[47:48]
	s_waitcnt vmcnt(16)
	v_fma_f64 v[57:58], v[61:62], v[53:54], v[47:48]
	ds_read2_b64 v[47:50], v46 offset0:37 offset1:38
	ds_read2_b64 v[51:54], v46 offset0:39 offset1:40
	s_waitcnt vmcnt(14) lgkmcnt(1)
	v_fma_f64 v[47:48], v[63:64], v[47:48], v[57:58]
	s_waitcnt vmcnt(12)
	v_fma_f64 v[47:48], v[65:66], v[49:50], v[47:48]
	s_waitcnt vmcnt(10) lgkmcnt(0)
	v_fma_f64 v[47:48], v[67:68], v[51:52], v[47:48]
	s_waitcnt vmcnt(5)
	v_fma_f64 v[51:52], v[69:70], v[53:54], v[47:48]
	ds_read2_b64 v[47:50], v46 offset0:41 offset1:42
	ds_read_b64 v[53:54], v46 offset:344
	s_waitcnt vmcnt(4) lgkmcnt(1)
	v_fma_f64 v[47:48], v[75:76], v[47:48], v[51:52]
	s_waitcnt vmcnt(3)
	v_fma_f64 v[47:48], v[73:74], v[49:50], v[47:48]
	s_waitcnt vmcnt(2) lgkmcnt(0)
	v_fma_f64 v[47:48], v[71:72], v[53:54], v[47:48]
	s_waitcnt vmcnt(0)
	v_add_f64 v[47:48], v[55:56], -v[47:48]
	buffer_store_dword v48, off, s[0:3], 0 offset:84
	buffer_store_dword v47, off, s[0:3], 0 offset:80
	s_and_saveexec_b64 s[4:5], vcc
	s_cbranch_execz .LBB85_121
; %bb.120:
	buffer_load_dword v47, off, s[0:3], 0 offset:72
	buffer_load_dword v48, off, s[0:3], 0 offset:76
	s_waitcnt vmcnt(0)
	ds_write_b64 v45, v[47:48]
	buffer_store_dword v46, off, s[0:3], 0 offset:72
	buffer_store_dword v46, off, s[0:3], 0 offset:76
.LBB85_121:
	s_or_b64 exec, exec, s[4:5]
	s_waitcnt lgkmcnt(0)
	; wave barrier
	buffer_load_dword v55, off, s[0:3], 0 offset:80
	buffer_load_dword v56, off, s[0:3], 0 offset:84
	;; [unrolled: 1-line block ×21, first 2 shown]
	ds_read_b128 v[47:50], v46 offset:256
	ds_read_b128 v[51:54], v46 offset:272
	buffer_load_dword v72, off, s[0:3], 0 offset:164
	v_cmp_lt_u32_e32 vcc, 8, v0
	s_waitcnt vmcnt(20) lgkmcnt(1)
	v_fma_f64 v[47:48], v[55:56], v[47:48], 0
	buffer_load_dword v56, off, s[0:3], 0 offset:172
	buffer_load_dword v55, off, s[0:3], 0 offset:168
	s_waitcnt vmcnt(20)
	v_fma_f64 v[47:48], v[57:58], v[49:50], v[47:48]
	buffer_load_dword v57, off, s[0:3], 0 offset:72
	buffer_load_dword v58, off, s[0:3], 0 offset:76
	s_waitcnt vmcnt(20) lgkmcnt(0)
	v_fma_f64 v[47:48], v[59:60], v[51:52], v[47:48]
	s_waitcnt vmcnt(18)
	v_fma_f64 v[59:60], v[61:62], v[53:54], v[47:48]
	ds_read_b128 v[47:50], v46 offset:288
	ds_read_b128 v[51:54], v46 offset:304
	s_waitcnt vmcnt(16) lgkmcnt(1)
	v_fma_f64 v[47:48], v[63:64], v[47:48], v[59:60]
	s_waitcnt vmcnt(14)
	v_fma_f64 v[47:48], v[65:66], v[49:50], v[47:48]
	s_waitcnt vmcnt(12) lgkmcnt(0)
	v_fma_f64 v[47:48], v[67:68], v[51:52], v[47:48]
	s_waitcnt vmcnt(7)
	v_fma_f64 v[59:60], v[69:70], v[53:54], v[47:48]
	ds_read_b128 v[47:50], v46 offset:320
	ds_read_b128 v[51:54], v46 offset:336
	s_waitcnt vmcnt(6) lgkmcnt(1)
	v_fma_f64 v[46:47], v[75:76], v[47:48], v[59:60]
	s_waitcnt vmcnt(5)
	v_fma_f64 v[46:47], v[73:74], v[49:50], v[46:47]
	s_waitcnt vmcnt(4) lgkmcnt(0)
	v_fma_f64 v[46:47], v[71:72], v[51:52], v[46:47]
	s_waitcnt vmcnt(2)
	v_fma_f64 v[46:47], v[55:56], v[53:54], v[46:47]
	s_waitcnt vmcnt(0)
	v_add_f64 v[46:47], v[57:58], -v[46:47]
	buffer_store_dword v47, off, s[0:3], 0 offset:76
	buffer_store_dword v46, off, s[0:3], 0 offset:72
	s_and_saveexec_b64 s[4:5], vcc
	s_cbranch_execz .LBB85_123
; %bb.122:
	buffer_load_dword v46, off, s[0:3], 0 offset:64
	buffer_load_dword v47, off, s[0:3], 0 offset:68
	v_mov_b32_e32 v48, 0
	buffer_store_dword v48, off, s[0:3], 0 offset:64
	buffer_store_dword v48, off, s[0:3], 0 offset:68
	s_waitcnt vmcnt(2)
	ds_write_b64 v45, v[46:47]
.LBB85_123:
	s_or_b64 exec, exec, s[4:5]
	s_waitcnt lgkmcnt(0)
	; wave barrier
	buffer_load_dword v55, off, s[0:3], 0 offset:72
	buffer_load_dword v56, off, s[0:3], 0 offset:76
	;; [unrolled: 1-line block ×21, first 2 shown]
	v_mov_b32_e32 v46, 0
	ds_read2_b64 v[47:50], v46 offset0:31 offset1:32
	ds_read2_b64 v[51:54], v46 offset0:33 offset1:34
	buffer_load_dword v72, off, s[0:3], 0 offset:156
	v_cmp_lt_u32_e32 vcc, 7, v0
	s_waitcnt vmcnt(20) lgkmcnt(1)
	v_fma_f64 v[47:48], v[55:56], v[47:48], 0
	s_waitcnt vmcnt(18)
	v_fma_f64 v[47:48], v[57:58], v[49:50], v[47:48]
	buffer_load_dword v56, off, s[0:3], 0 offset:164
	buffer_load_dword v57, off, s[0:3], 0 offset:168
	;; [unrolled: 1-line block ×4, first 2 shown]
	s_waitcnt vmcnt(20) lgkmcnt(0)
	v_fma_f64 v[47:48], v[59:60], v[51:52], v[47:48]
	buffer_load_dword v59, off, s[0:3], 0 offset:64
	buffer_load_dword v60, off, s[0:3], 0 offset:68
	s_waitcnt vmcnt(20)
	v_fma_f64 v[61:62], v[61:62], v[53:54], v[47:48]
	ds_read2_b64 v[47:50], v46 offset0:35 offset1:36
	ds_read2_b64 v[51:54], v46 offset0:37 offset1:38
	s_waitcnt vmcnt(18) lgkmcnt(1)
	v_fma_f64 v[47:48], v[63:64], v[47:48], v[61:62]
	s_waitcnt vmcnt(16)
	v_fma_f64 v[47:48], v[65:66], v[49:50], v[47:48]
	s_waitcnt vmcnt(14) lgkmcnt(0)
	v_fma_f64 v[47:48], v[67:68], v[51:52], v[47:48]
	s_waitcnt vmcnt(9)
	v_fma_f64 v[61:62], v[69:70], v[53:54], v[47:48]
	ds_read2_b64 v[47:50], v46 offset0:39 offset1:40
	ds_read2_b64 v[51:54], v46 offset0:41 offset1:42
	s_waitcnt vmcnt(8) lgkmcnt(1)
	v_fma_f64 v[47:48], v[75:76], v[47:48], v[61:62]
	s_waitcnt vmcnt(7)
	v_fma_f64 v[47:48], v[73:74], v[49:50], v[47:48]
	ds_read_b64 v[49:50], v46 offset:344
	s_waitcnt vmcnt(6) lgkmcnt(1)
	v_fma_f64 v[47:48], v[71:72], v[51:52], v[47:48]
	s_waitcnt vmcnt(3)
	v_fma_f64 v[47:48], v[55:56], v[53:54], v[47:48]
	s_waitcnt vmcnt(2) lgkmcnt(0)
	v_fma_f64 v[47:48], v[57:58], v[49:50], v[47:48]
	s_waitcnt vmcnt(0)
	v_add_f64 v[47:48], v[59:60], -v[47:48]
	buffer_store_dword v48, off, s[0:3], 0 offset:68
	buffer_store_dword v47, off, s[0:3], 0 offset:64
	s_and_saveexec_b64 s[4:5], vcc
	s_cbranch_execz .LBB85_125
; %bb.124:
	buffer_load_dword v47, off, s[0:3], 0 offset:56
	buffer_load_dword v48, off, s[0:3], 0 offset:60
	s_waitcnt vmcnt(0)
	ds_write_b64 v45, v[47:48]
	buffer_store_dword v46, off, s[0:3], 0 offset:56
	buffer_store_dword v46, off, s[0:3], 0 offset:60
.LBB85_125:
	s_or_b64 exec, exec, s[4:5]
	s_waitcnt lgkmcnt(0)
	; wave barrier
	buffer_load_dword v55, off, s[0:3], 0 offset:64
	buffer_load_dword v56, off, s[0:3], 0 offset:68
	;; [unrolled: 1-line block ×22, first 2 shown]
	ds_read_b128 v[47:50], v46 offset:240
	ds_read_b128 v[51:54], v46 offset:256
	v_cmp_lt_u32_e32 vcc, 6, v0
	s_waitcnt vmcnt(20) lgkmcnt(1)
	v_fma_f64 v[47:48], v[55:56], v[47:48], 0
	s_waitcnt vmcnt(18)
	v_fma_f64 v[47:48], v[57:58], v[49:50], v[47:48]
	buffer_load_dword v56, off, s[0:3], 0 offset:156
	buffer_load_dword v57, off, s[0:3], 0 offset:168
	;; [unrolled: 1-line block ×6, first 2 shown]
	s_waitcnt vmcnt(22) lgkmcnt(0)
	v_fma_f64 v[47:48], v[59:60], v[51:52], v[47:48]
	s_waitcnt vmcnt(20)
	v_fma_f64 v[59:60], v[61:62], v[53:54], v[47:48]
	ds_read_b128 v[47:50], v46 offset:272
	buffer_load_dword v61, off, s[0:3], 0 offset:56
	buffer_load_dword v62, off, s[0:3], 0 offset:60
	ds_read_b128 v[51:54], v46 offset:288
	s_waitcnt vmcnt(20) lgkmcnt(1)
	v_fma_f64 v[47:48], v[63:64], v[47:48], v[59:60]
	s_waitcnt vmcnt(18)
	v_fma_f64 v[47:48], v[65:66], v[49:50], v[47:48]
	s_waitcnt vmcnt(16) lgkmcnt(0)
	v_fma_f64 v[47:48], v[67:68], v[51:52], v[47:48]
	s_waitcnt vmcnt(11)
	v_fma_f64 v[59:60], v[69:70], v[53:54], v[47:48]
	ds_read_b128 v[47:50], v46 offset:304
	ds_read_b128 v[51:54], v46 offset:320
	s_waitcnt vmcnt(10) lgkmcnt(1)
	v_fma_f64 v[47:48], v[75:76], v[47:48], v[59:60]
	s_waitcnt vmcnt(9)
	v_fma_f64 v[47:48], v[73:74], v[49:50], v[47:48]
	s_waitcnt vmcnt(8) lgkmcnt(0)
	v_fma_f64 v[47:48], v[71:72], v[51:52], v[47:48]
	s_waitcnt vmcnt(4)
	v_fma_f64 v[50:51], v[55:56], v[53:54], v[47:48]
	ds_read_b128 v[46:49], v46 offset:336
	s_waitcnt vmcnt(3) lgkmcnt(0)
	v_fma_f64 v[46:47], v[77:78], v[46:47], v[50:51]
	s_waitcnt vmcnt(2)
	v_fma_f64 v[46:47], v[57:58], v[48:49], v[46:47]
	s_waitcnt vmcnt(0)
	v_add_f64 v[46:47], v[61:62], -v[46:47]
	buffer_store_dword v47, off, s[0:3], 0 offset:60
	buffer_store_dword v46, off, s[0:3], 0 offset:56
	s_and_saveexec_b64 s[4:5], vcc
	s_cbranch_execz .LBB85_127
; %bb.126:
	buffer_load_dword v46, off, s[0:3], 0 offset:48
	buffer_load_dword v47, off, s[0:3], 0 offset:52
	v_mov_b32_e32 v48, 0
	buffer_store_dword v48, off, s[0:3], 0 offset:48
	buffer_store_dword v48, off, s[0:3], 0 offset:52
	s_waitcnt vmcnt(2)
	ds_write_b64 v45, v[46:47]
.LBB85_127:
	s_or_b64 exec, exec, s[4:5]
	s_waitcnt lgkmcnt(0)
	; wave barrier
	buffer_load_dword v55, off, s[0:3], 0 offset:56
	buffer_load_dword v56, off, s[0:3], 0 offset:60
	;; [unrolled: 1-line block ×22, first 2 shown]
	v_mov_b32_e32 v46, 0
	ds_read2_b64 v[47:50], v46 offset0:29 offset1:30
	ds_read2_b64 v[51:54], v46 offset0:31 offset1:32
	v_cmp_lt_u32_e32 vcc, 5, v0
	s_waitcnt vmcnt(20) lgkmcnt(1)
	v_fma_f64 v[47:48], v[55:56], v[47:48], 0
	s_waitcnt vmcnt(18)
	v_fma_f64 v[47:48], v[57:58], v[49:50], v[47:48]
	buffer_load_dword v56, off, s[0:3], 0 offset:148
	buffer_load_dword v57, off, s[0:3], 0 offset:168
	;; [unrolled: 1-line block ×8, first 2 shown]
	s_waitcnt vmcnt(24) lgkmcnt(0)
	v_fma_f64 v[47:48], v[59:60], v[51:52], v[47:48]
	s_waitcnt vmcnt(22)
	v_fma_f64 v[59:60], v[61:62], v[53:54], v[47:48]
	ds_read2_b64 v[47:50], v46 offset0:33 offset1:34
	ds_read2_b64 v[51:54], v46 offset0:35 offset1:36
	s_waitcnt vmcnt(20) lgkmcnt(1)
	v_fma_f64 v[47:48], v[63:64], v[47:48], v[59:60]
	buffer_load_dword v59, off, s[0:3], 0 offset:48
	buffer_load_dword v60, off, s[0:3], 0 offset:52
	s_waitcnt vmcnt(20)
	v_fma_f64 v[47:48], v[65:66], v[49:50], v[47:48]
	s_waitcnt vmcnt(18) lgkmcnt(0)
	v_fma_f64 v[47:48], v[67:68], v[51:52], v[47:48]
	s_waitcnt vmcnt(13)
	v_fma_f64 v[61:62], v[69:70], v[53:54], v[47:48]
	ds_read2_b64 v[47:50], v46 offset0:37 offset1:38
	ds_read2_b64 v[51:54], v46 offset0:39 offset1:40
	s_waitcnt vmcnt(12) lgkmcnt(1)
	v_fma_f64 v[47:48], v[75:76], v[47:48], v[61:62]
	s_waitcnt vmcnt(11)
	v_fma_f64 v[47:48], v[73:74], v[49:50], v[47:48]
	s_waitcnt vmcnt(10) lgkmcnt(0)
	v_fma_f64 v[47:48], v[71:72], v[51:52], v[47:48]
	s_waitcnt vmcnt(5)
	v_fma_f64 v[51:52], v[55:56], v[53:54], v[47:48]
	ds_read2_b64 v[47:50], v46 offset0:41 offset1:42
	ds_read_b64 v[53:54], v46 offset:344
	s_waitcnt vmcnt(4) lgkmcnt(1)
	v_fma_f64 v[47:48], v[79:80], v[47:48], v[51:52]
	s_waitcnt vmcnt(3)
	v_fma_f64 v[47:48], v[77:78], v[49:50], v[47:48]
	s_waitcnt vmcnt(2) lgkmcnt(0)
	v_fma_f64 v[47:48], v[57:58], v[53:54], v[47:48]
	s_waitcnt vmcnt(0)
	v_add_f64 v[47:48], v[59:60], -v[47:48]
	buffer_store_dword v48, off, s[0:3], 0 offset:52
	buffer_store_dword v47, off, s[0:3], 0 offset:48
	s_and_saveexec_b64 s[4:5], vcc
	s_cbranch_execz .LBB85_129
; %bb.128:
	buffer_load_dword v47, off, s[0:3], 0 offset:40
	buffer_load_dword v48, off, s[0:3], 0 offset:44
	s_waitcnt vmcnt(0)
	ds_write_b64 v45, v[47:48]
	buffer_store_dword v46, off, s[0:3], 0 offset:40
	buffer_store_dword v46, off, s[0:3], 0 offset:44
.LBB85_129:
	s_or_b64 exec, exec, s[4:5]
	s_waitcnt lgkmcnt(0)
	; wave barrier
	buffer_load_dword v55, off, s[0:3], 0 offset:48
	buffer_load_dword v56, off, s[0:3], 0 offset:52
	buffer_load_dword v57, off, s[0:3], 0 offset:56
	buffer_load_dword v58, off, s[0:3], 0 offset:60
	buffer_load_dword v59, off, s[0:3], 0 offset:64
	buffer_load_dword v60, off, s[0:3], 0 offset:68
	buffer_load_dword v61, off, s[0:3], 0 offset:72
	buffer_load_dword v62, off, s[0:3], 0 offset:76
	buffer_load_dword v63, off, s[0:3], 0 offset:80
	buffer_load_dword v64, off, s[0:3], 0 offset:84
	buffer_load_dword v65, off, s[0:3], 0 offset:88
	buffer_load_dword v66, off, s[0:3], 0 offset:92
	buffer_load_dword v67, off, s[0:3], 0 offset:96
	buffer_load_dword v68, off, s[0:3], 0 offset:100
	buffer_load_dword v70, off, s[0:3], 0 offset:108
	buffer_load_dword v71, off, s[0:3], 0 offset:128
	buffer_load_dword v73, off, s[0:3], 0 offset:120
	buffer_load_dword v75, off, s[0:3], 0 offset:112
	buffer_load_dword v69, off, s[0:3], 0 offset:104
	buffer_load_dword v76, off, s[0:3], 0 offset:116
	buffer_load_dword v74, off, s[0:3], 0 offset:124
	buffer_load_dword v72, off, s[0:3], 0 offset:132
	ds_read_b128 v[47:50], v46 offset:224
	ds_read_b128 v[51:54], v46 offset:240
	v_cmp_lt_u32_e32 vcc, 4, v0
	s_waitcnt vmcnt(20) lgkmcnt(1)
	v_fma_f64 v[47:48], v[55:56], v[47:48], 0
	s_waitcnt vmcnt(18)
	v_fma_f64 v[47:48], v[57:58], v[49:50], v[47:48]
	buffer_load_dword v56, off, s[0:3], 0 offset:140
	buffer_load_dword v57, off, s[0:3], 0 offset:160
	;; [unrolled: 1-line block ×8, first 2 shown]
	s_waitcnt vmcnt(24) lgkmcnt(0)
	v_fma_f64 v[47:48], v[59:60], v[51:52], v[47:48]
	s_waitcnt vmcnt(22)
	v_fma_f64 v[59:60], v[61:62], v[53:54], v[47:48]
	ds_read_b128 v[47:50], v46 offset:256
	ds_read_b128 v[51:54], v46 offset:272
	s_waitcnt vmcnt(20) lgkmcnt(1)
	v_fma_f64 v[47:48], v[63:64], v[47:48], v[59:60]
	buffer_load_dword v60, off, s[0:3], 0 offset:172
	buffer_load_dword v59, off, s[0:3], 0 offset:168
	;; [unrolled: 1-line block ×4, first 2 shown]
	s_waitcnt vmcnt(22)
	v_fma_f64 v[47:48], v[65:66], v[49:50], v[47:48]
	s_waitcnt vmcnt(20) lgkmcnt(0)
	v_fma_f64 v[47:48], v[67:68], v[51:52], v[47:48]
	s_waitcnt vmcnt(15)
	v_fma_f64 v[63:64], v[69:70], v[53:54], v[47:48]
	ds_read_b128 v[47:50], v46 offset:288
	ds_read_b128 v[51:54], v46 offset:304
	s_waitcnt vmcnt(14) lgkmcnt(1)
	v_fma_f64 v[47:48], v[75:76], v[47:48], v[63:64]
	s_waitcnt vmcnt(13)
	v_fma_f64 v[47:48], v[73:74], v[49:50], v[47:48]
	s_waitcnt vmcnt(12) lgkmcnt(0)
	v_fma_f64 v[47:48], v[71:72], v[51:52], v[47:48]
	s_waitcnt vmcnt(7)
	v_fma_f64 v[55:56], v[55:56], v[53:54], v[47:48]
	ds_read_b128 v[47:50], v46 offset:320
	ds_read_b128 v[51:54], v46 offset:336
	s_waitcnt vmcnt(6) lgkmcnt(1)
	v_fma_f64 v[46:47], v[79:80], v[47:48], v[55:56]
	s_waitcnt vmcnt(5)
	v_fma_f64 v[46:47], v[77:78], v[49:50], v[46:47]
	s_waitcnt vmcnt(4) lgkmcnt(0)
	v_fma_f64 v[46:47], v[57:58], v[51:52], v[46:47]
	s_waitcnt vmcnt(2)
	v_fma_f64 v[46:47], v[59:60], v[53:54], v[46:47]
	s_waitcnt vmcnt(0)
	v_add_f64 v[46:47], v[61:62], -v[46:47]
	buffer_store_dword v47, off, s[0:3], 0 offset:44
	buffer_store_dword v46, off, s[0:3], 0 offset:40
	s_and_saveexec_b64 s[4:5], vcc
	s_cbranch_execz .LBB85_131
; %bb.130:
	buffer_load_dword v46, off, s[0:3], 0 offset:32
	buffer_load_dword v47, off, s[0:3], 0 offset:36
	v_mov_b32_e32 v48, 0
	buffer_store_dword v48, off, s[0:3], 0 offset:32
	buffer_store_dword v48, off, s[0:3], 0 offset:36
	s_waitcnt vmcnt(2)
	ds_write_b64 v45, v[46:47]
.LBB85_131:
	s_or_b64 exec, exec, s[4:5]
	s_waitcnt lgkmcnt(0)
	; wave barrier
	buffer_load_dword v55, off, s[0:3], 0 offset:40
	buffer_load_dword v56, off, s[0:3], 0 offset:44
	;; [unrolled: 1-line block ×22, first 2 shown]
	v_mov_b32_e32 v46, 0
	ds_read2_b64 v[47:50], v46 offset0:27 offset1:28
	ds_read2_b64 v[51:54], v46 offset0:29 offset1:30
	v_cmp_lt_u32_e32 vcc, 3, v0
	s_waitcnt vmcnt(20) lgkmcnt(1)
	v_fma_f64 v[47:48], v[55:56], v[47:48], 0
	s_waitcnt vmcnt(18)
	v_fma_f64 v[47:48], v[57:58], v[49:50], v[47:48]
	buffer_load_dword v56, off, s[0:3], 0 offset:132
	buffer_load_dword v57, off, s[0:3], 0 offset:152
	;; [unrolled: 1-line block ×7, first 2 shown]
	s_waitcnt vmcnt(23) lgkmcnt(0)
	v_fma_f64 v[47:48], v[59:60], v[51:52], v[47:48]
	s_waitcnt vmcnt(21)
	v_fma_f64 v[58:59], v[61:62], v[53:54], v[47:48]
	ds_read2_b64 v[47:50], v46 offset0:31 offset1:32
	ds_read2_b64 v[51:54], v46 offset0:33 offset1:34
	s_waitcnt vmcnt(19) lgkmcnt(1)
	v_fma_f64 v[47:48], v[63:64], v[47:48], v[58:59]
	buffer_load_dword v58, off, s[0:3], 0 offset:156
	buffer_load_dword v60, off, s[0:3], 0 offset:164
	;; [unrolled: 1-line block ×7, first 2 shown]
	s_waitcnt vmcnt(24)
	v_fma_f64 v[47:48], v[65:66], v[49:50], v[47:48]
	s_waitcnt vmcnt(22) lgkmcnt(0)
	v_fma_f64 v[47:48], v[67:68], v[51:52], v[47:48]
	s_waitcnt vmcnt(17)
	v_fma_f64 v[65:66], v[69:70], v[53:54], v[47:48]
	ds_read2_b64 v[47:50], v46 offset0:35 offset1:36
	ds_read2_b64 v[51:54], v46 offset0:37 offset1:38
	s_waitcnt vmcnt(16) lgkmcnt(1)
	v_fma_f64 v[47:48], v[75:76], v[47:48], v[65:66]
	s_waitcnt vmcnt(15)
	v_fma_f64 v[47:48], v[73:74], v[49:50], v[47:48]
	s_waitcnt vmcnt(14) lgkmcnt(0)
	v_fma_f64 v[47:48], v[71:72], v[51:52], v[47:48]
	s_waitcnt vmcnt(9)
	v_fma_f64 v[55:56], v[55:56], v[53:54], v[47:48]
	ds_read2_b64 v[47:50], v46 offset0:39 offset1:40
	ds_read2_b64 v[51:54], v46 offset0:41 offset1:42
	s_waitcnt vmcnt(8) lgkmcnt(1)
	v_fma_f64 v[47:48], v[79:80], v[47:48], v[55:56]
	s_waitcnt vmcnt(7)
	v_fma_f64 v[47:48], v[77:78], v[49:50], v[47:48]
	ds_read_b64 v[49:50], v46 offset:344
	s_waitcnt vmcnt(6) lgkmcnt(1)
	v_fma_f64 v[47:48], v[57:58], v[51:52], v[47:48]
	s_waitcnt vmcnt(3)
	v_fma_f64 v[47:48], v[59:60], v[53:54], v[47:48]
	s_waitcnt vmcnt(2) lgkmcnt(0)
	v_fma_f64 v[47:48], v[61:62], v[49:50], v[47:48]
	s_waitcnt vmcnt(0)
	v_add_f64 v[47:48], v[63:64], -v[47:48]
	buffer_store_dword v48, off, s[0:3], 0 offset:36
	buffer_store_dword v47, off, s[0:3], 0 offset:32
	s_and_saveexec_b64 s[4:5], vcc
	s_cbranch_execz .LBB85_133
; %bb.132:
	buffer_load_dword v47, off, s[0:3], 0 offset:24
	buffer_load_dword v48, off, s[0:3], 0 offset:28
	s_waitcnt vmcnt(0)
	ds_write_b64 v45, v[47:48]
	buffer_store_dword v46, off, s[0:3], 0 offset:24
	buffer_store_dword v46, off, s[0:3], 0 offset:28
.LBB85_133:
	s_or_b64 exec, exec, s[4:5]
	s_waitcnt lgkmcnt(0)
	; wave barrier
	buffer_load_dword v55, off, s[0:3], 0 offset:32
	buffer_load_dword v56, off, s[0:3], 0 offset:36
	;; [unrolled: 1-line block ×22, first 2 shown]
	ds_read_b128 v[47:50], v46 offset:208
	ds_read_b128 v[51:54], v46 offset:224
	v_cmp_lt_u32_e32 vcc, 2, v0
	s_waitcnt vmcnt(20) lgkmcnt(1)
	v_fma_f64 v[47:48], v[55:56], v[47:48], 0
	s_waitcnt vmcnt(18)
	v_fma_f64 v[47:48], v[57:58], v[49:50], v[47:48]
	buffer_load_dword v56, off, s[0:3], 0 offset:124
	buffer_load_dword v57, off, s[0:3], 0 offset:144
	;; [unrolled: 1-line block ×7, first 2 shown]
	s_waitcnt vmcnt(23) lgkmcnt(0)
	v_fma_f64 v[47:48], v[59:60], v[51:52], v[47:48]
	s_waitcnt vmcnt(21)
	v_fma_f64 v[58:59], v[61:62], v[53:54], v[47:48]
	ds_read_b128 v[47:50], v46 offset:240
	ds_read_b128 v[51:54], v46 offset:256
	s_waitcnt vmcnt(19) lgkmcnt(1)
	v_fma_f64 v[47:48], v[63:64], v[47:48], v[58:59]
	buffer_load_dword v58, off, s[0:3], 0 offset:148
	buffer_load_dword v60, off, s[0:3], 0 offset:156
	;; [unrolled: 1-line block ×7, first 2 shown]
	s_waitcnt vmcnt(24)
	v_fma_f64 v[47:48], v[65:66], v[49:50], v[47:48]
	s_waitcnt vmcnt(22) lgkmcnt(0)
	v_fma_f64 v[47:48], v[67:68], v[51:52], v[47:48]
	s_waitcnt vmcnt(17)
	v_fma_f64 v[65:66], v[69:70], v[53:54], v[47:48]
	ds_read_b128 v[47:50], v46 offset:272
	buffer_load_dword v67, off, s[0:3], 0 offset:24
	buffer_load_dword v68, off, s[0:3], 0 offset:28
	ds_read_b128 v[51:54], v46 offset:288
	s_waitcnt vmcnt(18) lgkmcnt(1)
	v_fma_f64 v[47:48], v[75:76], v[47:48], v[65:66]
	s_waitcnt vmcnt(17)
	v_fma_f64 v[47:48], v[73:74], v[49:50], v[47:48]
	s_waitcnt vmcnt(16) lgkmcnt(0)
	v_fma_f64 v[47:48], v[71:72], v[51:52], v[47:48]
	s_waitcnt vmcnt(11)
	v_fma_f64 v[55:56], v[55:56], v[53:54], v[47:48]
	ds_read_b128 v[47:50], v46 offset:304
	ds_read_b128 v[51:54], v46 offset:320
	s_waitcnt vmcnt(10) lgkmcnt(1)
	v_fma_f64 v[47:48], v[79:80], v[47:48], v[55:56]
	s_waitcnt vmcnt(9)
	v_fma_f64 v[47:48], v[77:78], v[49:50], v[47:48]
	s_waitcnt vmcnt(8) lgkmcnt(0)
	v_fma_f64 v[47:48], v[57:58], v[51:52], v[47:48]
	s_waitcnt vmcnt(4)
	v_fma_f64 v[50:51], v[59:60], v[53:54], v[47:48]
	ds_read_b128 v[46:49], v46 offset:336
	s_waitcnt vmcnt(3) lgkmcnt(0)
	v_fma_f64 v[46:47], v[63:64], v[46:47], v[50:51]
	s_waitcnt vmcnt(2)
	v_fma_f64 v[46:47], v[61:62], v[48:49], v[46:47]
	s_waitcnt vmcnt(0)
	v_add_f64 v[46:47], v[67:68], -v[46:47]
	buffer_store_dword v47, off, s[0:3], 0 offset:28
	buffer_store_dword v46, off, s[0:3], 0 offset:24
	s_and_saveexec_b64 s[4:5], vcc
	s_cbranch_execz .LBB85_135
; %bb.134:
	buffer_load_dword v46, off, s[0:3], 0 offset:16
	buffer_load_dword v47, off, s[0:3], 0 offset:20
	v_mov_b32_e32 v48, 0
	buffer_store_dword v48, off, s[0:3], 0 offset:16
	buffer_store_dword v48, off, s[0:3], 0 offset:20
	s_waitcnt vmcnt(2)
	ds_write_b64 v45, v[46:47]
.LBB85_135:
	s_or_b64 exec, exec, s[4:5]
	s_waitcnt lgkmcnt(0)
	; wave barrier
	buffer_load_dword v55, off, s[0:3], 0 offset:24
	buffer_load_dword v56, off, s[0:3], 0 offset:28
	;; [unrolled: 1-line block ×22, first 2 shown]
	v_mov_b32_e32 v46, 0
	ds_read2_b64 v[47:50], v46 offset0:25 offset1:26
	ds_read2_b64 v[51:54], v46 offset0:27 offset1:28
	v_cmp_lt_u32_e32 vcc, 1, v0
	s_waitcnt vmcnt(20) lgkmcnt(1)
	v_fma_f64 v[47:48], v[55:56], v[47:48], 0
	s_waitcnt vmcnt(18)
	v_fma_f64 v[47:48], v[57:58], v[49:50], v[47:48]
	buffer_load_dword v56, off, s[0:3], 0 offset:116
	buffer_load_dword v57, off, s[0:3], 0 offset:136
	;; [unrolled: 1-line block ×7, first 2 shown]
	s_waitcnt vmcnt(23) lgkmcnt(0)
	v_fma_f64 v[47:48], v[59:60], v[51:52], v[47:48]
	s_waitcnt vmcnt(21)
	v_fma_f64 v[58:59], v[61:62], v[53:54], v[47:48]
	ds_read2_b64 v[47:50], v46 offset0:29 offset1:30
	ds_read2_b64 v[51:54], v46 offset0:31 offset1:32
	s_waitcnt vmcnt(19) lgkmcnt(1)
	v_fma_f64 v[47:48], v[63:64], v[47:48], v[58:59]
	buffer_load_dword v58, off, s[0:3], 0 offset:140
	s_waitcnt vmcnt(18)
	v_fma_f64 v[47:48], v[65:66], v[49:50], v[47:48]
	buffer_load_dword v60, off, s[0:3], 0 offset:148
	buffer_load_dword v61, off, s[0:3], 0 offset:168
	;; [unrolled: 1-line block ×8, first 2 shown]
	s_waitcnt vmcnt(24) lgkmcnt(0)
	v_fma_f64 v[47:48], v[67:68], v[51:52], v[47:48]
	s_waitcnt vmcnt(19)
	v_fma_f64 v[67:68], v[69:70], v[53:54], v[47:48]
	ds_read2_b64 v[47:50], v46 offset0:33 offset1:34
	ds_read2_b64 v[51:54], v46 offset0:35 offset1:36
	s_waitcnt vmcnt(18) lgkmcnt(1)
	v_fma_f64 v[47:48], v[75:76], v[47:48], v[67:68]
	buffer_load_dword v67, off, s[0:3], 0 offset:16
	buffer_load_dword v68, off, s[0:3], 0 offset:20
	s_waitcnt vmcnt(19)
	v_fma_f64 v[47:48], v[73:74], v[49:50], v[47:48]
	s_waitcnt vmcnt(18) lgkmcnt(0)
	v_fma_f64 v[47:48], v[71:72], v[51:52], v[47:48]
	s_waitcnt vmcnt(13)
	v_fma_f64 v[55:56], v[55:56], v[53:54], v[47:48]
	ds_read2_b64 v[47:50], v46 offset0:37 offset1:38
	ds_read2_b64 v[51:54], v46 offset0:39 offset1:40
	s_waitcnt vmcnt(12) lgkmcnt(1)
	v_fma_f64 v[47:48], v[79:80], v[47:48], v[55:56]
	s_waitcnt vmcnt(11)
	v_fma_f64 v[47:48], v[77:78], v[49:50], v[47:48]
	s_waitcnt vmcnt(10) lgkmcnt(0)
	v_fma_f64 v[47:48], v[57:58], v[51:52], v[47:48]
	s_waitcnt vmcnt(5)
	v_fma_f64 v[51:52], v[59:60], v[53:54], v[47:48]
	ds_read2_b64 v[47:50], v46 offset0:41 offset1:42
	ds_read_b64 v[53:54], v46 offset:344
	s_waitcnt vmcnt(4) lgkmcnt(1)
	v_fma_f64 v[47:48], v[65:66], v[47:48], v[51:52]
	s_waitcnt vmcnt(3)
	v_fma_f64 v[47:48], v[63:64], v[49:50], v[47:48]
	s_waitcnt vmcnt(2) lgkmcnt(0)
	v_fma_f64 v[47:48], v[61:62], v[53:54], v[47:48]
	s_waitcnt vmcnt(0)
	v_add_f64 v[47:48], v[67:68], -v[47:48]
	buffer_store_dword v48, off, s[0:3], 0 offset:20
	buffer_store_dword v47, off, s[0:3], 0 offset:16
	s_and_saveexec_b64 s[4:5], vcc
	s_cbranch_execz .LBB85_137
; %bb.136:
	buffer_load_dword v47, off, s[0:3], 0 offset:8
	buffer_load_dword v48, off, s[0:3], 0 offset:12
	s_waitcnt vmcnt(0)
	ds_write_b64 v45, v[47:48]
	buffer_store_dword v46, off, s[0:3], 0 offset:8
	buffer_store_dword v46, off, s[0:3], 0 offset:12
.LBB85_137:
	s_or_b64 exec, exec, s[4:5]
	s_waitcnt lgkmcnt(0)
	; wave barrier
	buffer_load_dword v55, off, s[0:3], 0 offset:16
	buffer_load_dword v56, off, s[0:3], 0 offset:20
	;; [unrolled: 1-line block ×22, first 2 shown]
	ds_read_b128 v[47:50], v46 offset:192
	ds_read_b128 v[51:54], v46 offset:208
	v_cmp_ne_u32_e32 vcc, 0, v0
	s_waitcnt vmcnt(20) lgkmcnt(1)
	v_fma_f64 v[47:48], v[55:56], v[47:48], 0
	s_waitcnt vmcnt(18)
	v_fma_f64 v[47:48], v[57:58], v[49:50], v[47:48]
	buffer_load_dword v56, off, s[0:3], 0 offset:108
	buffer_load_dword v57, off, s[0:3], 0 offset:128
	;; [unrolled: 1-line block ×7, first 2 shown]
	s_waitcnt vmcnt(23) lgkmcnt(0)
	v_fma_f64 v[47:48], v[59:60], v[51:52], v[47:48]
	s_waitcnt vmcnt(21)
	v_fma_f64 v[58:59], v[61:62], v[53:54], v[47:48]
	ds_read_b128 v[47:50], v46 offset:224
	ds_read_b128 v[51:54], v46 offset:240
	s_waitcnt vmcnt(19) lgkmcnt(1)
	v_fma_f64 v[47:48], v[63:64], v[47:48], v[58:59]
	buffer_load_dword v58, off, s[0:3], 0 offset:132
	s_waitcnt vmcnt(18)
	v_fma_f64 v[47:48], v[65:66], v[49:50], v[47:48]
	buffer_load_dword v60, off, s[0:3], 0 offset:140
	buffer_load_dword v61, off, s[0:3], 0 offset:160
	;; [unrolled: 1-line block ×8, first 2 shown]
	s_waitcnt vmcnt(24) lgkmcnt(0)
	v_fma_f64 v[47:48], v[67:68], v[51:52], v[47:48]
	s_waitcnt vmcnt(19)
	v_fma_f64 v[67:68], v[69:70], v[53:54], v[47:48]
	ds_read_b128 v[47:50], v46 offset:256
	ds_read_b128 v[51:54], v46 offset:272
	s_waitcnt vmcnt(18) lgkmcnt(1)
	v_fma_f64 v[47:48], v[75:76], v[47:48], v[67:68]
	buffer_load_dword v68, off, s[0:3], 0 offset:172
	buffer_load_dword v67, off, s[0:3], 0 offset:168
	;; [unrolled: 1-line block ×4, first 2 shown]
	s_waitcnt vmcnt(21)
	v_fma_f64 v[47:48], v[73:74], v[49:50], v[47:48]
	s_waitcnt vmcnt(20) lgkmcnt(0)
	v_fma_f64 v[47:48], v[71:72], v[51:52], v[47:48]
	s_waitcnt vmcnt(15)
	v_fma_f64 v[55:56], v[55:56], v[53:54], v[47:48]
	ds_read_b128 v[47:50], v46 offset:288
	ds_read_b128 v[51:54], v46 offset:304
	s_waitcnt vmcnt(14) lgkmcnt(1)
	v_fma_f64 v[47:48], v[79:80], v[47:48], v[55:56]
	s_waitcnt vmcnt(13)
	v_fma_f64 v[47:48], v[77:78], v[49:50], v[47:48]
	s_waitcnt vmcnt(12) lgkmcnt(0)
	v_fma_f64 v[47:48], v[57:58], v[51:52], v[47:48]
	s_waitcnt vmcnt(7)
	v_fma_f64 v[55:56], v[59:60], v[53:54], v[47:48]
	ds_read_b128 v[47:50], v46 offset:320
	ds_read_b128 v[51:54], v46 offset:336
	s_waitcnt vmcnt(6) lgkmcnt(1)
	v_fma_f64 v[46:47], v[65:66], v[47:48], v[55:56]
	s_waitcnt vmcnt(5)
	v_fma_f64 v[46:47], v[63:64], v[49:50], v[46:47]
	s_waitcnt vmcnt(4) lgkmcnt(0)
	v_fma_f64 v[46:47], v[61:62], v[51:52], v[46:47]
	s_waitcnt vmcnt(2)
	v_fma_f64 v[46:47], v[67:68], v[53:54], v[46:47]
	s_waitcnt vmcnt(0)
	v_add_f64 v[46:47], v[69:70], -v[46:47]
	buffer_store_dword v47, off, s[0:3], 0 offset:12
	buffer_store_dword v46, off, s[0:3], 0 offset:8
	s_and_saveexec_b64 s[4:5], vcc
	s_cbranch_execz .LBB85_139
; %bb.138:
	buffer_load_dword v46, off, s[0:3], 0
	buffer_load_dword v47, off, s[0:3], 0 offset:4
	v_mov_b32_e32 v0, 0
	buffer_store_dword v0, off, s[0:3], 0
	buffer_store_dword v0, off, s[0:3], 0 offset:4
	s_waitcnt vmcnt(2)
	ds_write_b64 v45, v[46:47]
.LBB85_139:
	s_or_b64 exec, exec, s[4:5]
	s_waitcnt lgkmcnt(0)
	; wave barrier
	buffer_load_dword v53, off, s[0:3], 0 offset:8
	buffer_load_dword v54, off, s[0:3], 0 offset:12
	;; [unrolled: 1-line block ×21, first 2 shown]
	v_mov_b32_e32 v0, 0
	ds_read2_b64 v[45:48], v0 offset0:23 offset1:24
	ds_read2_b64 v[49:52], v0 offset0:25 offset1:26
	buffer_load_dword v70, off, s[0:3], 0 offset:92
	s_and_b64 vcc, exec, s[14:15]
	s_waitcnt vmcnt(20) lgkmcnt(1)
	v_fma_f64 v[45:46], v[53:54], v[45:46], 0
	s_waitcnt vmcnt(18)
	v_fma_f64 v[45:46], v[55:56], v[47:48], v[45:46]
	buffer_load_dword v54, off, s[0:3], 0 offset:100
	buffer_load_dword v55, off, s[0:3], 0 offset:120
	;; [unrolled: 1-line block ×7, first 2 shown]
	s_waitcnt vmcnt(23) lgkmcnt(0)
	v_fma_f64 v[45:46], v[57:58], v[49:50], v[45:46]
	s_waitcnt vmcnt(21)
	v_fma_f64 v[56:57], v[59:60], v[51:52], v[45:46]
	ds_read2_b64 v[45:48], v0 offset0:27 offset1:28
	ds_read2_b64 v[49:52], v0 offset0:29 offset1:30
	s_waitcnt vmcnt(19) lgkmcnt(1)
	v_fma_f64 v[45:46], v[61:62], v[45:46], v[56:57]
	buffer_load_dword v56, off, s[0:3], 0 offset:124
	s_waitcnt vmcnt(18)
	v_fma_f64 v[45:46], v[63:64], v[47:48], v[45:46]
	buffer_load_dword v58, off, s[0:3], 0 offset:132
	buffer_load_dword v59, off, s[0:3], 0 offset:152
	;; [unrolled: 1-line block ×7, first 2 shown]
	s_waitcnt vmcnt(23) lgkmcnt(0)
	v_fma_f64 v[45:46], v[65:66], v[49:50], v[45:46]
	s_waitcnt vmcnt(18)
	v_fma_f64 v[65:66], v[67:68], v[51:52], v[45:46]
	ds_read2_b64 v[45:48], v0 offset0:31 offset1:32
	ds_read2_b64 v[49:52], v0 offset0:33 offset1:34
	buffer_load_dword v60, off, s[0:3], 0 offset:156
	s_waitcnt vmcnt(18) lgkmcnt(1)
	v_fma_f64 v[45:46], v[73:74], v[45:46], v[65:66]
	s_waitcnt vmcnt(17)
	v_fma_f64 v[47:48], v[71:72], v[47:48], v[45:46]
	buffer_load_dword v46, off, s[0:3], 0 offset:164
	buffer_load_dword v65, off, s[0:3], 0 offset:168
	;; [unrolled: 1-line block ×4, first 2 shown]
	buffer_load_dword v67, off, s[0:3], 0
	buffer_load_dword v68, off, s[0:3], 0 offset:4
	s_waitcnt vmcnt(22) lgkmcnt(0)
	v_fma_f64 v[47:48], v[69:70], v[49:50], v[47:48]
	s_waitcnt vmcnt(17)
	v_fma_f64 v[69:70], v[53:54], v[51:52], v[47:48]
	ds_read2_b64 v[47:50], v0 offset0:35 offset1:36
	ds_read2_b64 v[51:54], v0 offset0:37 offset1:38
	s_waitcnt vmcnt(16) lgkmcnt(1)
	v_fma_f64 v[47:48], v[77:78], v[47:48], v[69:70]
	s_waitcnt vmcnt(15)
	v_fma_f64 v[47:48], v[75:76], v[49:50], v[47:48]
	s_waitcnt vmcnt(14) lgkmcnt(0)
	v_fma_f64 v[47:48], v[55:56], v[51:52], v[47:48]
	s_waitcnt vmcnt(9)
	v_fma_f64 v[55:56], v[57:58], v[53:54], v[47:48]
	ds_read2_b64 v[47:50], v0 offset0:39 offset1:40
	ds_read2_b64 v[51:54], v0 offset0:41 offset1:42
	s_waitcnt vmcnt(8) lgkmcnt(1)
	v_fma_f64 v[47:48], v[63:64], v[47:48], v[55:56]
	s_waitcnt vmcnt(7)
	v_fma_f64 v[47:48], v[61:62], v[49:50], v[47:48]
	ds_read_b64 v[49:50], v0 offset:344
	s_waitcnt vmcnt(6) lgkmcnt(1)
	v_fma_f64 v[47:48], v[59:60], v[51:52], v[47:48]
	s_waitcnt vmcnt(3)
	v_fma_f64 v[47:48], v[45:46], v[53:54], v[47:48]
	s_waitcnt vmcnt(2) lgkmcnt(0)
	v_fma_f64 v[47:48], v[65:66], v[49:50], v[47:48]
	s_waitcnt vmcnt(0)
	v_add_f64 v[47:48], v[67:68], -v[47:48]
	buffer_store_dword v48, off, s[0:3], 0 offset:4
	buffer_store_dword v47, off, s[0:3], 0
	s_cbranch_vccz .LBB85_182
; %bb.140:
	global_load_dword v0, v0, s[12:13] offset:80
	s_waitcnt vmcnt(0)
	v_add_u32_e32 v0, -1, v0
	v_cmp_ne_u32_e32 vcc, 20, v0
	s_cbranch_vccz .LBB85_142
; %bb.141:
	v_lshlrev_b32_e32 v0, 3, v0
	buffer_load_dword v47, v0, s[0:3], 0 offen offset:4
	buffer_load_dword v48, v0, s[0:3], 0 offen
	s_waitcnt vmcnt(1)
	buffer_store_dword v47, off, s[0:3], 0 offset:164
	s_waitcnt vmcnt(1)
	buffer_store_dword v48, off, s[0:3], 0 offset:160
	buffer_store_dword v46, v0, s[0:3], 0 offen offset:4
	buffer_store_dword v45, v0, s[0:3], 0 offen
.LBB85_142:
	v_mov_b32_e32 v0, 0
	global_load_dword v45, v0, s[12:13] offset:76
	s_waitcnt vmcnt(0)
	v_add_u32_e32 v45, -1, v45
	v_cmp_eq_u32_e32 vcc, 19, v45
	s_cbranch_vccnz .LBB85_144
; %bb.143:
	v_lshlrev_b32_e32 v45, 3, v45
	buffer_load_dword v46, v45, s[0:3], 0 offen
	buffer_load_dword v47, v45, s[0:3], 0 offen offset:4
	buffer_load_dword v48, off, s[0:3], 0 offset:152
	buffer_load_dword v49, off, s[0:3], 0 offset:156
	s_waitcnt vmcnt(3)
	buffer_store_dword v46, off, s[0:3], 0 offset:152
	s_waitcnt vmcnt(3)
	buffer_store_dword v47, off, s[0:3], 0 offset:156
	s_waitcnt vmcnt(3)
	buffer_store_dword v48, v45, s[0:3], 0 offen
	s_waitcnt vmcnt(3)
	buffer_store_dword v49, v45, s[0:3], 0 offen offset:4
.LBB85_144:
	global_load_dword v0, v0, s[12:13] offset:72
	s_waitcnt vmcnt(0)
	v_add_u32_e32 v0, -1, v0
	v_cmp_eq_u32_e32 vcc, 18, v0
	s_cbranch_vccnz .LBB85_146
; %bb.145:
	v_lshlrev_b32_e32 v0, 3, v0
	buffer_load_dword v45, v0, s[0:3], 0 offen
	buffer_load_dword v46, v0, s[0:3], 0 offen offset:4
	buffer_load_dword v47, off, s[0:3], 0 offset:148
	buffer_load_dword v48, off, s[0:3], 0 offset:144
	s_waitcnt vmcnt(3)
	buffer_store_dword v45, off, s[0:3], 0 offset:144
	s_waitcnt vmcnt(3)
	buffer_store_dword v46, off, s[0:3], 0 offset:148
	s_waitcnt vmcnt(3)
	buffer_store_dword v47, v0, s[0:3], 0 offen offset:4
	s_waitcnt vmcnt(3)
	buffer_store_dword v48, v0, s[0:3], 0 offen
.LBB85_146:
	v_mov_b32_e32 v0, 0
	global_load_dword v45, v0, s[12:13] offset:68
	s_waitcnt vmcnt(0)
	v_add_u32_e32 v45, -1, v45
	v_cmp_eq_u32_e32 vcc, 17, v45
	s_cbranch_vccnz .LBB85_148
; %bb.147:
	v_lshlrev_b32_e32 v45, 3, v45
	buffer_load_dword v46, v45, s[0:3], 0 offen
	buffer_load_dword v47, v45, s[0:3], 0 offen offset:4
	buffer_load_dword v48, off, s[0:3], 0 offset:136
	buffer_load_dword v49, off, s[0:3], 0 offset:140
	s_waitcnt vmcnt(3)
	buffer_store_dword v46, off, s[0:3], 0 offset:136
	s_waitcnt vmcnt(3)
	buffer_store_dword v47, off, s[0:3], 0 offset:140
	s_waitcnt vmcnt(3)
	buffer_store_dword v48, v45, s[0:3], 0 offen
	s_waitcnt vmcnt(3)
	buffer_store_dword v49, v45, s[0:3], 0 offen offset:4
.LBB85_148:
	global_load_dword v0, v0, s[12:13] offset:64
	s_waitcnt vmcnt(0)
	v_add_u32_e32 v0, -1, v0
	v_cmp_eq_u32_e32 vcc, 16, v0
	s_cbranch_vccnz .LBB85_150
; %bb.149:
	v_lshlrev_b32_e32 v0, 3, v0
	buffer_load_dword v45, v0, s[0:3], 0 offen
	buffer_load_dword v46, v0, s[0:3], 0 offen offset:4
	buffer_load_dword v47, off, s[0:3], 0 offset:132
	buffer_load_dword v48, off, s[0:3], 0 offset:128
	s_waitcnt vmcnt(3)
	buffer_store_dword v45, off, s[0:3], 0 offset:128
	s_waitcnt vmcnt(3)
	buffer_store_dword v46, off, s[0:3], 0 offset:132
	s_waitcnt vmcnt(3)
	buffer_store_dword v47, v0, s[0:3], 0 offen offset:4
	s_waitcnt vmcnt(3)
	buffer_store_dword v48, v0, s[0:3], 0 offen
.LBB85_150:
	;; [unrolled: 41-line block ×9, first 2 shown]
	v_mov_b32_e32 v0, 0
	global_load_dword v45, v0, s[12:13] offset:4
	s_waitcnt vmcnt(0)
	v_add_u32_e32 v45, -1, v45
	v_cmp_eq_u32_e32 vcc, 1, v45
	s_cbranch_vccnz .LBB85_180
; %bb.179:
	v_lshlrev_b32_e32 v45, 3, v45
	buffer_load_dword v46, v45, s[0:3], 0 offen
	buffer_load_dword v47, v45, s[0:3], 0 offen offset:4
	buffer_load_dword v48, off, s[0:3], 0 offset:8
	buffer_load_dword v49, off, s[0:3], 0 offset:12
	s_waitcnt vmcnt(3)
	buffer_store_dword v46, off, s[0:3], 0 offset:8
	s_waitcnt vmcnt(3)
	buffer_store_dword v47, off, s[0:3], 0 offset:12
	s_waitcnt vmcnt(3)
	buffer_store_dword v48, v45, s[0:3], 0 offen
	s_waitcnt vmcnt(3)
	buffer_store_dword v49, v45, s[0:3], 0 offen offset:4
.LBB85_180:
	global_load_dword v0, v0, s[12:13]
	s_nop 0
	buffer_load_dword v47, off, s[0:3], 0
	buffer_load_dword v48, off, s[0:3], 0 offset:4
	s_waitcnt vmcnt(2)
	v_add_u32_e32 v0, -1, v0
	v_cmp_eq_u32_e32 vcc, 0, v0
	s_cbranch_vccnz .LBB85_182
; %bb.181:
	v_lshlrev_b32_e32 v0, 3, v0
	buffer_load_dword v45, v0, s[0:3], 0 offen offset:4
	buffer_load_dword v46, v0, s[0:3], 0 offen
	s_waitcnt vmcnt(1)
	buffer_store_dword v45, off, s[0:3], 0 offset:4
	s_waitcnt vmcnt(1)
	buffer_store_dword v46, off, s[0:3], 0
	buffer_store_dword v48, v0, s[0:3], 0 offen offset:4
	buffer_store_dword v47, v0, s[0:3], 0 offen
	buffer_load_dword v47, off, s[0:3], 0
	s_nop 0
	buffer_load_dword v48, off, s[0:3], 0 offset:4
.LBB85_182:
	s_waitcnt vmcnt(0)
	flat_store_dwordx2 v[1:2], v[47:48]
	buffer_load_dword v0, off, s[0:3], 0 offset:8
	s_nop 0
	buffer_load_dword v1, off, s[0:3], 0 offset:12
	s_waitcnt vmcnt(0)
	flat_store_dwordx2 v[3:4], v[0:1]
	buffer_load_dword v0, off, s[0:3], 0 offset:16
	s_nop 0
	buffer_load_dword v1, off, s[0:3], 0 offset:20
	;; [unrolled: 5-line block ×21, first 2 shown]
	s_waitcnt vmcnt(0)
	flat_store_dwordx2 v[43:44], v[0:1]
	s_endpgm
	.section	.rodata,"a",@progbits
	.p2align	6, 0x0
	.amdhsa_kernel _ZN9rocsolver6v33100L18getri_kernel_smallILi22EdPKPdEEvT1_iilPiilS6_bb
		.amdhsa_group_segment_fixed_size 360
		.amdhsa_private_segment_fixed_size 192
		.amdhsa_kernarg_size 60
		.amdhsa_user_sgpr_count 6
		.amdhsa_user_sgpr_private_segment_buffer 1
		.amdhsa_user_sgpr_dispatch_ptr 0
		.amdhsa_user_sgpr_queue_ptr 0
		.amdhsa_user_sgpr_kernarg_segment_ptr 1
		.amdhsa_user_sgpr_dispatch_id 0
		.amdhsa_user_sgpr_flat_scratch_init 0
		.amdhsa_user_sgpr_private_segment_size 0
		.amdhsa_uses_dynamic_stack 0
		.amdhsa_system_sgpr_private_segment_wavefront_offset 1
		.amdhsa_system_sgpr_workgroup_id_x 1
		.amdhsa_system_sgpr_workgroup_id_y 0
		.amdhsa_system_sgpr_workgroup_id_z 0
		.amdhsa_system_sgpr_workgroup_info 0
		.amdhsa_system_vgpr_workitem_id 0
		.amdhsa_next_free_vgpr 81
		.amdhsa_next_free_sgpr 21
		.amdhsa_reserve_vcc 1
		.amdhsa_reserve_flat_scratch 0
		.amdhsa_float_round_mode_32 0
		.amdhsa_float_round_mode_16_64 0
		.amdhsa_float_denorm_mode_32 3
		.amdhsa_float_denorm_mode_16_64 3
		.amdhsa_dx10_clamp 1
		.amdhsa_ieee_mode 1
		.amdhsa_fp16_overflow 0
		.amdhsa_exception_fp_ieee_invalid_op 0
		.amdhsa_exception_fp_denorm_src 0
		.amdhsa_exception_fp_ieee_div_zero 0
		.amdhsa_exception_fp_ieee_overflow 0
		.amdhsa_exception_fp_ieee_underflow 0
		.amdhsa_exception_fp_ieee_inexact 0
		.amdhsa_exception_int_div_zero 0
	.end_amdhsa_kernel
	.section	.text._ZN9rocsolver6v33100L18getri_kernel_smallILi22EdPKPdEEvT1_iilPiilS6_bb,"axG",@progbits,_ZN9rocsolver6v33100L18getri_kernel_smallILi22EdPKPdEEvT1_iilPiilS6_bb,comdat
.Lfunc_end85:
	.size	_ZN9rocsolver6v33100L18getri_kernel_smallILi22EdPKPdEEvT1_iilPiilS6_bb, .Lfunc_end85-_ZN9rocsolver6v33100L18getri_kernel_smallILi22EdPKPdEEvT1_iilPiilS6_bb
                                        ; -- End function
	.set _ZN9rocsolver6v33100L18getri_kernel_smallILi22EdPKPdEEvT1_iilPiilS6_bb.num_vgpr, 81
	.set _ZN9rocsolver6v33100L18getri_kernel_smallILi22EdPKPdEEvT1_iilPiilS6_bb.num_agpr, 0
	.set _ZN9rocsolver6v33100L18getri_kernel_smallILi22EdPKPdEEvT1_iilPiilS6_bb.numbered_sgpr, 21
	.set _ZN9rocsolver6v33100L18getri_kernel_smallILi22EdPKPdEEvT1_iilPiilS6_bb.num_named_barrier, 0
	.set _ZN9rocsolver6v33100L18getri_kernel_smallILi22EdPKPdEEvT1_iilPiilS6_bb.private_seg_size, 192
	.set _ZN9rocsolver6v33100L18getri_kernel_smallILi22EdPKPdEEvT1_iilPiilS6_bb.uses_vcc, 1
	.set _ZN9rocsolver6v33100L18getri_kernel_smallILi22EdPKPdEEvT1_iilPiilS6_bb.uses_flat_scratch, 0
	.set _ZN9rocsolver6v33100L18getri_kernel_smallILi22EdPKPdEEvT1_iilPiilS6_bb.has_dyn_sized_stack, 0
	.set _ZN9rocsolver6v33100L18getri_kernel_smallILi22EdPKPdEEvT1_iilPiilS6_bb.has_recursion, 0
	.set _ZN9rocsolver6v33100L18getri_kernel_smallILi22EdPKPdEEvT1_iilPiilS6_bb.has_indirect_call, 0
	.section	.AMDGPU.csdata,"",@progbits
; Kernel info:
; codeLenInByte = 18456
; TotalNumSgprs: 25
; NumVgprs: 81
; ScratchSize: 192
; MemoryBound: 0
; FloatMode: 240
; IeeeMode: 1
; LDSByteSize: 360 bytes/workgroup (compile time only)
; SGPRBlocks: 3
; VGPRBlocks: 20
; NumSGPRsForWavesPerEU: 25
; NumVGPRsForWavesPerEU: 81
; Occupancy: 3
; WaveLimiterHint : 1
; COMPUTE_PGM_RSRC2:SCRATCH_EN: 1
; COMPUTE_PGM_RSRC2:USER_SGPR: 6
; COMPUTE_PGM_RSRC2:TRAP_HANDLER: 0
; COMPUTE_PGM_RSRC2:TGID_X_EN: 1
; COMPUTE_PGM_RSRC2:TGID_Y_EN: 0
; COMPUTE_PGM_RSRC2:TGID_Z_EN: 0
; COMPUTE_PGM_RSRC2:TIDIG_COMP_CNT: 0
	.section	.text._ZN9rocsolver6v33100L18getri_kernel_smallILi23EdPKPdEEvT1_iilPiilS6_bb,"axG",@progbits,_ZN9rocsolver6v33100L18getri_kernel_smallILi23EdPKPdEEvT1_iilPiilS6_bb,comdat
	.globl	_ZN9rocsolver6v33100L18getri_kernel_smallILi23EdPKPdEEvT1_iilPiilS6_bb ; -- Begin function _ZN9rocsolver6v33100L18getri_kernel_smallILi23EdPKPdEEvT1_iilPiilS6_bb
	.p2align	8
	.type	_ZN9rocsolver6v33100L18getri_kernel_smallILi23EdPKPdEEvT1_iilPiilS6_bb,@function
_ZN9rocsolver6v33100L18getri_kernel_smallILi23EdPKPdEEvT1_iilPiilS6_bb: ; @_ZN9rocsolver6v33100L18getri_kernel_smallILi23EdPKPdEEvT1_iilPiilS6_bb
; %bb.0:
	s_add_u32 s0, s0, s7
	s_addc_u32 s1, s1, 0
	v_cmp_gt_u32_e32 vcc, 23, v0
	s_and_saveexec_b64 s[8:9], vcc
	s_cbranch_execz .LBB86_100
; %bb.1:
	s_load_dword s18, s[4:5], 0x38
	s_load_dwordx2 s[12:13], s[4:5], 0x0
	s_load_dwordx4 s[8:11], s[4:5], 0x28
	s_waitcnt lgkmcnt(0)
	s_bitcmp1_b32 s18, 8
	s_cselect_b64 s[14:15], -1, 0
	s_ashr_i32 s7, s6, 31
	s_lshl_b64 s[16:17], s[6:7], 3
	s_add_u32 s12, s12, s16
	s_addc_u32 s13, s13, s17
	s_load_dwordx2 s[16:17], s[12:13], 0x0
	s_bfe_u32 s12, s18, 0x10008
	s_cmp_eq_u32 s12, 0
                                        ; implicit-def: $sgpr12_sgpr13
	s_cbranch_scc1 .LBB86_3
; %bb.2:
	s_load_dword s12, s[4:5], 0x20
	s_load_dwordx2 s[18:19], s[4:5], 0x18
	s_mul_i32 s13, s8, s7
	s_mul_hi_u32 s20, s8, s6
	s_add_i32 s20, s20, s13
	s_mul_i32 s9, s9, s6
	s_add_i32 s9, s20, s9
	s_mul_i32 s8, s8, s6
	s_waitcnt lgkmcnt(0)
	s_ashr_i32 s13, s12, 31
	s_lshl_b64 s[8:9], s[8:9], 2
	s_add_u32 s18, s18, s8
	s_addc_u32 s19, s19, s9
	s_lshl_b64 s[8:9], s[12:13], 2
	s_add_u32 s12, s18, s8
	s_addc_u32 s13, s19, s9
.LBB86_3:
	s_load_dwordx2 s[8:9], s[4:5], 0x8
	s_load_dword s18, s[4:5], 0x38
	v_lshlrev_b32_e32 v49, 3, v0
	s_waitcnt lgkmcnt(0)
	s_ashr_i32 s5, s8, 31
	s_mov_b32 s4, s8
	s_lshl_b64 s[4:5], s[4:5], 3
	s_add_u32 s4, s16, s4
	s_addc_u32 s5, s17, s5
	v_mov_b32_e32 v2, s5
	v_add_co_u32_e32 v1, vcc, s4, v49
	v_addc_co_u32_e32 v2, vcc, 0, v2, vcc
	flat_load_dwordx2 v[5:6], v[1:2]
	s_mov_b32 s16, s9
	s_ashr_i32 s17, s9, 31
	s_lshl_b64 s[16:17], s[16:17], 3
	v_mov_b32_e32 v4, s17
	v_add_co_u32_e32 v3, vcc, s16, v1
	v_addc_co_u32_e32 v4, vcc, v2, v4, vcc
	s_add_i32 s8, s9, s9
	v_add_u32_e32 v9, s8, v0
	v_ashrrev_i32_e32 v10, 31, v9
	v_mov_b32_e32 v11, s5
	v_add_u32_e32 v12, s9, v9
	v_ashrrev_i32_e32 v13, 31, v12
	v_mov_b32_e32 v14, s5
	v_mov_b32_e32 v15, s5
	v_mov_b32_e32 v17, s5
	v_mov_b32_e32 v20, s5
	v_mov_b32_e32 v21, s5
	v_mov_b32_e32 v23, s5
	v_mov_b32_e32 v26, s5
	v_mov_b32_e32 v27, s5
	v_mov_b32_e32 v29, s5
	v_mov_b32_e32 v32, s5
	v_mov_b32_e32 v33, s5
	v_mov_b32_e32 v35, s5
	v_mov_b32_e32 v38, s5
	v_mov_b32_e32 v39, s5
	v_mov_b32_e32 v41, s5
	v_mov_b32_e32 v44, s5
	v_mov_b32_e32 v45, s5
	v_mov_b32_e32 v47, s5
	v_mov_b32_e32 v48, s5
	s_bitcmp0_b32 s18, 0
	s_waitcnt vmcnt(0) lgkmcnt(0)
	buffer_store_dword v6, off, s[0:3], 0 offset:4
	buffer_store_dword v5, off, s[0:3], 0
	flat_load_dwordx2 v[7:8], v[3:4]
	v_lshlrev_b64 v[5:6], 3, v[9:10]
	s_waitcnt vmcnt(0) lgkmcnt(0)
	buffer_store_dword v8, off, s[0:3], 0 offset:12
	buffer_store_dword v7, off, s[0:3], 0 offset:8
	v_add_co_u32_e32 v5, vcc, s4, v5
	v_addc_co_u32_e32 v6, vcc, v11, v6, vcc
	flat_load_dwordx2 v[10:11], v[5:6]
	v_lshlrev_b64 v[7:8], 3, v[12:13]
	s_waitcnt vmcnt(0) lgkmcnt(0)
	buffer_store_dword v11, off, s[0:3], 0 offset:20
	buffer_store_dword v10, off, s[0:3], 0 offset:16
	v_add_co_u32_e32 v7, vcc, s4, v7
	v_addc_co_u32_e32 v8, vcc, v14, v8, vcc
	flat_load_dwordx2 v[13:14], v[7:8]
	v_add_u32_e32 v11, s9, v12
	v_ashrrev_i32_e32 v12, 31, v11
	v_lshlrev_b64 v[9:10], 3, v[11:12]
	s_waitcnt vmcnt(0) lgkmcnt(0)
	buffer_store_dword v14, off, s[0:3], 0 offset:28
	buffer_store_dword v13, off, s[0:3], 0 offset:24
	v_add_co_u32_e32 v9, vcc, s4, v9
	v_addc_co_u32_e32 v10, vcc, v15, v10, vcc
	flat_load_dwordx2 v[13:14], v[9:10]
	v_add_u32_e32 v15, s9, v11
	v_ashrrev_i32_e32 v16, 31, v15
	v_lshlrev_b64 v[11:12], 3, v[15:16]
	v_add_u32_e32 v18, s9, v15
	v_add_co_u32_e32 v11, vcc, s4, v11
	v_addc_co_u32_e32 v12, vcc, v17, v12, vcc
	v_ashrrev_i32_e32 v19, 31, v18
	s_waitcnt vmcnt(0) lgkmcnt(0)
	buffer_store_dword v14, off, s[0:3], 0 offset:36
	buffer_store_dword v13, off, s[0:3], 0 offset:32
	flat_load_dwordx2 v[16:17], v[11:12]
	v_lshlrev_b64 v[13:14], 3, v[18:19]
	s_waitcnt vmcnt(0) lgkmcnt(0)
	buffer_store_dword v17, off, s[0:3], 0 offset:44
	buffer_store_dword v16, off, s[0:3], 0 offset:40
	v_add_co_u32_e32 v13, vcc, s4, v13
	v_addc_co_u32_e32 v14, vcc, v20, v14, vcc
	flat_load_dwordx2 v[19:20], v[13:14]
	v_add_u32_e32 v17, s9, v18
	v_ashrrev_i32_e32 v18, 31, v17
	v_lshlrev_b64 v[15:16], 3, v[17:18]
	s_waitcnt vmcnt(0) lgkmcnt(0)
	buffer_store_dword v20, off, s[0:3], 0 offset:52
	buffer_store_dword v19, off, s[0:3], 0 offset:48
	v_add_co_u32_e32 v15, vcc, s4, v15
	v_addc_co_u32_e32 v16, vcc, v21, v16, vcc
	flat_load_dwordx2 v[19:20], v[15:16]
	v_add_u32_e32 v21, s9, v17
	v_ashrrev_i32_e32 v22, 31, v21
	v_lshlrev_b64 v[17:18], 3, v[21:22]
	v_add_u32_e32 v24, s9, v21
	v_add_co_u32_e32 v17, vcc, s4, v17
	v_addc_co_u32_e32 v18, vcc, v23, v18, vcc
	v_ashrrev_i32_e32 v25, 31, v24
	s_waitcnt vmcnt(0) lgkmcnt(0)
	buffer_store_dword v20, off, s[0:3], 0 offset:60
	buffer_store_dword v19, off, s[0:3], 0 offset:56
	flat_load_dwordx2 v[22:23], v[17:18]
	v_lshlrev_b64 v[19:20], 3, v[24:25]
	s_waitcnt vmcnt(0) lgkmcnt(0)
	buffer_store_dword v23, off, s[0:3], 0 offset:68
	buffer_store_dword v22, off, s[0:3], 0 offset:64
	v_add_co_u32_e32 v19, vcc, s4, v19
	v_addc_co_u32_e32 v20, vcc, v26, v20, vcc
	flat_load_dwordx2 v[25:26], v[19:20]
	v_add_u32_e32 v23, s9, v24
	v_ashrrev_i32_e32 v24, 31, v23
	v_lshlrev_b64 v[21:22], 3, v[23:24]
	s_waitcnt vmcnt(0) lgkmcnt(0)
	buffer_store_dword v26, off, s[0:3], 0 offset:76
	buffer_store_dword v25, off, s[0:3], 0 offset:72
	v_add_co_u32_e32 v21, vcc, s4, v21
	v_addc_co_u32_e32 v22, vcc, v27, v22, vcc
	flat_load_dwordx2 v[25:26], v[21:22]
	v_add_u32_e32 v27, s9, v23
	v_ashrrev_i32_e32 v28, 31, v27
	v_lshlrev_b64 v[23:24], 3, v[27:28]
	v_add_u32_e32 v30, s9, v27
	v_add_co_u32_e32 v23, vcc, s4, v23
	v_addc_co_u32_e32 v24, vcc, v29, v24, vcc
	v_ashrrev_i32_e32 v31, 31, v30
	s_waitcnt vmcnt(0) lgkmcnt(0)
	buffer_store_dword v26, off, s[0:3], 0 offset:84
	buffer_store_dword v25, off, s[0:3], 0 offset:80
	flat_load_dwordx2 v[28:29], v[23:24]
	v_lshlrev_b64 v[25:26], 3, v[30:31]
	s_waitcnt vmcnt(0) lgkmcnt(0)
	buffer_store_dword v29, off, s[0:3], 0 offset:92
	buffer_store_dword v28, off, s[0:3], 0 offset:88
	v_add_co_u32_e32 v25, vcc, s4, v25
	v_addc_co_u32_e32 v26, vcc, v32, v26, vcc
	flat_load_dwordx2 v[31:32], v[25:26]
	v_add_u32_e32 v29, s9, v30
	v_ashrrev_i32_e32 v30, 31, v29
	v_lshlrev_b64 v[27:28], 3, v[29:30]
	s_waitcnt vmcnt(0) lgkmcnt(0)
	buffer_store_dword v32, off, s[0:3], 0 offset:100
	buffer_store_dword v31, off, s[0:3], 0 offset:96
	v_add_co_u32_e32 v27, vcc, s4, v27
	v_addc_co_u32_e32 v28, vcc, v33, v28, vcc
	flat_load_dwordx2 v[31:32], v[27:28]
	v_add_u32_e32 v33, s9, v29
	v_ashrrev_i32_e32 v34, 31, v33
	v_lshlrev_b64 v[29:30], 3, v[33:34]
	v_add_u32_e32 v36, s9, v33
	v_add_co_u32_e32 v29, vcc, s4, v29
	v_addc_co_u32_e32 v30, vcc, v35, v30, vcc
	v_ashrrev_i32_e32 v37, 31, v36
	s_waitcnt vmcnt(0) lgkmcnt(0)
	buffer_store_dword v32, off, s[0:3], 0 offset:108
	buffer_store_dword v31, off, s[0:3], 0 offset:104
	flat_load_dwordx2 v[34:35], v[29:30]
	v_lshlrev_b64 v[31:32], 3, v[36:37]
	s_waitcnt vmcnt(0) lgkmcnt(0)
	buffer_store_dword v35, off, s[0:3], 0 offset:116
	buffer_store_dword v34, off, s[0:3], 0 offset:112
	v_add_co_u32_e32 v31, vcc, s4, v31
	v_addc_co_u32_e32 v32, vcc, v38, v32, vcc
	flat_load_dwordx2 v[37:38], v[31:32]
	v_add_u32_e32 v35, s9, v36
	v_ashrrev_i32_e32 v36, 31, v35
	v_lshlrev_b64 v[33:34], 3, v[35:36]
	s_waitcnt vmcnt(0) lgkmcnt(0)
	buffer_store_dword v38, off, s[0:3], 0 offset:124
	buffer_store_dword v37, off, s[0:3], 0 offset:120
	v_add_co_u32_e32 v33, vcc, s4, v33
	v_addc_co_u32_e32 v34, vcc, v39, v34, vcc
	flat_load_dwordx2 v[37:38], v[33:34]
	v_add_u32_e32 v39, s9, v35
	v_ashrrev_i32_e32 v40, 31, v39
	v_lshlrev_b64 v[35:36], 3, v[39:40]
	v_add_u32_e32 v42, s9, v39
	v_add_co_u32_e32 v35, vcc, s4, v35
	v_addc_co_u32_e32 v36, vcc, v41, v36, vcc
	v_ashrrev_i32_e32 v43, 31, v42
	s_waitcnt vmcnt(0) lgkmcnt(0)
	buffer_store_dword v38, off, s[0:3], 0 offset:132
	buffer_store_dword v37, off, s[0:3], 0 offset:128
	flat_load_dwordx2 v[40:41], v[35:36]
	v_lshlrev_b64 v[37:38], 3, v[42:43]
	s_waitcnt vmcnt(0) lgkmcnt(0)
	buffer_store_dword v41, off, s[0:3], 0 offset:140
	buffer_store_dword v40, off, s[0:3], 0 offset:136
	v_add_co_u32_e32 v37, vcc, s4, v37
	v_addc_co_u32_e32 v38, vcc, v44, v38, vcc
	flat_load_dwordx2 v[43:44], v[37:38]
	v_add_u32_e32 v41, s9, v42
	v_ashrrev_i32_e32 v42, 31, v41
	v_lshlrev_b64 v[39:40], 3, v[41:42]
	s_waitcnt vmcnt(0) lgkmcnt(0)
	buffer_store_dword v44, off, s[0:3], 0 offset:148
	buffer_store_dword v43, off, s[0:3], 0 offset:144
	v_add_co_u32_e32 v39, vcc, s4, v39
	v_addc_co_u32_e32 v40, vcc, v45, v40, vcc
	flat_load_dwordx2 v[43:44], v[39:40]
	v_add_u32_e32 v45, s9, v41
	v_ashrrev_i32_e32 v46, 31, v45
	v_lshlrev_b64 v[41:42], 3, v[45:46]
	v_add_u32_e32 v50, s9, v45
	v_add_co_u32_e32 v41, vcc, s4, v41
	v_addc_co_u32_e32 v42, vcc, v47, v42, vcc
	v_ashrrev_i32_e32 v51, 31, v50
	v_add_u32_e32 v45, s9, v50
	s_mov_b64 s[8:9], -1
	s_waitcnt vmcnt(0) lgkmcnt(0)
	buffer_store_dword v44, off, s[0:3], 0 offset:156
	buffer_store_dword v43, off, s[0:3], 0 offset:152
	flat_load_dwordx2 v[46:47], v[41:42]
	v_lshlrev_b64 v[43:44], 3, v[50:51]
	v_mov_b32_e32 v51, s5
	v_add_co_u32_e32 v43, vcc, s4, v43
	v_addc_co_u32_e32 v44, vcc, v48, v44, vcc
	s_waitcnt vmcnt(0) lgkmcnt(0)
	buffer_store_dword v47, off, s[0:3], 0 offset:164
	buffer_store_dword v46, off, s[0:3], 0 offset:160
	flat_load_dwordx2 v[47:48], v[43:44]
	v_ashrrev_i32_e32 v46, 31, v45
	v_lshlrev_b64 v[45:46], 3, v[45:46]
	s_waitcnt vmcnt(0) lgkmcnt(0)
	buffer_store_dword v48, off, s[0:3], 0 offset:172
	buffer_store_dword v47, off, s[0:3], 0 offset:168
	v_add_co_u32_e32 v45, vcc, s4, v45
	v_addc_co_u32_e32 v46, vcc, v51, v46, vcc
	flat_load_dwordx2 v[47:48], v[45:46]
	s_waitcnt vmcnt(0) lgkmcnt(0)
	buffer_store_dword v48, off, s[0:3], 0 offset:180
	buffer_store_dword v47, off, s[0:3], 0 offset:176
	s_cbranch_scc1 .LBB86_98
; %bb.4:
	v_cmp_eq_u32_e64 s[4:5], 0, v0
	s_and_saveexec_b64 s[8:9], s[4:5]
; %bb.5:
	v_mov_b32_e32 v47, 0
	ds_write_b32 v47, v47 offset:184
; %bb.6:
	s_or_b64 exec, exec, s[8:9]
	v_mov_b32_e32 v47, 0
	v_lshl_add_u32 v47, v0, 3, v47
	s_waitcnt lgkmcnt(0)
	; wave barrier
	buffer_load_dword v50, v47, s[0:3], 0 offen
	buffer_load_dword v51, v47, s[0:3], 0 offen offset:4
	s_waitcnt vmcnt(0)
	v_cmp_eq_f64_e32 vcc, 0, v[50:51]
	s_and_saveexec_b64 s[16:17], vcc
	s_cbranch_execz .LBB86_10
; %bb.7:
	v_mov_b32_e32 v48, 0
	ds_read_b32 v51, v48 offset:184
	v_add_u32_e32 v50, 1, v0
	s_waitcnt lgkmcnt(0)
	v_readfirstlane_b32 s8, v51
	s_cmp_eq_u32 s8, 0
	s_cselect_b64 s[18:19], -1, 0
	v_cmp_gt_i32_e32 vcc, s8, v50
	s_or_b64 s[18:19], s[18:19], vcc
	s_and_b64 exec, exec, s[18:19]
	s_cbranch_execz .LBB86_10
; %bb.8:
	s_mov_b64 s[18:19], 0
	v_mov_b32_e32 v51, s8
.LBB86_9:                               ; =>This Inner Loop Header: Depth=1
	ds_cmpst_rtn_b32 v51, v48, v51, v50 offset:184
	s_waitcnt lgkmcnt(0)
	v_cmp_ne_u32_e32 vcc, 0, v51
	v_cmp_le_i32_e64 s[8:9], v51, v50
	s_and_b64 s[8:9], vcc, s[8:9]
	s_and_b64 s[8:9], exec, s[8:9]
	s_or_b64 s[18:19], s[8:9], s[18:19]
	s_andn2_b64 exec, exec, s[18:19]
	s_cbranch_execnz .LBB86_9
.LBB86_10:
	s_or_b64 exec, exec, s[16:17]
	v_mov_b32_e32 v50, 0
	; wave barrier
	ds_read_b32 v48, v50 offset:184
	s_and_saveexec_b64 s[8:9], s[4:5]
	s_cbranch_execz .LBB86_12
; %bb.11:
	s_lshl_b64 s[16:17], s[6:7], 2
	s_add_u32 s16, s10, s16
	s_addc_u32 s17, s11, s17
	s_waitcnt lgkmcnt(0)
	global_store_dword v50, v48, s[16:17]
.LBB86_12:
	s_or_b64 exec, exec, s[8:9]
	s_waitcnt lgkmcnt(0)
	v_cmp_ne_u32_e32 vcc, 0, v48
	s_mov_b64 s[8:9], 0
	s_cbranch_vccnz .LBB86_98
; %bb.13:
	buffer_load_dword v50, v47, s[0:3], 0 offen
	buffer_load_dword v51, v47, s[0:3], 0 offen offset:4
	s_waitcnt vmcnt(0)
	v_div_scale_f64 v[52:53], s[8:9], v[50:51], v[50:51], 1.0
	v_rcp_f64_e32 v[54:55], v[52:53]
	v_fma_f64 v[56:57], -v[52:53], v[54:55], 1.0
	v_fma_f64 v[54:55], v[54:55], v[56:57], v[54:55]
	v_div_scale_f64 v[56:57], vcc, 1.0, v[50:51], 1.0
	v_fma_f64 v[58:59], -v[52:53], v[54:55], 1.0
	v_fma_f64 v[54:55], v[54:55], v[58:59], v[54:55]
	v_mul_f64 v[58:59], v[56:57], v[54:55]
	v_fma_f64 v[52:53], -v[52:53], v[58:59], v[56:57]
	v_div_fmas_f64 v[52:53], v[52:53], v[54:55], v[58:59]
	v_div_fixup_f64 v[51:52], v[52:53], v[50:51], 1.0
	v_add_u32_e32 v50, 0xc0, v49
	buffer_store_dword v52, v47, s[0:3], 0 offen offset:4
	buffer_store_dword v51, v47, s[0:3], 0 offen
	buffer_load_dword v54, off, s[0:3], 0 offset:12
	buffer_load_dword v53, off, s[0:3], 0 offset:8
	v_xor_b32_e32 v52, 0x80000000, v52
	s_waitcnt vmcnt(0)
	ds_write2_b64 v49, v[51:52], v[53:54] offset1:24
	s_waitcnt lgkmcnt(0)
	; wave barrier
	s_and_saveexec_b64 s[8:9], s[4:5]
	s_cbranch_execz .LBB86_15
; %bb.14:
	buffer_load_dword v51, v47, s[0:3], 0 offen
	buffer_load_dword v52, v47, s[0:3], 0 offen offset:4
	ds_read_b64 v[53:54], v50
	v_mov_b32_e32 v48, 0
	ds_read_b64 v[55:56], v48 offset:8
	s_waitcnt vmcnt(0) lgkmcnt(1)
	v_fma_f64 v[51:52], v[51:52], v[53:54], 0
	s_waitcnt lgkmcnt(0)
	v_mul_f64 v[51:52], v[51:52], v[55:56]
	buffer_store_dword v51, off, s[0:3], 0 offset:8
	buffer_store_dword v52, off, s[0:3], 0 offset:12
.LBB86_15:
	s_or_b64 exec, exec, s[8:9]
	; wave barrier
	buffer_load_dword v51, off, s[0:3], 0 offset:16
	buffer_load_dword v52, off, s[0:3], 0 offset:20
	v_cmp_gt_u32_e32 vcc, 2, v0
	s_waitcnt vmcnt(0)
	ds_write_b64 v50, v[51:52]
	s_waitcnt lgkmcnt(0)
	; wave barrier
	s_and_saveexec_b64 s[8:9], vcc
	s_cbranch_execz .LBB86_17
; %bb.16:
	buffer_load_dword v51, v47, s[0:3], 0 offen
	buffer_load_dword v52, v47, s[0:3], 0 offen offset:4
                                        ; kill: killed $vgpr47
	s_nop 0
	buffer_load_dword v47, off, s[0:3], 0 offset:8
	buffer_load_dword v48, off, s[0:3], 0 offset:12
	ds_read_b64 v[53:54], v50
	s_waitcnt vmcnt(2) lgkmcnt(0)
	v_fma_f64 v[55:56], v[51:52], v[53:54], 0
	v_mov_b32_e32 v51, 0
	ds_read2_b64 v[51:54], v51 offset0:2 offset1:25
	s_waitcnt vmcnt(0) lgkmcnt(0)
	v_fma_f64 v[47:48], v[47:48], v[53:54], v[55:56]
	v_cndmask_b32_e64 v48, v56, v48, s[4:5]
	v_cndmask_b32_e64 v47, v55, v47, s[4:5]
	v_mul_f64 v[47:48], v[47:48], v[51:52]
	buffer_store_dword v48, off, s[0:3], 0 offset:20
	buffer_store_dword v47, off, s[0:3], 0 offset:16
.LBB86_17:
	s_or_b64 exec, exec, s[8:9]
	; wave barrier
	buffer_load_dword v47, off, s[0:3], 0 offset:24
	buffer_load_dword v48, off, s[0:3], 0 offset:28
	v_cmp_gt_u32_e32 vcc, 3, v0
	v_add_u32_e32 v51, -1, v0
	s_waitcnt vmcnt(0)
	ds_write_b64 v50, v[47:48]
	s_waitcnt lgkmcnt(0)
	; wave barrier
	s_and_saveexec_b64 s[4:5], vcc
	s_cbranch_execz .LBB86_21
; %bb.18:
	v_mov_b32_e32 v47, 0
	v_add_u32_e32 v52, -1, v0
	v_add_u32_e32 v53, 0xc0, v49
	v_mov_b32_e32 v54, v49
	v_mov_b32_e32 v48, 0
	s_mov_b64 s[8:9], 0
.LBB86_19:                              ; =>This Inner Loop Header: Depth=1
	buffer_load_dword v55, v54, s[0:3], 0 offen
	buffer_load_dword v56, v54, s[0:3], 0 offen offset:4
	ds_read_b64 v[57:58], v53
	v_add_u32_e32 v52, 1, v52
	v_cmp_lt_u32_e32 vcc, 1, v52
	v_add_u32_e32 v53, 8, v53
	s_or_b64 s[8:9], vcc, s[8:9]
	v_add_u32_e32 v54, 8, v54
	s_waitcnt vmcnt(0) lgkmcnt(0)
	v_fma_f64 v[47:48], v[55:56], v[57:58], v[47:48]
	s_andn2_b64 exec, exec, s[8:9]
	s_cbranch_execnz .LBB86_19
; %bb.20:
	s_or_b64 exec, exec, s[8:9]
	v_mov_b32_e32 v52, 0
	ds_read_b64 v[52:53], v52 offset:24
	s_waitcnt lgkmcnt(0)
	v_mul_f64 v[47:48], v[47:48], v[52:53]
	buffer_store_dword v48, off, s[0:3], 0 offset:28
	buffer_store_dword v47, off, s[0:3], 0 offset:24
.LBB86_21:
	s_or_b64 exec, exec, s[4:5]
	; wave barrier
	buffer_load_dword v47, off, s[0:3], 0 offset:32
	buffer_load_dword v48, off, s[0:3], 0 offset:36
	v_cmp_gt_u32_e32 vcc, 4, v0
	s_waitcnt vmcnt(0)
	ds_write_b64 v50, v[47:48]
	s_waitcnt lgkmcnt(0)
	; wave barrier
	s_and_saveexec_b64 s[4:5], vcc
	s_cbranch_execz .LBB86_25
; %bb.22:
	v_mov_b32_e32 v47, 0
	v_add_u32_e32 v52, -1, v0
	v_add_u32_e32 v53, 0xc0, v49
	v_mov_b32_e32 v54, v49
	v_mov_b32_e32 v48, 0
	s_mov_b64 s[8:9], 0
.LBB86_23:                              ; =>This Inner Loop Header: Depth=1
	buffer_load_dword v55, v54, s[0:3], 0 offen
	buffer_load_dword v56, v54, s[0:3], 0 offen offset:4
	ds_read_b64 v[57:58], v53
	v_add_u32_e32 v52, 1, v52
	v_cmp_lt_u32_e32 vcc, 2, v52
	v_add_u32_e32 v53, 8, v53
	s_or_b64 s[8:9], vcc, s[8:9]
	v_add_u32_e32 v54, 8, v54
	s_waitcnt vmcnt(0) lgkmcnt(0)
	v_fma_f64 v[47:48], v[55:56], v[57:58], v[47:48]
	s_andn2_b64 exec, exec, s[8:9]
	s_cbranch_execnz .LBB86_23
; %bb.24:
	s_or_b64 exec, exec, s[8:9]
	v_mov_b32_e32 v52, 0
	ds_read_b64 v[52:53], v52 offset:32
	s_waitcnt lgkmcnt(0)
	v_mul_f64 v[47:48], v[47:48], v[52:53]
	buffer_store_dword v48, off, s[0:3], 0 offset:36
	buffer_store_dword v47, off, s[0:3], 0 offset:32
.LBB86_25:
	s_or_b64 exec, exec, s[4:5]
	; wave barrier
	buffer_load_dword v47, off, s[0:3], 0 offset:40
	buffer_load_dword v48, off, s[0:3], 0 offset:44
	v_cmp_gt_u32_e32 vcc, 5, v0
	;; [unrolled: 40-line block ×18, first 2 shown]
	s_waitcnt vmcnt(0)
	ds_write_b64 v50, v[47:48]
	s_waitcnt lgkmcnt(0)
	; wave barrier
	s_and_saveexec_b64 s[4:5], vcc
	s_cbranch_execz .LBB86_93
; %bb.90:
	v_mov_b32_e32 v47, 0
	v_add_u32_e32 v52, -1, v0
	v_add_u32_e32 v53, 0xc0, v49
	v_mov_b32_e32 v54, v49
	v_mov_b32_e32 v48, 0
	s_mov_b64 s[8:9], 0
.LBB86_91:                              ; =>This Inner Loop Header: Depth=1
	buffer_load_dword v55, v54, s[0:3], 0 offen
	buffer_load_dword v56, v54, s[0:3], 0 offen offset:4
	ds_read_b64 v[57:58], v53
	v_add_u32_e32 v52, 1, v52
	v_cmp_lt_u32_e32 vcc, 19, v52
	v_add_u32_e32 v53, 8, v53
	s_or_b64 s[8:9], vcc, s[8:9]
	v_add_u32_e32 v54, 8, v54
	s_waitcnt vmcnt(0) lgkmcnt(0)
	v_fma_f64 v[47:48], v[55:56], v[57:58], v[47:48]
	s_andn2_b64 exec, exec, s[8:9]
	s_cbranch_execnz .LBB86_91
; %bb.92:
	s_or_b64 exec, exec, s[8:9]
	v_mov_b32_e32 v52, 0
	ds_read_b64 v[52:53], v52 offset:168
	s_waitcnt lgkmcnt(0)
	v_mul_f64 v[47:48], v[47:48], v[52:53]
	buffer_store_dword v48, off, s[0:3], 0 offset:172
	buffer_store_dword v47, off, s[0:3], 0 offset:168
.LBB86_93:
	s_or_b64 exec, exec, s[4:5]
	; wave barrier
	buffer_load_dword v47, off, s[0:3], 0 offset:176
	buffer_load_dword v48, off, s[0:3], 0 offset:180
	v_cmp_ne_u32_e32 vcc, 22, v0
	s_waitcnt vmcnt(0)
	ds_write_b64 v50, v[47:48]
	s_waitcnt lgkmcnt(0)
	; wave barrier
	s_and_saveexec_b64 s[4:5], vcc
	s_cbranch_execz .LBB86_97
; %bb.94:
	v_mov_b32_e32 v47, 0
	v_add_u32_e32 v50, 0xc0, v49
	v_mov_b32_e32 v48, 0
	s_mov_b64 s[8:9], 0
.LBB86_95:                              ; =>This Inner Loop Header: Depth=1
	buffer_load_dword v52, v49, s[0:3], 0 offen
	buffer_load_dword v53, v49, s[0:3], 0 offen offset:4
	ds_read_b64 v[54:55], v50
	v_add_u32_e32 v51, 1, v51
	v_cmp_lt_u32_e32 vcc, 20, v51
	v_add_u32_e32 v50, 8, v50
	s_or_b64 s[8:9], vcc, s[8:9]
	v_add_u32_e32 v49, 8, v49
	s_waitcnt vmcnt(0) lgkmcnt(0)
	v_fma_f64 v[47:48], v[52:53], v[54:55], v[47:48]
	s_andn2_b64 exec, exec, s[8:9]
	s_cbranch_execnz .LBB86_95
; %bb.96:
	s_or_b64 exec, exec, s[8:9]
	v_mov_b32_e32 v49, 0
	ds_read_b64 v[49:50], v49 offset:176
	s_waitcnt lgkmcnt(0)
	v_mul_f64 v[47:48], v[47:48], v[49:50]
	buffer_store_dword v48, off, s[0:3], 0 offset:180
	buffer_store_dword v47, off, s[0:3], 0 offset:176
.LBB86_97:
	s_or_b64 exec, exec, s[4:5]
	s_mov_b64 s[8:9], -1
	; wave barrier
.LBB86_98:
	s_and_b64 vcc, exec, s[8:9]
	s_cbranch_vccz .LBB86_100
; %bb.99:
	s_lshl_b64 s[4:5], s[6:7], 2
	s_add_u32 s4, s10, s4
	s_addc_u32 s5, s11, s5
	v_mov_b32_e32 v47, 0
	global_load_dword v47, v47, s[4:5]
	s_waitcnt vmcnt(0)
	v_cmp_ne_u32_e32 vcc, 0, v47
	s_cbranch_vccz .LBB86_101
.LBB86_100:
	s_endpgm
.LBB86_101:
	v_mov_b32_e32 v47, 0xc0
	v_lshl_add_u32 v47, v0, 3, v47
	v_cmp_eq_u32_e32 vcc, 22, v0
	s_and_saveexec_b64 s[4:5], vcc
	s_cbranch_execz .LBB86_103
; %bb.102:
	buffer_load_dword v48, off, s[0:3], 0 offset:168
	buffer_load_dword v49, off, s[0:3], 0 offset:172
	v_mov_b32_e32 v50, 0
	buffer_store_dword v50, off, s[0:3], 0 offset:168
	buffer_store_dword v50, off, s[0:3], 0 offset:172
	s_waitcnt vmcnt(2)
	ds_write_b64 v47, v[48:49]
.LBB86_103:
	s_or_b64 exec, exec, s[4:5]
	s_waitcnt lgkmcnt(0)
	; wave barrier
	buffer_load_dword v49, off, s[0:3], 0 offset:176
	buffer_load_dword v50, off, s[0:3], 0 offset:180
	buffer_load_dword v51, off, s[0:3], 0 offset:168
	buffer_load_dword v52, off, s[0:3], 0 offset:172
	v_mov_b32_e32 v48, 0
	ds_read_b64 v[53:54], v48 offset:368
	v_cmp_lt_u32_e32 vcc, 20, v0
	s_waitcnt vmcnt(2) lgkmcnt(0)
	v_fma_f64 v[49:50], v[49:50], v[53:54], 0
	s_waitcnt vmcnt(0)
	v_add_f64 v[49:50], v[51:52], -v[49:50]
	buffer_store_dword v49, off, s[0:3], 0 offset:168
	buffer_store_dword v50, off, s[0:3], 0 offset:172
	s_and_saveexec_b64 s[4:5], vcc
	s_cbranch_execz .LBB86_105
; %bb.104:
	buffer_load_dword v49, off, s[0:3], 0 offset:160
	buffer_load_dword v50, off, s[0:3], 0 offset:164
	s_waitcnt vmcnt(0)
	ds_write_b64 v47, v[49:50]
	buffer_store_dword v48, off, s[0:3], 0 offset:160
	buffer_store_dword v48, off, s[0:3], 0 offset:164
.LBB86_105:
	s_or_b64 exec, exec, s[4:5]
	s_waitcnt lgkmcnt(0)
	; wave barrier
	buffer_load_dword v52, off, s[0:3], 0 offset:168
	buffer_load_dword v53, off, s[0:3], 0 offset:172
	;; [unrolled: 1-line block ×6, first 2 shown]
	ds_read2_b64 v[48:51], v48 offset0:45 offset1:46
	v_cmp_lt_u32_e32 vcc, 19, v0
	s_waitcnt vmcnt(4) lgkmcnt(0)
	v_fma_f64 v[48:49], v[52:53], v[48:49], 0
	s_waitcnt vmcnt(2)
	v_fma_f64 v[48:49], v[54:55], v[50:51], v[48:49]
	s_waitcnt vmcnt(0)
	v_add_f64 v[48:49], v[56:57], -v[48:49]
	buffer_store_dword v48, off, s[0:3], 0 offset:160
	buffer_store_dword v49, off, s[0:3], 0 offset:164
	s_and_saveexec_b64 s[4:5], vcc
	s_cbranch_execz .LBB86_107
; %bb.106:
	buffer_load_dword v48, off, s[0:3], 0 offset:152
	buffer_load_dword v49, off, s[0:3], 0 offset:156
	v_mov_b32_e32 v50, 0
	buffer_store_dword v50, off, s[0:3], 0 offset:152
	buffer_store_dword v50, off, s[0:3], 0 offset:156
	s_waitcnt vmcnt(2)
	ds_write_b64 v47, v[48:49]
.LBB86_107:
	s_or_b64 exec, exec, s[4:5]
	s_waitcnt lgkmcnt(0)
	; wave barrier
	buffer_load_dword v53, off, s[0:3], 0 offset:160
	buffer_load_dword v54, off, s[0:3], 0 offset:164
	;; [unrolled: 1-line block ×8, first 2 shown]
	v_mov_b32_e32 v48, 0
	ds_read_b128 v[49:52], v48 offset:352
	v_cmp_lt_u32_e32 vcc, 18, v0
	s_waitcnt vmcnt(6) lgkmcnt(0)
	v_fma_f64 v[49:50], v[53:54], v[49:50], 0
	s_waitcnt vmcnt(4)
	v_fma_f64 v[49:50], v[55:56], v[51:52], v[49:50]
	ds_read_b64 v[51:52], v48 offset:368
	s_waitcnt vmcnt(2) lgkmcnt(0)
	v_fma_f64 v[49:50], v[57:58], v[51:52], v[49:50]
	s_waitcnt vmcnt(0)
	v_add_f64 v[49:50], v[59:60], -v[49:50]
	buffer_store_dword v49, off, s[0:3], 0 offset:152
	buffer_store_dword v50, off, s[0:3], 0 offset:156
	s_and_saveexec_b64 s[4:5], vcc
	s_cbranch_execz .LBB86_109
; %bb.108:
	buffer_load_dword v49, off, s[0:3], 0 offset:144
	buffer_load_dword v50, off, s[0:3], 0 offset:148
	s_waitcnt vmcnt(0)
	ds_write_b64 v47, v[49:50]
	buffer_store_dword v48, off, s[0:3], 0 offset:144
	buffer_store_dword v48, off, s[0:3], 0 offset:148
.LBB86_109:
	s_or_b64 exec, exec, s[4:5]
	s_waitcnt lgkmcnt(0)
	; wave barrier
	buffer_load_dword v53, off, s[0:3], 0 offset:152
	buffer_load_dword v54, off, s[0:3], 0 offset:156
	;; [unrolled: 1-line block ×10, first 2 shown]
	ds_read2_b64 v[49:52], v48 offset0:43 offset1:44
	v_cmp_lt_u32_e32 vcc, 17, v0
	s_waitcnt vmcnt(8) lgkmcnt(0)
	v_fma_f64 v[49:50], v[53:54], v[49:50], 0
	s_waitcnt vmcnt(6)
	v_fma_f64 v[52:53], v[55:56], v[51:52], v[49:50]
	ds_read2_b64 v[48:51], v48 offset0:45 offset1:46
	s_waitcnt vmcnt(4) lgkmcnt(0)
	v_fma_f64 v[48:49], v[57:58], v[48:49], v[52:53]
	s_waitcnt vmcnt(2)
	v_fma_f64 v[48:49], v[59:60], v[50:51], v[48:49]
	s_waitcnt vmcnt(0)
	v_add_f64 v[48:49], v[61:62], -v[48:49]
	buffer_store_dword v48, off, s[0:3], 0 offset:144
	buffer_store_dword v49, off, s[0:3], 0 offset:148
	s_and_saveexec_b64 s[4:5], vcc
	s_cbranch_execz .LBB86_111
; %bb.110:
	buffer_load_dword v48, off, s[0:3], 0 offset:136
	buffer_load_dword v49, off, s[0:3], 0 offset:140
	v_mov_b32_e32 v50, 0
	buffer_store_dword v50, off, s[0:3], 0 offset:136
	buffer_store_dword v50, off, s[0:3], 0 offset:140
	s_waitcnt vmcnt(2)
	ds_write_b64 v47, v[48:49]
.LBB86_111:
	s_or_b64 exec, exec, s[4:5]
	s_waitcnt lgkmcnt(0)
	; wave barrier
	buffer_load_dword v57, off, s[0:3], 0 offset:144
	buffer_load_dword v58, off, s[0:3], 0 offset:148
	;; [unrolled: 1-line block ×12, first 2 shown]
	v_mov_b32_e32 v48, 0
	ds_read_b128 v[49:52], v48 offset:336
	ds_read_b128 v[53:56], v48 offset:352
	v_cmp_lt_u32_e32 vcc, 16, v0
	s_waitcnt vmcnt(10) lgkmcnt(1)
	v_fma_f64 v[49:50], v[57:58], v[49:50], 0
	s_waitcnt vmcnt(8)
	v_fma_f64 v[49:50], v[59:60], v[51:52], v[49:50]
	ds_read_b64 v[51:52], v48 offset:368
	s_waitcnt vmcnt(6) lgkmcnt(1)
	v_fma_f64 v[49:50], v[61:62], v[53:54], v[49:50]
	s_waitcnt vmcnt(4)
	v_fma_f64 v[49:50], v[63:64], v[55:56], v[49:50]
	s_waitcnt vmcnt(2) lgkmcnt(0)
	v_fma_f64 v[49:50], v[65:66], v[51:52], v[49:50]
	s_waitcnt vmcnt(0)
	v_add_f64 v[49:50], v[67:68], -v[49:50]
	buffer_store_dword v49, off, s[0:3], 0 offset:136
	buffer_store_dword v50, off, s[0:3], 0 offset:140
	s_and_saveexec_b64 s[4:5], vcc
	s_cbranch_execz .LBB86_113
; %bb.112:
	buffer_load_dword v49, off, s[0:3], 0 offset:128
	buffer_load_dword v50, off, s[0:3], 0 offset:132
	s_waitcnt vmcnt(0)
	ds_write_b64 v47, v[49:50]
	buffer_store_dword v48, off, s[0:3], 0 offset:128
	buffer_store_dword v48, off, s[0:3], 0 offset:132
.LBB86_113:
	s_or_b64 exec, exec, s[4:5]
	s_waitcnt lgkmcnt(0)
	; wave barrier
	buffer_load_dword v57, off, s[0:3], 0 offset:136
	buffer_load_dword v58, off, s[0:3], 0 offset:140
	;; [unrolled: 1-line block ×14, first 2 shown]
	ds_read2_b64 v[49:52], v48 offset0:41 offset1:42
	ds_read2_b64 v[53:56], v48 offset0:43 offset1:44
	v_cmp_lt_u32_e32 vcc, 15, v0
	s_waitcnt vmcnt(12) lgkmcnt(1)
	v_fma_f64 v[49:50], v[57:58], v[49:50], 0
	s_waitcnt vmcnt(10)
	v_fma_f64 v[49:50], v[59:60], v[51:52], v[49:50]
	s_waitcnt vmcnt(8) lgkmcnt(0)
	v_fma_f64 v[49:50], v[61:62], v[53:54], v[49:50]
	s_waitcnt vmcnt(6)
	v_fma_f64 v[52:53], v[63:64], v[55:56], v[49:50]
	ds_read2_b64 v[48:51], v48 offset0:45 offset1:46
	s_waitcnt vmcnt(4) lgkmcnt(0)
	v_fma_f64 v[48:49], v[65:66], v[48:49], v[52:53]
	s_waitcnt vmcnt(2)
	v_fma_f64 v[48:49], v[67:68], v[50:51], v[48:49]
	s_waitcnt vmcnt(0)
	v_add_f64 v[48:49], v[69:70], -v[48:49]
	buffer_store_dword v48, off, s[0:3], 0 offset:128
	buffer_store_dword v49, off, s[0:3], 0 offset:132
	s_and_saveexec_b64 s[4:5], vcc
	s_cbranch_execz .LBB86_115
; %bb.114:
	buffer_load_dword v48, off, s[0:3], 0 offset:120
	buffer_load_dword v49, off, s[0:3], 0 offset:124
	v_mov_b32_e32 v50, 0
	buffer_store_dword v50, off, s[0:3], 0 offset:120
	buffer_store_dword v50, off, s[0:3], 0 offset:124
	s_waitcnt vmcnt(2)
	ds_write_b64 v47, v[48:49]
.LBB86_115:
	s_or_b64 exec, exec, s[4:5]
	s_waitcnt lgkmcnt(0)
	; wave barrier
	buffer_load_dword v57, off, s[0:3], 0 offset:128
	buffer_load_dword v58, off, s[0:3], 0 offset:132
	;; [unrolled: 1-line block ×16, first 2 shown]
	v_mov_b32_e32 v48, 0
	ds_read_b128 v[49:52], v48 offset:320
	ds_read_b128 v[53:56], v48 offset:336
	v_cmp_lt_u32_e32 vcc, 14, v0
	s_waitcnt vmcnt(14) lgkmcnt(1)
	v_fma_f64 v[49:50], v[57:58], v[49:50], 0
	s_waitcnt vmcnt(12)
	v_fma_f64 v[49:50], v[59:60], v[51:52], v[49:50]
	s_waitcnt vmcnt(10) lgkmcnt(0)
	v_fma_f64 v[49:50], v[61:62], v[53:54], v[49:50]
	s_waitcnt vmcnt(8)
	v_fma_f64 v[53:54], v[63:64], v[55:56], v[49:50]
	ds_read_b128 v[49:52], v48 offset:352
	ds_read_b64 v[55:56], v48 offset:368
	s_waitcnt vmcnt(6) lgkmcnt(1)
	v_fma_f64 v[49:50], v[65:66], v[49:50], v[53:54]
	s_waitcnt vmcnt(4)
	v_fma_f64 v[49:50], v[67:68], v[51:52], v[49:50]
	s_waitcnt vmcnt(2) lgkmcnt(0)
	v_fma_f64 v[49:50], v[69:70], v[55:56], v[49:50]
	s_waitcnt vmcnt(0)
	v_add_f64 v[49:50], v[71:72], -v[49:50]
	buffer_store_dword v49, off, s[0:3], 0 offset:120
	buffer_store_dword v50, off, s[0:3], 0 offset:124
	s_and_saveexec_b64 s[4:5], vcc
	s_cbranch_execz .LBB86_117
; %bb.116:
	buffer_load_dword v49, off, s[0:3], 0 offset:112
	buffer_load_dword v50, off, s[0:3], 0 offset:116
	s_waitcnt vmcnt(0)
	ds_write_b64 v47, v[49:50]
	buffer_store_dword v48, off, s[0:3], 0 offset:112
	buffer_store_dword v48, off, s[0:3], 0 offset:116
.LBB86_117:
	s_or_b64 exec, exec, s[4:5]
	s_waitcnt lgkmcnt(0)
	; wave barrier
	buffer_load_dword v57, off, s[0:3], 0 offset:120
	buffer_load_dword v58, off, s[0:3], 0 offset:124
	;; [unrolled: 1-line block ×18, first 2 shown]
	ds_read2_b64 v[49:52], v48 offset0:39 offset1:40
	ds_read2_b64 v[53:56], v48 offset0:41 offset1:42
	v_cmp_lt_u32_e32 vcc, 13, v0
	s_waitcnt vmcnt(16) lgkmcnt(1)
	v_fma_f64 v[49:50], v[57:58], v[49:50], 0
	s_waitcnt vmcnt(14)
	v_fma_f64 v[49:50], v[59:60], v[51:52], v[49:50]
	s_waitcnt vmcnt(12) lgkmcnt(0)
	v_fma_f64 v[49:50], v[61:62], v[53:54], v[49:50]
	s_waitcnt vmcnt(10)
	v_fma_f64 v[57:58], v[63:64], v[55:56], v[49:50]
	ds_read2_b64 v[49:52], v48 offset0:43 offset1:44
	ds_read2_b64 v[53:56], v48 offset0:45 offset1:46
	s_waitcnt vmcnt(8) lgkmcnt(1)
	v_fma_f64 v[48:49], v[65:66], v[49:50], v[57:58]
	s_waitcnt vmcnt(6)
	v_fma_f64 v[48:49], v[67:68], v[51:52], v[48:49]
	s_waitcnt vmcnt(4) lgkmcnt(0)
	v_fma_f64 v[48:49], v[69:70], v[53:54], v[48:49]
	s_waitcnt vmcnt(2)
	v_fma_f64 v[48:49], v[71:72], v[55:56], v[48:49]
	s_waitcnt vmcnt(0)
	v_add_f64 v[48:49], v[73:74], -v[48:49]
	buffer_store_dword v48, off, s[0:3], 0 offset:112
	buffer_store_dword v49, off, s[0:3], 0 offset:116
	s_and_saveexec_b64 s[4:5], vcc
	s_cbranch_execz .LBB86_119
; %bb.118:
	buffer_load_dword v48, off, s[0:3], 0 offset:104
	buffer_load_dword v49, off, s[0:3], 0 offset:108
	v_mov_b32_e32 v50, 0
	buffer_store_dword v50, off, s[0:3], 0 offset:104
	buffer_store_dword v50, off, s[0:3], 0 offset:108
	s_waitcnt vmcnt(2)
	ds_write_b64 v47, v[48:49]
.LBB86_119:
	s_or_b64 exec, exec, s[4:5]
	s_waitcnt lgkmcnt(0)
	; wave barrier
	buffer_load_dword v57, off, s[0:3], 0 offset:112
	buffer_load_dword v58, off, s[0:3], 0 offset:116
	;; [unrolled: 1-line block ×20, first 2 shown]
	v_mov_b32_e32 v48, 0
	ds_read_b128 v[49:52], v48 offset:304
	ds_read_b128 v[53:56], v48 offset:320
	v_cmp_lt_u32_e32 vcc, 12, v0
	s_waitcnt vmcnt(18) lgkmcnt(1)
	v_fma_f64 v[49:50], v[57:58], v[49:50], 0
	s_waitcnt vmcnt(16)
	v_fma_f64 v[49:50], v[59:60], v[51:52], v[49:50]
	s_waitcnt vmcnt(14) lgkmcnt(0)
	v_fma_f64 v[49:50], v[61:62], v[53:54], v[49:50]
	s_waitcnt vmcnt(12)
	v_fma_f64 v[57:58], v[63:64], v[55:56], v[49:50]
	ds_read_b128 v[49:52], v48 offset:336
	ds_read_b128 v[53:56], v48 offset:352
	s_waitcnt vmcnt(10) lgkmcnt(1)
	v_fma_f64 v[49:50], v[65:66], v[49:50], v[57:58]
	s_waitcnt vmcnt(8)
	v_fma_f64 v[49:50], v[67:68], v[51:52], v[49:50]
	ds_read_b64 v[51:52], v48 offset:368
	s_waitcnt vmcnt(6) lgkmcnt(1)
	v_fma_f64 v[49:50], v[69:70], v[53:54], v[49:50]
	s_waitcnt vmcnt(3)
	v_fma_f64 v[49:50], v[71:72], v[55:56], v[49:50]
	s_waitcnt vmcnt(2) lgkmcnt(0)
	v_fma_f64 v[49:50], v[73:74], v[51:52], v[49:50]
	s_waitcnt vmcnt(0)
	v_add_f64 v[49:50], v[75:76], -v[49:50]
	buffer_store_dword v49, off, s[0:3], 0 offset:104
	buffer_store_dword v50, off, s[0:3], 0 offset:108
	s_and_saveexec_b64 s[4:5], vcc
	s_cbranch_execz .LBB86_121
; %bb.120:
	buffer_load_dword v49, off, s[0:3], 0 offset:96
	buffer_load_dword v50, off, s[0:3], 0 offset:100
	s_waitcnt vmcnt(0)
	ds_write_b64 v47, v[49:50]
	buffer_store_dword v48, off, s[0:3], 0 offset:96
	buffer_store_dword v48, off, s[0:3], 0 offset:100
.LBB86_121:
	s_or_b64 exec, exec, s[4:5]
	s_waitcnt lgkmcnt(0)
	; wave barrier
	buffer_load_dword v57, off, s[0:3], 0 offset:104
	buffer_load_dword v58, off, s[0:3], 0 offset:108
	buffer_load_dword v59, off, s[0:3], 0 offset:112
	buffer_load_dword v60, off, s[0:3], 0 offset:116
	buffer_load_dword v61, off, s[0:3], 0 offset:120
	buffer_load_dword v62, off, s[0:3], 0 offset:124
	buffer_load_dword v63, off, s[0:3], 0 offset:128
	buffer_load_dword v64, off, s[0:3], 0 offset:132
	buffer_load_dword v65, off, s[0:3], 0 offset:136
	buffer_load_dword v66, off, s[0:3], 0 offset:140
	buffer_load_dword v67, off, s[0:3], 0 offset:144
	buffer_load_dword v68, off, s[0:3], 0 offset:148
	buffer_load_dword v69, off, s[0:3], 0 offset:152
	buffer_load_dword v70, off, s[0:3], 0 offset:156
	buffer_load_dword v72, off, s[0:3], 0 offset:164
	buffer_load_dword v73, off, s[0:3], 0 offset:176
	buffer_load_dword v75, off, s[0:3], 0 offset:168
	buffer_load_dword v71, off, s[0:3], 0 offset:160
	buffer_load_dword v76, off, s[0:3], 0 offset:172
	buffer_load_dword v74, off, s[0:3], 0 offset:180
	ds_read2_b64 v[49:52], v48 offset0:37 offset1:38
	buffer_load_dword v77, off, s[0:3], 0 offset:96
	buffer_load_dword v78, off, s[0:3], 0 offset:100
	ds_read2_b64 v[53:56], v48 offset0:39 offset1:40
	v_cmp_lt_u32_e32 vcc, 11, v0
	s_waitcnt vmcnt(20) lgkmcnt(1)
	v_fma_f64 v[49:50], v[57:58], v[49:50], 0
	s_waitcnt vmcnt(18)
	v_fma_f64 v[49:50], v[59:60], v[51:52], v[49:50]
	s_waitcnt vmcnt(16) lgkmcnt(0)
	v_fma_f64 v[49:50], v[61:62], v[53:54], v[49:50]
	s_waitcnt vmcnt(14)
	v_fma_f64 v[57:58], v[63:64], v[55:56], v[49:50]
	ds_read2_b64 v[49:52], v48 offset0:41 offset1:42
	ds_read2_b64 v[53:56], v48 offset0:43 offset1:44
	s_waitcnt vmcnt(12) lgkmcnt(1)
	v_fma_f64 v[49:50], v[65:66], v[49:50], v[57:58]
	s_waitcnt vmcnt(10)
	v_fma_f64 v[49:50], v[67:68], v[51:52], v[49:50]
	s_waitcnt vmcnt(8) lgkmcnt(0)
	v_fma_f64 v[49:50], v[69:70], v[53:54], v[49:50]
	s_waitcnt vmcnt(4)
	v_fma_f64 v[52:53], v[71:72], v[55:56], v[49:50]
	ds_read2_b64 v[48:51], v48 offset0:45 offset1:46
	s_waitcnt vmcnt(3) lgkmcnt(0)
	v_fma_f64 v[48:49], v[75:76], v[48:49], v[52:53]
	s_waitcnt vmcnt(2)
	v_fma_f64 v[48:49], v[73:74], v[50:51], v[48:49]
	s_waitcnt vmcnt(0)
	v_add_f64 v[48:49], v[77:78], -v[48:49]
	buffer_store_dword v48, off, s[0:3], 0 offset:96
	buffer_store_dword v49, off, s[0:3], 0 offset:100
	s_and_saveexec_b64 s[4:5], vcc
	s_cbranch_execz .LBB86_123
; %bb.122:
	buffer_load_dword v48, off, s[0:3], 0 offset:88
	buffer_load_dword v49, off, s[0:3], 0 offset:92
	v_mov_b32_e32 v50, 0
	buffer_store_dword v50, off, s[0:3], 0 offset:88
	buffer_store_dword v50, off, s[0:3], 0 offset:92
	s_waitcnt vmcnt(2)
	ds_write_b64 v47, v[48:49]
.LBB86_123:
	s_or_b64 exec, exec, s[4:5]
	s_waitcnt lgkmcnt(0)
	; wave barrier
	buffer_load_dword v57, off, s[0:3], 0 offset:96
	buffer_load_dword v58, off, s[0:3], 0 offset:100
	;; [unrolled: 1-line block ×21, first 2 shown]
	v_mov_b32_e32 v48, 0
	ds_read_b128 v[49:52], v48 offset:288
	ds_read_b128 v[53:56], v48 offset:304
	buffer_load_dword v74, off, s[0:3], 0 offset:180
	v_cmp_lt_u32_e32 vcc, 10, v0
	s_waitcnt vmcnt(20) lgkmcnt(1)
	v_fma_f64 v[49:50], v[57:58], v[49:50], 0
	buffer_load_dword v57, off, s[0:3], 0 offset:88
	buffer_load_dword v58, off, s[0:3], 0 offset:92
	s_waitcnt vmcnt(20)
	v_fma_f64 v[49:50], v[59:60], v[51:52], v[49:50]
	s_waitcnt vmcnt(18) lgkmcnt(0)
	v_fma_f64 v[49:50], v[61:62], v[53:54], v[49:50]
	s_waitcnt vmcnt(16)
	v_fma_f64 v[59:60], v[63:64], v[55:56], v[49:50]
	ds_read_b128 v[49:52], v48 offset:320
	ds_read_b128 v[53:56], v48 offset:336
	s_waitcnt vmcnt(14) lgkmcnt(1)
	v_fma_f64 v[49:50], v[65:66], v[49:50], v[59:60]
	s_waitcnt vmcnt(12)
	v_fma_f64 v[49:50], v[67:68], v[51:52], v[49:50]
	s_waitcnt vmcnt(10) lgkmcnt(0)
	v_fma_f64 v[49:50], v[69:70], v[53:54], v[49:50]
	s_waitcnt vmcnt(5)
	v_fma_f64 v[53:54], v[71:72], v[55:56], v[49:50]
	ds_read_b128 v[49:52], v48 offset:352
	ds_read_b64 v[55:56], v48 offset:368
	s_waitcnt vmcnt(4) lgkmcnt(1)
	v_fma_f64 v[49:50], v[77:78], v[49:50], v[53:54]
	s_waitcnt vmcnt(3)
	v_fma_f64 v[49:50], v[75:76], v[51:52], v[49:50]
	s_waitcnt vmcnt(2) lgkmcnt(0)
	v_fma_f64 v[49:50], v[73:74], v[55:56], v[49:50]
	s_waitcnt vmcnt(0)
	v_add_f64 v[49:50], v[57:58], -v[49:50]
	buffer_store_dword v50, off, s[0:3], 0 offset:92
	buffer_store_dword v49, off, s[0:3], 0 offset:88
	s_and_saveexec_b64 s[4:5], vcc
	s_cbranch_execz .LBB86_125
; %bb.124:
	buffer_load_dword v49, off, s[0:3], 0 offset:80
	buffer_load_dword v50, off, s[0:3], 0 offset:84
	s_waitcnt vmcnt(0)
	ds_write_b64 v47, v[49:50]
	buffer_store_dword v48, off, s[0:3], 0 offset:80
	buffer_store_dword v48, off, s[0:3], 0 offset:84
.LBB86_125:
	s_or_b64 exec, exec, s[4:5]
	s_waitcnt lgkmcnt(0)
	; wave barrier
	buffer_load_dword v57, off, s[0:3], 0 offset:88
	buffer_load_dword v58, off, s[0:3], 0 offset:92
	;; [unrolled: 1-line block ×21, first 2 shown]
	ds_read2_b64 v[49:52], v48 offset0:35 offset1:36
	ds_read2_b64 v[53:56], v48 offset0:37 offset1:38
	buffer_load_dword v74, off, s[0:3], 0 offset:172
	v_cmp_lt_u32_e32 vcc, 9, v0
	s_waitcnt vmcnt(20) lgkmcnt(1)
	v_fma_f64 v[49:50], v[57:58], v[49:50], 0
	buffer_load_dword v58, off, s[0:3], 0 offset:180
	buffer_load_dword v57, off, s[0:3], 0 offset:176
	s_waitcnt vmcnt(20)
	v_fma_f64 v[49:50], v[59:60], v[51:52], v[49:50]
	buffer_load_dword v59, off, s[0:3], 0 offset:80
	buffer_load_dword v60, off, s[0:3], 0 offset:84
	s_waitcnt vmcnt(20) lgkmcnt(0)
	v_fma_f64 v[49:50], v[61:62], v[53:54], v[49:50]
	s_waitcnt vmcnt(18)
	v_fma_f64 v[61:62], v[63:64], v[55:56], v[49:50]
	ds_read2_b64 v[49:52], v48 offset0:39 offset1:40
	ds_read2_b64 v[53:56], v48 offset0:41 offset1:42
	s_waitcnt vmcnt(16) lgkmcnt(1)
	v_fma_f64 v[49:50], v[65:66], v[49:50], v[61:62]
	s_waitcnt vmcnt(14)
	v_fma_f64 v[49:50], v[67:68], v[51:52], v[49:50]
	s_waitcnt vmcnt(12) lgkmcnt(0)
	v_fma_f64 v[49:50], v[69:70], v[53:54], v[49:50]
	s_waitcnt vmcnt(7)
	v_fma_f64 v[61:62], v[71:72], v[55:56], v[49:50]
	ds_read2_b64 v[49:52], v48 offset0:43 offset1:44
	ds_read2_b64 v[53:56], v48 offset0:45 offset1:46
	s_waitcnt vmcnt(6) lgkmcnt(1)
	v_fma_f64 v[48:49], v[77:78], v[49:50], v[61:62]
	s_waitcnt vmcnt(5)
	v_fma_f64 v[48:49], v[75:76], v[51:52], v[48:49]
	s_waitcnt vmcnt(4) lgkmcnt(0)
	v_fma_f64 v[48:49], v[73:74], v[53:54], v[48:49]
	s_waitcnt vmcnt(2)
	v_fma_f64 v[48:49], v[57:58], v[55:56], v[48:49]
	s_waitcnt vmcnt(0)
	v_add_f64 v[48:49], v[59:60], -v[48:49]
	buffer_store_dword v49, off, s[0:3], 0 offset:84
	buffer_store_dword v48, off, s[0:3], 0 offset:80
	s_and_saveexec_b64 s[4:5], vcc
	s_cbranch_execz .LBB86_127
; %bb.126:
	buffer_load_dword v48, off, s[0:3], 0 offset:72
	buffer_load_dword v49, off, s[0:3], 0 offset:76
	v_mov_b32_e32 v50, 0
	buffer_store_dword v50, off, s[0:3], 0 offset:72
	buffer_store_dword v50, off, s[0:3], 0 offset:76
	s_waitcnt vmcnt(2)
	ds_write_b64 v47, v[48:49]
.LBB86_127:
	s_or_b64 exec, exec, s[4:5]
	s_waitcnt lgkmcnt(0)
	; wave barrier
	buffer_load_dword v57, off, s[0:3], 0 offset:80
	buffer_load_dword v58, off, s[0:3], 0 offset:84
	;; [unrolled: 1-line block ×21, first 2 shown]
	v_mov_b32_e32 v48, 0
	ds_read_b128 v[49:52], v48 offset:272
	ds_read_b128 v[53:56], v48 offset:288
	buffer_load_dword v74, off, s[0:3], 0 offset:164
	v_cmp_lt_u32_e32 vcc, 8, v0
	s_waitcnt vmcnt(20) lgkmcnt(1)
	v_fma_f64 v[49:50], v[57:58], v[49:50], 0
	s_waitcnt vmcnt(18)
	v_fma_f64 v[49:50], v[59:60], v[51:52], v[49:50]
	buffer_load_dword v58, off, s[0:3], 0 offset:172
	buffer_load_dword v59, off, s[0:3], 0 offset:176
	;; [unrolled: 1-line block ×4, first 2 shown]
	s_waitcnt vmcnt(20) lgkmcnt(0)
	v_fma_f64 v[49:50], v[61:62], v[53:54], v[49:50]
	buffer_load_dword v61, off, s[0:3], 0 offset:72
	buffer_load_dword v62, off, s[0:3], 0 offset:76
	s_waitcnt vmcnt(20)
	v_fma_f64 v[63:64], v[63:64], v[55:56], v[49:50]
	ds_read_b128 v[49:52], v48 offset:304
	ds_read_b128 v[53:56], v48 offset:320
	s_waitcnt vmcnt(18) lgkmcnt(1)
	v_fma_f64 v[49:50], v[65:66], v[49:50], v[63:64]
	s_waitcnt vmcnt(16)
	v_fma_f64 v[49:50], v[67:68], v[51:52], v[49:50]
	s_waitcnt vmcnt(14) lgkmcnt(0)
	v_fma_f64 v[49:50], v[69:70], v[53:54], v[49:50]
	s_waitcnt vmcnt(9)
	v_fma_f64 v[63:64], v[71:72], v[55:56], v[49:50]
	ds_read_b128 v[49:52], v48 offset:336
	ds_read_b128 v[53:56], v48 offset:352
	s_waitcnt vmcnt(8) lgkmcnt(1)
	v_fma_f64 v[49:50], v[77:78], v[49:50], v[63:64]
	s_waitcnt vmcnt(7)
	v_fma_f64 v[49:50], v[75:76], v[51:52], v[49:50]
	ds_read_b64 v[51:52], v48 offset:368
	s_waitcnt vmcnt(6) lgkmcnt(1)
	v_fma_f64 v[49:50], v[73:74], v[53:54], v[49:50]
	s_waitcnt vmcnt(3)
	v_fma_f64 v[49:50], v[57:58], v[55:56], v[49:50]
	s_waitcnt vmcnt(2) lgkmcnt(0)
	v_fma_f64 v[49:50], v[59:60], v[51:52], v[49:50]
	s_waitcnt vmcnt(0)
	v_add_f64 v[49:50], v[61:62], -v[49:50]
	buffer_store_dword v50, off, s[0:3], 0 offset:76
	buffer_store_dword v49, off, s[0:3], 0 offset:72
	s_and_saveexec_b64 s[4:5], vcc
	s_cbranch_execz .LBB86_129
; %bb.128:
	buffer_load_dword v49, off, s[0:3], 0 offset:64
	buffer_load_dword v50, off, s[0:3], 0 offset:68
	s_waitcnt vmcnt(0)
	ds_write_b64 v47, v[49:50]
	buffer_store_dword v48, off, s[0:3], 0 offset:64
	buffer_store_dword v48, off, s[0:3], 0 offset:68
.LBB86_129:
	s_or_b64 exec, exec, s[4:5]
	s_waitcnt lgkmcnt(0)
	; wave barrier
	buffer_load_dword v57, off, s[0:3], 0 offset:72
	buffer_load_dword v58, off, s[0:3], 0 offset:76
	;; [unrolled: 1-line block ×22, first 2 shown]
	ds_read2_b64 v[49:52], v48 offset0:33 offset1:34
	ds_read2_b64 v[53:56], v48 offset0:35 offset1:36
	v_cmp_lt_u32_e32 vcc, 7, v0
	s_waitcnt vmcnt(20) lgkmcnt(1)
	v_fma_f64 v[49:50], v[57:58], v[49:50], 0
	s_waitcnt vmcnt(18)
	v_fma_f64 v[49:50], v[59:60], v[51:52], v[49:50]
	buffer_load_dword v58, off, s[0:3], 0 offset:164
	buffer_load_dword v59, off, s[0:3], 0 offset:176
	;; [unrolled: 1-line block ×6, first 2 shown]
	s_waitcnt vmcnt(22) lgkmcnt(0)
	v_fma_f64 v[49:50], v[61:62], v[53:54], v[49:50]
	s_waitcnt vmcnt(20)
	v_fma_f64 v[61:62], v[63:64], v[55:56], v[49:50]
	ds_read2_b64 v[49:52], v48 offset0:37 offset1:38
	buffer_load_dword v63, off, s[0:3], 0 offset:64
	buffer_load_dword v64, off, s[0:3], 0 offset:68
	ds_read2_b64 v[53:56], v48 offset0:39 offset1:40
	s_waitcnt vmcnt(20) lgkmcnt(1)
	v_fma_f64 v[49:50], v[65:66], v[49:50], v[61:62]
	s_waitcnt vmcnt(18)
	v_fma_f64 v[49:50], v[67:68], v[51:52], v[49:50]
	s_waitcnt vmcnt(16) lgkmcnt(0)
	v_fma_f64 v[49:50], v[69:70], v[53:54], v[49:50]
	s_waitcnt vmcnt(11)
	v_fma_f64 v[61:62], v[71:72], v[55:56], v[49:50]
	ds_read2_b64 v[49:52], v48 offset0:41 offset1:42
	ds_read2_b64 v[53:56], v48 offset0:43 offset1:44
	s_waitcnt vmcnt(10) lgkmcnt(1)
	v_fma_f64 v[49:50], v[77:78], v[49:50], v[61:62]
	s_waitcnt vmcnt(9)
	v_fma_f64 v[49:50], v[75:76], v[51:52], v[49:50]
	s_waitcnt vmcnt(8) lgkmcnt(0)
	v_fma_f64 v[49:50], v[73:74], v[53:54], v[49:50]
	s_waitcnt vmcnt(4)
	v_fma_f64 v[52:53], v[57:58], v[55:56], v[49:50]
	ds_read2_b64 v[48:51], v48 offset0:45 offset1:46
	s_waitcnt vmcnt(3) lgkmcnt(0)
	v_fma_f64 v[48:49], v[79:80], v[48:49], v[52:53]
	s_waitcnt vmcnt(2)
	v_fma_f64 v[48:49], v[59:60], v[50:51], v[48:49]
	s_waitcnt vmcnt(0)
	v_add_f64 v[48:49], v[63:64], -v[48:49]
	buffer_store_dword v49, off, s[0:3], 0 offset:68
	buffer_store_dword v48, off, s[0:3], 0 offset:64
	s_and_saveexec_b64 s[4:5], vcc
	s_cbranch_execz .LBB86_131
; %bb.130:
	buffer_load_dword v48, off, s[0:3], 0 offset:56
	buffer_load_dword v49, off, s[0:3], 0 offset:60
	v_mov_b32_e32 v50, 0
	buffer_store_dword v50, off, s[0:3], 0 offset:56
	buffer_store_dword v50, off, s[0:3], 0 offset:60
	s_waitcnt vmcnt(2)
	ds_write_b64 v47, v[48:49]
.LBB86_131:
	s_or_b64 exec, exec, s[4:5]
	s_waitcnt lgkmcnt(0)
	; wave barrier
	buffer_load_dword v57, off, s[0:3], 0 offset:64
	buffer_load_dword v58, off, s[0:3], 0 offset:68
	;; [unrolled: 1-line block ×22, first 2 shown]
	v_mov_b32_e32 v48, 0
	ds_read_b128 v[49:52], v48 offset:256
	ds_read_b128 v[53:56], v48 offset:272
	v_cmp_lt_u32_e32 vcc, 6, v0
	s_waitcnt vmcnt(20) lgkmcnt(1)
	v_fma_f64 v[49:50], v[57:58], v[49:50], 0
	s_waitcnt vmcnt(18)
	v_fma_f64 v[49:50], v[59:60], v[51:52], v[49:50]
	buffer_load_dword v58, off, s[0:3], 0 offset:156
	buffer_load_dword v59, off, s[0:3], 0 offset:176
	;; [unrolled: 1-line block ×8, first 2 shown]
	s_waitcnt vmcnt(24) lgkmcnt(0)
	v_fma_f64 v[49:50], v[61:62], v[53:54], v[49:50]
	s_waitcnt vmcnt(22)
	v_fma_f64 v[61:62], v[63:64], v[55:56], v[49:50]
	ds_read_b128 v[49:52], v48 offset:288
	ds_read_b128 v[53:56], v48 offset:304
	s_waitcnt vmcnt(20) lgkmcnt(1)
	v_fma_f64 v[49:50], v[65:66], v[49:50], v[61:62]
	buffer_load_dword v61, off, s[0:3], 0 offset:56
	buffer_load_dword v62, off, s[0:3], 0 offset:60
	s_waitcnt vmcnt(20)
	v_fma_f64 v[49:50], v[67:68], v[51:52], v[49:50]
	s_waitcnt vmcnt(18) lgkmcnt(0)
	v_fma_f64 v[49:50], v[69:70], v[53:54], v[49:50]
	s_waitcnt vmcnt(13)
	v_fma_f64 v[63:64], v[71:72], v[55:56], v[49:50]
	ds_read_b128 v[49:52], v48 offset:320
	ds_read_b128 v[53:56], v48 offset:336
	s_waitcnt vmcnt(12) lgkmcnt(1)
	v_fma_f64 v[49:50], v[77:78], v[49:50], v[63:64]
	s_waitcnt vmcnt(11)
	v_fma_f64 v[49:50], v[75:76], v[51:52], v[49:50]
	s_waitcnt vmcnt(10) lgkmcnt(0)
	v_fma_f64 v[49:50], v[73:74], v[53:54], v[49:50]
	s_waitcnt vmcnt(5)
	v_fma_f64 v[53:54], v[57:58], v[55:56], v[49:50]
	ds_read_b128 v[49:52], v48 offset:352
	ds_read_b64 v[55:56], v48 offset:368
	s_waitcnt vmcnt(4) lgkmcnt(1)
	v_fma_f64 v[49:50], v[81:82], v[49:50], v[53:54]
	s_waitcnt vmcnt(3)
	v_fma_f64 v[49:50], v[79:80], v[51:52], v[49:50]
	s_waitcnt vmcnt(2) lgkmcnt(0)
	v_fma_f64 v[49:50], v[59:60], v[55:56], v[49:50]
	s_waitcnt vmcnt(0)
	v_add_f64 v[49:50], v[61:62], -v[49:50]
	buffer_store_dword v50, off, s[0:3], 0 offset:60
	buffer_store_dword v49, off, s[0:3], 0 offset:56
	s_and_saveexec_b64 s[4:5], vcc
	s_cbranch_execz .LBB86_133
; %bb.132:
	buffer_load_dword v49, off, s[0:3], 0 offset:48
	buffer_load_dword v50, off, s[0:3], 0 offset:52
	s_waitcnt vmcnt(0)
	ds_write_b64 v47, v[49:50]
	buffer_store_dword v48, off, s[0:3], 0 offset:48
	buffer_store_dword v48, off, s[0:3], 0 offset:52
.LBB86_133:
	s_or_b64 exec, exec, s[4:5]
	s_waitcnt lgkmcnt(0)
	; wave barrier
	buffer_load_dword v57, off, s[0:3], 0 offset:56
	buffer_load_dword v58, off, s[0:3], 0 offset:60
	;; [unrolled: 1-line block ×22, first 2 shown]
	ds_read2_b64 v[49:52], v48 offset0:31 offset1:32
	ds_read2_b64 v[53:56], v48 offset0:33 offset1:34
	v_cmp_lt_u32_e32 vcc, 5, v0
	s_waitcnt vmcnt(20) lgkmcnt(1)
	v_fma_f64 v[49:50], v[57:58], v[49:50], 0
	s_waitcnt vmcnt(18)
	v_fma_f64 v[49:50], v[59:60], v[51:52], v[49:50]
	buffer_load_dword v58, off, s[0:3], 0 offset:148
	buffer_load_dword v59, off, s[0:3], 0 offset:168
	;; [unrolled: 1-line block ×8, first 2 shown]
	s_waitcnt vmcnt(24) lgkmcnt(0)
	v_fma_f64 v[49:50], v[61:62], v[53:54], v[49:50]
	s_waitcnt vmcnt(22)
	v_fma_f64 v[61:62], v[63:64], v[55:56], v[49:50]
	ds_read2_b64 v[49:52], v48 offset0:35 offset1:36
	ds_read2_b64 v[53:56], v48 offset0:37 offset1:38
	s_waitcnt vmcnt(20) lgkmcnt(1)
	v_fma_f64 v[49:50], v[65:66], v[49:50], v[61:62]
	buffer_load_dword v62, off, s[0:3], 0 offset:180
	buffer_load_dword v61, off, s[0:3], 0 offset:176
	buffer_load_dword v63, off, s[0:3], 0 offset:48
	buffer_load_dword v64, off, s[0:3], 0 offset:52
	s_waitcnt vmcnt(22)
	v_fma_f64 v[49:50], v[67:68], v[51:52], v[49:50]
	s_waitcnt vmcnt(20) lgkmcnt(0)
	v_fma_f64 v[49:50], v[69:70], v[53:54], v[49:50]
	s_waitcnt vmcnt(15)
	v_fma_f64 v[65:66], v[71:72], v[55:56], v[49:50]
	ds_read2_b64 v[49:52], v48 offset0:39 offset1:40
	ds_read2_b64 v[53:56], v48 offset0:41 offset1:42
	s_waitcnt vmcnt(14) lgkmcnt(1)
	v_fma_f64 v[49:50], v[77:78], v[49:50], v[65:66]
	s_waitcnt vmcnt(13)
	v_fma_f64 v[49:50], v[75:76], v[51:52], v[49:50]
	s_waitcnt vmcnt(12) lgkmcnt(0)
	v_fma_f64 v[49:50], v[73:74], v[53:54], v[49:50]
	s_waitcnt vmcnt(7)
	v_fma_f64 v[57:58], v[57:58], v[55:56], v[49:50]
	ds_read2_b64 v[49:52], v48 offset0:43 offset1:44
	ds_read2_b64 v[53:56], v48 offset0:45 offset1:46
	s_waitcnt vmcnt(6) lgkmcnt(1)
	v_fma_f64 v[48:49], v[81:82], v[49:50], v[57:58]
	s_waitcnt vmcnt(5)
	v_fma_f64 v[48:49], v[79:80], v[51:52], v[48:49]
	s_waitcnt vmcnt(4) lgkmcnt(0)
	v_fma_f64 v[48:49], v[59:60], v[53:54], v[48:49]
	s_waitcnt vmcnt(2)
	v_fma_f64 v[48:49], v[61:62], v[55:56], v[48:49]
	s_waitcnt vmcnt(0)
	v_add_f64 v[48:49], v[63:64], -v[48:49]
	buffer_store_dword v49, off, s[0:3], 0 offset:52
	buffer_store_dword v48, off, s[0:3], 0 offset:48
	s_and_saveexec_b64 s[4:5], vcc
	s_cbranch_execz .LBB86_135
; %bb.134:
	buffer_load_dword v48, off, s[0:3], 0 offset:40
	buffer_load_dword v49, off, s[0:3], 0 offset:44
	v_mov_b32_e32 v50, 0
	buffer_store_dword v50, off, s[0:3], 0 offset:40
	buffer_store_dword v50, off, s[0:3], 0 offset:44
	s_waitcnt vmcnt(2)
	ds_write_b64 v47, v[48:49]
.LBB86_135:
	s_or_b64 exec, exec, s[4:5]
	s_waitcnt lgkmcnt(0)
	; wave barrier
	buffer_load_dword v57, off, s[0:3], 0 offset:48
	buffer_load_dword v58, off, s[0:3], 0 offset:52
	;; [unrolled: 1-line block ×22, first 2 shown]
	v_mov_b32_e32 v48, 0
	ds_read_b128 v[49:52], v48 offset:240
	ds_read_b128 v[53:56], v48 offset:256
	v_cmp_lt_u32_e32 vcc, 4, v0
	s_waitcnt vmcnt(20) lgkmcnt(1)
	v_fma_f64 v[49:50], v[57:58], v[49:50], 0
	s_waitcnt vmcnt(18)
	v_fma_f64 v[49:50], v[59:60], v[51:52], v[49:50]
	buffer_load_dword v58, off, s[0:3], 0 offset:140
	buffer_load_dword v59, off, s[0:3], 0 offset:160
	;; [unrolled: 1-line block ×7, first 2 shown]
	s_waitcnt vmcnt(23) lgkmcnt(0)
	v_fma_f64 v[49:50], v[61:62], v[53:54], v[49:50]
	s_waitcnt vmcnt(21)
	v_fma_f64 v[60:61], v[63:64], v[55:56], v[49:50]
	ds_read_b128 v[49:52], v48 offset:272
	ds_read_b128 v[53:56], v48 offset:288
	s_waitcnt vmcnt(19) lgkmcnt(1)
	v_fma_f64 v[49:50], v[65:66], v[49:50], v[60:61]
	buffer_load_dword v60, off, s[0:3], 0 offset:164
	buffer_load_dword v62, off, s[0:3], 0 offset:172
	buffer_load_dword v63, off, s[0:3], 0 offset:176
	buffer_load_dword v61, off, s[0:3], 0 offset:168
	buffer_load_dword v64, off, s[0:3], 0 offset:180
	buffer_load_dword v65, off, s[0:3], 0 offset:40
	buffer_load_dword v66, off, s[0:3], 0 offset:44
	s_waitcnt vmcnt(24)
	v_fma_f64 v[49:50], v[67:68], v[51:52], v[49:50]
	s_waitcnt vmcnt(22) lgkmcnt(0)
	v_fma_f64 v[49:50], v[69:70], v[53:54], v[49:50]
	s_waitcnt vmcnt(17)
	v_fma_f64 v[67:68], v[71:72], v[55:56], v[49:50]
	ds_read_b128 v[49:52], v48 offset:304
	ds_read_b128 v[53:56], v48 offset:320
	s_waitcnt vmcnt(16) lgkmcnt(1)
	v_fma_f64 v[49:50], v[77:78], v[49:50], v[67:68]
	s_waitcnt vmcnt(15)
	v_fma_f64 v[49:50], v[75:76], v[51:52], v[49:50]
	s_waitcnt vmcnt(14) lgkmcnt(0)
	v_fma_f64 v[49:50], v[73:74], v[53:54], v[49:50]
	s_waitcnt vmcnt(9)
	v_fma_f64 v[57:58], v[57:58], v[55:56], v[49:50]
	ds_read_b128 v[49:52], v48 offset:336
	ds_read_b128 v[53:56], v48 offset:352
	s_waitcnt vmcnt(8) lgkmcnt(1)
	v_fma_f64 v[49:50], v[81:82], v[49:50], v[57:58]
	s_waitcnt vmcnt(7)
	v_fma_f64 v[49:50], v[79:80], v[51:52], v[49:50]
	ds_read_b64 v[51:52], v48 offset:368
	s_waitcnt vmcnt(6) lgkmcnt(1)
	v_fma_f64 v[49:50], v[59:60], v[53:54], v[49:50]
	s_waitcnt vmcnt(3)
	v_fma_f64 v[49:50], v[61:62], v[55:56], v[49:50]
	s_waitcnt vmcnt(2) lgkmcnt(0)
	v_fma_f64 v[49:50], v[63:64], v[51:52], v[49:50]
	s_waitcnt vmcnt(0)
	v_add_f64 v[49:50], v[65:66], -v[49:50]
	buffer_store_dword v50, off, s[0:3], 0 offset:44
	buffer_store_dword v49, off, s[0:3], 0 offset:40
	s_and_saveexec_b64 s[4:5], vcc
	s_cbranch_execz .LBB86_137
; %bb.136:
	buffer_load_dword v49, off, s[0:3], 0 offset:32
	buffer_load_dword v50, off, s[0:3], 0 offset:36
	s_waitcnt vmcnt(0)
	ds_write_b64 v47, v[49:50]
	buffer_store_dword v48, off, s[0:3], 0 offset:32
	buffer_store_dword v48, off, s[0:3], 0 offset:36
.LBB86_137:
	s_or_b64 exec, exec, s[4:5]
	s_waitcnt lgkmcnt(0)
	; wave barrier
	buffer_load_dword v57, off, s[0:3], 0 offset:40
	buffer_load_dword v58, off, s[0:3], 0 offset:44
	;; [unrolled: 1-line block ×22, first 2 shown]
	ds_read2_b64 v[49:52], v48 offset0:29 offset1:30
	ds_read2_b64 v[53:56], v48 offset0:31 offset1:32
	v_cmp_lt_u32_e32 vcc, 3, v0
	s_waitcnt vmcnt(20) lgkmcnt(1)
	v_fma_f64 v[49:50], v[57:58], v[49:50], 0
	s_waitcnt vmcnt(18)
	v_fma_f64 v[49:50], v[59:60], v[51:52], v[49:50]
	buffer_load_dword v58, off, s[0:3], 0 offset:132
	buffer_load_dword v59, off, s[0:3], 0 offset:152
	;; [unrolled: 1-line block ×7, first 2 shown]
	s_waitcnt vmcnt(23) lgkmcnt(0)
	v_fma_f64 v[49:50], v[61:62], v[53:54], v[49:50]
	s_waitcnt vmcnt(21)
	v_fma_f64 v[60:61], v[63:64], v[55:56], v[49:50]
	ds_read2_b64 v[49:52], v48 offset0:33 offset1:34
	ds_read2_b64 v[53:56], v48 offset0:35 offset1:36
	s_waitcnt vmcnt(19) lgkmcnt(1)
	v_fma_f64 v[49:50], v[65:66], v[49:50], v[60:61]
	buffer_load_dword v60, off, s[0:3], 0 offset:156
	buffer_load_dword v62, off, s[0:3], 0 offset:164
	;; [unrolled: 1-line block ×7, first 2 shown]
	s_waitcnt vmcnt(24)
	v_fma_f64 v[49:50], v[67:68], v[51:52], v[49:50]
	s_waitcnt vmcnt(22) lgkmcnt(0)
	v_fma_f64 v[49:50], v[69:70], v[53:54], v[49:50]
	s_waitcnt vmcnt(17)
	v_fma_f64 v[67:68], v[71:72], v[55:56], v[49:50]
	ds_read2_b64 v[49:52], v48 offset0:37 offset1:38
	buffer_load_dword v69, off, s[0:3], 0 offset:32
	buffer_load_dword v70, off, s[0:3], 0 offset:36
	ds_read2_b64 v[53:56], v48 offset0:39 offset1:40
	s_waitcnt vmcnt(18) lgkmcnt(1)
	v_fma_f64 v[49:50], v[77:78], v[49:50], v[67:68]
	s_waitcnt vmcnt(17)
	v_fma_f64 v[49:50], v[75:76], v[51:52], v[49:50]
	s_waitcnt vmcnt(16) lgkmcnt(0)
	v_fma_f64 v[49:50], v[73:74], v[53:54], v[49:50]
	s_waitcnt vmcnt(11)
	v_fma_f64 v[57:58], v[57:58], v[55:56], v[49:50]
	ds_read2_b64 v[49:52], v48 offset0:41 offset1:42
	ds_read2_b64 v[53:56], v48 offset0:43 offset1:44
	s_waitcnt vmcnt(10) lgkmcnt(1)
	v_fma_f64 v[49:50], v[81:82], v[49:50], v[57:58]
	s_waitcnt vmcnt(9)
	v_fma_f64 v[49:50], v[79:80], v[51:52], v[49:50]
	s_waitcnt vmcnt(8) lgkmcnt(0)
	v_fma_f64 v[49:50], v[59:60], v[53:54], v[49:50]
	s_waitcnt vmcnt(4)
	v_fma_f64 v[52:53], v[61:62], v[55:56], v[49:50]
	ds_read2_b64 v[48:51], v48 offset0:45 offset1:46
	s_waitcnt vmcnt(3) lgkmcnt(0)
	v_fma_f64 v[48:49], v[65:66], v[48:49], v[52:53]
	s_waitcnt vmcnt(2)
	v_fma_f64 v[48:49], v[63:64], v[50:51], v[48:49]
	s_waitcnt vmcnt(0)
	v_add_f64 v[48:49], v[69:70], -v[48:49]
	buffer_store_dword v49, off, s[0:3], 0 offset:36
	buffer_store_dword v48, off, s[0:3], 0 offset:32
	s_and_saveexec_b64 s[4:5], vcc
	s_cbranch_execz .LBB86_139
; %bb.138:
	buffer_load_dword v48, off, s[0:3], 0 offset:24
	buffer_load_dword v49, off, s[0:3], 0 offset:28
	v_mov_b32_e32 v50, 0
	buffer_store_dword v50, off, s[0:3], 0 offset:24
	buffer_store_dword v50, off, s[0:3], 0 offset:28
	s_waitcnt vmcnt(2)
	ds_write_b64 v47, v[48:49]
.LBB86_139:
	s_or_b64 exec, exec, s[4:5]
	s_waitcnt lgkmcnt(0)
	; wave barrier
	buffer_load_dword v57, off, s[0:3], 0 offset:32
	buffer_load_dword v58, off, s[0:3], 0 offset:36
	;; [unrolled: 1-line block ×22, first 2 shown]
	v_mov_b32_e32 v48, 0
	ds_read_b128 v[49:52], v48 offset:224
	ds_read_b128 v[53:56], v48 offset:240
	v_cmp_lt_u32_e32 vcc, 2, v0
	s_waitcnt vmcnt(20) lgkmcnt(1)
	v_fma_f64 v[49:50], v[57:58], v[49:50], 0
	s_waitcnt vmcnt(18)
	v_fma_f64 v[49:50], v[59:60], v[51:52], v[49:50]
	buffer_load_dword v58, off, s[0:3], 0 offset:124
	buffer_load_dword v59, off, s[0:3], 0 offset:144
	;; [unrolled: 1-line block ×7, first 2 shown]
	s_waitcnt vmcnt(23) lgkmcnt(0)
	v_fma_f64 v[49:50], v[61:62], v[53:54], v[49:50]
	s_waitcnt vmcnt(21)
	v_fma_f64 v[60:61], v[63:64], v[55:56], v[49:50]
	ds_read_b128 v[49:52], v48 offset:256
	ds_read_b128 v[53:56], v48 offset:272
	s_waitcnt vmcnt(19) lgkmcnt(1)
	v_fma_f64 v[49:50], v[65:66], v[49:50], v[60:61]
	buffer_load_dword v60, off, s[0:3], 0 offset:148
	s_waitcnt vmcnt(18)
	v_fma_f64 v[49:50], v[67:68], v[51:52], v[49:50]
	buffer_load_dword v62, off, s[0:3], 0 offset:156
	buffer_load_dword v63, off, s[0:3], 0 offset:176
	;; [unrolled: 1-line block ×8, first 2 shown]
	s_waitcnt vmcnt(24) lgkmcnt(0)
	v_fma_f64 v[49:50], v[69:70], v[53:54], v[49:50]
	s_waitcnt vmcnt(19)
	v_fma_f64 v[69:70], v[71:72], v[55:56], v[49:50]
	ds_read_b128 v[49:52], v48 offset:288
	ds_read_b128 v[53:56], v48 offset:304
	s_waitcnt vmcnt(18) lgkmcnt(1)
	v_fma_f64 v[49:50], v[77:78], v[49:50], v[69:70]
	buffer_load_dword v69, off, s[0:3], 0 offset:24
	buffer_load_dword v70, off, s[0:3], 0 offset:28
	s_waitcnt vmcnt(19)
	v_fma_f64 v[49:50], v[75:76], v[51:52], v[49:50]
	s_waitcnt vmcnt(18) lgkmcnt(0)
	v_fma_f64 v[49:50], v[73:74], v[53:54], v[49:50]
	s_waitcnt vmcnt(13)
	v_fma_f64 v[57:58], v[57:58], v[55:56], v[49:50]
	ds_read_b128 v[49:52], v48 offset:320
	ds_read_b128 v[53:56], v48 offset:336
	s_waitcnt vmcnt(12) lgkmcnt(1)
	v_fma_f64 v[49:50], v[81:82], v[49:50], v[57:58]
	s_waitcnt vmcnt(11)
	v_fma_f64 v[49:50], v[79:80], v[51:52], v[49:50]
	s_waitcnt vmcnt(10) lgkmcnt(0)
	v_fma_f64 v[49:50], v[59:60], v[53:54], v[49:50]
	s_waitcnt vmcnt(5)
	v_fma_f64 v[53:54], v[61:62], v[55:56], v[49:50]
	ds_read_b128 v[49:52], v48 offset:352
	ds_read_b64 v[55:56], v48 offset:368
	s_waitcnt vmcnt(4) lgkmcnt(1)
	v_fma_f64 v[49:50], v[67:68], v[49:50], v[53:54]
	s_waitcnt vmcnt(3)
	v_fma_f64 v[49:50], v[65:66], v[51:52], v[49:50]
	s_waitcnt vmcnt(2) lgkmcnt(0)
	v_fma_f64 v[49:50], v[63:64], v[55:56], v[49:50]
	s_waitcnt vmcnt(0)
	v_add_f64 v[49:50], v[69:70], -v[49:50]
	buffer_store_dword v50, off, s[0:3], 0 offset:28
	buffer_store_dword v49, off, s[0:3], 0 offset:24
	s_and_saveexec_b64 s[4:5], vcc
	s_cbranch_execz .LBB86_141
; %bb.140:
	buffer_load_dword v49, off, s[0:3], 0 offset:16
	buffer_load_dword v50, off, s[0:3], 0 offset:20
	s_waitcnt vmcnt(0)
	ds_write_b64 v47, v[49:50]
	buffer_store_dword v48, off, s[0:3], 0 offset:16
	buffer_store_dword v48, off, s[0:3], 0 offset:20
.LBB86_141:
	s_or_b64 exec, exec, s[4:5]
	s_waitcnt lgkmcnt(0)
	; wave barrier
	buffer_load_dword v57, off, s[0:3], 0 offset:24
	buffer_load_dword v58, off, s[0:3], 0 offset:28
	;; [unrolled: 1-line block ×22, first 2 shown]
	ds_read2_b64 v[49:52], v48 offset0:27 offset1:28
	ds_read2_b64 v[53:56], v48 offset0:29 offset1:30
	v_cmp_lt_u32_e32 vcc, 1, v0
	s_waitcnt vmcnt(20) lgkmcnt(1)
	v_fma_f64 v[49:50], v[57:58], v[49:50], 0
	s_waitcnt vmcnt(18)
	v_fma_f64 v[49:50], v[59:60], v[51:52], v[49:50]
	buffer_load_dword v58, off, s[0:3], 0 offset:116
	buffer_load_dword v59, off, s[0:3], 0 offset:136
	;; [unrolled: 1-line block ×7, first 2 shown]
	s_waitcnt vmcnt(23) lgkmcnt(0)
	v_fma_f64 v[49:50], v[61:62], v[53:54], v[49:50]
	s_waitcnt vmcnt(21)
	v_fma_f64 v[60:61], v[63:64], v[55:56], v[49:50]
	ds_read2_b64 v[49:52], v48 offset0:31 offset1:32
	ds_read2_b64 v[53:56], v48 offset0:33 offset1:34
	s_waitcnt vmcnt(19) lgkmcnt(1)
	v_fma_f64 v[49:50], v[65:66], v[49:50], v[60:61]
	buffer_load_dword v60, off, s[0:3], 0 offset:140
	s_waitcnt vmcnt(18)
	v_fma_f64 v[49:50], v[67:68], v[51:52], v[49:50]
	buffer_load_dword v62, off, s[0:3], 0 offset:148
	buffer_load_dword v63, off, s[0:3], 0 offset:168
	;; [unrolled: 1-line block ×8, first 2 shown]
	s_waitcnt vmcnt(24) lgkmcnt(0)
	v_fma_f64 v[49:50], v[69:70], v[53:54], v[49:50]
	s_waitcnt vmcnt(19)
	v_fma_f64 v[69:70], v[71:72], v[55:56], v[49:50]
	ds_read2_b64 v[49:52], v48 offset0:35 offset1:36
	ds_read2_b64 v[53:56], v48 offset0:37 offset1:38
	s_waitcnt vmcnt(18) lgkmcnt(1)
	v_fma_f64 v[49:50], v[77:78], v[49:50], v[69:70]
	buffer_load_dword v70, off, s[0:3], 0 offset:180
	buffer_load_dword v69, off, s[0:3], 0 offset:176
	;; [unrolled: 1-line block ×4, first 2 shown]
	s_waitcnt vmcnt(21)
	v_fma_f64 v[49:50], v[75:76], v[51:52], v[49:50]
	s_waitcnt vmcnt(20) lgkmcnt(0)
	v_fma_f64 v[49:50], v[73:74], v[53:54], v[49:50]
	s_waitcnt vmcnt(15)
	v_fma_f64 v[57:58], v[57:58], v[55:56], v[49:50]
	ds_read2_b64 v[49:52], v48 offset0:39 offset1:40
	ds_read2_b64 v[53:56], v48 offset0:41 offset1:42
	s_waitcnt vmcnt(14) lgkmcnt(1)
	v_fma_f64 v[49:50], v[81:82], v[49:50], v[57:58]
	s_waitcnt vmcnt(13)
	v_fma_f64 v[49:50], v[79:80], v[51:52], v[49:50]
	s_waitcnt vmcnt(12) lgkmcnt(0)
	v_fma_f64 v[49:50], v[59:60], v[53:54], v[49:50]
	s_waitcnt vmcnt(7)
	v_fma_f64 v[57:58], v[61:62], v[55:56], v[49:50]
	ds_read2_b64 v[49:52], v48 offset0:43 offset1:44
	ds_read2_b64 v[53:56], v48 offset0:45 offset1:46
	s_waitcnt vmcnt(6) lgkmcnt(1)
	v_fma_f64 v[48:49], v[67:68], v[49:50], v[57:58]
	s_waitcnt vmcnt(5)
	v_fma_f64 v[48:49], v[65:66], v[51:52], v[48:49]
	s_waitcnt vmcnt(4) lgkmcnt(0)
	v_fma_f64 v[48:49], v[63:64], v[53:54], v[48:49]
	s_waitcnt vmcnt(2)
	v_fma_f64 v[48:49], v[69:70], v[55:56], v[48:49]
	s_waitcnt vmcnt(0)
	v_add_f64 v[48:49], v[71:72], -v[48:49]
	buffer_store_dword v49, off, s[0:3], 0 offset:20
	buffer_store_dword v48, off, s[0:3], 0 offset:16
	s_and_saveexec_b64 s[4:5], vcc
	s_cbranch_execz .LBB86_143
; %bb.142:
	buffer_load_dword v48, off, s[0:3], 0 offset:8
	buffer_load_dword v49, off, s[0:3], 0 offset:12
	v_mov_b32_e32 v50, 0
	buffer_store_dword v50, off, s[0:3], 0 offset:8
	buffer_store_dword v50, off, s[0:3], 0 offset:12
	s_waitcnt vmcnt(2)
	ds_write_b64 v47, v[48:49]
.LBB86_143:
	s_or_b64 exec, exec, s[4:5]
	s_waitcnt lgkmcnt(0)
	; wave barrier
	buffer_load_dword v58, off, s[0:3], 0 offset:16
	buffer_load_dword v59, off, s[0:3], 0 offset:20
	;; [unrolled: 1-line block ×21, first 2 shown]
	v_mov_b32_e32 v49, 0
	ds_read_b128 v[50:53], v49 offset:208
	ds_read_b128 v[54:57], v49 offset:224
	buffer_load_dword v75, off, s[0:3], 0 offset:100
	v_cmp_ne_u32_e32 vcc, 0, v0
	s_waitcnt vmcnt(20) lgkmcnt(1)
	v_fma_f64 v[50:51], v[58:59], v[50:51], 0
	s_waitcnt vmcnt(18)
	v_fma_f64 v[50:51], v[60:61], v[52:53], v[50:51]
	buffer_load_dword v59, off, s[0:3], 0 offset:108
	buffer_load_dword v60, off, s[0:3], 0 offset:128
	;; [unrolled: 1-line block ×7, first 2 shown]
	s_waitcnt vmcnt(23) lgkmcnt(0)
	v_fma_f64 v[50:51], v[62:63], v[54:55], v[50:51]
	s_waitcnt vmcnt(21)
	v_fma_f64 v[61:62], v[64:65], v[56:57], v[50:51]
	ds_read_b128 v[50:53], v49 offset:240
	ds_read_b128 v[54:57], v49 offset:256
	s_waitcnt vmcnt(19) lgkmcnt(1)
	v_fma_f64 v[50:51], v[66:67], v[50:51], v[61:62]
	buffer_load_dword v61, off, s[0:3], 0 offset:132
	s_waitcnt vmcnt(18)
	v_fma_f64 v[50:51], v[68:69], v[52:53], v[50:51]
	buffer_load_dword v63, off, s[0:3], 0 offset:140
	buffer_load_dword v64, off, s[0:3], 0 offset:160
	;; [unrolled: 1-line block ×7, first 2 shown]
	s_waitcnt vmcnt(23) lgkmcnt(0)
	v_fma_f64 v[50:51], v[70:71], v[54:55], v[50:51]
	s_waitcnt vmcnt(18)
	v_fma_f64 v[70:71], v[72:73], v[56:57], v[50:51]
	ds_read_b128 v[50:53], v49 offset:272
	ds_read_b128 v[54:57], v49 offset:288
	buffer_load_dword v65, off, s[0:3], 0 offset:164
	s_waitcnt vmcnt(18) lgkmcnt(1)
	v_fma_f64 v[50:51], v[78:79], v[50:51], v[70:71]
	buffer_load_dword v71, off, s[0:3], 0 offset:172
	buffer_load_dword v72, off, s[0:3], 0 offset:176
	;; [unrolled: 1-line block ×4, first 2 shown]
	s_waitcnt vmcnt(21)
	v_fma_f64 v[50:51], v[76:77], v[52:53], v[50:51]
	s_waitcnt vmcnt(20) lgkmcnt(0)
	v_fma_f64 v[50:51], v[74:75], v[54:55], v[50:51]
	buffer_load_dword v74, off, s[0:3], 0 offset:8
	buffer_load_dword v75, off, s[0:3], 0 offset:12
	s_waitcnt vmcnt(17)
	v_fma_f64 v[58:59], v[58:59], v[56:57], v[50:51]
	ds_read_b128 v[50:53], v49 offset:304
	ds_read_b128 v[54:57], v49 offset:320
	s_waitcnt vmcnt(16) lgkmcnt(1)
	v_fma_f64 v[50:51], v[82:83], v[50:51], v[58:59]
	s_waitcnt vmcnt(15)
	v_fma_f64 v[50:51], v[80:81], v[52:53], v[50:51]
	s_waitcnt vmcnt(14) lgkmcnt(0)
	v_fma_f64 v[50:51], v[60:61], v[54:55], v[50:51]
	s_waitcnt vmcnt(9)
	v_fma_f64 v[58:59], v[62:63], v[56:57], v[50:51]
	ds_read_b128 v[50:53], v49 offset:336
	ds_read_b128 v[54:57], v49 offset:352
	s_waitcnt vmcnt(8) lgkmcnt(1)
	v_fma_f64 v[50:51], v[68:69], v[50:51], v[58:59]
	s_waitcnt vmcnt(7)
	v_fma_f64 v[50:51], v[66:67], v[52:53], v[50:51]
	ds_read_b64 v[52:53], v49 offset:368
	s_waitcnt vmcnt(6) lgkmcnt(1)
	v_fma_f64 v[50:51], v[64:65], v[54:55], v[50:51]
	s_waitcnt vmcnt(3)
	v_fma_f64 v[50:51], v[70:71], v[56:57], v[50:51]
	s_waitcnt vmcnt(2) lgkmcnt(0)
	v_fma_f64 v[50:51], v[72:73], v[52:53], v[50:51]
	s_waitcnt vmcnt(0)
	v_add_f64 v[50:51], v[74:75], -v[50:51]
	buffer_store_dword v51, off, s[0:3], 0 offset:12
	buffer_store_dword v50, off, s[0:3], 0 offset:8
	s_and_saveexec_b64 s[4:5], vcc
	s_cbranch_execz .LBB86_145
; %bb.144:
	buffer_load_dword v50, off, s[0:3], 0
	buffer_load_dword v51, off, s[0:3], 0 offset:4
	s_waitcnt vmcnt(0)
	ds_write_b64 v47, v[50:51]
	buffer_store_dword v49, off, s[0:3], 0
	buffer_store_dword v49, off, s[0:3], 0 offset:4
.LBB86_145:
	s_or_b64 exec, exec, s[4:5]
	s_waitcnt lgkmcnt(0)
	; wave barrier
	buffer_load_dword v47, off, s[0:3], 0 offset:8
	buffer_load_dword v48, off, s[0:3], 0 offset:12
	;; [unrolled: 1-line block ×21, first 2 shown]
	ds_read2_b64 v[50:53], v49 offset0:25 offset1:26
	ds_read2_b64 v[54:57], v49 offset0:27 offset1:28
	buffer_load_dword v73, off, s[0:3], 0 offset:92
	s_and_b64 vcc, exec, s[14:15]
	s_waitcnt vmcnt(20) lgkmcnt(1)
	v_fma_f64 v[47:48], v[47:48], v[50:51], 0
	s_waitcnt vmcnt(18)
	v_fma_f64 v[47:48], v[58:59], v[52:53], v[47:48]
	buffer_load_dword v59, off, s[0:3], 0 offset:100
	buffer_load_dword v78, off, s[0:3], 0 offset:120
	;; [unrolled: 1-line block ×8, first 2 shown]
	ds_read2_b64 v[50:53], v49 offset0:29 offset1:30
	s_waitcnt vmcnt(24) lgkmcnt(1)
	v_fma_f64 v[47:48], v[60:61], v[54:55], v[47:48]
	s_waitcnt vmcnt(22)
	v_fma_f64 v[47:48], v[62:63], v[56:57], v[47:48]
	ds_read2_b64 v[54:57], v49 offset0:31 offset1:32
	s_waitcnt vmcnt(20) lgkmcnt(1)
	v_fma_f64 v[47:48], v[64:65], v[50:51], v[47:48]
	s_waitcnt vmcnt(18)
	v_fma_f64 v[47:48], v[66:67], v[52:53], v[47:48]
	buffer_load_dword v61, off, s[0:3], 0 offset:132
	buffer_load_dword v62, off, s[0:3], 0 offset:152
	;; [unrolled: 1-line block ×8, first 2 shown]
	ds_read2_b64 v[50:53], v49 offset0:33 offset1:34
	s_waitcnt vmcnt(24) lgkmcnt(1)
	v_fma_f64 v[47:48], v[68:69], v[54:55], v[47:48]
	s_waitcnt vmcnt(19)
	v_fma_f64 v[47:48], v[70:71], v[56:57], v[47:48]
	ds_read2_b64 v[54:57], v49 offset0:35 offset1:36
	s_waitcnt vmcnt(18) lgkmcnt(1)
	v_fma_f64 v[47:48], v[76:77], v[50:51], v[47:48]
	s_waitcnt vmcnt(17)
	v_fma_f64 v[50:51], v[74:75], v[52:53], v[47:48]
	buffer_load_dword v69, off, s[0:3], 0 offset:164
	buffer_load_dword v70, off, s[0:3], 0 offset:176
	;; [unrolled: 1-line block ×6, first 2 shown]
	s_waitcnt vmcnt(22) lgkmcnt(0)
	v_fma_f64 v[50:51], v[72:73], v[54:55], v[50:51]
	s_waitcnt vmcnt(17)
	v_fma_f64 v[58:59], v[58:59], v[56:57], v[50:51]
	ds_read2_b64 v[50:53], v49 offset0:37 offset1:38
	buffer_load_dword v72, off, s[0:3], 0
	buffer_load_dword v73, off, s[0:3], 0 offset:4
	ds_read2_b64 v[54:57], v49 offset0:39 offset1:40
	s_waitcnt vmcnt(18) lgkmcnt(1)
	v_fma_f64 v[50:51], v[82:83], v[50:51], v[58:59]
	s_waitcnt vmcnt(17)
	v_fma_f64 v[50:51], v[80:81], v[52:53], v[50:51]
	s_waitcnt vmcnt(16) lgkmcnt(0)
	v_fma_f64 v[50:51], v[78:79], v[54:55], v[50:51]
	s_waitcnt vmcnt(11)
	v_fma_f64 v[58:59], v[60:61], v[56:57], v[50:51]
	ds_read2_b64 v[50:53], v49 offset0:41 offset1:42
	ds_read2_b64 v[54:57], v49 offset0:43 offset1:44
	s_waitcnt vmcnt(10) lgkmcnt(1)
	v_fma_f64 v[50:51], v[66:67], v[50:51], v[58:59]
	s_waitcnt vmcnt(9)
	v_fma_f64 v[50:51], v[64:65], v[52:53], v[50:51]
	s_waitcnt vmcnt(8) lgkmcnt(0)
	v_fma_f64 v[50:51], v[62:63], v[54:55], v[50:51]
	s_waitcnt vmcnt(4)
	v_fma_f64 v[53:54], v[68:69], v[56:57], v[50:51]
	ds_read2_b64 v[49:52], v49 offset0:45 offset1:46
	s_waitcnt vmcnt(3) lgkmcnt(0)
	v_fma_f64 v[49:50], v[47:48], v[49:50], v[53:54]
	s_waitcnt vmcnt(2)
	v_fma_f64 v[49:50], v[70:71], v[51:52], v[49:50]
	s_waitcnt vmcnt(0)
	v_add_f64 v[49:50], v[72:73], -v[49:50]
	buffer_store_dword v50, off, s[0:3], 0 offset:4
	buffer_store_dword v49, off, s[0:3], 0
	s_cbranch_vccz .LBB86_190
; %bb.146:
	v_mov_b32_e32 v0, 0
	global_load_dword v49, v0, s[12:13] offset:84
	s_waitcnt vmcnt(0)
	v_add_u32_e32 v49, -1, v49
	v_cmp_ne_u32_e32 vcc, 21, v49
	s_cbranch_vccz .LBB86_148
; %bb.147:
	v_lshlrev_b32_e32 v49, 3, v49
	buffer_load_dword v50, v49, s[0:3], 0 offen
	buffer_load_dword v51, v49, s[0:3], 0 offen offset:4
	s_waitcnt vmcnt(1)
	buffer_store_dword v50, off, s[0:3], 0 offset:168
	s_waitcnt vmcnt(1)
	buffer_store_dword v51, off, s[0:3], 0 offset:172
	buffer_store_dword v47, v49, s[0:3], 0 offen
	buffer_store_dword v48, v49, s[0:3], 0 offen offset:4
.LBB86_148:
	global_load_dword v0, v0, s[12:13] offset:80
	s_waitcnt vmcnt(0)
	v_add_u32_e32 v0, -1, v0
	v_cmp_eq_u32_e32 vcc, 20, v0
	s_cbranch_vccnz .LBB86_150
; %bb.149:
	v_lshlrev_b32_e32 v0, 3, v0
	buffer_load_dword v47, v0, s[0:3], 0 offen
	buffer_load_dword v48, v0, s[0:3], 0 offen offset:4
	buffer_load_dword v49, off, s[0:3], 0 offset:164
	buffer_load_dword v50, off, s[0:3], 0 offset:160
	s_waitcnt vmcnt(3)
	buffer_store_dword v47, off, s[0:3], 0 offset:160
	s_waitcnt vmcnt(3)
	buffer_store_dword v48, off, s[0:3], 0 offset:164
	s_waitcnt vmcnt(3)
	buffer_store_dword v49, v0, s[0:3], 0 offen offset:4
	s_waitcnt vmcnt(3)
	buffer_store_dword v50, v0, s[0:3], 0 offen
.LBB86_150:
	v_mov_b32_e32 v0, 0
	global_load_dword v47, v0, s[12:13] offset:76
	s_waitcnt vmcnt(0)
	v_add_u32_e32 v47, -1, v47
	v_cmp_eq_u32_e32 vcc, 19, v47
	s_cbranch_vccnz .LBB86_152
; %bb.151:
	v_lshlrev_b32_e32 v47, 3, v47
	buffer_load_dword v48, v47, s[0:3], 0 offen
	buffer_load_dword v49, v47, s[0:3], 0 offen offset:4
	buffer_load_dword v50, off, s[0:3], 0 offset:152
	buffer_load_dword v51, off, s[0:3], 0 offset:156
	s_waitcnt vmcnt(3)
	buffer_store_dword v48, off, s[0:3], 0 offset:152
	s_waitcnt vmcnt(3)
	buffer_store_dword v49, off, s[0:3], 0 offset:156
	s_waitcnt vmcnt(3)
	buffer_store_dword v50, v47, s[0:3], 0 offen
	s_waitcnt vmcnt(3)
	buffer_store_dword v51, v47, s[0:3], 0 offen offset:4
.LBB86_152:
	global_load_dword v0, v0, s[12:13] offset:72
	s_waitcnt vmcnt(0)
	v_add_u32_e32 v0, -1, v0
	v_cmp_eq_u32_e32 vcc, 18, v0
	s_cbranch_vccnz .LBB86_154
; %bb.153:
	v_lshlrev_b32_e32 v0, 3, v0
	buffer_load_dword v47, v0, s[0:3], 0 offen
	buffer_load_dword v48, v0, s[0:3], 0 offen offset:4
	buffer_load_dword v49, off, s[0:3], 0 offset:148
	buffer_load_dword v50, off, s[0:3], 0 offset:144
	s_waitcnt vmcnt(3)
	buffer_store_dword v47, off, s[0:3], 0 offset:144
	s_waitcnt vmcnt(3)
	buffer_store_dword v48, off, s[0:3], 0 offset:148
	s_waitcnt vmcnt(3)
	buffer_store_dword v49, v0, s[0:3], 0 offen offset:4
	s_waitcnt vmcnt(3)
	buffer_store_dword v50, v0, s[0:3], 0 offen
.LBB86_154:
	v_mov_b32_e32 v0, 0
	global_load_dword v47, v0, s[12:13] offset:68
	s_waitcnt vmcnt(0)
	v_add_u32_e32 v47, -1, v47
	v_cmp_eq_u32_e32 vcc, 17, v47
	s_cbranch_vccnz .LBB86_156
; %bb.155:
	v_lshlrev_b32_e32 v47, 3, v47
	buffer_load_dword v48, v47, s[0:3], 0 offen
	buffer_load_dword v49, v47, s[0:3], 0 offen offset:4
	buffer_load_dword v50, off, s[0:3], 0 offset:136
	buffer_load_dword v51, off, s[0:3], 0 offset:140
	s_waitcnt vmcnt(3)
	buffer_store_dword v48, off, s[0:3], 0 offset:136
	s_waitcnt vmcnt(3)
	buffer_store_dword v49, off, s[0:3], 0 offset:140
	s_waitcnt vmcnt(3)
	buffer_store_dword v50, v47, s[0:3], 0 offen
	s_waitcnt vmcnt(3)
	buffer_store_dword v51, v47, s[0:3], 0 offen offset:4
.LBB86_156:
	;; [unrolled: 41-line block ×10, first 2 shown]
	global_load_dword v0, v0, s[12:13]
	s_nop 0
	buffer_load_dword v49, off, s[0:3], 0
	buffer_load_dword v50, off, s[0:3], 0 offset:4
	s_waitcnt vmcnt(2)
	v_add_u32_e32 v0, -1, v0
	v_cmp_eq_u32_e32 vcc, 0, v0
	s_cbranch_vccnz .LBB86_190
; %bb.189:
	v_lshlrev_b32_e32 v0, 3, v0
	buffer_load_dword v47, v0, s[0:3], 0 offen offset:4
	buffer_load_dword v48, v0, s[0:3], 0 offen
	s_waitcnt vmcnt(1)
	buffer_store_dword v47, off, s[0:3], 0 offset:4
	s_waitcnt vmcnt(1)
	buffer_store_dword v48, off, s[0:3], 0
	buffer_store_dword v50, v0, s[0:3], 0 offen offset:4
	buffer_store_dword v49, v0, s[0:3], 0 offen
	buffer_load_dword v49, off, s[0:3], 0
	s_nop 0
	buffer_load_dword v50, off, s[0:3], 0 offset:4
.LBB86_190:
	s_waitcnt vmcnt(0)
	flat_store_dwordx2 v[1:2], v[49:50]
	buffer_load_dword v0, off, s[0:3], 0 offset:8
	s_nop 0
	buffer_load_dword v1, off, s[0:3], 0 offset:12
	s_waitcnt vmcnt(0)
	flat_store_dwordx2 v[3:4], v[0:1]
	buffer_load_dword v0, off, s[0:3], 0 offset:16
	s_nop 0
	buffer_load_dword v1, off, s[0:3], 0 offset:20
	;; [unrolled: 5-line block ×22, first 2 shown]
	s_waitcnt vmcnt(0)
	flat_store_dwordx2 v[45:46], v[0:1]
	s_endpgm
	.section	.rodata,"a",@progbits
	.p2align	6, 0x0
	.amdhsa_kernel _ZN9rocsolver6v33100L18getri_kernel_smallILi23EdPKPdEEvT1_iilPiilS6_bb
		.amdhsa_group_segment_fixed_size 376
		.amdhsa_private_segment_fixed_size 192
		.amdhsa_kernarg_size 60
		.amdhsa_user_sgpr_count 6
		.amdhsa_user_sgpr_private_segment_buffer 1
		.amdhsa_user_sgpr_dispatch_ptr 0
		.amdhsa_user_sgpr_queue_ptr 0
		.amdhsa_user_sgpr_kernarg_segment_ptr 1
		.amdhsa_user_sgpr_dispatch_id 0
		.amdhsa_user_sgpr_flat_scratch_init 0
		.amdhsa_user_sgpr_private_segment_size 0
		.amdhsa_uses_dynamic_stack 0
		.amdhsa_system_sgpr_private_segment_wavefront_offset 1
		.amdhsa_system_sgpr_workgroup_id_x 1
		.amdhsa_system_sgpr_workgroup_id_y 0
		.amdhsa_system_sgpr_workgroup_id_z 0
		.amdhsa_system_sgpr_workgroup_info 0
		.amdhsa_system_vgpr_workitem_id 0
		.amdhsa_next_free_vgpr 84
		.amdhsa_next_free_sgpr 21
		.amdhsa_reserve_vcc 1
		.amdhsa_reserve_flat_scratch 0
		.amdhsa_float_round_mode_32 0
		.amdhsa_float_round_mode_16_64 0
		.amdhsa_float_denorm_mode_32 3
		.amdhsa_float_denorm_mode_16_64 3
		.amdhsa_dx10_clamp 1
		.amdhsa_ieee_mode 1
		.amdhsa_fp16_overflow 0
		.amdhsa_exception_fp_ieee_invalid_op 0
		.amdhsa_exception_fp_denorm_src 0
		.amdhsa_exception_fp_ieee_div_zero 0
		.amdhsa_exception_fp_ieee_overflow 0
		.amdhsa_exception_fp_ieee_underflow 0
		.amdhsa_exception_fp_ieee_inexact 0
		.amdhsa_exception_int_div_zero 0
	.end_amdhsa_kernel
	.section	.text._ZN9rocsolver6v33100L18getri_kernel_smallILi23EdPKPdEEvT1_iilPiilS6_bb,"axG",@progbits,_ZN9rocsolver6v33100L18getri_kernel_smallILi23EdPKPdEEvT1_iilPiilS6_bb,comdat
.Lfunc_end86:
	.size	_ZN9rocsolver6v33100L18getri_kernel_smallILi23EdPKPdEEvT1_iilPiilS6_bb, .Lfunc_end86-_ZN9rocsolver6v33100L18getri_kernel_smallILi23EdPKPdEEvT1_iilPiilS6_bb
                                        ; -- End function
	.set _ZN9rocsolver6v33100L18getri_kernel_smallILi23EdPKPdEEvT1_iilPiilS6_bb.num_vgpr, 84
	.set _ZN9rocsolver6v33100L18getri_kernel_smallILi23EdPKPdEEvT1_iilPiilS6_bb.num_agpr, 0
	.set _ZN9rocsolver6v33100L18getri_kernel_smallILi23EdPKPdEEvT1_iilPiilS6_bb.numbered_sgpr, 21
	.set _ZN9rocsolver6v33100L18getri_kernel_smallILi23EdPKPdEEvT1_iilPiilS6_bb.num_named_barrier, 0
	.set _ZN9rocsolver6v33100L18getri_kernel_smallILi23EdPKPdEEvT1_iilPiilS6_bb.private_seg_size, 192
	.set _ZN9rocsolver6v33100L18getri_kernel_smallILi23EdPKPdEEvT1_iilPiilS6_bb.uses_vcc, 1
	.set _ZN9rocsolver6v33100L18getri_kernel_smallILi23EdPKPdEEvT1_iilPiilS6_bb.uses_flat_scratch, 0
	.set _ZN9rocsolver6v33100L18getri_kernel_smallILi23EdPKPdEEvT1_iilPiilS6_bb.has_dyn_sized_stack, 0
	.set _ZN9rocsolver6v33100L18getri_kernel_smallILi23EdPKPdEEvT1_iilPiilS6_bb.has_recursion, 0
	.set _ZN9rocsolver6v33100L18getri_kernel_smallILi23EdPKPdEEvT1_iilPiilS6_bb.has_indirect_call, 0
	.section	.AMDGPU.csdata,"",@progbits
; Kernel info:
; codeLenInByte = 19652
; TotalNumSgprs: 25
; NumVgprs: 84
; ScratchSize: 192
; MemoryBound: 0
; FloatMode: 240
; IeeeMode: 1
; LDSByteSize: 376 bytes/workgroup (compile time only)
; SGPRBlocks: 3
; VGPRBlocks: 20
; NumSGPRsForWavesPerEU: 25
; NumVGPRsForWavesPerEU: 84
; Occupancy: 3
; WaveLimiterHint : 1
; COMPUTE_PGM_RSRC2:SCRATCH_EN: 1
; COMPUTE_PGM_RSRC2:USER_SGPR: 6
; COMPUTE_PGM_RSRC2:TRAP_HANDLER: 0
; COMPUTE_PGM_RSRC2:TGID_X_EN: 1
; COMPUTE_PGM_RSRC2:TGID_Y_EN: 0
; COMPUTE_PGM_RSRC2:TGID_Z_EN: 0
; COMPUTE_PGM_RSRC2:TIDIG_COMP_CNT: 0
	.section	.text._ZN9rocsolver6v33100L18getri_kernel_smallILi24EdPKPdEEvT1_iilPiilS6_bb,"axG",@progbits,_ZN9rocsolver6v33100L18getri_kernel_smallILi24EdPKPdEEvT1_iilPiilS6_bb,comdat
	.globl	_ZN9rocsolver6v33100L18getri_kernel_smallILi24EdPKPdEEvT1_iilPiilS6_bb ; -- Begin function _ZN9rocsolver6v33100L18getri_kernel_smallILi24EdPKPdEEvT1_iilPiilS6_bb
	.p2align	8
	.type	_ZN9rocsolver6v33100L18getri_kernel_smallILi24EdPKPdEEvT1_iilPiilS6_bb,@function
_ZN9rocsolver6v33100L18getri_kernel_smallILi24EdPKPdEEvT1_iilPiilS6_bb: ; @_ZN9rocsolver6v33100L18getri_kernel_smallILi24EdPKPdEEvT1_iilPiilS6_bb
; %bb.0:
	s_add_u32 s0, s0, s7
	s_addc_u32 s1, s1, 0
	v_cmp_gt_u32_e32 vcc, 24, v0
	s_and_saveexec_b64 s[8:9], vcc
	s_cbranch_execz .LBB87_104
; %bb.1:
	s_load_dword s18, s[4:5], 0x38
	s_load_dwordx2 s[12:13], s[4:5], 0x0
	s_load_dwordx4 s[8:11], s[4:5], 0x28
	s_waitcnt lgkmcnt(0)
	s_bitcmp1_b32 s18, 8
	s_cselect_b64 s[14:15], -1, 0
	s_ashr_i32 s7, s6, 31
	s_lshl_b64 s[16:17], s[6:7], 3
	s_add_u32 s12, s12, s16
	s_addc_u32 s13, s13, s17
	s_load_dwordx2 s[16:17], s[12:13], 0x0
	s_bfe_u32 s12, s18, 0x10008
	s_cmp_eq_u32 s12, 0
                                        ; implicit-def: $sgpr12_sgpr13
	s_cbranch_scc1 .LBB87_3
; %bb.2:
	s_load_dword s12, s[4:5], 0x20
	s_load_dwordx2 s[18:19], s[4:5], 0x18
	s_mul_i32 s13, s8, s7
	s_mul_hi_u32 s20, s8, s6
	s_add_i32 s20, s20, s13
	s_mul_i32 s9, s9, s6
	s_add_i32 s9, s20, s9
	s_mul_i32 s8, s8, s6
	s_waitcnt lgkmcnt(0)
	s_ashr_i32 s13, s12, 31
	s_lshl_b64 s[8:9], s[8:9], 2
	s_add_u32 s18, s18, s8
	s_addc_u32 s19, s19, s9
	s_lshl_b64 s[8:9], s[12:13], 2
	s_add_u32 s12, s18, s8
	s_addc_u32 s13, s19, s9
.LBB87_3:
	s_load_dwordx2 s[8:9], s[4:5], 0x8
	s_load_dword s18, s[4:5], 0x38
	v_lshlrev_b32_e32 v51, 3, v0
	s_waitcnt lgkmcnt(0)
	s_ashr_i32 s5, s8, 31
	s_mov_b32 s4, s8
	s_lshl_b64 s[4:5], s[4:5], 3
	s_add_u32 s4, s16, s4
	s_addc_u32 s5, s17, s5
	v_mov_b32_e32 v2, s5
	v_add_co_u32_e32 v1, vcc, s4, v51
	v_addc_co_u32_e32 v2, vcc, 0, v2, vcc
	flat_load_dwordx2 v[5:6], v[1:2]
	s_mov_b32 s16, s9
	s_ashr_i32 s17, s9, 31
	s_lshl_b64 s[16:17], s[16:17], 3
	v_mov_b32_e32 v4, s17
	v_add_co_u32_e32 v3, vcc, s16, v1
	v_addc_co_u32_e32 v4, vcc, v2, v4, vcc
	s_add_i32 s8, s9, s9
	v_add_u32_e32 v9, s8, v0
	v_ashrrev_i32_e32 v10, 31, v9
	v_mov_b32_e32 v11, s5
	v_add_u32_e32 v12, s9, v9
	v_ashrrev_i32_e32 v13, 31, v12
	v_mov_b32_e32 v14, s5
	v_mov_b32_e32 v15, s5
	;; [unrolled: 1-line block ×20, first 2 shown]
	s_bitcmp0_b32 s18, 0
	s_waitcnt vmcnt(0) lgkmcnt(0)
	buffer_store_dword v6, off, s[0:3], 0 offset:4
	buffer_store_dword v5, off, s[0:3], 0
	flat_load_dwordx2 v[7:8], v[3:4]
	v_lshlrev_b64 v[5:6], 3, v[9:10]
	s_waitcnt vmcnt(0) lgkmcnt(0)
	buffer_store_dword v8, off, s[0:3], 0 offset:12
	buffer_store_dword v7, off, s[0:3], 0 offset:8
	v_add_co_u32_e32 v5, vcc, s4, v5
	v_addc_co_u32_e32 v6, vcc, v11, v6, vcc
	flat_load_dwordx2 v[10:11], v[5:6]
	v_lshlrev_b64 v[7:8], 3, v[12:13]
	s_waitcnt vmcnt(0) lgkmcnt(0)
	buffer_store_dword v11, off, s[0:3], 0 offset:20
	buffer_store_dword v10, off, s[0:3], 0 offset:16
	v_add_co_u32_e32 v7, vcc, s4, v7
	v_addc_co_u32_e32 v8, vcc, v14, v8, vcc
	flat_load_dwordx2 v[13:14], v[7:8]
	v_add_u32_e32 v11, s9, v12
	v_ashrrev_i32_e32 v12, 31, v11
	v_lshlrev_b64 v[9:10], 3, v[11:12]
	s_waitcnt vmcnt(0) lgkmcnt(0)
	buffer_store_dword v14, off, s[0:3], 0 offset:28
	buffer_store_dword v13, off, s[0:3], 0 offset:24
	v_add_co_u32_e32 v9, vcc, s4, v9
	v_addc_co_u32_e32 v10, vcc, v15, v10, vcc
	flat_load_dwordx2 v[13:14], v[9:10]
	v_add_u32_e32 v15, s9, v11
	v_ashrrev_i32_e32 v16, 31, v15
	v_lshlrev_b64 v[11:12], 3, v[15:16]
	v_add_u32_e32 v18, s9, v15
	v_add_co_u32_e32 v11, vcc, s4, v11
	v_addc_co_u32_e32 v12, vcc, v17, v12, vcc
	v_ashrrev_i32_e32 v19, 31, v18
	s_waitcnt vmcnt(0) lgkmcnt(0)
	buffer_store_dword v14, off, s[0:3], 0 offset:36
	buffer_store_dword v13, off, s[0:3], 0 offset:32
	flat_load_dwordx2 v[16:17], v[11:12]
	v_lshlrev_b64 v[13:14], 3, v[18:19]
	s_waitcnt vmcnt(0) lgkmcnt(0)
	buffer_store_dword v17, off, s[0:3], 0 offset:44
	buffer_store_dword v16, off, s[0:3], 0 offset:40
	v_add_co_u32_e32 v13, vcc, s4, v13
	v_addc_co_u32_e32 v14, vcc, v20, v14, vcc
	flat_load_dwordx2 v[19:20], v[13:14]
	v_add_u32_e32 v17, s9, v18
	v_ashrrev_i32_e32 v18, 31, v17
	v_lshlrev_b64 v[15:16], 3, v[17:18]
	s_waitcnt vmcnt(0) lgkmcnt(0)
	buffer_store_dword v20, off, s[0:3], 0 offset:52
	buffer_store_dword v19, off, s[0:3], 0 offset:48
	v_add_co_u32_e32 v15, vcc, s4, v15
	v_addc_co_u32_e32 v16, vcc, v21, v16, vcc
	flat_load_dwordx2 v[19:20], v[15:16]
	v_add_u32_e32 v21, s9, v17
	v_ashrrev_i32_e32 v22, 31, v21
	v_lshlrev_b64 v[17:18], 3, v[21:22]
	v_add_u32_e32 v24, s9, v21
	v_add_co_u32_e32 v17, vcc, s4, v17
	v_addc_co_u32_e32 v18, vcc, v23, v18, vcc
	v_ashrrev_i32_e32 v25, 31, v24
	s_waitcnt vmcnt(0) lgkmcnt(0)
	buffer_store_dword v20, off, s[0:3], 0 offset:60
	buffer_store_dword v19, off, s[0:3], 0 offset:56
	;; [unrolled: 27-line block ×6, first 2 shown]
	flat_load_dwordx2 v[46:47], v[41:42]
	v_lshlrev_b64 v[43:44], 3, v[48:49]
	s_waitcnt vmcnt(0) lgkmcnt(0)
	buffer_store_dword v47, off, s[0:3], 0 offset:164
	buffer_store_dword v46, off, s[0:3], 0 offset:160
	v_add_co_u32_e32 v43, vcc, s4, v43
	v_addc_co_u32_e32 v44, vcc, v50, v44, vcc
	flat_load_dwordx2 v[49:50], v[43:44]
	v_add_u32_e32 v47, s9, v48
	v_ashrrev_i32_e32 v48, 31, v47
	v_lshlrev_b64 v[45:46], 3, v[47:48]
	v_add_u32_e32 v47, s9, v47
	v_add_co_u32_e32 v45, vcc, s4, v45
	v_addc_co_u32_e32 v46, vcc, v52, v46, vcc
	v_ashrrev_i32_e32 v48, 31, v47
	v_lshlrev_b64 v[47:48], 3, v[47:48]
	s_mov_b64 s[8:9], -1
	v_add_co_u32_e32 v47, vcc, s4, v47
	v_addc_co_u32_e32 v48, vcc, v52, v48, vcc
	s_waitcnt vmcnt(0) lgkmcnt(0)
	buffer_store_dword v50, off, s[0:3], 0 offset:172
	buffer_store_dword v49, off, s[0:3], 0 offset:168
	flat_load_dwordx2 v[49:50], v[45:46]
	s_waitcnt vmcnt(0) lgkmcnt(0)
	buffer_store_dword v50, off, s[0:3], 0 offset:180
	buffer_store_dword v49, off, s[0:3], 0 offset:176
	flat_load_dwordx2 v[49:50], v[47:48]
	s_waitcnt vmcnt(0) lgkmcnt(0)
	buffer_store_dword v50, off, s[0:3], 0 offset:188
	buffer_store_dword v49, off, s[0:3], 0 offset:184
	s_cbranch_scc1 .LBB87_102
; %bb.4:
	v_cmp_eq_u32_e64 s[4:5], 0, v0
	s_and_saveexec_b64 s[8:9], s[4:5]
; %bb.5:
	v_mov_b32_e32 v49, 0
	ds_write_b32 v49, v49 offset:384
; %bb.6:
	s_or_b64 exec, exec, s[8:9]
	v_mov_b32_e32 v49, 0
	v_lshl_add_u32 v49, v0, 3, v49
	s_waitcnt lgkmcnt(0)
	; wave barrier
	buffer_load_dword v52, v49, s[0:3], 0 offen
	buffer_load_dword v53, v49, s[0:3], 0 offen offset:4
	s_waitcnt vmcnt(0)
	v_cmp_eq_f64_e32 vcc, 0, v[52:53]
	s_and_saveexec_b64 s[16:17], vcc
	s_cbranch_execz .LBB87_10
; %bb.7:
	v_mov_b32_e32 v50, 0
	ds_read_b32 v53, v50 offset:384
	v_add_u32_e32 v52, 1, v0
	s_waitcnt lgkmcnt(0)
	v_readfirstlane_b32 s8, v53
	s_cmp_eq_u32 s8, 0
	s_cselect_b64 s[18:19], -1, 0
	v_cmp_gt_i32_e32 vcc, s8, v52
	s_or_b64 s[18:19], s[18:19], vcc
	s_and_b64 exec, exec, s[18:19]
	s_cbranch_execz .LBB87_10
; %bb.8:
	s_mov_b64 s[18:19], 0
	v_mov_b32_e32 v53, s8
.LBB87_9:                               ; =>This Inner Loop Header: Depth=1
	ds_cmpst_rtn_b32 v53, v50, v53, v52 offset:384
	s_waitcnt lgkmcnt(0)
	v_cmp_ne_u32_e32 vcc, 0, v53
	v_cmp_le_i32_e64 s[8:9], v53, v52
	s_and_b64 s[8:9], vcc, s[8:9]
	s_and_b64 s[8:9], exec, s[8:9]
	s_or_b64 s[18:19], s[8:9], s[18:19]
	s_andn2_b64 exec, exec, s[18:19]
	s_cbranch_execnz .LBB87_9
.LBB87_10:
	s_or_b64 exec, exec, s[16:17]
	v_mov_b32_e32 v52, 0
	; wave barrier
	ds_read_b32 v50, v52 offset:384
	s_and_saveexec_b64 s[8:9], s[4:5]
	s_cbranch_execz .LBB87_12
; %bb.11:
	s_lshl_b64 s[16:17], s[6:7], 2
	s_add_u32 s16, s10, s16
	s_addc_u32 s17, s11, s17
	s_waitcnt lgkmcnt(0)
	global_store_dword v52, v50, s[16:17]
.LBB87_12:
	s_or_b64 exec, exec, s[8:9]
	s_waitcnt lgkmcnt(0)
	v_cmp_ne_u32_e32 vcc, 0, v50
	s_mov_b64 s[8:9], 0
	s_cbranch_vccnz .LBB87_102
; %bb.13:
	buffer_load_dword v52, v49, s[0:3], 0 offen
	buffer_load_dword v53, v49, s[0:3], 0 offen offset:4
	s_waitcnt vmcnt(0)
	v_div_scale_f64 v[54:55], s[8:9], v[52:53], v[52:53], 1.0
	v_rcp_f64_e32 v[56:57], v[54:55]
	v_fma_f64 v[58:59], -v[54:55], v[56:57], 1.0
	v_fma_f64 v[56:57], v[56:57], v[58:59], v[56:57]
	v_div_scale_f64 v[58:59], vcc, 1.0, v[52:53], 1.0
	v_fma_f64 v[60:61], -v[54:55], v[56:57], 1.0
	v_fma_f64 v[56:57], v[56:57], v[60:61], v[56:57]
	v_mul_f64 v[60:61], v[58:59], v[56:57]
	v_fma_f64 v[54:55], -v[54:55], v[60:61], v[58:59]
	v_div_fmas_f64 v[54:55], v[54:55], v[56:57], v[60:61]
	v_div_fixup_f64 v[53:54], v[54:55], v[52:53], 1.0
	v_add_u32_e32 v52, 0xc0, v51
	buffer_store_dword v54, v49, s[0:3], 0 offen offset:4
	buffer_store_dword v53, v49, s[0:3], 0 offen
	buffer_load_dword v56, off, s[0:3], 0 offset:12
	buffer_load_dword v55, off, s[0:3], 0 offset:8
	v_xor_b32_e32 v54, 0x80000000, v54
	s_waitcnt vmcnt(0)
	ds_write2_b64 v51, v[53:54], v[55:56] offset1:24
	s_waitcnt lgkmcnt(0)
	; wave barrier
	s_and_saveexec_b64 s[8:9], s[4:5]
	s_cbranch_execz .LBB87_15
; %bb.14:
	buffer_load_dword v53, v49, s[0:3], 0 offen
	buffer_load_dword v54, v49, s[0:3], 0 offen offset:4
	ds_read_b64 v[55:56], v52
	v_mov_b32_e32 v50, 0
	ds_read_b64 v[57:58], v50 offset:8
	s_waitcnt vmcnt(0) lgkmcnt(1)
	v_fma_f64 v[53:54], v[53:54], v[55:56], 0
	s_waitcnt lgkmcnt(0)
	v_mul_f64 v[53:54], v[53:54], v[57:58]
	buffer_store_dword v53, off, s[0:3], 0 offset:8
	buffer_store_dword v54, off, s[0:3], 0 offset:12
.LBB87_15:
	s_or_b64 exec, exec, s[8:9]
	; wave barrier
	buffer_load_dword v53, off, s[0:3], 0 offset:16
	buffer_load_dword v54, off, s[0:3], 0 offset:20
	v_cmp_gt_u32_e32 vcc, 2, v0
	s_waitcnt vmcnt(0)
	ds_write_b64 v52, v[53:54]
	s_waitcnt lgkmcnt(0)
	; wave barrier
	s_and_saveexec_b64 s[8:9], vcc
	s_cbranch_execz .LBB87_17
; %bb.16:
	buffer_load_dword v53, v49, s[0:3], 0 offen
	buffer_load_dword v54, v49, s[0:3], 0 offen offset:4
                                        ; kill: killed $vgpr49
	s_nop 0
	buffer_load_dword v49, off, s[0:3], 0 offset:8
	buffer_load_dword v50, off, s[0:3], 0 offset:12
	ds_read_b64 v[55:56], v52
	s_waitcnt vmcnt(2) lgkmcnt(0)
	v_fma_f64 v[57:58], v[53:54], v[55:56], 0
	v_mov_b32_e32 v53, 0
	ds_read2_b64 v[53:56], v53 offset0:2 offset1:25
	s_waitcnt vmcnt(0) lgkmcnt(0)
	v_fma_f64 v[49:50], v[49:50], v[55:56], v[57:58]
	v_cndmask_b32_e64 v50, v58, v50, s[4:5]
	v_cndmask_b32_e64 v49, v57, v49, s[4:5]
	v_mul_f64 v[49:50], v[49:50], v[53:54]
	buffer_store_dword v50, off, s[0:3], 0 offset:20
	buffer_store_dword v49, off, s[0:3], 0 offset:16
.LBB87_17:
	s_or_b64 exec, exec, s[8:9]
	; wave barrier
	buffer_load_dword v49, off, s[0:3], 0 offset:24
	buffer_load_dword v50, off, s[0:3], 0 offset:28
	v_cmp_gt_u32_e32 vcc, 3, v0
	v_add_u32_e32 v53, -1, v0
	s_waitcnt vmcnt(0)
	ds_write_b64 v52, v[49:50]
	s_waitcnt lgkmcnt(0)
	; wave barrier
	s_and_saveexec_b64 s[4:5], vcc
	s_cbranch_execz .LBB87_21
; %bb.18:
	v_mov_b32_e32 v49, 0
	v_add_u32_e32 v54, -1, v0
	v_add_u32_e32 v55, 0xc0, v51
	v_mov_b32_e32 v56, v51
	v_mov_b32_e32 v50, 0
	s_mov_b64 s[8:9], 0
.LBB87_19:                              ; =>This Inner Loop Header: Depth=1
	buffer_load_dword v57, v56, s[0:3], 0 offen
	buffer_load_dword v58, v56, s[0:3], 0 offen offset:4
	ds_read_b64 v[59:60], v55
	v_add_u32_e32 v54, 1, v54
	v_cmp_lt_u32_e32 vcc, 1, v54
	v_add_u32_e32 v55, 8, v55
	s_or_b64 s[8:9], vcc, s[8:9]
	v_add_u32_e32 v56, 8, v56
	s_waitcnt vmcnt(0) lgkmcnt(0)
	v_fma_f64 v[49:50], v[57:58], v[59:60], v[49:50]
	s_andn2_b64 exec, exec, s[8:9]
	s_cbranch_execnz .LBB87_19
; %bb.20:
	s_or_b64 exec, exec, s[8:9]
	v_mov_b32_e32 v54, 0
	ds_read_b64 v[54:55], v54 offset:24
	s_waitcnt lgkmcnt(0)
	v_mul_f64 v[49:50], v[49:50], v[54:55]
	buffer_store_dword v50, off, s[0:3], 0 offset:28
	buffer_store_dword v49, off, s[0:3], 0 offset:24
.LBB87_21:
	s_or_b64 exec, exec, s[4:5]
	; wave barrier
	buffer_load_dword v49, off, s[0:3], 0 offset:32
	buffer_load_dword v50, off, s[0:3], 0 offset:36
	v_cmp_gt_u32_e32 vcc, 4, v0
	s_waitcnt vmcnt(0)
	ds_write_b64 v52, v[49:50]
	s_waitcnt lgkmcnt(0)
	; wave barrier
	s_and_saveexec_b64 s[4:5], vcc
	s_cbranch_execz .LBB87_25
; %bb.22:
	v_mov_b32_e32 v49, 0
	v_add_u32_e32 v54, -1, v0
	v_add_u32_e32 v55, 0xc0, v51
	v_mov_b32_e32 v56, v51
	v_mov_b32_e32 v50, 0
	s_mov_b64 s[8:9], 0
.LBB87_23:                              ; =>This Inner Loop Header: Depth=1
	buffer_load_dword v57, v56, s[0:3], 0 offen
	buffer_load_dword v58, v56, s[0:3], 0 offen offset:4
	ds_read_b64 v[59:60], v55
	v_add_u32_e32 v54, 1, v54
	v_cmp_lt_u32_e32 vcc, 2, v54
	v_add_u32_e32 v55, 8, v55
	s_or_b64 s[8:9], vcc, s[8:9]
	v_add_u32_e32 v56, 8, v56
	s_waitcnt vmcnt(0) lgkmcnt(0)
	v_fma_f64 v[49:50], v[57:58], v[59:60], v[49:50]
	s_andn2_b64 exec, exec, s[8:9]
	s_cbranch_execnz .LBB87_23
; %bb.24:
	s_or_b64 exec, exec, s[8:9]
	v_mov_b32_e32 v54, 0
	ds_read_b64 v[54:55], v54 offset:32
	s_waitcnt lgkmcnt(0)
	v_mul_f64 v[49:50], v[49:50], v[54:55]
	buffer_store_dword v50, off, s[0:3], 0 offset:36
	buffer_store_dword v49, off, s[0:3], 0 offset:32
.LBB87_25:
	s_or_b64 exec, exec, s[4:5]
	; wave barrier
	buffer_load_dword v49, off, s[0:3], 0 offset:40
	buffer_load_dword v50, off, s[0:3], 0 offset:44
	v_cmp_gt_u32_e32 vcc, 5, v0
	;; [unrolled: 40-line block ×19, first 2 shown]
	s_waitcnt vmcnt(0)
	ds_write_b64 v52, v[49:50]
	s_waitcnt lgkmcnt(0)
	; wave barrier
	s_and_saveexec_b64 s[4:5], vcc
	s_cbranch_execz .LBB87_97
; %bb.94:
	v_mov_b32_e32 v49, 0
	v_add_u32_e32 v54, -1, v0
	v_add_u32_e32 v55, 0xc0, v51
	v_mov_b32_e32 v56, v51
	v_mov_b32_e32 v50, 0
	s_mov_b64 s[8:9], 0
.LBB87_95:                              ; =>This Inner Loop Header: Depth=1
	buffer_load_dword v57, v56, s[0:3], 0 offen
	buffer_load_dword v58, v56, s[0:3], 0 offen offset:4
	ds_read_b64 v[59:60], v55
	v_add_u32_e32 v54, 1, v54
	v_cmp_lt_u32_e32 vcc, 20, v54
	v_add_u32_e32 v55, 8, v55
	s_or_b64 s[8:9], vcc, s[8:9]
	v_add_u32_e32 v56, 8, v56
	s_waitcnt vmcnt(0) lgkmcnt(0)
	v_fma_f64 v[49:50], v[57:58], v[59:60], v[49:50]
	s_andn2_b64 exec, exec, s[8:9]
	s_cbranch_execnz .LBB87_95
; %bb.96:
	s_or_b64 exec, exec, s[8:9]
	v_mov_b32_e32 v54, 0
	ds_read_b64 v[54:55], v54 offset:176
	s_waitcnt lgkmcnt(0)
	v_mul_f64 v[49:50], v[49:50], v[54:55]
	buffer_store_dword v50, off, s[0:3], 0 offset:180
	buffer_store_dword v49, off, s[0:3], 0 offset:176
.LBB87_97:
	s_or_b64 exec, exec, s[4:5]
	; wave barrier
	buffer_load_dword v49, off, s[0:3], 0 offset:184
	buffer_load_dword v50, off, s[0:3], 0 offset:188
	v_cmp_ne_u32_e32 vcc, 23, v0
	s_waitcnt vmcnt(0)
	ds_write_b64 v52, v[49:50]
	s_waitcnt lgkmcnt(0)
	; wave barrier
	s_and_saveexec_b64 s[4:5], vcc
	s_cbranch_execz .LBB87_101
; %bb.98:
	v_mov_b32_e32 v49, 0
	v_add_u32_e32 v52, 0xc0, v51
	v_mov_b32_e32 v50, 0
	s_mov_b64 s[8:9], 0
.LBB87_99:                              ; =>This Inner Loop Header: Depth=1
	buffer_load_dword v54, v51, s[0:3], 0 offen
	buffer_load_dword v55, v51, s[0:3], 0 offen offset:4
	ds_read_b64 v[56:57], v52
	v_add_u32_e32 v53, 1, v53
	v_cmp_lt_u32_e32 vcc, 21, v53
	v_add_u32_e32 v52, 8, v52
	s_or_b64 s[8:9], vcc, s[8:9]
	v_add_u32_e32 v51, 8, v51
	s_waitcnt vmcnt(0) lgkmcnt(0)
	v_fma_f64 v[49:50], v[54:55], v[56:57], v[49:50]
	s_andn2_b64 exec, exec, s[8:9]
	s_cbranch_execnz .LBB87_99
; %bb.100:
	s_or_b64 exec, exec, s[8:9]
	v_mov_b32_e32 v51, 0
	ds_read_b64 v[51:52], v51 offset:184
	s_waitcnt lgkmcnt(0)
	v_mul_f64 v[49:50], v[49:50], v[51:52]
	buffer_store_dword v50, off, s[0:3], 0 offset:188
	buffer_store_dword v49, off, s[0:3], 0 offset:184
.LBB87_101:
	s_or_b64 exec, exec, s[4:5]
	s_mov_b64 s[8:9], -1
	; wave barrier
.LBB87_102:
	s_and_b64 vcc, exec, s[8:9]
	s_cbranch_vccz .LBB87_104
; %bb.103:
	s_lshl_b64 s[4:5], s[6:7], 2
	s_add_u32 s4, s10, s4
	s_addc_u32 s5, s11, s5
	v_mov_b32_e32 v49, 0
	global_load_dword v49, v49, s[4:5]
	s_waitcnt vmcnt(0)
	v_cmp_ne_u32_e32 vcc, 0, v49
	s_cbranch_vccz .LBB87_105
.LBB87_104:
	s_endpgm
.LBB87_105:
	v_mov_b32_e32 v49, 0xc0
	v_lshl_add_u32 v49, v0, 3, v49
	v_cmp_eq_u32_e32 vcc, 23, v0
	s_and_saveexec_b64 s[4:5], vcc
	s_cbranch_execz .LBB87_107
; %bb.106:
	buffer_load_dword v50, off, s[0:3], 0 offset:176
	buffer_load_dword v51, off, s[0:3], 0 offset:180
	v_mov_b32_e32 v52, 0
	buffer_store_dword v52, off, s[0:3], 0 offset:176
	buffer_store_dword v52, off, s[0:3], 0 offset:180
	s_waitcnt vmcnt(2)
	ds_write_b64 v49, v[50:51]
.LBB87_107:
	s_or_b64 exec, exec, s[4:5]
	s_waitcnt lgkmcnt(0)
	; wave barrier
	buffer_load_dword v51, off, s[0:3], 0 offset:184
	buffer_load_dword v52, off, s[0:3], 0 offset:188
	;; [unrolled: 1-line block ×4, first 2 shown]
	v_mov_b32_e32 v50, 0
	ds_read_b64 v[55:56], v50 offset:376
	v_cmp_lt_u32_e32 vcc, 21, v0
	s_waitcnt vmcnt(2) lgkmcnt(0)
	v_fma_f64 v[51:52], v[51:52], v[55:56], 0
	s_waitcnt vmcnt(0)
	v_add_f64 v[51:52], v[53:54], -v[51:52]
	buffer_store_dword v51, off, s[0:3], 0 offset:176
	buffer_store_dword v52, off, s[0:3], 0 offset:180
	s_and_saveexec_b64 s[4:5], vcc
	s_cbranch_execz .LBB87_109
; %bb.108:
	buffer_load_dword v51, off, s[0:3], 0 offset:168
	buffer_load_dword v52, off, s[0:3], 0 offset:172
	s_waitcnt vmcnt(0)
	ds_write_b64 v49, v[51:52]
	buffer_store_dword v50, off, s[0:3], 0 offset:168
	buffer_store_dword v50, off, s[0:3], 0 offset:172
.LBB87_109:
	s_or_b64 exec, exec, s[4:5]
	s_waitcnt lgkmcnt(0)
	; wave barrier
	buffer_load_dword v54, off, s[0:3], 0 offset:176
	buffer_load_dword v55, off, s[0:3], 0 offset:180
	;; [unrolled: 1-line block ×6, first 2 shown]
	ds_read_b128 v[50:53], v50 offset:368
	v_cmp_lt_u32_e32 vcc, 20, v0
	s_waitcnt vmcnt(4) lgkmcnt(0)
	v_fma_f64 v[50:51], v[54:55], v[50:51], 0
	s_waitcnt vmcnt(2)
	v_fma_f64 v[50:51], v[56:57], v[52:53], v[50:51]
	s_waitcnt vmcnt(0)
	v_add_f64 v[50:51], v[58:59], -v[50:51]
	buffer_store_dword v50, off, s[0:3], 0 offset:168
	buffer_store_dword v51, off, s[0:3], 0 offset:172
	s_and_saveexec_b64 s[4:5], vcc
	s_cbranch_execz .LBB87_111
; %bb.110:
	buffer_load_dword v50, off, s[0:3], 0 offset:160
	buffer_load_dword v51, off, s[0:3], 0 offset:164
	v_mov_b32_e32 v52, 0
	buffer_store_dword v52, off, s[0:3], 0 offset:160
	buffer_store_dword v52, off, s[0:3], 0 offset:164
	s_waitcnt vmcnt(2)
	ds_write_b64 v49, v[50:51]
.LBB87_111:
	s_or_b64 exec, exec, s[4:5]
	s_waitcnt lgkmcnt(0)
	; wave barrier
	buffer_load_dword v55, off, s[0:3], 0 offset:168
	buffer_load_dword v56, off, s[0:3], 0 offset:172
	buffer_load_dword v57, off, s[0:3], 0 offset:176
	buffer_load_dword v58, off, s[0:3], 0 offset:180
	buffer_load_dword v59, off, s[0:3], 0 offset:184
	buffer_load_dword v60, off, s[0:3], 0 offset:188
	buffer_load_dword v61, off, s[0:3], 0 offset:160
	buffer_load_dword v62, off, s[0:3], 0 offset:164
	v_mov_b32_e32 v50, 0
	ds_read2_b64 v[51:54], v50 offset0:45 offset1:46
	ds_read_b64 v[63:64], v50 offset:376
	v_cmp_lt_u32_e32 vcc, 19, v0
	s_waitcnt vmcnt(6) lgkmcnt(1)
	v_fma_f64 v[51:52], v[55:56], v[51:52], 0
	s_waitcnt vmcnt(4)
	v_fma_f64 v[51:52], v[57:58], v[53:54], v[51:52]
	s_waitcnt vmcnt(2) lgkmcnt(0)
	v_fma_f64 v[51:52], v[59:60], v[63:64], v[51:52]
	s_waitcnt vmcnt(0)
	v_add_f64 v[51:52], v[61:62], -v[51:52]
	buffer_store_dword v51, off, s[0:3], 0 offset:160
	buffer_store_dword v52, off, s[0:3], 0 offset:164
	s_and_saveexec_b64 s[4:5], vcc
	s_cbranch_execz .LBB87_113
; %bb.112:
	buffer_load_dword v51, off, s[0:3], 0 offset:152
	buffer_load_dword v52, off, s[0:3], 0 offset:156
	s_waitcnt vmcnt(0)
	ds_write_b64 v49, v[51:52]
	buffer_store_dword v50, off, s[0:3], 0 offset:152
	buffer_store_dword v50, off, s[0:3], 0 offset:156
.LBB87_113:
	s_or_b64 exec, exec, s[4:5]
	s_waitcnt lgkmcnt(0)
	; wave barrier
	buffer_load_dword v59, off, s[0:3], 0 offset:160
	buffer_load_dword v60, off, s[0:3], 0 offset:164
	;; [unrolled: 1-line block ×10, first 2 shown]
	ds_read_b128 v[51:54], v50 offset:352
	ds_read_b128 v[55:58], v50 offset:368
	v_cmp_lt_u32_e32 vcc, 18, v0
	s_waitcnt vmcnt(8) lgkmcnt(1)
	v_fma_f64 v[50:51], v[59:60], v[51:52], 0
	s_waitcnt vmcnt(6)
	v_fma_f64 v[50:51], v[61:62], v[53:54], v[50:51]
	s_waitcnt vmcnt(4) lgkmcnt(0)
	v_fma_f64 v[50:51], v[63:64], v[55:56], v[50:51]
	s_waitcnt vmcnt(2)
	v_fma_f64 v[50:51], v[65:66], v[57:58], v[50:51]
	s_waitcnt vmcnt(0)
	v_add_f64 v[50:51], v[67:68], -v[50:51]
	buffer_store_dword v50, off, s[0:3], 0 offset:152
	buffer_store_dword v51, off, s[0:3], 0 offset:156
	s_and_saveexec_b64 s[4:5], vcc
	s_cbranch_execz .LBB87_115
; %bb.114:
	buffer_load_dword v50, off, s[0:3], 0 offset:144
	buffer_load_dword v51, off, s[0:3], 0 offset:148
	v_mov_b32_e32 v52, 0
	buffer_store_dword v52, off, s[0:3], 0 offset:144
	buffer_store_dword v52, off, s[0:3], 0 offset:148
	s_waitcnt vmcnt(2)
	ds_write_b64 v49, v[50:51]
.LBB87_115:
	s_or_b64 exec, exec, s[4:5]
	s_waitcnt lgkmcnt(0)
	; wave barrier
	buffer_load_dword v59, off, s[0:3], 0 offset:152
	buffer_load_dword v60, off, s[0:3], 0 offset:156
	;; [unrolled: 1-line block ×12, first 2 shown]
	v_mov_b32_e32 v50, 0
	ds_read2_b64 v[51:54], v50 offset0:43 offset1:44
	ds_read2_b64 v[55:58], v50 offset0:45 offset1:46
	v_cmp_lt_u32_e32 vcc, 17, v0
	s_waitcnt vmcnt(10) lgkmcnt(1)
	v_fma_f64 v[51:52], v[59:60], v[51:52], 0
	s_waitcnt vmcnt(8)
	v_fma_f64 v[51:52], v[61:62], v[53:54], v[51:52]
	ds_read_b64 v[53:54], v50 offset:376
	s_waitcnt vmcnt(6) lgkmcnt(1)
	v_fma_f64 v[51:52], v[63:64], v[55:56], v[51:52]
	s_waitcnt vmcnt(4)
	v_fma_f64 v[51:52], v[65:66], v[57:58], v[51:52]
	s_waitcnt vmcnt(2) lgkmcnt(0)
	v_fma_f64 v[51:52], v[67:68], v[53:54], v[51:52]
	s_waitcnt vmcnt(0)
	v_add_f64 v[51:52], v[69:70], -v[51:52]
	buffer_store_dword v51, off, s[0:3], 0 offset:144
	buffer_store_dword v52, off, s[0:3], 0 offset:148
	s_and_saveexec_b64 s[4:5], vcc
	s_cbranch_execz .LBB87_117
; %bb.116:
	buffer_load_dword v51, off, s[0:3], 0 offset:136
	buffer_load_dword v52, off, s[0:3], 0 offset:140
	s_waitcnt vmcnt(0)
	ds_write_b64 v49, v[51:52]
	buffer_store_dword v50, off, s[0:3], 0 offset:136
	buffer_store_dword v50, off, s[0:3], 0 offset:140
.LBB87_117:
	s_or_b64 exec, exec, s[4:5]
	s_waitcnt lgkmcnt(0)
	; wave barrier
	buffer_load_dword v59, off, s[0:3], 0 offset:144
	buffer_load_dword v60, off, s[0:3], 0 offset:148
	;; [unrolled: 1-line block ×14, first 2 shown]
	ds_read_b128 v[51:54], v50 offset:336
	ds_read_b128 v[55:58], v50 offset:352
	v_cmp_lt_u32_e32 vcc, 16, v0
	s_waitcnt vmcnt(12) lgkmcnt(1)
	v_fma_f64 v[51:52], v[59:60], v[51:52], 0
	s_waitcnt vmcnt(10)
	v_fma_f64 v[51:52], v[61:62], v[53:54], v[51:52]
	s_waitcnt vmcnt(8) lgkmcnt(0)
	v_fma_f64 v[51:52], v[63:64], v[55:56], v[51:52]
	s_waitcnt vmcnt(6)
	v_fma_f64 v[54:55], v[65:66], v[57:58], v[51:52]
	ds_read_b128 v[50:53], v50 offset:368
	s_waitcnt vmcnt(4) lgkmcnt(0)
	v_fma_f64 v[50:51], v[67:68], v[50:51], v[54:55]
	s_waitcnt vmcnt(2)
	v_fma_f64 v[50:51], v[69:70], v[52:53], v[50:51]
	s_waitcnt vmcnt(0)
	v_add_f64 v[50:51], v[71:72], -v[50:51]
	buffer_store_dword v50, off, s[0:3], 0 offset:136
	buffer_store_dword v51, off, s[0:3], 0 offset:140
	s_and_saveexec_b64 s[4:5], vcc
	s_cbranch_execz .LBB87_119
; %bb.118:
	buffer_load_dword v50, off, s[0:3], 0 offset:128
	buffer_load_dword v51, off, s[0:3], 0 offset:132
	v_mov_b32_e32 v52, 0
	buffer_store_dword v52, off, s[0:3], 0 offset:128
	buffer_store_dword v52, off, s[0:3], 0 offset:132
	s_waitcnt vmcnt(2)
	ds_write_b64 v49, v[50:51]
.LBB87_119:
	s_or_b64 exec, exec, s[4:5]
	s_waitcnt lgkmcnt(0)
	; wave barrier
	buffer_load_dword v59, off, s[0:3], 0 offset:136
	buffer_load_dword v60, off, s[0:3], 0 offset:140
	buffer_load_dword v61, off, s[0:3], 0 offset:144
	buffer_load_dword v62, off, s[0:3], 0 offset:148
	buffer_load_dword v63, off, s[0:3], 0 offset:152
	buffer_load_dword v64, off, s[0:3], 0 offset:156
	buffer_load_dword v65, off, s[0:3], 0 offset:160
	buffer_load_dword v66, off, s[0:3], 0 offset:164
	buffer_load_dword v67, off, s[0:3], 0 offset:168
	buffer_load_dword v68, off, s[0:3], 0 offset:172
	buffer_load_dword v69, off, s[0:3], 0 offset:176
	buffer_load_dword v70, off, s[0:3], 0 offset:180
	buffer_load_dword v71, off, s[0:3], 0 offset:184
	buffer_load_dword v72, off, s[0:3], 0 offset:188
	buffer_load_dword v73, off, s[0:3], 0 offset:128
	buffer_load_dword v74, off, s[0:3], 0 offset:132
	v_mov_b32_e32 v50, 0
	ds_read2_b64 v[51:54], v50 offset0:41 offset1:42
	ds_read2_b64 v[55:58], v50 offset0:43 offset1:44
	v_cmp_lt_u32_e32 vcc, 15, v0
	s_waitcnt vmcnt(14) lgkmcnt(1)
	v_fma_f64 v[51:52], v[59:60], v[51:52], 0
	s_waitcnt vmcnt(12)
	v_fma_f64 v[51:52], v[61:62], v[53:54], v[51:52]
	s_waitcnt vmcnt(10) lgkmcnt(0)
	v_fma_f64 v[51:52], v[63:64], v[55:56], v[51:52]
	s_waitcnt vmcnt(8)
	v_fma_f64 v[55:56], v[65:66], v[57:58], v[51:52]
	ds_read2_b64 v[51:54], v50 offset0:45 offset1:46
	ds_read_b64 v[57:58], v50 offset:376
	s_waitcnt vmcnt(6) lgkmcnt(1)
	v_fma_f64 v[51:52], v[67:68], v[51:52], v[55:56]
	s_waitcnt vmcnt(4)
	v_fma_f64 v[51:52], v[69:70], v[53:54], v[51:52]
	s_waitcnt vmcnt(2) lgkmcnt(0)
	v_fma_f64 v[51:52], v[71:72], v[57:58], v[51:52]
	s_waitcnt vmcnt(0)
	v_add_f64 v[51:52], v[73:74], -v[51:52]
	buffer_store_dword v51, off, s[0:3], 0 offset:128
	buffer_store_dword v52, off, s[0:3], 0 offset:132
	s_and_saveexec_b64 s[4:5], vcc
	s_cbranch_execz .LBB87_121
; %bb.120:
	buffer_load_dword v51, off, s[0:3], 0 offset:120
	buffer_load_dword v52, off, s[0:3], 0 offset:124
	s_waitcnt vmcnt(0)
	ds_write_b64 v49, v[51:52]
	buffer_store_dword v50, off, s[0:3], 0 offset:120
	buffer_store_dword v50, off, s[0:3], 0 offset:124
.LBB87_121:
	s_or_b64 exec, exec, s[4:5]
	s_waitcnt lgkmcnt(0)
	; wave barrier
	buffer_load_dword v59, off, s[0:3], 0 offset:128
	buffer_load_dword v60, off, s[0:3], 0 offset:132
	;; [unrolled: 1-line block ×18, first 2 shown]
	ds_read_b128 v[51:54], v50 offset:320
	ds_read_b128 v[55:58], v50 offset:336
	v_cmp_lt_u32_e32 vcc, 14, v0
	s_waitcnt vmcnt(16) lgkmcnt(1)
	v_fma_f64 v[51:52], v[59:60], v[51:52], 0
	s_waitcnt vmcnt(14)
	v_fma_f64 v[51:52], v[61:62], v[53:54], v[51:52]
	s_waitcnt vmcnt(12) lgkmcnt(0)
	v_fma_f64 v[51:52], v[63:64], v[55:56], v[51:52]
	s_waitcnt vmcnt(10)
	v_fma_f64 v[59:60], v[65:66], v[57:58], v[51:52]
	ds_read_b128 v[51:54], v50 offset:352
	ds_read_b128 v[55:58], v50 offset:368
	s_waitcnt vmcnt(8) lgkmcnt(1)
	v_fma_f64 v[50:51], v[67:68], v[51:52], v[59:60]
	s_waitcnt vmcnt(6)
	v_fma_f64 v[50:51], v[69:70], v[53:54], v[50:51]
	s_waitcnt vmcnt(4) lgkmcnt(0)
	v_fma_f64 v[50:51], v[71:72], v[55:56], v[50:51]
	s_waitcnt vmcnt(2)
	v_fma_f64 v[50:51], v[73:74], v[57:58], v[50:51]
	s_waitcnt vmcnt(0)
	v_add_f64 v[50:51], v[75:76], -v[50:51]
	buffer_store_dword v50, off, s[0:3], 0 offset:120
	buffer_store_dword v51, off, s[0:3], 0 offset:124
	s_and_saveexec_b64 s[4:5], vcc
	s_cbranch_execz .LBB87_123
; %bb.122:
	buffer_load_dword v50, off, s[0:3], 0 offset:112
	buffer_load_dword v51, off, s[0:3], 0 offset:116
	v_mov_b32_e32 v52, 0
	buffer_store_dword v52, off, s[0:3], 0 offset:112
	buffer_store_dword v52, off, s[0:3], 0 offset:116
	s_waitcnt vmcnt(2)
	ds_write_b64 v49, v[50:51]
.LBB87_123:
	s_or_b64 exec, exec, s[4:5]
	s_waitcnt lgkmcnt(0)
	; wave barrier
	buffer_load_dword v59, off, s[0:3], 0 offset:120
	buffer_load_dword v60, off, s[0:3], 0 offset:124
	;; [unrolled: 1-line block ×20, first 2 shown]
	v_mov_b32_e32 v50, 0
	ds_read2_b64 v[51:54], v50 offset0:39 offset1:40
	ds_read2_b64 v[55:58], v50 offset0:41 offset1:42
	v_cmp_lt_u32_e32 vcc, 13, v0
	s_waitcnt vmcnt(18) lgkmcnt(1)
	v_fma_f64 v[51:52], v[59:60], v[51:52], 0
	s_waitcnt vmcnt(16)
	v_fma_f64 v[51:52], v[61:62], v[53:54], v[51:52]
	s_waitcnt vmcnt(14) lgkmcnt(0)
	v_fma_f64 v[51:52], v[63:64], v[55:56], v[51:52]
	s_waitcnt vmcnt(12)
	v_fma_f64 v[59:60], v[65:66], v[57:58], v[51:52]
	ds_read2_b64 v[51:54], v50 offset0:43 offset1:44
	ds_read2_b64 v[55:58], v50 offset0:45 offset1:46
	s_waitcnt vmcnt(10) lgkmcnt(1)
	v_fma_f64 v[51:52], v[67:68], v[51:52], v[59:60]
	s_waitcnt vmcnt(8)
	v_fma_f64 v[51:52], v[69:70], v[53:54], v[51:52]
	ds_read_b64 v[53:54], v50 offset:376
	s_waitcnt vmcnt(6) lgkmcnt(1)
	v_fma_f64 v[51:52], v[71:72], v[55:56], v[51:52]
	s_waitcnt vmcnt(3)
	v_fma_f64 v[51:52], v[73:74], v[57:58], v[51:52]
	s_waitcnt vmcnt(2) lgkmcnt(0)
	v_fma_f64 v[51:52], v[75:76], v[53:54], v[51:52]
	s_waitcnt vmcnt(0)
	v_add_f64 v[51:52], v[77:78], -v[51:52]
	buffer_store_dword v51, off, s[0:3], 0 offset:112
	buffer_store_dword v52, off, s[0:3], 0 offset:116
	s_and_saveexec_b64 s[4:5], vcc
	s_cbranch_execz .LBB87_125
; %bb.124:
	buffer_load_dword v51, off, s[0:3], 0 offset:104
	buffer_load_dword v52, off, s[0:3], 0 offset:108
	s_waitcnt vmcnt(0)
	ds_write_b64 v49, v[51:52]
	buffer_store_dword v50, off, s[0:3], 0 offset:104
	buffer_store_dword v50, off, s[0:3], 0 offset:108
.LBB87_125:
	s_or_b64 exec, exec, s[4:5]
	s_waitcnt lgkmcnt(0)
	; wave barrier
	buffer_load_dword v59, off, s[0:3], 0 offset:112
	buffer_load_dword v60, off, s[0:3], 0 offset:116
	;; [unrolled: 1-line block ×20, first 2 shown]
	ds_read_b128 v[51:54], v50 offset:304
	buffer_load_dword v79, off, s[0:3], 0 offset:104
	buffer_load_dword v80, off, s[0:3], 0 offset:108
	ds_read_b128 v[55:58], v50 offset:320
	v_cmp_lt_u32_e32 vcc, 12, v0
	s_waitcnt vmcnt(20) lgkmcnt(1)
	v_fma_f64 v[51:52], v[59:60], v[51:52], 0
	s_waitcnt vmcnt(18)
	v_fma_f64 v[51:52], v[61:62], v[53:54], v[51:52]
	s_waitcnt vmcnt(16) lgkmcnt(0)
	v_fma_f64 v[51:52], v[63:64], v[55:56], v[51:52]
	s_waitcnt vmcnt(14)
	v_fma_f64 v[59:60], v[65:66], v[57:58], v[51:52]
	ds_read_b128 v[51:54], v50 offset:336
	ds_read_b128 v[55:58], v50 offset:352
	s_waitcnt vmcnt(12) lgkmcnt(1)
	v_fma_f64 v[51:52], v[67:68], v[51:52], v[59:60]
	s_waitcnt vmcnt(10)
	v_fma_f64 v[51:52], v[69:70], v[53:54], v[51:52]
	s_waitcnt vmcnt(8) lgkmcnt(0)
	v_fma_f64 v[51:52], v[71:72], v[55:56], v[51:52]
	s_waitcnt vmcnt(4)
	v_fma_f64 v[54:55], v[73:74], v[57:58], v[51:52]
	ds_read_b128 v[50:53], v50 offset:368
	s_waitcnt vmcnt(3) lgkmcnt(0)
	v_fma_f64 v[50:51], v[77:78], v[50:51], v[54:55]
	s_waitcnt vmcnt(2)
	v_fma_f64 v[50:51], v[75:76], v[52:53], v[50:51]
	s_waitcnt vmcnt(0)
	v_add_f64 v[50:51], v[79:80], -v[50:51]
	buffer_store_dword v50, off, s[0:3], 0 offset:104
	buffer_store_dword v51, off, s[0:3], 0 offset:108
	s_and_saveexec_b64 s[4:5], vcc
	s_cbranch_execz .LBB87_127
; %bb.126:
	buffer_load_dword v50, off, s[0:3], 0 offset:96
	buffer_load_dword v51, off, s[0:3], 0 offset:100
	v_mov_b32_e32 v52, 0
	buffer_store_dword v52, off, s[0:3], 0 offset:96
	buffer_store_dword v52, off, s[0:3], 0 offset:100
	s_waitcnt vmcnt(2)
	ds_write_b64 v49, v[50:51]
.LBB87_127:
	s_or_b64 exec, exec, s[4:5]
	s_waitcnt lgkmcnt(0)
	; wave barrier
	buffer_load_dword v59, off, s[0:3], 0 offset:104
	buffer_load_dword v60, off, s[0:3], 0 offset:108
	buffer_load_dword v61, off, s[0:3], 0 offset:112
	buffer_load_dword v62, off, s[0:3], 0 offset:116
	buffer_load_dword v63, off, s[0:3], 0 offset:120
	buffer_load_dword v64, off, s[0:3], 0 offset:124
	buffer_load_dword v65, off, s[0:3], 0 offset:128
	buffer_load_dword v66, off, s[0:3], 0 offset:132
	buffer_load_dword v67, off, s[0:3], 0 offset:136
	buffer_load_dword v68, off, s[0:3], 0 offset:140
	buffer_load_dword v69, off, s[0:3], 0 offset:144
	buffer_load_dword v70, off, s[0:3], 0 offset:148
	buffer_load_dword v71, off, s[0:3], 0 offset:152
	buffer_load_dword v72, off, s[0:3], 0 offset:156
	buffer_load_dword v74, off, s[0:3], 0 offset:164
	buffer_load_dword v75, off, s[0:3], 0 offset:184
	buffer_load_dword v77, off, s[0:3], 0 offset:176
	buffer_load_dword v79, off, s[0:3], 0 offset:168
	buffer_load_dword v73, off, s[0:3], 0 offset:160
	buffer_load_dword v80, off, s[0:3], 0 offset:172
	buffer_load_dword v78, off, s[0:3], 0 offset:180
	v_mov_b32_e32 v50, 0
	ds_read2_b64 v[51:54], v50 offset0:37 offset1:38
	ds_read2_b64 v[55:58], v50 offset0:39 offset1:40
	buffer_load_dword v76, off, s[0:3], 0 offset:188
	v_cmp_lt_u32_e32 vcc, 11, v0
	s_waitcnt vmcnt(20) lgkmcnt(1)
	v_fma_f64 v[51:52], v[59:60], v[51:52], 0
	buffer_load_dword v59, off, s[0:3], 0 offset:96
	buffer_load_dword v60, off, s[0:3], 0 offset:100
	s_waitcnt vmcnt(20)
	v_fma_f64 v[51:52], v[61:62], v[53:54], v[51:52]
	s_waitcnt vmcnt(18) lgkmcnt(0)
	v_fma_f64 v[51:52], v[63:64], v[55:56], v[51:52]
	s_waitcnt vmcnt(16)
	v_fma_f64 v[61:62], v[65:66], v[57:58], v[51:52]
	ds_read2_b64 v[51:54], v50 offset0:41 offset1:42
	ds_read2_b64 v[55:58], v50 offset0:43 offset1:44
	s_waitcnt vmcnt(14) lgkmcnt(1)
	v_fma_f64 v[51:52], v[67:68], v[51:52], v[61:62]
	s_waitcnt vmcnt(12)
	v_fma_f64 v[51:52], v[69:70], v[53:54], v[51:52]
	s_waitcnt vmcnt(10) lgkmcnt(0)
	v_fma_f64 v[51:52], v[71:72], v[55:56], v[51:52]
	s_waitcnt vmcnt(5)
	v_fma_f64 v[55:56], v[73:74], v[57:58], v[51:52]
	ds_read2_b64 v[51:54], v50 offset0:45 offset1:46
	ds_read_b64 v[57:58], v50 offset:376
	s_waitcnt vmcnt(4) lgkmcnt(1)
	v_fma_f64 v[51:52], v[79:80], v[51:52], v[55:56]
	s_waitcnt vmcnt(3)
	v_fma_f64 v[51:52], v[77:78], v[53:54], v[51:52]
	s_waitcnt vmcnt(2) lgkmcnt(0)
	v_fma_f64 v[51:52], v[75:76], v[57:58], v[51:52]
	s_waitcnt vmcnt(0)
	v_add_f64 v[51:52], v[59:60], -v[51:52]
	buffer_store_dword v52, off, s[0:3], 0 offset:100
	buffer_store_dword v51, off, s[0:3], 0 offset:96
	s_and_saveexec_b64 s[4:5], vcc
	s_cbranch_execz .LBB87_129
; %bb.128:
	buffer_load_dword v51, off, s[0:3], 0 offset:88
	buffer_load_dword v52, off, s[0:3], 0 offset:92
	s_waitcnt vmcnt(0)
	ds_write_b64 v49, v[51:52]
	buffer_store_dword v50, off, s[0:3], 0 offset:88
	buffer_store_dword v50, off, s[0:3], 0 offset:92
.LBB87_129:
	s_or_b64 exec, exec, s[4:5]
	s_waitcnt lgkmcnt(0)
	; wave barrier
	buffer_load_dword v59, off, s[0:3], 0 offset:96
	buffer_load_dword v60, off, s[0:3], 0 offset:100
	;; [unrolled: 1-line block ×21, first 2 shown]
	ds_read_b128 v[51:54], v50 offset:288
	ds_read_b128 v[55:58], v50 offset:304
	buffer_load_dword v76, off, s[0:3], 0 offset:180
	v_cmp_lt_u32_e32 vcc, 10, v0
	s_waitcnt vmcnt(20) lgkmcnt(1)
	v_fma_f64 v[51:52], v[59:60], v[51:52], 0
	buffer_load_dword v60, off, s[0:3], 0 offset:188
	buffer_load_dword v59, off, s[0:3], 0 offset:184
	s_waitcnt vmcnt(20)
	v_fma_f64 v[51:52], v[61:62], v[53:54], v[51:52]
	buffer_load_dword v61, off, s[0:3], 0 offset:88
	buffer_load_dword v62, off, s[0:3], 0 offset:92
	s_waitcnt vmcnt(20) lgkmcnt(0)
	v_fma_f64 v[51:52], v[63:64], v[55:56], v[51:52]
	s_waitcnt vmcnt(18)
	v_fma_f64 v[63:64], v[65:66], v[57:58], v[51:52]
	ds_read_b128 v[51:54], v50 offset:320
	ds_read_b128 v[55:58], v50 offset:336
	s_waitcnt vmcnt(16) lgkmcnt(1)
	v_fma_f64 v[51:52], v[67:68], v[51:52], v[63:64]
	s_waitcnt vmcnt(14)
	v_fma_f64 v[51:52], v[69:70], v[53:54], v[51:52]
	s_waitcnt vmcnt(12) lgkmcnt(0)
	v_fma_f64 v[51:52], v[71:72], v[55:56], v[51:52]
	s_waitcnt vmcnt(7)
	v_fma_f64 v[63:64], v[73:74], v[57:58], v[51:52]
	ds_read_b128 v[51:54], v50 offset:352
	ds_read_b128 v[55:58], v50 offset:368
	s_waitcnt vmcnt(6) lgkmcnt(1)
	v_fma_f64 v[50:51], v[79:80], v[51:52], v[63:64]
	s_waitcnt vmcnt(5)
	v_fma_f64 v[50:51], v[77:78], v[53:54], v[50:51]
	s_waitcnt vmcnt(4) lgkmcnt(0)
	v_fma_f64 v[50:51], v[75:76], v[55:56], v[50:51]
	s_waitcnt vmcnt(2)
	v_fma_f64 v[50:51], v[59:60], v[57:58], v[50:51]
	s_waitcnt vmcnt(0)
	v_add_f64 v[50:51], v[61:62], -v[50:51]
	buffer_store_dword v51, off, s[0:3], 0 offset:92
	buffer_store_dword v50, off, s[0:3], 0 offset:88
	s_and_saveexec_b64 s[4:5], vcc
	s_cbranch_execz .LBB87_131
; %bb.130:
	buffer_load_dword v50, off, s[0:3], 0 offset:80
	buffer_load_dword v51, off, s[0:3], 0 offset:84
	v_mov_b32_e32 v52, 0
	buffer_store_dword v52, off, s[0:3], 0 offset:80
	buffer_store_dword v52, off, s[0:3], 0 offset:84
	s_waitcnt vmcnt(2)
	ds_write_b64 v49, v[50:51]
.LBB87_131:
	s_or_b64 exec, exec, s[4:5]
	s_waitcnt lgkmcnt(0)
	; wave barrier
	buffer_load_dword v59, off, s[0:3], 0 offset:88
	buffer_load_dword v60, off, s[0:3], 0 offset:92
	;; [unrolled: 1-line block ×21, first 2 shown]
	v_mov_b32_e32 v50, 0
	ds_read2_b64 v[51:54], v50 offset0:35 offset1:36
	ds_read2_b64 v[55:58], v50 offset0:37 offset1:38
	buffer_load_dword v76, off, s[0:3], 0 offset:172
	v_cmp_lt_u32_e32 vcc, 9, v0
	s_waitcnt vmcnt(20) lgkmcnt(1)
	v_fma_f64 v[51:52], v[59:60], v[51:52], 0
	s_waitcnt vmcnt(18)
	v_fma_f64 v[51:52], v[61:62], v[53:54], v[51:52]
	buffer_load_dword v60, off, s[0:3], 0 offset:180
	buffer_load_dword v61, off, s[0:3], 0 offset:184
	buffer_load_dword v59, off, s[0:3], 0 offset:176
	buffer_load_dword v62, off, s[0:3], 0 offset:188
	s_waitcnt vmcnt(20) lgkmcnt(0)
	v_fma_f64 v[51:52], v[63:64], v[55:56], v[51:52]
	buffer_load_dword v63, off, s[0:3], 0 offset:80
	buffer_load_dword v64, off, s[0:3], 0 offset:84
	s_waitcnt vmcnt(20)
	v_fma_f64 v[65:66], v[65:66], v[57:58], v[51:52]
	ds_read2_b64 v[51:54], v50 offset0:39 offset1:40
	ds_read2_b64 v[55:58], v50 offset0:41 offset1:42
	s_waitcnt vmcnt(18) lgkmcnt(1)
	v_fma_f64 v[51:52], v[67:68], v[51:52], v[65:66]
	s_waitcnt vmcnt(16)
	v_fma_f64 v[51:52], v[69:70], v[53:54], v[51:52]
	s_waitcnt vmcnt(14) lgkmcnt(0)
	v_fma_f64 v[51:52], v[71:72], v[55:56], v[51:52]
	s_waitcnt vmcnt(9)
	v_fma_f64 v[65:66], v[73:74], v[57:58], v[51:52]
	ds_read2_b64 v[51:54], v50 offset0:43 offset1:44
	ds_read2_b64 v[55:58], v50 offset0:45 offset1:46
	s_waitcnt vmcnt(8) lgkmcnt(1)
	v_fma_f64 v[51:52], v[79:80], v[51:52], v[65:66]
	s_waitcnt vmcnt(7)
	v_fma_f64 v[51:52], v[77:78], v[53:54], v[51:52]
	ds_read_b64 v[53:54], v50 offset:376
	s_waitcnt vmcnt(6) lgkmcnt(1)
	v_fma_f64 v[51:52], v[75:76], v[55:56], v[51:52]
	s_waitcnt vmcnt(3)
	v_fma_f64 v[51:52], v[59:60], v[57:58], v[51:52]
	s_waitcnt vmcnt(2) lgkmcnt(0)
	v_fma_f64 v[51:52], v[61:62], v[53:54], v[51:52]
	s_waitcnt vmcnt(0)
	v_add_f64 v[51:52], v[63:64], -v[51:52]
	buffer_store_dword v52, off, s[0:3], 0 offset:84
	buffer_store_dword v51, off, s[0:3], 0 offset:80
	s_and_saveexec_b64 s[4:5], vcc
	s_cbranch_execz .LBB87_133
; %bb.132:
	buffer_load_dword v51, off, s[0:3], 0 offset:72
	buffer_load_dword v52, off, s[0:3], 0 offset:76
	s_waitcnt vmcnt(0)
	ds_write_b64 v49, v[51:52]
	buffer_store_dword v50, off, s[0:3], 0 offset:72
	buffer_store_dword v50, off, s[0:3], 0 offset:76
.LBB87_133:
	s_or_b64 exec, exec, s[4:5]
	s_waitcnt lgkmcnt(0)
	; wave barrier
	buffer_load_dword v55, off, s[0:3], 0 offset:80
	buffer_load_dword v56, off, s[0:3], 0 offset:84
	;; [unrolled: 1-line block ×20, first 2 shown]
	ds_read_b128 v[51:54], v50 offset:272
	buffer_load_dword v75, off, s[0:3], 0 offset:160
	buffer_load_dword v76, off, s[0:3], 0 offset:164
	v_cmp_lt_u32_e32 vcc, 8, v0
	s_waitcnt vmcnt(20) lgkmcnt(0)
	v_fma_f64 v[51:52], v[55:56], v[51:52], 0
	buffer_load_dword v56, off, s[0:3], 0 offset:172
	buffer_load_dword v55, off, s[0:3], 0 offset:168
	s_waitcnt vmcnt(20)
	v_fma_f64 v[57:58], v[57:58], v[53:54], v[51:52]
	ds_read_b128 v[51:54], v50 offset:288
	buffer_load_dword v77, off, s[0:3], 0 offset:176
	buffer_load_dword v78, off, s[0:3], 0 offset:180
	s_waitcnt vmcnt(20) lgkmcnt(0)
	v_fma_f64 v[51:52], v[59:60], v[51:52], v[57:58]
	buffer_load_dword v57, off, s[0:3], 0 offset:184
	buffer_load_dword v58, off, s[0:3], 0 offset:188
	s_waitcnt vmcnt(20)
	v_fma_f64 v[59:60], v[61:62], v[53:54], v[51:52]
	ds_read_b128 v[51:54], v50 offset:304
	buffer_load_dword v61, off, s[0:3], 0 offset:72
	buffer_load_dword v62, off, s[0:3], 0 offset:76
	s_waitcnt vmcnt(20) lgkmcnt(0)
	v_fma_f64 v[51:52], v[63:64], v[51:52], v[59:60]
	s_waitcnt vmcnt(18)
	v_fma_f64 v[59:60], v[65:66], v[53:54], v[51:52]
	ds_read_b128 v[51:54], v50 offset:320
	s_waitcnt vmcnt(16) lgkmcnt(0)
	v_fma_f64 v[51:52], v[67:68], v[51:52], v[59:60]
	s_waitcnt vmcnt(14)
	v_fma_f64 v[59:60], v[69:70], v[53:54], v[51:52]
	ds_read_b128 v[51:54], v50 offset:336
	;; [unrolled: 5-line block ×4, first 2 shown]
	s_waitcnt vmcnt(4) lgkmcnt(0)
	v_fma_f64 v[50:51], v[77:78], v[50:51], v[54:55]
	s_waitcnt vmcnt(2)
	v_fma_f64 v[50:51], v[57:58], v[52:53], v[50:51]
	s_waitcnt vmcnt(0)
	v_add_f64 v[50:51], v[61:62], -v[50:51]
	buffer_store_dword v51, off, s[0:3], 0 offset:76
	buffer_store_dword v50, off, s[0:3], 0 offset:72
	s_and_saveexec_b64 s[4:5], vcc
	s_cbranch_execz .LBB87_135
; %bb.134:
	buffer_load_dword v50, off, s[0:3], 0 offset:64
	buffer_load_dword v51, off, s[0:3], 0 offset:68
	v_mov_b32_e32 v52, 0
	buffer_store_dword v52, off, s[0:3], 0 offset:64
	buffer_store_dword v52, off, s[0:3], 0 offset:68
	s_waitcnt vmcnt(2)
	ds_write_b64 v49, v[50:51]
.LBB87_135:
	s_or_b64 exec, exec, s[4:5]
	s_waitcnt lgkmcnt(0)
	; wave barrier
	buffer_load_dword v55, off, s[0:3], 0 offset:72
	buffer_load_dword v56, off, s[0:3], 0 offset:76
	;; [unrolled: 1-line block ×20, first 2 shown]
	v_mov_b32_e32 v50, 0
	ds_read2_b64 v[51:54], v50 offset0:33 offset1:34
	buffer_load_dword v75, off, s[0:3], 0 offset:152
	buffer_load_dword v76, off, s[0:3], 0 offset:156
	v_cmp_lt_u32_e32 vcc, 7, v0
	s_waitcnt vmcnt(20) lgkmcnt(0)
	v_fma_f64 v[51:52], v[55:56], v[51:52], 0
	buffer_load_dword v56, off, s[0:3], 0 offset:164
	buffer_load_dword v55, off, s[0:3], 0 offset:160
	s_waitcnt vmcnt(20)
	v_fma_f64 v[57:58], v[57:58], v[53:54], v[51:52]
	ds_read2_b64 v[51:54], v50 offset0:35 offset1:36
	buffer_load_dword v77, off, s[0:3], 0 offset:168
	buffer_load_dword v78, off, s[0:3], 0 offset:172
	s_waitcnt vmcnt(20) lgkmcnt(0)
	v_fma_f64 v[51:52], v[59:60], v[51:52], v[57:58]
	buffer_load_dword v57, off, s[0:3], 0 offset:176
	buffer_load_dword v58, off, s[0:3], 0 offset:180
	s_waitcnt vmcnt(20)
	v_fma_f64 v[59:60], v[61:62], v[53:54], v[51:52]
	ds_read2_b64 v[51:54], v50 offset0:37 offset1:38
	buffer_load_dword v61, off, s[0:3], 0 offset:184
	buffer_load_dword v62, off, s[0:3], 0 offset:188
	s_waitcnt vmcnt(20) lgkmcnt(0)
	v_fma_f64 v[51:52], v[63:64], v[51:52], v[59:60]
	buffer_load_dword v59, off, s[0:3], 0 offset:64
	buffer_load_dword v60, off, s[0:3], 0 offset:68
	s_waitcnt vmcnt(20)
	v_fma_f64 v[63:64], v[65:66], v[53:54], v[51:52]
	ds_read2_b64 v[51:54], v50 offset0:39 offset1:40
	s_waitcnt vmcnt(18) lgkmcnt(0)
	v_fma_f64 v[51:52], v[67:68], v[51:52], v[63:64]
	s_waitcnt vmcnt(16)
	v_fma_f64 v[63:64], v[69:70], v[53:54], v[51:52]
	ds_read2_b64 v[51:54], v50 offset0:41 offset1:42
	s_waitcnt vmcnt(14) lgkmcnt(0)
	v_fma_f64 v[51:52], v[71:72], v[51:52], v[63:64]
	;; [unrolled: 5-line block ×4, first 2 shown]
	s_waitcnt vmcnt(4)
	v_fma_f64 v[51:52], v[57:58], v[53:54], v[51:52]
	ds_read_b64 v[53:54], v50 offset:376
	s_waitcnt vmcnt(2) lgkmcnt(0)
	v_fma_f64 v[51:52], v[61:62], v[53:54], v[51:52]
	s_waitcnt vmcnt(0)
	v_add_f64 v[51:52], v[59:60], -v[51:52]
	buffer_store_dword v52, off, s[0:3], 0 offset:68
	buffer_store_dword v51, off, s[0:3], 0 offset:64
	s_and_saveexec_b64 s[4:5], vcc
	s_cbranch_execz .LBB87_137
; %bb.136:
	buffer_load_dword v51, off, s[0:3], 0 offset:56
	buffer_load_dword v52, off, s[0:3], 0 offset:60
	s_waitcnt vmcnt(0)
	ds_write_b64 v49, v[51:52]
	buffer_store_dword v50, off, s[0:3], 0 offset:56
	buffer_store_dword v50, off, s[0:3], 0 offset:60
.LBB87_137:
	s_or_b64 exec, exec, s[4:5]
	s_waitcnt lgkmcnt(0)
	; wave barrier
	buffer_load_dword v55, off, s[0:3], 0 offset:64
	buffer_load_dword v56, off, s[0:3], 0 offset:68
	;; [unrolled: 1-line block ×20, first 2 shown]
	ds_read_b128 v[51:54], v50 offset:256
	buffer_load_dword v75, off, s[0:3], 0 offset:144
	buffer_load_dword v76, off, s[0:3], 0 offset:148
	v_cmp_lt_u32_e32 vcc, 6, v0
	s_waitcnt vmcnt(20) lgkmcnt(0)
	v_fma_f64 v[51:52], v[55:56], v[51:52], 0
	buffer_load_dword v56, off, s[0:3], 0 offset:156
	buffer_load_dword v55, off, s[0:3], 0 offset:152
	s_waitcnt vmcnt(20)
	v_fma_f64 v[57:58], v[57:58], v[53:54], v[51:52]
	ds_read_b128 v[51:54], v50 offset:272
	buffer_load_dword v77, off, s[0:3], 0 offset:160
	buffer_load_dword v78, off, s[0:3], 0 offset:164
	s_waitcnt vmcnt(20) lgkmcnt(0)
	v_fma_f64 v[51:52], v[59:60], v[51:52], v[57:58]
	buffer_load_dword v57, off, s[0:3], 0 offset:168
	buffer_load_dword v58, off, s[0:3], 0 offset:172
	s_waitcnt vmcnt(20)
	v_fma_f64 v[59:60], v[61:62], v[53:54], v[51:52]
	ds_read_b128 v[51:54], v50 offset:288
	buffer_load_dword v61, off, s[0:3], 0 offset:176
	buffer_load_dword v62, off, s[0:3], 0 offset:180
	;; [unrolled: 9-line block ×3, first 2 shown]
	s_waitcnt vmcnt(20) lgkmcnt(0)
	v_fma_f64 v[51:52], v[67:68], v[51:52], v[63:64]
	s_waitcnt vmcnt(18)
	v_fma_f64 v[63:64], v[69:70], v[53:54], v[51:52]
	ds_read_b128 v[51:54], v50 offset:320
	s_waitcnt vmcnt(16) lgkmcnt(0)
	v_fma_f64 v[51:52], v[71:72], v[51:52], v[63:64]
	s_waitcnt vmcnt(14)
	v_fma_f64 v[63:64], v[73:74], v[53:54], v[51:52]
	ds_read_b128 v[51:54], v50 offset:336
	s_waitcnt vmcnt(12) lgkmcnt(0)
	v_fma_f64 v[51:52], v[75:76], v[51:52], v[63:64]
	s_waitcnt vmcnt(10)
	v_fma_f64 v[55:56], v[55:56], v[53:54], v[51:52]
	ds_read_b128 v[51:54], v50 offset:352
	s_waitcnt vmcnt(8) lgkmcnt(0)
	v_fma_f64 v[51:52], v[77:78], v[51:52], v[55:56]
	s_waitcnt vmcnt(6)
	v_fma_f64 v[54:55], v[57:58], v[53:54], v[51:52]
	ds_read_b128 v[50:53], v50 offset:368
	s_waitcnt vmcnt(4) lgkmcnt(0)
	v_fma_f64 v[50:51], v[61:62], v[50:51], v[54:55]
	s_waitcnt vmcnt(2)
	v_fma_f64 v[50:51], v[59:60], v[52:53], v[50:51]
	s_waitcnt vmcnt(0)
	v_add_f64 v[50:51], v[65:66], -v[50:51]
	buffer_store_dword v51, off, s[0:3], 0 offset:60
	buffer_store_dword v50, off, s[0:3], 0 offset:56
	s_and_saveexec_b64 s[4:5], vcc
	s_cbranch_execz .LBB87_139
; %bb.138:
	buffer_load_dword v50, off, s[0:3], 0 offset:48
	buffer_load_dword v51, off, s[0:3], 0 offset:52
	v_mov_b32_e32 v52, 0
	buffer_store_dword v52, off, s[0:3], 0 offset:48
	buffer_store_dword v52, off, s[0:3], 0 offset:52
	s_waitcnt vmcnt(2)
	ds_write_b64 v49, v[50:51]
.LBB87_139:
	s_or_b64 exec, exec, s[4:5]
	s_waitcnt lgkmcnt(0)
	; wave barrier
	buffer_load_dword v59, off, s[0:3], 0 offset:56
	buffer_load_dword v60, off, s[0:3], 0 offset:60
	;; [unrolled: 1-line block ×22, first 2 shown]
	v_mov_b32_e32 v50, 0
	ds_read2_b64 v[51:54], v50 offset0:31 offset1:32
	ds_read2_b64 v[55:58], v50 offset0:33 offset1:34
	v_cmp_lt_u32_e32 vcc, 5, v0
	s_waitcnt vmcnt(20) lgkmcnt(1)
	v_fma_f64 v[51:52], v[59:60], v[51:52], 0
	s_waitcnt vmcnt(18)
	v_fma_f64 v[51:52], v[61:62], v[53:54], v[51:52]
	buffer_load_dword v60, off, s[0:3], 0 offset:148
	buffer_load_dword v61, off, s[0:3], 0 offset:168
	;; [unrolled: 1-line block ×7, first 2 shown]
	s_waitcnt vmcnt(23) lgkmcnt(0)
	v_fma_f64 v[51:52], v[63:64], v[55:56], v[51:52]
	s_waitcnt vmcnt(21)
	v_fma_f64 v[62:63], v[65:66], v[57:58], v[51:52]
	ds_read2_b64 v[51:54], v50 offset0:35 offset1:36
	ds_read2_b64 v[55:58], v50 offset0:37 offset1:38
	s_waitcnt vmcnt(19) lgkmcnt(1)
	v_fma_f64 v[51:52], v[67:68], v[51:52], v[62:63]
	buffer_load_dword v62, off, s[0:3], 0 offset:172
	buffer_load_dword v64, off, s[0:3], 0 offset:180
	;; [unrolled: 1-line block ×7, first 2 shown]
	s_waitcnt vmcnt(24)
	v_fma_f64 v[51:52], v[69:70], v[53:54], v[51:52]
	s_waitcnt vmcnt(22) lgkmcnt(0)
	v_fma_f64 v[51:52], v[71:72], v[55:56], v[51:52]
	s_waitcnt vmcnt(17)
	v_fma_f64 v[69:70], v[73:74], v[57:58], v[51:52]
	ds_read2_b64 v[51:54], v50 offset0:39 offset1:40
	ds_read2_b64 v[55:58], v50 offset0:41 offset1:42
	s_waitcnt vmcnt(16) lgkmcnt(1)
	v_fma_f64 v[51:52], v[79:80], v[51:52], v[69:70]
	s_waitcnt vmcnt(15)
	v_fma_f64 v[51:52], v[77:78], v[53:54], v[51:52]
	s_waitcnt vmcnt(14) lgkmcnt(0)
	v_fma_f64 v[51:52], v[75:76], v[55:56], v[51:52]
	s_waitcnt vmcnt(9)
	v_fma_f64 v[59:60], v[59:60], v[57:58], v[51:52]
	ds_read2_b64 v[51:54], v50 offset0:43 offset1:44
	ds_read2_b64 v[55:58], v50 offset0:45 offset1:46
	s_waitcnt vmcnt(8) lgkmcnt(1)
	v_fma_f64 v[51:52], v[83:84], v[51:52], v[59:60]
	s_waitcnt vmcnt(7)
	v_fma_f64 v[51:52], v[81:82], v[53:54], v[51:52]
	ds_read_b64 v[53:54], v50 offset:376
	s_waitcnt vmcnt(6) lgkmcnt(1)
	v_fma_f64 v[51:52], v[61:62], v[55:56], v[51:52]
	s_waitcnt vmcnt(3)
	v_fma_f64 v[51:52], v[63:64], v[57:58], v[51:52]
	s_waitcnt vmcnt(2) lgkmcnt(0)
	v_fma_f64 v[51:52], v[65:66], v[53:54], v[51:52]
	s_waitcnt vmcnt(0)
	v_add_f64 v[51:52], v[67:68], -v[51:52]
	buffer_store_dword v52, off, s[0:3], 0 offset:52
	buffer_store_dword v51, off, s[0:3], 0 offset:48
	s_and_saveexec_b64 s[4:5], vcc
	s_cbranch_execz .LBB87_141
; %bb.140:
	buffer_load_dword v51, off, s[0:3], 0 offset:40
	buffer_load_dword v52, off, s[0:3], 0 offset:44
	s_waitcnt vmcnt(0)
	ds_write_b64 v49, v[51:52]
	buffer_store_dword v50, off, s[0:3], 0 offset:40
	buffer_store_dword v50, off, s[0:3], 0 offset:44
.LBB87_141:
	s_or_b64 exec, exec, s[4:5]
	s_waitcnt lgkmcnt(0)
	; wave barrier
	buffer_load_dword v55, off, s[0:3], 0 offset:48
	buffer_load_dword v56, off, s[0:3], 0 offset:52
	;; [unrolled: 1-line block ×20, first 2 shown]
	ds_read_b128 v[51:54], v50 offset:240
	buffer_load_dword v75, off, s[0:3], 0 offset:128
	buffer_load_dword v76, off, s[0:3], 0 offset:132
	v_cmp_lt_u32_e32 vcc, 4, v0
	s_waitcnt vmcnt(20) lgkmcnt(0)
	v_fma_f64 v[51:52], v[55:56], v[51:52], 0
	buffer_load_dword v56, off, s[0:3], 0 offset:140
	buffer_load_dword v55, off, s[0:3], 0 offset:136
	s_waitcnt vmcnt(20)
	v_fma_f64 v[57:58], v[57:58], v[53:54], v[51:52]
	ds_read_b128 v[51:54], v50 offset:256
	buffer_load_dword v77, off, s[0:3], 0 offset:144
	buffer_load_dword v78, off, s[0:3], 0 offset:148
	s_waitcnt vmcnt(20) lgkmcnt(0)
	v_fma_f64 v[51:52], v[59:60], v[51:52], v[57:58]
	buffer_load_dword v57, off, s[0:3], 0 offset:152
	buffer_load_dword v58, off, s[0:3], 0 offset:156
	s_waitcnt vmcnt(20)
	v_fma_f64 v[59:60], v[61:62], v[53:54], v[51:52]
	ds_read_b128 v[51:54], v50 offset:272
	buffer_load_dword v61, off, s[0:3], 0 offset:160
	buffer_load_dword v62, off, s[0:3], 0 offset:164
	;; [unrolled: 9-line block ×4, first 2 shown]
	s_waitcnt vmcnt(20) lgkmcnt(0)
	v_fma_f64 v[51:52], v[71:72], v[51:52], v[67:68]
	s_waitcnt vmcnt(18)
	v_fma_f64 v[67:68], v[73:74], v[53:54], v[51:52]
	ds_read_b128 v[51:54], v50 offset:320
	s_waitcnt vmcnt(16) lgkmcnt(0)
	v_fma_f64 v[51:52], v[75:76], v[51:52], v[67:68]
	s_waitcnt vmcnt(14)
	v_fma_f64 v[55:56], v[55:56], v[53:54], v[51:52]
	ds_read_b128 v[51:54], v50 offset:336
	;; [unrolled: 5-line block ×4, first 2 shown]
	s_waitcnt vmcnt(4) lgkmcnt(0)
	v_fma_f64 v[50:51], v[65:66], v[50:51], v[54:55]
	s_waitcnt vmcnt(2)
	v_fma_f64 v[50:51], v[63:64], v[52:53], v[50:51]
	s_waitcnt vmcnt(0)
	v_add_f64 v[50:51], v[69:70], -v[50:51]
	buffer_store_dword v51, off, s[0:3], 0 offset:44
	buffer_store_dword v50, off, s[0:3], 0 offset:40
	s_and_saveexec_b64 s[4:5], vcc
	s_cbranch_execz .LBB87_143
; %bb.142:
	buffer_load_dword v50, off, s[0:3], 0 offset:32
	buffer_load_dword v51, off, s[0:3], 0 offset:36
	v_mov_b32_e32 v52, 0
	buffer_store_dword v52, off, s[0:3], 0 offset:32
	buffer_store_dword v52, off, s[0:3], 0 offset:36
	s_waitcnt vmcnt(2)
	ds_write_b64 v49, v[50:51]
.LBB87_143:
	s_or_b64 exec, exec, s[4:5]
	s_waitcnt lgkmcnt(0)
	; wave barrier
	buffer_load_dword v55, off, s[0:3], 0 offset:40
	buffer_load_dword v56, off, s[0:3], 0 offset:44
	;; [unrolled: 1-line block ×20, first 2 shown]
	v_mov_b32_e32 v50, 0
	ds_read2_b64 v[51:54], v50 offset0:29 offset1:30
	buffer_load_dword v75, off, s[0:3], 0 offset:120
	buffer_load_dword v76, off, s[0:3], 0 offset:124
	v_cmp_lt_u32_e32 vcc, 3, v0
	s_waitcnt vmcnt(20) lgkmcnt(0)
	v_fma_f64 v[51:52], v[55:56], v[51:52], 0
	buffer_load_dword v56, off, s[0:3], 0 offset:132
	buffer_load_dword v55, off, s[0:3], 0 offset:128
	s_waitcnt vmcnt(20)
	v_fma_f64 v[57:58], v[57:58], v[53:54], v[51:52]
	ds_read2_b64 v[51:54], v50 offset0:31 offset1:32
	buffer_load_dword v77, off, s[0:3], 0 offset:136
	buffer_load_dword v78, off, s[0:3], 0 offset:140
	s_waitcnt vmcnt(20) lgkmcnt(0)
	v_fma_f64 v[51:52], v[59:60], v[51:52], v[57:58]
	buffer_load_dword v57, off, s[0:3], 0 offset:144
	buffer_load_dword v58, off, s[0:3], 0 offset:148
	s_waitcnt vmcnt(20)
	v_fma_f64 v[59:60], v[61:62], v[53:54], v[51:52]
	ds_read2_b64 v[51:54], v50 offset0:33 offset1:34
	buffer_load_dword v61, off, s[0:3], 0 offset:152
	buffer_load_dword v62, off, s[0:3], 0 offset:156
	;; [unrolled: 9-line block ×4, first 2 shown]
	s_waitcnt vmcnt(20) lgkmcnt(0)
	v_fma_f64 v[51:52], v[71:72], v[51:52], v[67:68]
	buffer_load_dword v67, off, s[0:3], 0 offset:32
	buffer_load_dword v68, off, s[0:3], 0 offset:36
	s_waitcnt vmcnt(20)
	v_fma_f64 v[71:72], v[73:74], v[53:54], v[51:52]
	ds_read2_b64 v[51:54], v50 offset0:39 offset1:40
	s_waitcnt vmcnt(18) lgkmcnt(0)
	v_fma_f64 v[51:52], v[75:76], v[51:52], v[71:72]
	s_waitcnt vmcnt(16)
	v_fma_f64 v[55:56], v[55:56], v[53:54], v[51:52]
	ds_read2_b64 v[51:54], v50 offset0:41 offset1:42
	s_waitcnt vmcnt(14) lgkmcnt(0)
	v_fma_f64 v[51:52], v[77:78], v[51:52], v[55:56]
	;; [unrolled: 5-line block ×4, first 2 shown]
	s_waitcnt vmcnt(4)
	v_fma_f64 v[51:52], v[63:64], v[53:54], v[51:52]
	ds_read_b64 v[53:54], v50 offset:376
	s_waitcnt vmcnt(2) lgkmcnt(0)
	v_fma_f64 v[51:52], v[69:70], v[53:54], v[51:52]
	s_waitcnt vmcnt(0)
	v_add_f64 v[51:52], v[67:68], -v[51:52]
	buffer_store_dword v52, off, s[0:3], 0 offset:36
	buffer_store_dword v51, off, s[0:3], 0 offset:32
	s_and_saveexec_b64 s[4:5], vcc
	s_cbranch_execz .LBB87_145
; %bb.144:
	buffer_load_dword v51, off, s[0:3], 0 offset:24
	buffer_load_dword v52, off, s[0:3], 0 offset:28
	s_waitcnt vmcnt(0)
	ds_write_b64 v49, v[51:52]
	buffer_store_dword v50, off, s[0:3], 0 offset:24
	buffer_store_dword v50, off, s[0:3], 0 offset:28
.LBB87_145:
	s_or_b64 exec, exec, s[4:5]
	s_waitcnt lgkmcnt(0)
	; wave barrier
	buffer_load_dword v55, off, s[0:3], 0 offset:32
	buffer_load_dword v56, off, s[0:3], 0 offset:36
	;; [unrolled: 1-line block ×20, first 2 shown]
	ds_read_b128 v[51:54], v50 offset:224
	buffer_load_dword v75, off, s[0:3], 0 offset:112
	buffer_load_dword v76, off, s[0:3], 0 offset:116
	v_cmp_lt_u32_e32 vcc, 2, v0
	s_waitcnt vmcnt(20) lgkmcnt(0)
	v_fma_f64 v[51:52], v[55:56], v[51:52], 0
	buffer_load_dword v56, off, s[0:3], 0 offset:124
	buffer_load_dword v55, off, s[0:3], 0 offset:120
	s_waitcnt vmcnt(20)
	v_fma_f64 v[57:58], v[57:58], v[53:54], v[51:52]
	ds_read_b128 v[51:54], v50 offset:240
	buffer_load_dword v77, off, s[0:3], 0 offset:128
	buffer_load_dword v78, off, s[0:3], 0 offset:132
	s_waitcnt vmcnt(20) lgkmcnt(0)
	v_fma_f64 v[51:52], v[59:60], v[51:52], v[57:58]
	buffer_load_dword v57, off, s[0:3], 0 offset:136
	buffer_load_dword v58, off, s[0:3], 0 offset:140
	s_waitcnt vmcnt(20)
	v_fma_f64 v[59:60], v[61:62], v[53:54], v[51:52]
	ds_read_b128 v[51:54], v50 offset:256
	buffer_load_dword v61, off, s[0:3], 0 offset:144
	buffer_load_dword v62, off, s[0:3], 0 offset:148
	;; [unrolled: 9-line block ×5, first 2 shown]
	s_waitcnt vmcnt(20) lgkmcnt(0)
	v_fma_f64 v[51:52], v[75:76], v[51:52], v[71:72]
	s_waitcnt vmcnt(18)
	v_fma_f64 v[55:56], v[55:56], v[53:54], v[51:52]
	ds_read_b128 v[51:54], v50 offset:320
	s_waitcnt vmcnt(16) lgkmcnt(0)
	v_fma_f64 v[51:52], v[77:78], v[51:52], v[55:56]
	s_waitcnt vmcnt(14)
	v_fma_f64 v[55:56], v[57:58], v[53:54], v[51:52]
	ds_read_b128 v[51:54], v50 offset:336
	;; [unrolled: 5-line block ×4, first 2 shown]
	s_waitcnt vmcnt(4) lgkmcnt(0)
	v_fma_f64 v[50:51], v[69:70], v[50:51], v[54:55]
	s_waitcnt vmcnt(2)
	v_fma_f64 v[50:51], v[67:68], v[52:53], v[50:51]
	s_waitcnt vmcnt(0)
	v_add_f64 v[50:51], v[73:74], -v[50:51]
	buffer_store_dword v51, off, s[0:3], 0 offset:28
	buffer_store_dword v50, off, s[0:3], 0 offset:24
	s_and_saveexec_b64 s[4:5], vcc
	s_cbranch_execz .LBB87_147
; %bb.146:
	buffer_load_dword v50, off, s[0:3], 0 offset:16
	buffer_load_dword v51, off, s[0:3], 0 offset:20
	v_mov_b32_e32 v52, 0
	buffer_store_dword v52, off, s[0:3], 0 offset:16
	buffer_store_dword v52, off, s[0:3], 0 offset:20
	s_waitcnt vmcnt(2)
	ds_write_b64 v49, v[50:51]
.LBB87_147:
	s_or_b64 exec, exec, s[4:5]
	s_waitcnt lgkmcnt(0)
	; wave barrier
	buffer_load_dword v59, off, s[0:3], 0 offset:24
	buffer_load_dword v60, off, s[0:3], 0 offset:28
	buffer_load_dword v61, off, s[0:3], 0 offset:32
	buffer_load_dword v62, off, s[0:3], 0 offset:36
	buffer_load_dword v63, off, s[0:3], 0 offset:40
	buffer_load_dword v64, off, s[0:3], 0 offset:44
	buffer_load_dword v65, off, s[0:3], 0 offset:48
	buffer_load_dword v66, off, s[0:3], 0 offset:52
	buffer_load_dword v67, off, s[0:3], 0 offset:56
	buffer_load_dword v68, off, s[0:3], 0 offset:60
	buffer_load_dword v69, off, s[0:3], 0 offset:64
	buffer_load_dword v70, off, s[0:3], 0 offset:68
	buffer_load_dword v71, off, s[0:3], 0 offset:72
	buffer_load_dword v72, off, s[0:3], 0 offset:76
	buffer_load_dword v74, off, s[0:3], 0 offset:84
	buffer_load_dword v75, off, s[0:3], 0 offset:104
	buffer_load_dword v77, off, s[0:3], 0 offset:96
	buffer_load_dword v79, off, s[0:3], 0 offset:88
	buffer_load_dword v73, off, s[0:3], 0 offset:80
	buffer_load_dword v80, off, s[0:3], 0 offset:92
	buffer_load_dword v78, off, s[0:3], 0 offset:100
	v_mov_b32_e32 v50, 0
	ds_read2_b64 v[51:54], v50 offset0:27 offset1:28
	ds_read2_b64 v[55:58], v50 offset0:29 offset1:30
	buffer_load_dword v76, off, s[0:3], 0 offset:108
	v_cmp_lt_u32_e32 vcc, 1, v0
	s_waitcnt vmcnt(20) lgkmcnt(1)
	v_fma_f64 v[51:52], v[59:60], v[51:52], 0
	s_waitcnt vmcnt(18)
	v_fma_f64 v[51:52], v[61:62], v[53:54], v[51:52]
	buffer_load_dword v60, off, s[0:3], 0 offset:116
	buffer_load_dword v61, off, s[0:3], 0 offset:136
	;; [unrolled: 1-line block ×7, first 2 shown]
	s_waitcnt vmcnt(23) lgkmcnt(0)
	v_fma_f64 v[51:52], v[63:64], v[55:56], v[51:52]
	s_waitcnt vmcnt(21)
	v_fma_f64 v[62:63], v[65:66], v[57:58], v[51:52]
	ds_read2_b64 v[51:54], v50 offset0:31 offset1:32
	ds_read2_b64 v[55:58], v50 offset0:33 offset1:34
	s_waitcnt vmcnt(19) lgkmcnt(1)
	v_fma_f64 v[51:52], v[67:68], v[51:52], v[62:63]
	buffer_load_dword v62, off, s[0:3], 0 offset:140
	s_waitcnt vmcnt(18)
	v_fma_f64 v[51:52], v[69:70], v[53:54], v[51:52]
	buffer_load_dword v64, off, s[0:3], 0 offset:148
	buffer_load_dword v65, off, s[0:3], 0 offset:168
	;; [unrolled: 1-line block ×7, first 2 shown]
	s_waitcnt vmcnt(23) lgkmcnt(0)
	v_fma_f64 v[51:52], v[71:72], v[55:56], v[51:52]
	s_waitcnt vmcnt(18)
	v_fma_f64 v[71:72], v[73:74], v[57:58], v[51:52]
	ds_read2_b64 v[51:54], v50 offset0:35 offset1:36
	ds_read2_b64 v[55:58], v50 offset0:37 offset1:38
	buffer_load_dword v66, off, s[0:3], 0 offset:172
	s_waitcnt vmcnt(18) lgkmcnt(1)
	v_fma_f64 v[51:52], v[79:80], v[51:52], v[71:72]
	buffer_load_dword v72, off, s[0:3], 0 offset:180
	buffer_load_dword v73, off, s[0:3], 0 offset:184
	;; [unrolled: 1-line block ×4, first 2 shown]
	s_waitcnt vmcnt(21)
	v_fma_f64 v[51:52], v[77:78], v[53:54], v[51:52]
	s_waitcnt vmcnt(20) lgkmcnt(0)
	v_fma_f64 v[51:52], v[75:76], v[55:56], v[51:52]
	buffer_load_dword v75, off, s[0:3], 0 offset:16
	buffer_load_dword v76, off, s[0:3], 0 offset:20
	s_waitcnt vmcnt(17)
	v_fma_f64 v[59:60], v[59:60], v[57:58], v[51:52]
	ds_read2_b64 v[51:54], v50 offset0:39 offset1:40
	ds_read2_b64 v[55:58], v50 offset0:41 offset1:42
	s_waitcnt vmcnt(16) lgkmcnt(1)
	v_fma_f64 v[51:52], v[83:84], v[51:52], v[59:60]
	s_waitcnt vmcnt(15)
	v_fma_f64 v[51:52], v[81:82], v[53:54], v[51:52]
	s_waitcnt vmcnt(14) lgkmcnt(0)
	v_fma_f64 v[51:52], v[61:62], v[55:56], v[51:52]
	s_waitcnt vmcnt(9)
	v_fma_f64 v[59:60], v[63:64], v[57:58], v[51:52]
	ds_read2_b64 v[51:54], v50 offset0:43 offset1:44
	ds_read2_b64 v[55:58], v50 offset0:45 offset1:46
	s_waitcnt vmcnt(8) lgkmcnt(1)
	v_fma_f64 v[51:52], v[69:70], v[51:52], v[59:60]
	s_waitcnt vmcnt(7)
	v_fma_f64 v[51:52], v[67:68], v[53:54], v[51:52]
	ds_read_b64 v[53:54], v50 offset:376
	s_waitcnt vmcnt(6) lgkmcnt(1)
	v_fma_f64 v[51:52], v[65:66], v[55:56], v[51:52]
	s_waitcnt vmcnt(3)
	v_fma_f64 v[51:52], v[71:72], v[57:58], v[51:52]
	s_waitcnt vmcnt(2) lgkmcnt(0)
	v_fma_f64 v[51:52], v[73:74], v[53:54], v[51:52]
	s_waitcnt vmcnt(0)
	v_add_f64 v[51:52], v[75:76], -v[51:52]
	buffer_store_dword v52, off, s[0:3], 0 offset:20
	buffer_store_dword v51, off, s[0:3], 0 offset:16
	s_and_saveexec_b64 s[4:5], vcc
	s_cbranch_execz .LBB87_149
; %bb.148:
	buffer_load_dword v51, off, s[0:3], 0 offset:8
	buffer_load_dword v52, off, s[0:3], 0 offset:12
	s_waitcnt vmcnt(0)
	ds_write_b64 v49, v[51:52]
	buffer_store_dword v50, off, s[0:3], 0 offset:8
	buffer_store_dword v50, off, s[0:3], 0 offset:12
.LBB87_149:
	s_or_b64 exec, exec, s[4:5]
	s_waitcnt lgkmcnt(0)
	; wave barrier
	buffer_load_dword v55, off, s[0:3], 0 offset:16
	buffer_load_dword v56, off, s[0:3], 0 offset:20
	;; [unrolled: 1-line block ×20, first 2 shown]
	ds_read_b128 v[51:54], v50 offset:208
	buffer_load_dword v75, off, s[0:3], 0 offset:96
	buffer_load_dword v76, off, s[0:3], 0 offset:100
	v_cmp_ne_u32_e32 vcc, 0, v0
	s_waitcnt vmcnt(20) lgkmcnt(0)
	v_fma_f64 v[51:52], v[55:56], v[51:52], 0
	buffer_load_dword v56, off, s[0:3], 0 offset:108
	buffer_load_dword v55, off, s[0:3], 0 offset:104
	s_waitcnt vmcnt(20)
	v_fma_f64 v[57:58], v[57:58], v[53:54], v[51:52]
	ds_read_b128 v[51:54], v50 offset:224
	buffer_load_dword v77, off, s[0:3], 0 offset:112
	buffer_load_dword v78, off, s[0:3], 0 offset:116
	s_waitcnt vmcnt(20) lgkmcnt(0)
	v_fma_f64 v[51:52], v[59:60], v[51:52], v[57:58]
	buffer_load_dword v57, off, s[0:3], 0 offset:120
	buffer_load_dword v58, off, s[0:3], 0 offset:124
	s_waitcnt vmcnt(20)
	v_fma_f64 v[59:60], v[61:62], v[53:54], v[51:52]
	ds_read_b128 v[51:54], v50 offset:240
	buffer_load_dword v61, off, s[0:3], 0 offset:128
	buffer_load_dword v62, off, s[0:3], 0 offset:132
	;; [unrolled: 9-line block ×6, first 2 shown]
	s_waitcnt vmcnt(20) lgkmcnt(0)
	v_fma_f64 v[51:52], v[77:78], v[51:52], v[55:56]
	s_waitcnt vmcnt(18)
	v_fma_f64 v[55:56], v[57:58], v[53:54], v[51:52]
	ds_read_b128 v[51:54], v50 offset:320
	s_waitcnt vmcnt(16) lgkmcnt(0)
	v_fma_f64 v[51:52], v[61:62], v[51:52], v[55:56]
	s_waitcnt vmcnt(14)
	v_fma_f64 v[55:56], v[59:60], v[53:54], v[51:52]
	ds_read_b128 v[51:54], v50 offset:336
	;; [unrolled: 5-line block ×4, first 2 shown]
	s_waitcnt vmcnt(4) lgkmcnt(0)
	v_fma_f64 v[50:51], v[73:74], v[50:51], v[54:55]
	s_waitcnt vmcnt(2)
	v_fma_f64 v[50:51], v[71:72], v[52:53], v[50:51]
	s_waitcnt vmcnt(0)
	v_add_f64 v[50:51], v[75:76], -v[50:51]
	buffer_store_dword v51, off, s[0:3], 0 offset:12
	buffer_store_dword v50, off, s[0:3], 0 offset:8
	s_and_saveexec_b64 s[4:5], vcc
	s_cbranch_execz .LBB87_151
; %bb.150:
	buffer_load_dword v50, off, s[0:3], 0
	buffer_load_dword v51, off, s[0:3], 0 offset:4
	v_mov_b32_e32 v0, 0
	buffer_store_dword v0, off, s[0:3], 0
	buffer_store_dword v0, off, s[0:3], 0 offset:4
	s_waitcnt vmcnt(2)
	ds_write_b64 v49, v[50:51]
.LBB87_151:
	s_or_b64 exec, exec, s[4:5]
	s_waitcnt lgkmcnt(0)
	; wave barrier
	buffer_load_dword v57, off, s[0:3], 0 offset:8
	buffer_load_dword v58, off, s[0:3], 0 offset:12
	;; [unrolled: 1-line block ×21, first 2 shown]
	v_mov_b32_e32 v0, 0
	ds_read2_b64 v[49:52], v0 offset0:25 offset1:26
	ds_read2_b64 v[53:56], v0 offset0:27 offset1:28
	buffer_load_dword v74, off, s[0:3], 0 offset:92
	s_and_b64 vcc, exec, s[14:15]
	s_waitcnt vmcnt(20) lgkmcnt(1)
	v_fma_f64 v[49:50], v[57:58], v[49:50], 0
	s_waitcnt vmcnt(18)
	v_fma_f64 v[49:50], v[59:60], v[51:52], v[49:50]
	buffer_load_dword v58, off, s[0:3], 0 offset:100
	buffer_load_dword v59, off, s[0:3], 0 offset:120
	;; [unrolled: 1-line block ×7, first 2 shown]
	s_waitcnt vmcnt(23) lgkmcnt(0)
	v_fma_f64 v[49:50], v[61:62], v[53:54], v[49:50]
	s_waitcnt vmcnt(21)
	v_fma_f64 v[60:61], v[63:64], v[55:56], v[49:50]
	ds_read2_b64 v[49:52], v0 offset0:29 offset1:30
	ds_read2_b64 v[53:56], v0 offset0:31 offset1:32
	s_waitcnt vmcnt(19) lgkmcnt(1)
	v_fma_f64 v[49:50], v[65:66], v[49:50], v[60:61]
	buffer_load_dword v60, off, s[0:3], 0 offset:124
	s_waitcnt vmcnt(18)
	v_fma_f64 v[49:50], v[67:68], v[51:52], v[49:50]
	buffer_load_dword v62, off, s[0:3], 0 offset:132
	buffer_load_dword v63, off, s[0:3], 0 offset:152
	;; [unrolled: 1-line block ×8, first 2 shown]
	s_waitcnt vmcnt(24) lgkmcnt(0)
	v_fma_f64 v[49:50], v[69:70], v[53:54], v[49:50]
	s_waitcnt vmcnt(19)
	v_fma_f64 v[69:70], v[71:72], v[55:56], v[49:50]
	ds_read2_b64 v[49:52], v0 offset0:33 offset1:34
	ds_read2_b64 v[53:56], v0 offset0:35 offset1:36
	s_waitcnt vmcnt(18) lgkmcnt(1)
	v_fma_f64 v[49:50], v[77:78], v[49:50], v[69:70]
	s_waitcnt vmcnt(17)
	v_fma_f64 v[50:51], v[75:76], v[51:52], v[49:50]
	buffer_load_dword v70, off, s[0:3], 0 offset:164
	buffer_load_dword v71, off, s[0:3], 0 offset:184
	;; [unrolled: 1-line block ×5, first 2 shown]
	s_waitcnt vmcnt(21) lgkmcnt(0)
	v_fma_f64 v[51:52], v[73:74], v[53:54], v[50:51]
	buffer_load_dword v76, off, s[0:3], 0 offset:172
	buffer_load_dword v50, off, s[0:3], 0 offset:180
	;; [unrolled: 1-line block ×3, first 2 shown]
	s_waitcnt vmcnt(19)
	v_fma_f64 v[73:74], v[57:58], v[55:56], v[51:52]
	ds_read2_b64 v[51:54], v0 offset0:37 offset1:38
	ds_read2_b64 v[55:58], v0 offset0:39 offset1:40
	s_waitcnt vmcnt(18) lgkmcnt(1)
	v_fma_f64 v[51:52], v[81:82], v[51:52], v[73:74]
	buffer_load_dword v73, off, s[0:3], 0
	buffer_load_dword v74, off, s[0:3], 0 offset:4
	s_waitcnt vmcnt(19)
	v_fma_f64 v[51:52], v[79:80], v[53:54], v[51:52]
	s_waitcnt vmcnt(18) lgkmcnt(0)
	v_fma_f64 v[51:52], v[59:60], v[55:56], v[51:52]
	s_waitcnt vmcnt(13)
	v_fma_f64 v[59:60], v[61:62], v[57:58], v[51:52]
	ds_read2_b64 v[51:54], v0 offset0:41 offset1:42
	ds_read2_b64 v[55:58], v0 offset0:43 offset1:44
	s_waitcnt vmcnt(12) lgkmcnt(1)
	v_fma_f64 v[51:52], v[67:68], v[51:52], v[59:60]
	s_waitcnt vmcnt(11)
	v_fma_f64 v[51:52], v[65:66], v[53:54], v[51:52]
	s_waitcnt vmcnt(10) lgkmcnt(0)
	v_fma_f64 v[51:52], v[63:64], v[55:56], v[51:52]
	s_waitcnt vmcnt(5)
	v_fma_f64 v[55:56], v[69:70], v[57:58], v[51:52]
	ds_read2_b64 v[51:54], v0 offset0:45 offset1:46
	ds_read_b64 v[57:58], v0 offset:376
	s_waitcnt vmcnt(4) lgkmcnt(1)
	v_fma_f64 v[51:52], v[75:76], v[51:52], v[55:56]
	s_waitcnt vmcnt(3)
	v_fma_f64 v[51:52], v[49:50], v[53:54], v[51:52]
	s_waitcnt vmcnt(2) lgkmcnt(0)
	v_fma_f64 v[51:52], v[71:72], v[57:58], v[51:52]
	s_waitcnt vmcnt(0)
	v_add_f64 v[51:52], v[73:74], -v[51:52]
	buffer_store_dword v52, off, s[0:3], 0 offset:4
	buffer_store_dword v51, off, s[0:3], 0
	s_cbranch_vccz .LBB87_198
; %bb.152:
	global_load_dword v0, v0, s[12:13] offset:88
	s_waitcnt vmcnt(0)
	v_add_u32_e32 v0, -1, v0
	v_cmp_ne_u32_e32 vcc, 22, v0
	s_cbranch_vccz .LBB87_154
; %bb.153:
	v_lshlrev_b32_e32 v0, 3, v0
	buffer_load_dword v51, v0, s[0:3], 0 offen offset:4
	buffer_load_dword v52, v0, s[0:3], 0 offen
	s_waitcnt vmcnt(1)
	buffer_store_dword v51, off, s[0:3], 0 offset:180
	s_waitcnt vmcnt(1)
	buffer_store_dword v52, off, s[0:3], 0 offset:176
	buffer_store_dword v50, v0, s[0:3], 0 offen offset:4
	buffer_store_dword v49, v0, s[0:3], 0 offen
.LBB87_154:
	v_mov_b32_e32 v0, 0
	global_load_dword v49, v0, s[12:13] offset:84
	s_waitcnt vmcnt(0)
	v_add_u32_e32 v49, -1, v49
	v_cmp_eq_u32_e32 vcc, 21, v49
	s_cbranch_vccnz .LBB87_156
; %bb.155:
	v_lshlrev_b32_e32 v49, 3, v49
	buffer_load_dword v50, v49, s[0:3], 0 offen
	buffer_load_dword v51, v49, s[0:3], 0 offen offset:4
	buffer_load_dword v52, off, s[0:3], 0 offset:168
	buffer_load_dword v53, off, s[0:3], 0 offset:172
	s_waitcnt vmcnt(3)
	buffer_store_dword v50, off, s[0:3], 0 offset:168
	s_waitcnt vmcnt(3)
	buffer_store_dword v51, off, s[0:3], 0 offset:172
	s_waitcnt vmcnt(3)
	buffer_store_dword v52, v49, s[0:3], 0 offen
	s_waitcnt vmcnt(3)
	buffer_store_dword v53, v49, s[0:3], 0 offen offset:4
.LBB87_156:
	global_load_dword v0, v0, s[12:13] offset:80
	s_waitcnt vmcnt(0)
	v_add_u32_e32 v0, -1, v0
	v_cmp_eq_u32_e32 vcc, 20, v0
	s_cbranch_vccnz .LBB87_158
; %bb.157:
	v_lshlrev_b32_e32 v0, 3, v0
	buffer_load_dword v49, v0, s[0:3], 0 offen
	buffer_load_dword v50, v0, s[0:3], 0 offen offset:4
	buffer_load_dword v51, off, s[0:3], 0 offset:164
	buffer_load_dword v52, off, s[0:3], 0 offset:160
	s_waitcnt vmcnt(3)
	buffer_store_dword v49, off, s[0:3], 0 offset:160
	s_waitcnt vmcnt(3)
	buffer_store_dword v50, off, s[0:3], 0 offset:164
	s_waitcnt vmcnt(3)
	buffer_store_dword v51, v0, s[0:3], 0 offen offset:4
	s_waitcnt vmcnt(3)
	buffer_store_dword v52, v0, s[0:3], 0 offen
.LBB87_158:
	v_mov_b32_e32 v0, 0
	global_load_dword v49, v0, s[12:13] offset:76
	s_waitcnt vmcnt(0)
	v_add_u32_e32 v49, -1, v49
	v_cmp_eq_u32_e32 vcc, 19, v49
	s_cbranch_vccnz .LBB87_160
; %bb.159:
	v_lshlrev_b32_e32 v49, 3, v49
	buffer_load_dword v50, v49, s[0:3], 0 offen
	buffer_load_dword v51, v49, s[0:3], 0 offen offset:4
	buffer_load_dword v52, off, s[0:3], 0 offset:152
	buffer_load_dword v53, off, s[0:3], 0 offset:156
	s_waitcnt vmcnt(3)
	buffer_store_dword v50, off, s[0:3], 0 offset:152
	s_waitcnt vmcnt(3)
	buffer_store_dword v51, off, s[0:3], 0 offset:156
	s_waitcnt vmcnt(3)
	buffer_store_dword v52, v49, s[0:3], 0 offen
	s_waitcnt vmcnt(3)
	buffer_store_dword v53, v49, s[0:3], 0 offen offset:4
.LBB87_160:
	global_load_dword v0, v0, s[12:13] offset:72
	s_waitcnt vmcnt(0)
	v_add_u32_e32 v0, -1, v0
	v_cmp_eq_u32_e32 vcc, 18, v0
	s_cbranch_vccnz .LBB87_162
; %bb.161:
	v_lshlrev_b32_e32 v0, 3, v0
	buffer_load_dword v49, v0, s[0:3], 0 offen
	buffer_load_dword v50, v0, s[0:3], 0 offen offset:4
	buffer_load_dword v51, off, s[0:3], 0 offset:148
	buffer_load_dword v52, off, s[0:3], 0 offset:144
	s_waitcnt vmcnt(3)
	buffer_store_dword v49, off, s[0:3], 0 offset:144
	s_waitcnt vmcnt(3)
	buffer_store_dword v50, off, s[0:3], 0 offset:148
	s_waitcnt vmcnt(3)
	buffer_store_dword v51, v0, s[0:3], 0 offen offset:4
	s_waitcnt vmcnt(3)
	buffer_store_dword v52, v0, s[0:3], 0 offen
.LBB87_162:
	;; [unrolled: 41-line block ×10, first 2 shown]
	v_mov_b32_e32 v0, 0
	global_load_dword v49, v0, s[12:13] offset:4
	s_waitcnt vmcnt(0)
	v_add_u32_e32 v49, -1, v49
	v_cmp_eq_u32_e32 vcc, 1, v49
	s_cbranch_vccnz .LBB87_196
; %bb.195:
	v_lshlrev_b32_e32 v49, 3, v49
	buffer_load_dword v50, v49, s[0:3], 0 offen
	buffer_load_dword v51, v49, s[0:3], 0 offen offset:4
	buffer_load_dword v52, off, s[0:3], 0 offset:8
	buffer_load_dword v53, off, s[0:3], 0 offset:12
	s_waitcnt vmcnt(3)
	buffer_store_dword v50, off, s[0:3], 0 offset:8
	s_waitcnt vmcnt(3)
	buffer_store_dword v51, off, s[0:3], 0 offset:12
	s_waitcnt vmcnt(3)
	buffer_store_dword v52, v49, s[0:3], 0 offen
	s_waitcnt vmcnt(3)
	buffer_store_dword v53, v49, s[0:3], 0 offen offset:4
.LBB87_196:
	global_load_dword v0, v0, s[12:13]
	s_nop 0
	buffer_load_dword v51, off, s[0:3], 0
	buffer_load_dword v52, off, s[0:3], 0 offset:4
	s_waitcnt vmcnt(2)
	v_add_u32_e32 v0, -1, v0
	v_cmp_eq_u32_e32 vcc, 0, v0
	s_cbranch_vccnz .LBB87_198
; %bb.197:
	v_lshlrev_b32_e32 v0, 3, v0
	buffer_load_dword v49, v0, s[0:3], 0 offen offset:4
	buffer_load_dword v50, v0, s[0:3], 0 offen
	s_waitcnt vmcnt(1)
	buffer_store_dword v49, off, s[0:3], 0 offset:4
	s_waitcnt vmcnt(1)
	buffer_store_dword v50, off, s[0:3], 0
	buffer_store_dword v52, v0, s[0:3], 0 offen offset:4
	buffer_store_dword v51, v0, s[0:3], 0 offen
	buffer_load_dword v51, off, s[0:3], 0
	s_nop 0
	buffer_load_dword v52, off, s[0:3], 0 offset:4
.LBB87_198:
	s_waitcnt vmcnt(0)
	flat_store_dwordx2 v[1:2], v[51:52]
	buffer_load_dword v0, off, s[0:3], 0 offset:8
	s_nop 0
	buffer_load_dword v1, off, s[0:3], 0 offset:12
	s_waitcnt vmcnt(0)
	flat_store_dwordx2 v[3:4], v[0:1]
	buffer_load_dword v0, off, s[0:3], 0 offset:16
	s_nop 0
	buffer_load_dword v1, off, s[0:3], 0 offset:20
	;; [unrolled: 5-line block ×23, first 2 shown]
	s_waitcnt vmcnt(0)
	flat_store_dwordx2 v[47:48], v[0:1]
	s_endpgm
	.section	.rodata,"a",@progbits
	.p2align	6, 0x0
	.amdhsa_kernel _ZN9rocsolver6v33100L18getri_kernel_smallILi24EdPKPdEEvT1_iilPiilS6_bb
		.amdhsa_group_segment_fixed_size 392
		.amdhsa_private_segment_fixed_size 208
		.amdhsa_kernarg_size 60
		.amdhsa_user_sgpr_count 6
		.amdhsa_user_sgpr_private_segment_buffer 1
		.amdhsa_user_sgpr_dispatch_ptr 0
		.amdhsa_user_sgpr_queue_ptr 0
		.amdhsa_user_sgpr_kernarg_segment_ptr 1
		.amdhsa_user_sgpr_dispatch_id 0
		.amdhsa_user_sgpr_flat_scratch_init 0
		.amdhsa_user_sgpr_private_segment_size 0
		.amdhsa_uses_dynamic_stack 0
		.amdhsa_system_sgpr_private_segment_wavefront_offset 1
		.amdhsa_system_sgpr_workgroup_id_x 1
		.amdhsa_system_sgpr_workgroup_id_y 0
		.amdhsa_system_sgpr_workgroup_id_z 0
		.amdhsa_system_sgpr_workgroup_info 0
		.amdhsa_system_vgpr_workitem_id 0
		.amdhsa_next_free_vgpr 85
		.amdhsa_next_free_sgpr 21
		.amdhsa_reserve_vcc 1
		.amdhsa_reserve_flat_scratch 0
		.amdhsa_float_round_mode_32 0
		.amdhsa_float_round_mode_16_64 0
		.amdhsa_float_denorm_mode_32 3
		.amdhsa_float_denorm_mode_16_64 3
		.amdhsa_dx10_clamp 1
		.amdhsa_ieee_mode 1
		.amdhsa_fp16_overflow 0
		.amdhsa_exception_fp_ieee_invalid_op 0
		.amdhsa_exception_fp_denorm_src 0
		.amdhsa_exception_fp_ieee_div_zero 0
		.amdhsa_exception_fp_ieee_overflow 0
		.amdhsa_exception_fp_ieee_underflow 0
		.amdhsa_exception_fp_ieee_inexact 0
		.amdhsa_exception_int_div_zero 0
	.end_amdhsa_kernel
	.section	.text._ZN9rocsolver6v33100L18getri_kernel_smallILi24EdPKPdEEvT1_iilPiilS6_bb,"axG",@progbits,_ZN9rocsolver6v33100L18getri_kernel_smallILi24EdPKPdEEvT1_iilPiilS6_bb,comdat
.Lfunc_end87:
	.size	_ZN9rocsolver6v33100L18getri_kernel_smallILi24EdPKPdEEvT1_iilPiilS6_bb, .Lfunc_end87-_ZN9rocsolver6v33100L18getri_kernel_smallILi24EdPKPdEEvT1_iilPiilS6_bb
                                        ; -- End function
	.set _ZN9rocsolver6v33100L18getri_kernel_smallILi24EdPKPdEEvT1_iilPiilS6_bb.num_vgpr, 85
	.set _ZN9rocsolver6v33100L18getri_kernel_smallILi24EdPKPdEEvT1_iilPiilS6_bb.num_agpr, 0
	.set _ZN9rocsolver6v33100L18getri_kernel_smallILi24EdPKPdEEvT1_iilPiilS6_bb.numbered_sgpr, 21
	.set _ZN9rocsolver6v33100L18getri_kernel_smallILi24EdPKPdEEvT1_iilPiilS6_bb.num_named_barrier, 0
	.set _ZN9rocsolver6v33100L18getri_kernel_smallILi24EdPKPdEEvT1_iilPiilS6_bb.private_seg_size, 208
	.set _ZN9rocsolver6v33100L18getri_kernel_smallILi24EdPKPdEEvT1_iilPiilS6_bb.uses_vcc, 1
	.set _ZN9rocsolver6v33100L18getri_kernel_smallILi24EdPKPdEEvT1_iilPiilS6_bb.uses_flat_scratch, 0
	.set _ZN9rocsolver6v33100L18getri_kernel_smallILi24EdPKPdEEvT1_iilPiilS6_bb.has_dyn_sized_stack, 0
	.set _ZN9rocsolver6v33100L18getri_kernel_smallILi24EdPKPdEEvT1_iilPiilS6_bb.has_recursion, 0
	.set _ZN9rocsolver6v33100L18getri_kernel_smallILi24EdPKPdEEvT1_iilPiilS6_bb.has_indirect_call, 0
	.section	.AMDGPU.csdata,"",@progbits
; Kernel info:
; codeLenInByte = 20884
; TotalNumSgprs: 25
; NumVgprs: 85
; ScratchSize: 208
; MemoryBound: 0
; FloatMode: 240
; IeeeMode: 1
; LDSByteSize: 392 bytes/workgroup (compile time only)
; SGPRBlocks: 3
; VGPRBlocks: 21
; NumSGPRsForWavesPerEU: 25
; NumVGPRsForWavesPerEU: 85
; Occupancy: 2
; WaveLimiterHint : 1
; COMPUTE_PGM_RSRC2:SCRATCH_EN: 1
; COMPUTE_PGM_RSRC2:USER_SGPR: 6
; COMPUTE_PGM_RSRC2:TRAP_HANDLER: 0
; COMPUTE_PGM_RSRC2:TGID_X_EN: 1
; COMPUTE_PGM_RSRC2:TGID_Y_EN: 0
; COMPUTE_PGM_RSRC2:TGID_Z_EN: 0
; COMPUTE_PGM_RSRC2:TIDIG_COMP_CNT: 0
	.section	.text._ZN9rocsolver6v33100L18getri_kernel_smallILi25EdPKPdEEvT1_iilPiilS6_bb,"axG",@progbits,_ZN9rocsolver6v33100L18getri_kernel_smallILi25EdPKPdEEvT1_iilPiilS6_bb,comdat
	.globl	_ZN9rocsolver6v33100L18getri_kernel_smallILi25EdPKPdEEvT1_iilPiilS6_bb ; -- Begin function _ZN9rocsolver6v33100L18getri_kernel_smallILi25EdPKPdEEvT1_iilPiilS6_bb
	.p2align	8
	.type	_ZN9rocsolver6v33100L18getri_kernel_smallILi25EdPKPdEEvT1_iilPiilS6_bb,@function
_ZN9rocsolver6v33100L18getri_kernel_smallILi25EdPKPdEEvT1_iilPiilS6_bb: ; @_ZN9rocsolver6v33100L18getri_kernel_smallILi25EdPKPdEEvT1_iilPiilS6_bb
; %bb.0:
	s_add_u32 s0, s0, s7
	s_addc_u32 s1, s1, 0
	v_cmp_gt_u32_e32 vcc, 25, v0
	s_and_saveexec_b64 s[8:9], vcc
	s_cbranch_execz .LBB88_108
; %bb.1:
	s_load_dword s18, s[4:5], 0x38
	s_load_dwordx2 s[12:13], s[4:5], 0x0
	s_load_dwordx4 s[8:11], s[4:5], 0x28
	s_waitcnt lgkmcnt(0)
	s_bitcmp1_b32 s18, 8
	s_cselect_b64 s[14:15], -1, 0
	s_ashr_i32 s7, s6, 31
	s_lshl_b64 s[16:17], s[6:7], 3
	s_add_u32 s12, s12, s16
	s_addc_u32 s13, s13, s17
	s_load_dwordx2 s[16:17], s[12:13], 0x0
	s_bfe_u32 s12, s18, 0x10008
	s_cmp_eq_u32 s12, 0
                                        ; implicit-def: $sgpr12_sgpr13
	s_cbranch_scc1 .LBB88_3
; %bb.2:
	s_load_dword s12, s[4:5], 0x20
	s_load_dwordx2 s[18:19], s[4:5], 0x18
	s_mul_i32 s13, s8, s7
	s_mul_hi_u32 s20, s8, s6
	s_add_i32 s20, s20, s13
	s_mul_i32 s9, s9, s6
	s_add_i32 s9, s20, s9
	s_mul_i32 s8, s8, s6
	s_waitcnt lgkmcnt(0)
	s_ashr_i32 s13, s12, 31
	s_lshl_b64 s[8:9], s[8:9], 2
	s_add_u32 s18, s18, s8
	s_addc_u32 s19, s19, s9
	s_lshl_b64 s[8:9], s[12:13], 2
	s_add_u32 s12, s18, s8
	s_addc_u32 s13, s19, s9
.LBB88_3:
	s_load_dwordx2 s[8:9], s[4:5], 0x8
	s_load_dword s18, s[4:5], 0x38
	v_lshlrev_b32_e32 v53, 3, v0
	s_waitcnt lgkmcnt(0)
	s_ashr_i32 s5, s8, 31
	s_mov_b32 s4, s8
	s_lshl_b64 s[4:5], s[4:5], 3
	s_add_u32 s4, s16, s4
	s_addc_u32 s5, s17, s5
	v_mov_b32_e32 v2, s5
	v_add_co_u32_e32 v1, vcc, s4, v53
	v_addc_co_u32_e32 v2, vcc, 0, v2, vcc
	flat_load_dwordx2 v[5:6], v[1:2]
	s_mov_b32 s16, s9
	s_ashr_i32 s17, s9, 31
	s_lshl_b64 s[16:17], s[16:17], 3
	v_mov_b32_e32 v4, s17
	v_add_co_u32_e32 v3, vcc, s16, v1
	v_addc_co_u32_e32 v4, vcc, v2, v4, vcc
	s_add_i32 s8, s9, s9
	v_add_u32_e32 v9, s8, v0
	v_ashrrev_i32_e32 v10, 31, v9
	v_mov_b32_e32 v11, s5
	v_add_u32_e32 v12, s9, v9
	v_ashrrev_i32_e32 v13, 31, v12
	v_mov_b32_e32 v14, s5
	v_mov_b32_e32 v15, s5
	;; [unrolled: 1-line block ×21, first 2 shown]
	s_bitcmp0_b32 s18, 0
	s_waitcnt vmcnt(0) lgkmcnt(0)
	buffer_store_dword v6, off, s[0:3], 0 offset:4
	buffer_store_dword v5, off, s[0:3], 0
	flat_load_dwordx2 v[7:8], v[3:4]
	v_lshlrev_b64 v[5:6], 3, v[9:10]
	s_waitcnt vmcnt(0) lgkmcnt(0)
	buffer_store_dword v8, off, s[0:3], 0 offset:12
	buffer_store_dword v7, off, s[0:3], 0 offset:8
	v_add_co_u32_e32 v5, vcc, s4, v5
	v_addc_co_u32_e32 v6, vcc, v11, v6, vcc
	flat_load_dwordx2 v[10:11], v[5:6]
	v_lshlrev_b64 v[7:8], 3, v[12:13]
	s_waitcnt vmcnt(0) lgkmcnt(0)
	buffer_store_dword v11, off, s[0:3], 0 offset:20
	buffer_store_dword v10, off, s[0:3], 0 offset:16
	v_add_co_u32_e32 v7, vcc, s4, v7
	v_addc_co_u32_e32 v8, vcc, v14, v8, vcc
	flat_load_dwordx2 v[13:14], v[7:8]
	v_add_u32_e32 v11, s9, v12
	v_ashrrev_i32_e32 v12, 31, v11
	v_lshlrev_b64 v[9:10], 3, v[11:12]
	s_waitcnt vmcnt(0) lgkmcnt(0)
	buffer_store_dword v14, off, s[0:3], 0 offset:28
	buffer_store_dword v13, off, s[0:3], 0 offset:24
	v_add_co_u32_e32 v9, vcc, s4, v9
	v_addc_co_u32_e32 v10, vcc, v15, v10, vcc
	flat_load_dwordx2 v[13:14], v[9:10]
	v_add_u32_e32 v15, s9, v11
	v_ashrrev_i32_e32 v16, 31, v15
	v_lshlrev_b64 v[11:12], 3, v[15:16]
	v_add_u32_e32 v18, s9, v15
	v_add_co_u32_e32 v11, vcc, s4, v11
	v_addc_co_u32_e32 v12, vcc, v17, v12, vcc
	v_ashrrev_i32_e32 v19, 31, v18
	s_waitcnt vmcnt(0) lgkmcnt(0)
	buffer_store_dword v14, off, s[0:3], 0 offset:36
	buffer_store_dword v13, off, s[0:3], 0 offset:32
	flat_load_dwordx2 v[16:17], v[11:12]
	v_lshlrev_b64 v[13:14], 3, v[18:19]
	s_waitcnt vmcnt(0) lgkmcnt(0)
	buffer_store_dword v17, off, s[0:3], 0 offset:44
	buffer_store_dword v16, off, s[0:3], 0 offset:40
	v_add_co_u32_e32 v13, vcc, s4, v13
	v_addc_co_u32_e32 v14, vcc, v20, v14, vcc
	flat_load_dwordx2 v[19:20], v[13:14]
	v_add_u32_e32 v17, s9, v18
	v_ashrrev_i32_e32 v18, 31, v17
	v_lshlrev_b64 v[15:16], 3, v[17:18]
	s_waitcnt vmcnt(0) lgkmcnt(0)
	buffer_store_dword v20, off, s[0:3], 0 offset:52
	buffer_store_dword v19, off, s[0:3], 0 offset:48
	v_add_co_u32_e32 v15, vcc, s4, v15
	v_addc_co_u32_e32 v16, vcc, v21, v16, vcc
	flat_load_dwordx2 v[19:20], v[15:16]
	v_add_u32_e32 v21, s9, v17
	v_ashrrev_i32_e32 v22, 31, v21
	v_lshlrev_b64 v[17:18], 3, v[21:22]
	v_add_u32_e32 v24, s9, v21
	v_add_co_u32_e32 v17, vcc, s4, v17
	v_addc_co_u32_e32 v18, vcc, v23, v18, vcc
	v_ashrrev_i32_e32 v25, 31, v24
	s_waitcnt vmcnt(0) lgkmcnt(0)
	buffer_store_dword v20, off, s[0:3], 0 offset:60
	buffer_store_dword v19, off, s[0:3], 0 offset:56
	;; [unrolled: 27-line block ×6, first 2 shown]
	flat_load_dwordx2 v[46:47], v[41:42]
	v_lshlrev_b64 v[43:44], 3, v[48:49]
	s_waitcnt vmcnt(0) lgkmcnt(0)
	buffer_store_dword v47, off, s[0:3], 0 offset:164
	buffer_store_dword v46, off, s[0:3], 0 offset:160
	v_add_co_u32_e32 v43, vcc, s4, v43
	v_addc_co_u32_e32 v44, vcc, v50, v44, vcc
	flat_load_dwordx2 v[49:50], v[43:44]
	v_add_u32_e32 v47, s9, v48
	v_ashrrev_i32_e32 v48, 31, v47
	v_lshlrev_b64 v[45:46], 3, v[47:48]
	s_waitcnt vmcnt(0) lgkmcnt(0)
	buffer_store_dword v50, off, s[0:3], 0 offset:172
	buffer_store_dword v49, off, s[0:3], 0 offset:168
	v_add_co_u32_e32 v45, vcc, s4, v45
	v_addc_co_u32_e32 v46, vcc, v51, v46, vcc
	flat_load_dwordx2 v[49:50], v[45:46]
	v_add_u32_e32 v51, s9, v47
	v_ashrrev_i32_e32 v52, 31, v51
	v_lshlrev_b64 v[47:48], 3, v[51:52]
	v_mov_b32_e32 v52, s5
	v_add_co_u32_e32 v47, vcc, s4, v47
	v_addc_co_u32_e32 v48, vcc, v54, v48, vcc
	s_waitcnt vmcnt(0) lgkmcnt(0)
	buffer_store_dword v50, off, s[0:3], 0 offset:180
	buffer_store_dword v49, off, s[0:3], 0 offset:176
	flat_load_dwordx2 v[54:55], v[47:48]
	v_add_u32_e32 v49, s9, v51
	v_ashrrev_i32_e32 v50, 31, v49
	v_lshlrev_b64 v[49:50], 3, v[49:50]
	s_mov_b64 s[8:9], -1
	v_add_co_u32_e32 v49, vcc, s4, v49
	v_addc_co_u32_e32 v50, vcc, v52, v50, vcc
	s_waitcnt vmcnt(0) lgkmcnt(0)
	buffer_store_dword v55, off, s[0:3], 0 offset:188
	buffer_store_dword v54, off, s[0:3], 0 offset:184
	flat_load_dwordx2 v[51:52], v[49:50]
	s_waitcnt vmcnt(0) lgkmcnt(0)
	buffer_store_dword v52, off, s[0:3], 0 offset:196
	buffer_store_dword v51, off, s[0:3], 0 offset:192
	s_cbranch_scc1 .LBB88_106
; %bb.4:
	v_cmp_eq_u32_e64 s[4:5], 0, v0
	s_and_saveexec_b64 s[8:9], s[4:5]
; %bb.5:
	v_mov_b32_e32 v51, 0
	ds_write_b32 v51, v51 offset:200
; %bb.6:
	s_or_b64 exec, exec, s[8:9]
	v_mov_b32_e32 v51, 0
	v_lshl_add_u32 v51, v0, 3, v51
	s_waitcnt lgkmcnt(0)
	; wave barrier
	buffer_load_dword v54, v51, s[0:3], 0 offen
	buffer_load_dword v55, v51, s[0:3], 0 offen offset:4
	s_waitcnt vmcnt(0)
	v_cmp_eq_f64_e32 vcc, 0, v[54:55]
	s_and_saveexec_b64 s[16:17], vcc
	s_cbranch_execz .LBB88_10
; %bb.7:
	v_mov_b32_e32 v52, 0
	ds_read_b32 v55, v52 offset:200
	v_add_u32_e32 v54, 1, v0
	s_waitcnt lgkmcnt(0)
	v_readfirstlane_b32 s8, v55
	s_cmp_eq_u32 s8, 0
	s_cselect_b64 s[18:19], -1, 0
	v_cmp_gt_i32_e32 vcc, s8, v54
	s_or_b64 s[18:19], s[18:19], vcc
	s_and_b64 exec, exec, s[18:19]
	s_cbranch_execz .LBB88_10
; %bb.8:
	s_mov_b64 s[18:19], 0
	v_mov_b32_e32 v55, s8
.LBB88_9:                               ; =>This Inner Loop Header: Depth=1
	ds_cmpst_rtn_b32 v55, v52, v55, v54 offset:200
	s_waitcnt lgkmcnt(0)
	v_cmp_ne_u32_e32 vcc, 0, v55
	v_cmp_le_i32_e64 s[8:9], v55, v54
	s_and_b64 s[8:9], vcc, s[8:9]
	s_and_b64 s[8:9], exec, s[8:9]
	s_or_b64 s[18:19], s[8:9], s[18:19]
	s_andn2_b64 exec, exec, s[18:19]
	s_cbranch_execnz .LBB88_9
.LBB88_10:
	s_or_b64 exec, exec, s[16:17]
	v_mov_b32_e32 v54, 0
	; wave barrier
	ds_read_b32 v52, v54 offset:200
	s_and_saveexec_b64 s[8:9], s[4:5]
	s_cbranch_execz .LBB88_12
; %bb.11:
	s_lshl_b64 s[16:17], s[6:7], 2
	s_add_u32 s16, s10, s16
	s_addc_u32 s17, s11, s17
	s_waitcnt lgkmcnt(0)
	global_store_dword v54, v52, s[16:17]
.LBB88_12:
	s_or_b64 exec, exec, s[8:9]
	s_waitcnt lgkmcnt(0)
	v_cmp_ne_u32_e32 vcc, 0, v52
	s_mov_b64 s[8:9], 0
	s_cbranch_vccnz .LBB88_106
; %bb.13:
	buffer_load_dword v54, v51, s[0:3], 0 offen
	buffer_load_dword v55, v51, s[0:3], 0 offen offset:4
	s_waitcnt vmcnt(0)
	v_div_scale_f64 v[56:57], s[8:9], v[54:55], v[54:55], 1.0
	v_rcp_f64_e32 v[58:59], v[56:57]
	v_fma_f64 v[60:61], -v[56:57], v[58:59], 1.0
	v_fma_f64 v[58:59], v[58:59], v[60:61], v[58:59]
	v_div_scale_f64 v[60:61], vcc, 1.0, v[54:55], 1.0
	v_fma_f64 v[62:63], -v[56:57], v[58:59], 1.0
	v_fma_f64 v[58:59], v[58:59], v[62:63], v[58:59]
	v_mul_f64 v[62:63], v[60:61], v[58:59]
	v_fma_f64 v[56:57], -v[56:57], v[62:63], v[60:61]
	v_div_fmas_f64 v[56:57], v[56:57], v[58:59], v[62:63]
	v_div_fixup_f64 v[55:56], v[56:57], v[54:55], 1.0
	v_add_u32_e32 v54, 0xd0, v53
	buffer_store_dword v56, v51, s[0:3], 0 offen offset:4
	buffer_store_dword v55, v51, s[0:3], 0 offen
	buffer_load_dword v58, off, s[0:3], 0 offset:12
	buffer_load_dword v57, off, s[0:3], 0 offset:8
	v_xor_b32_e32 v56, 0x80000000, v56
	s_waitcnt vmcnt(0)
	ds_write2_b64 v53, v[55:56], v[57:58] offset1:26
	s_waitcnt lgkmcnt(0)
	; wave barrier
	s_and_saveexec_b64 s[8:9], s[4:5]
	s_cbranch_execz .LBB88_15
; %bb.14:
	buffer_load_dword v55, v51, s[0:3], 0 offen
	buffer_load_dword v56, v51, s[0:3], 0 offen offset:4
	ds_read_b64 v[57:58], v54
	v_mov_b32_e32 v52, 0
	ds_read_b64 v[59:60], v52 offset:8
	s_waitcnt vmcnt(0) lgkmcnt(1)
	v_fma_f64 v[55:56], v[55:56], v[57:58], 0
	s_waitcnt lgkmcnt(0)
	v_mul_f64 v[55:56], v[55:56], v[59:60]
	buffer_store_dword v55, off, s[0:3], 0 offset:8
	buffer_store_dword v56, off, s[0:3], 0 offset:12
.LBB88_15:
	s_or_b64 exec, exec, s[8:9]
	; wave barrier
	buffer_load_dword v55, off, s[0:3], 0 offset:16
	buffer_load_dword v56, off, s[0:3], 0 offset:20
	v_cmp_gt_u32_e32 vcc, 2, v0
	s_waitcnt vmcnt(0)
	ds_write_b64 v54, v[55:56]
	s_waitcnt lgkmcnt(0)
	; wave barrier
	s_and_saveexec_b64 s[8:9], vcc
	s_cbranch_execz .LBB88_17
; %bb.16:
	buffer_load_dword v55, v51, s[0:3], 0 offen
	buffer_load_dword v56, v51, s[0:3], 0 offen offset:4
                                        ; kill: killed $vgpr51
	s_nop 0
	buffer_load_dword v51, off, s[0:3], 0 offset:8
	buffer_load_dword v52, off, s[0:3], 0 offset:12
	ds_read_b64 v[57:58], v54
	s_waitcnt vmcnt(2) lgkmcnt(0)
	v_fma_f64 v[59:60], v[55:56], v[57:58], 0
	v_mov_b32_e32 v55, 0
	ds_read2_b64 v[55:58], v55 offset0:2 offset1:27
	s_waitcnt vmcnt(0) lgkmcnt(0)
	v_fma_f64 v[51:52], v[51:52], v[57:58], v[59:60]
	v_cndmask_b32_e64 v52, v60, v52, s[4:5]
	v_cndmask_b32_e64 v51, v59, v51, s[4:5]
	v_mul_f64 v[51:52], v[51:52], v[55:56]
	buffer_store_dword v52, off, s[0:3], 0 offset:20
	buffer_store_dword v51, off, s[0:3], 0 offset:16
.LBB88_17:
	s_or_b64 exec, exec, s[8:9]
	; wave barrier
	buffer_load_dword v51, off, s[0:3], 0 offset:24
	buffer_load_dword v52, off, s[0:3], 0 offset:28
	v_cmp_gt_u32_e32 vcc, 3, v0
	v_add_u32_e32 v55, -1, v0
	s_waitcnt vmcnt(0)
	ds_write_b64 v54, v[51:52]
	s_waitcnt lgkmcnt(0)
	; wave barrier
	s_and_saveexec_b64 s[4:5], vcc
	s_cbranch_execz .LBB88_21
; %bb.18:
	v_mov_b32_e32 v51, 0
	v_add_u32_e32 v56, -1, v0
	v_add_u32_e32 v57, 0xd0, v53
	v_mov_b32_e32 v58, v53
	v_mov_b32_e32 v52, 0
	s_mov_b64 s[8:9], 0
.LBB88_19:                              ; =>This Inner Loop Header: Depth=1
	buffer_load_dword v59, v58, s[0:3], 0 offen
	buffer_load_dword v60, v58, s[0:3], 0 offen offset:4
	ds_read_b64 v[61:62], v57
	v_add_u32_e32 v56, 1, v56
	v_cmp_lt_u32_e32 vcc, 1, v56
	v_add_u32_e32 v57, 8, v57
	s_or_b64 s[8:9], vcc, s[8:9]
	v_add_u32_e32 v58, 8, v58
	s_waitcnt vmcnt(0) lgkmcnt(0)
	v_fma_f64 v[51:52], v[59:60], v[61:62], v[51:52]
	s_andn2_b64 exec, exec, s[8:9]
	s_cbranch_execnz .LBB88_19
; %bb.20:
	s_or_b64 exec, exec, s[8:9]
	v_mov_b32_e32 v56, 0
	ds_read_b64 v[56:57], v56 offset:24
	s_waitcnt lgkmcnt(0)
	v_mul_f64 v[51:52], v[51:52], v[56:57]
	buffer_store_dword v52, off, s[0:3], 0 offset:28
	buffer_store_dword v51, off, s[0:3], 0 offset:24
.LBB88_21:
	s_or_b64 exec, exec, s[4:5]
	; wave barrier
	buffer_load_dword v51, off, s[0:3], 0 offset:32
	buffer_load_dword v52, off, s[0:3], 0 offset:36
	v_cmp_gt_u32_e32 vcc, 4, v0
	s_waitcnt vmcnt(0)
	ds_write_b64 v54, v[51:52]
	s_waitcnt lgkmcnt(0)
	; wave barrier
	s_and_saveexec_b64 s[4:5], vcc
	s_cbranch_execz .LBB88_25
; %bb.22:
	v_mov_b32_e32 v51, 0
	v_add_u32_e32 v56, -1, v0
	v_add_u32_e32 v57, 0xd0, v53
	v_mov_b32_e32 v58, v53
	v_mov_b32_e32 v52, 0
	s_mov_b64 s[8:9], 0
.LBB88_23:                              ; =>This Inner Loop Header: Depth=1
	buffer_load_dword v59, v58, s[0:3], 0 offen
	buffer_load_dword v60, v58, s[0:3], 0 offen offset:4
	ds_read_b64 v[61:62], v57
	v_add_u32_e32 v56, 1, v56
	v_cmp_lt_u32_e32 vcc, 2, v56
	v_add_u32_e32 v57, 8, v57
	s_or_b64 s[8:9], vcc, s[8:9]
	v_add_u32_e32 v58, 8, v58
	s_waitcnt vmcnt(0) lgkmcnt(0)
	v_fma_f64 v[51:52], v[59:60], v[61:62], v[51:52]
	s_andn2_b64 exec, exec, s[8:9]
	s_cbranch_execnz .LBB88_23
; %bb.24:
	s_or_b64 exec, exec, s[8:9]
	v_mov_b32_e32 v56, 0
	ds_read_b64 v[56:57], v56 offset:32
	s_waitcnt lgkmcnt(0)
	v_mul_f64 v[51:52], v[51:52], v[56:57]
	buffer_store_dword v52, off, s[0:3], 0 offset:36
	buffer_store_dword v51, off, s[0:3], 0 offset:32
.LBB88_25:
	s_or_b64 exec, exec, s[4:5]
	; wave barrier
	buffer_load_dword v51, off, s[0:3], 0 offset:40
	buffer_load_dword v52, off, s[0:3], 0 offset:44
	v_cmp_gt_u32_e32 vcc, 5, v0
	;; [unrolled: 40-line block ×20, first 2 shown]
	s_waitcnt vmcnt(0)
	ds_write_b64 v54, v[51:52]
	s_waitcnt lgkmcnt(0)
	; wave barrier
	s_and_saveexec_b64 s[4:5], vcc
	s_cbranch_execz .LBB88_101
; %bb.98:
	v_mov_b32_e32 v51, 0
	v_add_u32_e32 v56, -1, v0
	v_add_u32_e32 v57, 0xd0, v53
	v_mov_b32_e32 v58, v53
	v_mov_b32_e32 v52, 0
	s_mov_b64 s[8:9], 0
.LBB88_99:                              ; =>This Inner Loop Header: Depth=1
	buffer_load_dword v59, v58, s[0:3], 0 offen
	buffer_load_dword v60, v58, s[0:3], 0 offen offset:4
	ds_read_b64 v[61:62], v57
	v_add_u32_e32 v56, 1, v56
	v_cmp_lt_u32_e32 vcc, 21, v56
	v_add_u32_e32 v57, 8, v57
	s_or_b64 s[8:9], vcc, s[8:9]
	v_add_u32_e32 v58, 8, v58
	s_waitcnt vmcnt(0) lgkmcnt(0)
	v_fma_f64 v[51:52], v[59:60], v[61:62], v[51:52]
	s_andn2_b64 exec, exec, s[8:9]
	s_cbranch_execnz .LBB88_99
; %bb.100:
	s_or_b64 exec, exec, s[8:9]
	v_mov_b32_e32 v56, 0
	ds_read_b64 v[56:57], v56 offset:184
	s_waitcnt lgkmcnt(0)
	v_mul_f64 v[51:52], v[51:52], v[56:57]
	buffer_store_dword v52, off, s[0:3], 0 offset:188
	buffer_store_dword v51, off, s[0:3], 0 offset:184
.LBB88_101:
	s_or_b64 exec, exec, s[4:5]
	; wave barrier
	buffer_load_dword v51, off, s[0:3], 0 offset:192
	buffer_load_dword v52, off, s[0:3], 0 offset:196
	v_cmp_ne_u32_e32 vcc, 24, v0
	s_waitcnt vmcnt(0)
	ds_write_b64 v54, v[51:52]
	s_waitcnt lgkmcnt(0)
	; wave barrier
	s_and_saveexec_b64 s[4:5], vcc
	s_cbranch_execz .LBB88_105
; %bb.102:
	v_mov_b32_e32 v51, 0
	v_add_u32_e32 v54, 0xd0, v53
	v_mov_b32_e32 v52, 0
	s_mov_b64 s[8:9], 0
.LBB88_103:                             ; =>This Inner Loop Header: Depth=1
	buffer_load_dword v56, v53, s[0:3], 0 offen
	buffer_load_dword v57, v53, s[0:3], 0 offen offset:4
	ds_read_b64 v[58:59], v54
	v_add_u32_e32 v55, 1, v55
	v_cmp_lt_u32_e32 vcc, 22, v55
	v_add_u32_e32 v54, 8, v54
	s_or_b64 s[8:9], vcc, s[8:9]
	v_add_u32_e32 v53, 8, v53
	s_waitcnt vmcnt(0) lgkmcnt(0)
	v_fma_f64 v[51:52], v[56:57], v[58:59], v[51:52]
	s_andn2_b64 exec, exec, s[8:9]
	s_cbranch_execnz .LBB88_103
; %bb.104:
	s_or_b64 exec, exec, s[8:9]
	v_mov_b32_e32 v53, 0
	ds_read_b64 v[53:54], v53 offset:192
	s_waitcnt lgkmcnt(0)
	v_mul_f64 v[51:52], v[51:52], v[53:54]
	buffer_store_dword v52, off, s[0:3], 0 offset:196
	buffer_store_dword v51, off, s[0:3], 0 offset:192
.LBB88_105:
	s_or_b64 exec, exec, s[4:5]
	s_mov_b64 s[8:9], -1
	; wave barrier
.LBB88_106:
	s_and_b64 vcc, exec, s[8:9]
	s_cbranch_vccz .LBB88_108
; %bb.107:
	s_lshl_b64 s[4:5], s[6:7], 2
	s_add_u32 s4, s10, s4
	s_addc_u32 s5, s11, s5
	v_mov_b32_e32 v51, 0
	global_load_dword v51, v51, s[4:5]
	s_waitcnt vmcnt(0)
	v_cmp_ne_u32_e32 vcc, 0, v51
	s_cbranch_vccz .LBB88_109
.LBB88_108:
	s_endpgm
.LBB88_109:
	v_mov_b32_e32 v51, 0xd0
	v_lshl_add_u32 v51, v0, 3, v51
	v_cmp_eq_u32_e32 vcc, 24, v0
	s_and_saveexec_b64 s[4:5], vcc
	s_cbranch_execz .LBB88_111
; %bb.110:
	buffer_load_dword v52, off, s[0:3], 0 offset:184
	buffer_load_dword v53, off, s[0:3], 0 offset:188
	v_mov_b32_e32 v54, 0
	buffer_store_dword v54, off, s[0:3], 0 offset:184
	buffer_store_dword v54, off, s[0:3], 0 offset:188
	s_waitcnt vmcnt(2)
	ds_write_b64 v51, v[52:53]
.LBB88_111:
	s_or_b64 exec, exec, s[4:5]
	s_waitcnt lgkmcnt(0)
	; wave barrier
	buffer_load_dword v53, off, s[0:3], 0 offset:192
	buffer_load_dword v54, off, s[0:3], 0 offset:196
	;; [unrolled: 1-line block ×4, first 2 shown]
	v_mov_b32_e32 v52, 0
	ds_read_b64 v[57:58], v52 offset:400
	v_cmp_lt_u32_e32 vcc, 22, v0
	s_waitcnt vmcnt(2) lgkmcnt(0)
	v_fma_f64 v[53:54], v[53:54], v[57:58], 0
	s_waitcnt vmcnt(0)
	v_add_f64 v[53:54], v[55:56], -v[53:54]
	buffer_store_dword v53, off, s[0:3], 0 offset:184
	buffer_store_dword v54, off, s[0:3], 0 offset:188
	s_and_saveexec_b64 s[4:5], vcc
	s_cbranch_execz .LBB88_113
; %bb.112:
	buffer_load_dword v53, off, s[0:3], 0 offset:176
	buffer_load_dword v54, off, s[0:3], 0 offset:180
	s_waitcnt vmcnt(0)
	ds_write_b64 v51, v[53:54]
	buffer_store_dword v52, off, s[0:3], 0 offset:176
	buffer_store_dword v52, off, s[0:3], 0 offset:180
.LBB88_113:
	s_or_b64 exec, exec, s[4:5]
	s_waitcnt lgkmcnt(0)
	; wave barrier
	buffer_load_dword v56, off, s[0:3], 0 offset:184
	buffer_load_dword v57, off, s[0:3], 0 offset:188
	;; [unrolled: 1-line block ×6, first 2 shown]
	ds_read2_b64 v[52:55], v52 offset0:49 offset1:50
	v_cmp_lt_u32_e32 vcc, 21, v0
	s_waitcnt vmcnt(4) lgkmcnt(0)
	v_fma_f64 v[52:53], v[56:57], v[52:53], 0
	s_waitcnt vmcnt(2)
	v_fma_f64 v[52:53], v[58:59], v[54:55], v[52:53]
	s_waitcnt vmcnt(0)
	v_add_f64 v[52:53], v[60:61], -v[52:53]
	buffer_store_dword v52, off, s[0:3], 0 offset:176
	buffer_store_dword v53, off, s[0:3], 0 offset:180
	s_and_saveexec_b64 s[4:5], vcc
	s_cbranch_execz .LBB88_115
; %bb.114:
	buffer_load_dword v52, off, s[0:3], 0 offset:168
	buffer_load_dword v53, off, s[0:3], 0 offset:172
	v_mov_b32_e32 v54, 0
	buffer_store_dword v54, off, s[0:3], 0 offset:168
	buffer_store_dword v54, off, s[0:3], 0 offset:172
	s_waitcnt vmcnt(2)
	ds_write_b64 v51, v[52:53]
.LBB88_115:
	s_or_b64 exec, exec, s[4:5]
	s_waitcnt lgkmcnt(0)
	; wave barrier
	buffer_load_dword v57, off, s[0:3], 0 offset:176
	buffer_load_dword v58, off, s[0:3], 0 offset:180
	;; [unrolled: 1-line block ×8, first 2 shown]
	v_mov_b32_e32 v52, 0
	ds_read_b128 v[53:56], v52 offset:384
	ds_read_b64 v[65:66], v52 offset:400
	v_cmp_lt_u32_e32 vcc, 20, v0
	s_waitcnt vmcnt(6) lgkmcnt(1)
	v_fma_f64 v[53:54], v[57:58], v[53:54], 0
	s_waitcnt vmcnt(4)
	v_fma_f64 v[53:54], v[59:60], v[55:56], v[53:54]
	s_waitcnt vmcnt(2) lgkmcnt(0)
	v_fma_f64 v[53:54], v[61:62], v[65:66], v[53:54]
	s_waitcnt vmcnt(0)
	v_add_f64 v[53:54], v[63:64], -v[53:54]
	buffer_store_dword v53, off, s[0:3], 0 offset:168
	buffer_store_dword v54, off, s[0:3], 0 offset:172
	s_and_saveexec_b64 s[4:5], vcc
	s_cbranch_execz .LBB88_117
; %bb.116:
	buffer_load_dword v53, off, s[0:3], 0 offset:160
	buffer_load_dword v54, off, s[0:3], 0 offset:164
	s_waitcnt vmcnt(0)
	ds_write_b64 v51, v[53:54]
	buffer_store_dword v52, off, s[0:3], 0 offset:160
	buffer_store_dword v52, off, s[0:3], 0 offset:164
.LBB88_117:
	s_or_b64 exec, exec, s[4:5]
	s_waitcnt lgkmcnt(0)
	; wave barrier
	buffer_load_dword v61, off, s[0:3], 0 offset:168
	buffer_load_dword v62, off, s[0:3], 0 offset:172
	;; [unrolled: 1-line block ×10, first 2 shown]
	ds_read2_b64 v[53:56], v52 offset0:47 offset1:48
	ds_read2_b64 v[57:60], v52 offset0:49 offset1:50
	v_cmp_lt_u32_e32 vcc, 19, v0
	s_waitcnt vmcnt(8) lgkmcnt(1)
	v_fma_f64 v[52:53], v[61:62], v[53:54], 0
	s_waitcnt vmcnt(6)
	v_fma_f64 v[52:53], v[63:64], v[55:56], v[52:53]
	s_waitcnt vmcnt(4) lgkmcnt(0)
	v_fma_f64 v[52:53], v[65:66], v[57:58], v[52:53]
	s_waitcnt vmcnt(2)
	v_fma_f64 v[52:53], v[67:68], v[59:60], v[52:53]
	s_waitcnt vmcnt(0)
	v_add_f64 v[52:53], v[69:70], -v[52:53]
	buffer_store_dword v52, off, s[0:3], 0 offset:160
	buffer_store_dword v53, off, s[0:3], 0 offset:164
	s_and_saveexec_b64 s[4:5], vcc
	s_cbranch_execz .LBB88_119
; %bb.118:
	buffer_load_dword v52, off, s[0:3], 0 offset:152
	buffer_load_dword v53, off, s[0:3], 0 offset:156
	v_mov_b32_e32 v54, 0
	buffer_store_dword v54, off, s[0:3], 0 offset:152
	buffer_store_dword v54, off, s[0:3], 0 offset:156
	s_waitcnt vmcnt(2)
	ds_write_b64 v51, v[52:53]
.LBB88_119:
	s_or_b64 exec, exec, s[4:5]
	s_waitcnt lgkmcnt(0)
	; wave barrier
	buffer_load_dword v61, off, s[0:3], 0 offset:160
	buffer_load_dword v62, off, s[0:3], 0 offset:164
	;; [unrolled: 1-line block ×12, first 2 shown]
	v_mov_b32_e32 v52, 0
	ds_read_b128 v[53:56], v52 offset:368
	ds_read_b128 v[57:60], v52 offset:384
	v_cmp_lt_u32_e32 vcc, 18, v0
	s_waitcnt vmcnt(10) lgkmcnt(1)
	v_fma_f64 v[53:54], v[61:62], v[53:54], 0
	s_waitcnt vmcnt(8)
	v_fma_f64 v[53:54], v[63:64], v[55:56], v[53:54]
	ds_read_b64 v[55:56], v52 offset:400
	s_waitcnt vmcnt(6) lgkmcnt(1)
	v_fma_f64 v[53:54], v[65:66], v[57:58], v[53:54]
	s_waitcnt vmcnt(4)
	v_fma_f64 v[53:54], v[67:68], v[59:60], v[53:54]
	s_waitcnt vmcnt(2) lgkmcnt(0)
	v_fma_f64 v[53:54], v[69:70], v[55:56], v[53:54]
	s_waitcnt vmcnt(0)
	v_add_f64 v[53:54], v[71:72], -v[53:54]
	buffer_store_dword v53, off, s[0:3], 0 offset:152
	buffer_store_dword v54, off, s[0:3], 0 offset:156
	s_and_saveexec_b64 s[4:5], vcc
	s_cbranch_execz .LBB88_121
; %bb.120:
	buffer_load_dword v53, off, s[0:3], 0 offset:144
	buffer_load_dword v54, off, s[0:3], 0 offset:148
	s_waitcnt vmcnt(0)
	ds_write_b64 v51, v[53:54]
	buffer_store_dword v52, off, s[0:3], 0 offset:144
	buffer_store_dword v52, off, s[0:3], 0 offset:148
.LBB88_121:
	s_or_b64 exec, exec, s[4:5]
	s_waitcnt lgkmcnt(0)
	; wave barrier
	buffer_load_dword v61, off, s[0:3], 0 offset:152
	buffer_load_dword v62, off, s[0:3], 0 offset:156
	;; [unrolled: 1-line block ×14, first 2 shown]
	ds_read2_b64 v[53:56], v52 offset0:45 offset1:46
	ds_read2_b64 v[57:60], v52 offset0:47 offset1:48
	v_cmp_lt_u32_e32 vcc, 17, v0
	s_waitcnt vmcnt(12) lgkmcnt(1)
	v_fma_f64 v[53:54], v[61:62], v[53:54], 0
	s_waitcnt vmcnt(10)
	v_fma_f64 v[53:54], v[63:64], v[55:56], v[53:54]
	s_waitcnt vmcnt(8) lgkmcnt(0)
	v_fma_f64 v[53:54], v[65:66], v[57:58], v[53:54]
	s_waitcnt vmcnt(6)
	v_fma_f64 v[56:57], v[67:68], v[59:60], v[53:54]
	ds_read2_b64 v[52:55], v52 offset0:49 offset1:50
	s_waitcnt vmcnt(4) lgkmcnt(0)
	v_fma_f64 v[52:53], v[69:70], v[52:53], v[56:57]
	s_waitcnt vmcnt(2)
	v_fma_f64 v[52:53], v[71:72], v[54:55], v[52:53]
	s_waitcnt vmcnt(0)
	v_add_f64 v[52:53], v[73:74], -v[52:53]
	buffer_store_dword v52, off, s[0:3], 0 offset:144
	buffer_store_dword v53, off, s[0:3], 0 offset:148
	s_and_saveexec_b64 s[4:5], vcc
	s_cbranch_execz .LBB88_123
; %bb.122:
	buffer_load_dword v52, off, s[0:3], 0 offset:136
	buffer_load_dword v53, off, s[0:3], 0 offset:140
	v_mov_b32_e32 v54, 0
	buffer_store_dword v54, off, s[0:3], 0 offset:136
	buffer_store_dword v54, off, s[0:3], 0 offset:140
	s_waitcnt vmcnt(2)
	ds_write_b64 v51, v[52:53]
.LBB88_123:
	s_or_b64 exec, exec, s[4:5]
	s_waitcnt lgkmcnt(0)
	; wave barrier
	buffer_load_dword v61, off, s[0:3], 0 offset:144
	buffer_load_dword v62, off, s[0:3], 0 offset:148
	;; [unrolled: 1-line block ×16, first 2 shown]
	v_mov_b32_e32 v52, 0
	ds_read_b128 v[53:56], v52 offset:352
	ds_read_b128 v[57:60], v52 offset:368
	v_cmp_lt_u32_e32 vcc, 16, v0
	s_waitcnt vmcnt(14) lgkmcnt(1)
	v_fma_f64 v[53:54], v[61:62], v[53:54], 0
	s_waitcnt vmcnt(12)
	v_fma_f64 v[53:54], v[63:64], v[55:56], v[53:54]
	s_waitcnt vmcnt(10) lgkmcnt(0)
	v_fma_f64 v[53:54], v[65:66], v[57:58], v[53:54]
	s_waitcnt vmcnt(8)
	v_fma_f64 v[57:58], v[67:68], v[59:60], v[53:54]
	ds_read_b128 v[53:56], v52 offset:384
	ds_read_b64 v[59:60], v52 offset:400
	s_waitcnt vmcnt(6) lgkmcnt(1)
	v_fma_f64 v[53:54], v[69:70], v[53:54], v[57:58]
	s_waitcnt vmcnt(4)
	v_fma_f64 v[53:54], v[71:72], v[55:56], v[53:54]
	s_waitcnt vmcnt(2) lgkmcnt(0)
	v_fma_f64 v[53:54], v[73:74], v[59:60], v[53:54]
	s_waitcnt vmcnt(0)
	v_add_f64 v[53:54], v[75:76], -v[53:54]
	buffer_store_dword v53, off, s[0:3], 0 offset:136
	buffer_store_dword v54, off, s[0:3], 0 offset:140
	s_and_saveexec_b64 s[4:5], vcc
	s_cbranch_execz .LBB88_125
; %bb.124:
	buffer_load_dword v53, off, s[0:3], 0 offset:128
	buffer_load_dword v54, off, s[0:3], 0 offset:132
	s_waitcnt vmcnt(0)
	ds_write_b64 v51, v[53:54]
	buffer_store_dword v52, off, s[0:3], 0 offset:128
	buffer_store_dword v52, off, s[0:3], 0 offset:132
.LBB88_125:
	s_or_b64 exec, exec, s[4:5]
	s_waitcnt lgkmcnt(0)
	; wave barrier
	buffer_load_dword v61, off, s[0:3], 0 offset:136
	buffer_load_dword v62, off, s[0:3], 0 offset:140
	;; [unrolled: 1-line block ×18, first 2 shown]
	ds_read2_b64 v[53:56], v52 offset0:43 offset1:44
	ds_read2_b64 v[57:60], v52 offset0:45 offset1:46
	v_cmp_lt_u32_e32 vcc, 15, v0
	s_waitcnt vmcnt(16) lgkmcnt(1)
	v_fma_f64 v[53:54], v[61:62], v[53:54], 0
	s_waitcnt vmcnt(14)
	v_fma_f64 v[53:54], v[63:64], v[55:56], v[53:54]
	s_waitcnt vmcnt(12) lgkmcnt(0)
	v_fma_f64 v[53:54], v[65:66], v[57:58], v[53:54]
	s_waitcnt vmcnt(10)
	v_fma_f64 v[61:62], v[67:68], v[59:60], v[53:54]
	ds_read2_b64 v[53:56], v52 offset0:47 offset1:48
	ds_read2_b64 v[57:60], v52 offset0:49 offset1:50
	s_waitcnt vmcnt(8) lgkmcnt(1)
	v_fma_f64 v[52:53], v[69:70], v[53:54], v[61:62]
	s_waitcnt vmcnt(6)
	v_fma_f64 v[52:53], v[71:72], v[55:56], v[52:53]
	s_waitcnt vmcnt(4) lgkmcnt(0)
	v_fma_f64 v[52:53], v[73:74], v[57:58], v[52:53]
	s_waitcnt vmcnt(2)
	v_fma_f64 v[52:53], v[75:76], v[59:60], v[52:53]
	s_waitcnt vmcnt(0)
	v_add_f64 v[52:53], v[77:78], -v[52:53]
	buffer_store_dword v52, off, s[0:3], 0 offset:128
	buffer_store_dword v53, off, s[0:3], 0 offset:132
	s_and_saveexec_b64 s[4:5], vcc
	s_cbranch_execz .LBB88_127
; %bb.126:
	buffer_load_dword v52, off, s[0:3], 0 offset:120
	buffer_load_dword v53, off, s[0:3], 0 offset:124
	v_mov_b32_e32 v54, 0
	buffer_store_dword v54, off, s[0:3], 0 offset:120
	buffer_store_dword v54, off, s[0:3], 0 offset:124
	s_waitcnt vmcnt(2)
	ds_write_b64 v51, v[52:53]
.LBB88_127:
	s_or_b64 exec, exec, s[4:5]
	s_waitcnt lgkmcnt(0)
	; wave barrier
	buffer_load_dword v61, off, s[0:3], 0 offset:128
	buffer_load_dword v62, off, s[0:3], 0 offset:132
	;; [unrolled: 1-line block ×20, first 2 shown]
	v_mov_b32_e32 v52, 0
	ds_read_b128 v[53:56], v52 offset:336
	ds_read_b128 v[57:60], v52 offset:352
	v_cmp_lt_u32_e32 vcc, 14, v0
	s_waitcnt vmcnt(18) lgkmcnt(1)
	v_fma_f64 v[53:54], v[61:62], v[53:54], 0
	s_waitcnt vmcnt(16)
	v_fma_f64 v[53:54], v[63:64], v[55:56], v[53:54]
	s_waitcnt vmcnt(14) lgkmcnt(0)
	v_fma_f64 v[53:54], v[65:66], v[57:58], v[53:54]
	s_waitcnt vmcnt(12)
	v_fma_f64 v[61:62], v[67:68], v[59:60], v[53:54]
	ds_read_b128 v[53:56], v52 offset:368
	ds_read_b128 v[57:60], v52 offset:384
	s_waitcnt vmcnt(10) lgkmcnt(1)
	v_fma_f64 v[53:54], v[69:70], v[53:54], v[61:62]
	s_waitcnt vmcnt(8)
	v_fma_f64 v[53:54], v[71:72], v[55:56], v[53:54]
	ds_read_b64 v[55:56], v52 offset:400
	s_waitcnt vmcnt(6) lgkmcnt(1)
	v_fma_f64 v[53:54], v[73:74], v[57:58], v[53:54]
	s_waitcnt vmcnt(3)
	v_fma_f64 v[53:54], v[75:76], v[59:60], v[53:54]
	s_waitcnt vmcnt(2) lgkmcnt(0)
	v_fma_f64 v[53:54], v[77:78], v[55:56], v[53:54]
	s_waitcnt vmcnt(0)
	v_add_f64 v[53:54], v[79:80], -v[53:54]
	buffer_store_dword v53, off, s[0:3], 0 offset:120
	buffer_store_dword v54, off, s[0:3], 0 offset:124
	s_and_saveexec_b64 s[4:5], vcc
	s_cbranch_execz .LBB88_129
; %bb.128:
	buffer_load_dword v53, off, s[0:3], 0 offset:112
	buffer_load_dword v54, off, s[0:3], 0 offset:116
	s_waitcnt vmcnt(0)
	ds_write_b64 v51, v[53:54]
	buffer_store_dword v52, off, s[0:3], 0 offset:112
	buffer_store_dword v52, off, s[0:3], 0 offset:116
.LBB88_129:
	s_or_b64 exec, exec, s[4:5]
	s_waitcnt lgkmcnt(0)
	; wave barrier
	buffer_load_dword v57, off, s[0:3], 0 offset:112
	buffer_load_dword v58, off, s[0:3], 0 offset:116
	;; [unrolled: 1-line block ×16, first 2 shown]
	ds_read2_b64 v[53:56], v52 offset0:41 offset1:42
	v_cmp_lt_u32_e32 vcc, 13, v0
	s_waitcnt vmcnt(12) lgkmcnt(0)
	v_fma_f64 v[53:54], v[59:60], v[53:54], 0
	s_waitcnt vmcnt(10)
	v_fma_f64 v[59:60], v[61:62], v[55:56], v[53:54]
	ds_read2_b64 v[53:56], v52 offset0:43 offset1:44
	s_waitcnt vmcnt(8) lgkmcnt(0)
	v_fma_f64 v[53:54], v[63:64], v[53:54], v[59:60]
	s_waitcnt vmcnt(6)
	v_fma_f64 v[59:60], v[65:66], v[55:56], v[53:54]
	ds_read2_b64 v[53:56], v52 offset0:45 offset1:46
	;; [unrolled: 5-line block ×3, first 2 shown]
	s_waitcnt vmcnt(0) lgkmcnt(0)
	v_fma_f64 v[53:54], v[71:72], v[53:54], v[59:60]
	buffer_load_dword v60, off, s[0:3], 0 offset:180
	buffer_load_dword v59, off, s[0:3], 0 offset:176
	;; [unrolled: 1-line block ×4, first 2 shown]
	s_waitcnt vmcnt(2)
	v_fma_f64 v[59:60], v[59:60], v[55:56], v[53:54]
	ds_read2_b64 v[52:55], v52 offset0:49 offset1:50
	s_waitcnt vmcnt(0) lgkmcnt(0)
	v_fma_f64 v[52:53], v[61:62], v[52:53], v[59:60]
	buffer_load_dword v60, off, s[0:3], 0 offset:196
	buffer_load_dword v59, off, s[0:3], 0 offset:192
	s_waitcnt vmcnt(0)
	v_fma_f64 v[52:53], v[59:60], v[54:55], v[52:53]
	v_add_f64 v[52:53], v[57:58], -v[52:53]
	buffer_store_dword v52, off, s[0:3], 0 offset:112
	buffer_store_dword v53, off, s[0:3], 0 offset:116
	s_and_saveexec_b64 s[4:5], vcc
	s_cbranch_execz .LBB88_131
; %bb.130:
	buffer_load_dword v52, off, s[0:3], 0 offset:104
	buffer_load_dword v53, off, s[0:3], 0 offset:108
	v_mov_b32_e32 v54, 0
	buffer_store_dword v54, off, s[0:3], 0 offset:104
	buffer_store_dword v54, off, s[0:3], 0 offset:108
	s_waitcnt vmcnt(2)
	ds_write_b64 v51, v[52:53]
.LBB88_131:
	s_or_b64 exec, exec, s[4:5]
	s_waitcnt lgkmcnt(0)
	; wave barrier
	buffer_load_dword v57, off, s[0:3], 0 offset:112
	buffer_load_dword v58, off, s[0:3], 0 offset:116
	;; [unrolled: 1-line block ×20, first 2 shown]
	v_mov_b32_e32 v52, 0
	ds_read_b128 v[53:56], v52 offset:320
	buffer_load_dword v77, off, s[0:3], 0 offset:192
	buffer_load_dword v78, off, s[0:3], 0 offset:196
	v_cmp_lt_u32_e32 vcc, 12, v0
	s_waitcnt vmcnt(20) lgkmcnt(0)
	v_fma_f64 v[53:54], v[57:58], v[53:54], 0
	buffer_load_dword v57, off, s[0:3], 0 offset:104
	buffer_load_dword v58, off, s[0:3], 0 offset:108
	s_waitcnt vmcnt(20)
	v_fma_f64 v[59:60], v[59:60], v[55:56], v[53:54]
	ds_read_b128 v[53:56], v52 offset:336
	s_waitcnt vmcnt(18) lgkmcnt(0)
	v_fma_f64 v[53:54], v[61:62], v[53:54], v[59:60]
	s_waitcnt vmcnt(16)
	v_fma_f64 v[59:60], v[63:64], v[55:56], v[53:54]
	ds_read_b128 v[53:56], v52 offset:352
	s_waitcnt vmcnt(14) lgkmcnt(0)
	v_fma_f64 v[53:54], v[65:66], v[53:54], v[59:60]
	;; [unrolled: 5-line block ×4, first 2 shown]
	s_waitcnt vmcnt(4)
	v_fma_f64 v[53:54], v[75:76], v[55:56], v[53:54]
	ds_read_b64 v[55:56], v52 offset:400
	s_waitcnt vmcnt(2) lgkmcnt(0)
	v_fma_f64 v[53:54], v[77:78], v[55:56], v[53:54]
	s_waitcnt vmcnt(0)
	v_add_f64 v[53:54], v[57:58], -v[53:54]
	buffer_store_dword v54, off, s[0:3], 0 offset:108
	buffer_store_dword v53, off, s[0:3], 0 offset:104
	s_and_saveexec_b64 s[4:5], vcc
	s_cbranch_execz .LBB88_133
; %bb.132:
	buffer_load_dword v53, off, s[0:3], 0 offset:96
	buffer_load_dword v54, off, s[0:3], 0 offset:100
	s_waitcnt vmcnt(0)
	ds_write_b64 v51, v[53:54]
	buffer_store_dword v52, off, s[0:3], 0 offset:96
	buffer_store_dword v52, off, s[0:3], 0 offset:100
.LBB88_133:
	s_or_b64 exec, exec, s[4:5]
	s_waitcnt lgkmcnt(0)
	; wave barrier
	buffer_load_dword v57, off, s[0:3], 0 offset:104
	buffer_load_dword v58, off, s[0:3], 0 offset:108
	;; [unrolled: 1-line block ×20, first 2 shown]
	ds_read2_b64 v[53:56], v52 offset0:39 offset1:40
	buffer_load_dword v77, off, s[0:3], 0 offset:184
	buffer_load_dword v78, off, s[0:3], 0 offset:188
	v_cmp_lt_u32_e32 vcc, 11, v0
	s_waitcnt vmcnt(20) lgkmcnt(0)
	v_fma_f64 v[53:54], v[57:58], v[53:54], 0
	buffer_load_dword v58, off, s[0:3], 0 offset:196
	buffer_load_dword v57, off, s[0:3], 0 offset:192
	s_waitcnt vmcnt(20)
	v_fma_f64 v[59:60], v[59:60], v[55:56], v[53:54]
	ds_read2_b64 v[53:56], v52 offset0:41 offset1:42
	buffer_load_dword v79, off, s[0:3], 0 offset:96
	buffer_load_dword v80, off, s[0:3], 0 offset:100
	s_waitcnt vmcnt(20) lgkmcnt(0)
	v_fma_f64 v[53:54], v[61:62], v[53:54], v[59:60]
	s_waitcnt vmcnt(18)
	v_fma_f64 v[59:60], v[63:64], v[55:56], v[53:54]
	ds_read2_b64 v[53:56], v52 offset0:43 offset1:44
	s_waitcnt vmcnt(16) lgkmcnt(0)
	v_fma_f64 v[53:54], v[65:66], v[53:54], v[59:60]
	s_waitcnt vmcnt(14)
	v_fma_f64 v[59:60], v[67:68], v[55:56], v[53:54]
	ds_read2_b64 v[53:56], v52 offset0:45 offset1:46
	;; [unrolled: 5-line block ×4, first 2 shown]
	s_waitcnt vmcnt(4) lgkmcnt(0)
	v_fma_f64 v[52:53], v[77:78], v[52:53], v[59:60]
	s_waitcnt vmcnt(2)
	v_fma_f64 v[52:53], v[57:58], v[54:55], v[52:53]
	s_waitcnt vmcnt(0)
	v_add_f64 v[52:53], v[79:80], -v[52:53]
	buffer_store_dword v53, off, s[0:3], 0 offset:100
	buffer_store_dword v52, off, s[0:3], 0 offset:96
	s_and_saveexec_b64 s[4:5], vcc
	s_cbranch_execz .LBB88_135
; %bb.134:
	buffer_load_dword v52, off, s[0:3], 0 offset:88
	buffer_load_dword v53, off, s[0:3], 0 offset:92
	v_mov_b32_e32 v54, 0
	buffer_store_dword v54, off, s[0:3], 0 offset:88
	buffer_store_dword v54, off, s[0:3], 0 offset:92
	s_waitcnt vmcnt(2)
	ds_write_b64 v51, v[52:53]
.LBB88_135:
	s_or_b64 exec, exec, s[4:5]
	s_waitcnt lgkmcnt(0)
	; wave barrier
	buffer_load_dword v57, off, s[0:3], 0 offset:96
	buffer_load_dword v58, off, s[0:3], 0 offset:100
	;; [unrolled: 1-line block ×20, first 2 shown]
	v_mov_b32_e32 v52, 0
	ds_read_b128 v[53:56], v52 offset:304
	buffer_load_dword v77, off, s[0:3], 0 offset:176
	buffer_load_dword v78, off, s[0:3], 0 offset:180
	v_cmp_lt_u32_e32 vcc, 10, v0
	s_waitcnt vmcnt(20) lgkmcnt(0)
	v_fma_f64 v[53:54], v[57:58], v[53:54], 0
	buffer_load_dword v58, off, s[0:3], 0 offset:188
	buffer_load_dword v57, off, s[0:3], 0 offset:184
	s_waitcnt vmcnt(20)
	v_fma_f64 v[59:60], v[59:60], v[55:56], v[53:54]
	ds_read_b128 v[53:56], v52 offset:320
	buffer_load_dword v79, off, s[0:3], 0 offset:192
	buffer_load_dword v80, off, s[0:3], 0 offset:196
	s_waitcnt vmcnt(20) lgkmcnt(0)
	v_fma_f64 v[53:54], v[61:62], v[53:54], v[59:60]
	buffer_load_dword v59, off, s[0:3], 0 offset:88
	buffer_load_dword v60, off, s[0:3], 0 offset:92
	s_waitcnt vmcnt(20)
	v_fma_f64 v[61:62], v[63:64], v[55:56], v[53:54]
	ds_read_b128 v[53:56], v52 offset:336
	s_waitcnt vmcnt(18) lgkmcnt(0)
	v_fma_f64 v[53:54], v[65:66], v[53:54], v[61:62]
	s_waitcnt vmcnt(16)
	v_fma_f64 v[61:62], v[67:68], v[55:56], v[53:54]
	ds_read_b128 v[53:56], v52 offset:352
	s_waitcnt vmcnt(14) lgkmcnt(0)
	v_fma_f64 v[53:54], v[69:70], v[53:54], v[61:62]
	s_waitcnt vmcnt(12)
	v_fma_f64 v[61:62], v[71:72], v[55:56], v[53:54]
	ds_read_b128 v[53:56], v52 offset:368
	s_waitcnt vmcnt(10) lgkmcnt(0)
	v_fma_f64 v[53:54], v[73:74], v[53:54], v[61:62]
	s_waitcnt vmcnt(8)
	v_fma_f64 v[61:62], v[75:76], v[55:56], v[53:54]
	ds_read_b128 v[53:56], v52 offset:384
	s_waitcnt vmcnt(6) lgkmcnt(0)
	v_fma_f64 v[53:54], v[77:78], v[53:54], v[61:62]
	s_waitcnt vmcnt(4)
	v_fma_f64 v[53:54], v[57:58], v[55:56], v[53:54]
	ds_read_b64 v[55:56], v52 offset:400
	s_waitcnt vmcnt(2) lgkmcnt(0)
	v_fma_f64 v[53:54], v[79:80], v[55:56], v[53:54]
	s_waitcnt vmcnt(0)
	v_add_f64 v[53:54], v[59:60], -v[53:54]
	buffer_store_dword v54, off, s[0:3], 0 offset:92
	buffer_store_dword v53, off, s[0:3], 0 offset:88
	s_and_saveexec_b64 s[4:5], vcc
	s_cbranch_execz .LBB88_137
; %bb.136:
	buffer_load_dword v53, off, s[0:3], 0 offset:80
	buffer_load_dword v54, off, s[0:3], 0 offset:84
	s_waitcnt vmcnt(0)
	ds_write_b64 v51, v[53:54]
	buffer_store_dword v52, off, s[0:3], 0 offset:80
	buffer_store_dword v52, off, s[0:3], 0 offset:84
.LBB88_137:
	s_or_b64 exec, exec, s[4:5]
	s_waitcnt lgkmcnt(0)
	; wave barrier
	buffer_load_dword v57, off, s[0:3], 0 offset:88
	buffer_load_dword v58, off, s[0:3], 0 offset:92
	;; [unrolled: 1-line block ×20, first 2 shown]
	ds_read2_b64 v[53:56], v52 offset0:37 offset1:38
	buffer_load_dword v77, off, s[0:3], 0 offset:168
	buffer_load_dword v78, off, s[0:3], 0 offset:172
	v_cmp_lt_u32_e32 vcc, 9, v0
	s_waitcnt vmcnt(20) lgkmcnt(0)
	v_fma_f64 v[53:54], v[57:58], v[53:54], 0
	buffer_load_dword v58, off, s[0:3], 0 offset:180
	buffer_load_dword v57, off, s[0:3], 0 offset:176
	s_waitcnt vmcnt(20)
	v_fma_f64 v[59:60], v[59:60], v[55:56], v[53:54]
	ds_read2_b64 v[53:56], v52 offset0:39 offset1:40
	buffer_load_dword v79, off, s[0:3], 0 offset:184
	buffer_load_dword v80, off, s[0:3], 0 offset:188
	s_waitcnt vmcnt(20) lgkmcnt(0)
	v_fma_f64 v[53:54], v[61:62], v[53:54], v[59:60]
	buffer_load_dword v59, off, s[0:3], 0 offset:192
	buffer_load_dword v60, off, s[0:3], 0 offset:196
	s_waitcnt vmcnt(20)
	v_fma_f64 v[61:62], v[63:64], v[55:56], v[53:54]
	ds_read2_b64 v[53:56], v52 offset0:41 offset1:42
	buffer_load_dword v63, off, s[0:3], 0 offset:80
	buffer_load_dword v64, off, s[0:3], 0 offset:84
	s_waitcnt vmcnt(20) lgkmcnt(0)
	v_fma_f64 v[53:54], v[65:66], v[53:54], v[61:62]
	s_waitcnt vmcnt(18)
	v_fma_f64 v[61:62], v[67:68], v[55:56], v[53:54]
	ds_read2_b64 v[53:56], v52 offset0:43 offset1:44
	s_waitcnt vmcnt(16) lgkmcnt(0)
	v_fma_f64 v[53:54], v[69:70], v[53:54], v[61:62]
	s_waitcnt vmcnt(14)
	v_fma_f64 v[61:62], v[71:72], v[55:56], v[53:54]
	ds_read2_b64 v[53:56], v52 offset0:45 offset1:46
	;; [unrolled: 5-line block ×4, first 2 shown]
	s_waitcnt vmcnt(4) lgkmcnt(0)
	v_fma_f64 v[52:53], v[79:80], v[52:53], v[56:57]
	s_waitcnt vmcnt(2)
	v_fma_f64 v[52:53], v[59:60], v[54:55], v[52:53]
	s_waitcnt vmcnt(0)
	v_add_f64 v[52:53], v[63:64], -v[52:53]
	buffer_store_dword v53, off, s[0:3], 0 offset:84
	buffer_store_dword v52, off, s[0:3], 0 offset:80
	s_and_saveexec_b64 s[4:5], vcc
	s_cbranch_execz .LBB88_139
; %bb.138:
	buffer_load_dword v52, off, s[0:3], 0 offset:72
	buffer_load_dword v53, off, s[0:3], 0 offset:76
	v_mov_b32_e32 v54, 0
	buffer_store_dword v54, off, s[0:3], 0 offset:72
	buffer_store_dword v54, off, s[0:3], 0 offset:76
	s_waitcnt vmcnt(2)
	ds_write_b64 v51, v[52:53]
.LBB88_139:
	s_or_b64 exec, exec, s[4:5]
	s_waitcnt lgkmcnt(0)
	; wave barrier
	buffer_load_dword v57, off, s[0:3], 0 offset:80
	buffer_load_dword v58, off, s[0:3], 0 offset:84
	;; [unrolled: 1-line block ×20, first 2 shown]
	v_mov_b32_e32 v52, 0
	ds_read_b128 v[53:56], v52 offset:288
	buffer_load_dword v77, off, s[0:3], 0 offset:160
	buffer_load_dword v78, off, s[0:3], 0 offset:164
	v_cmp_lt_u32_e32 vcc, 8, v0
	s_waitcnt vmcnt(20) lgkmcnt(0)
	v_fma_f64 v[53:54], v[57:58], v[53:54], 0
	buffer_load_dword v58, off, s[0:3], 0 offset:172
	buffer_load_dword v57, off, s[0:3], 0 offset:168
	s_waitcnt vmcnt(20)
	v_fma_f64 v[59:60], v[59:60], v[55:56], v[53:54]
	ds_read_b128 v[53:56], v52 offset:304
	buffer_load_dword v79, off, s[0:3], 0 offset:176
	buffer_load_dword v80, off, s[0:3], 0 offset:180
	s_waitcnt vmcnt(20) lgkmcnt(0)
	v_fma_f64 v[53:54], v[61:62], v[53:54], v[59:60]
	buffer_load_dword v59, off, s[0:3], 0 offset:184
	buffer_load_dword v60, off, s[0:3], 0 offset:188
	s_waitcnt vmcnt(20)
	v_fma_f64 v[61:62], v[63:64], v[55:56], v[53:54]
	ds_read_b128 v[53:56], v52 offset:320
	buffer_load_dword v63, off, s[0:3], 0 offset:192
	buffer_load_dword v64, off, s[0:3], 0 offset:196
	s_waitcnt vmcnt(20) lgkmcnt(0)
	v_fma_f64 v[53:54], v[65:66], v[53:54], v[61:62]
	buffer_load_dword v61, off, s[0:3], 0 offset:72
	buffer_load_dword v62, off, s[0:3], 0 offset:76
	s_waitcnt vmcnt(20)
	v_fma_f64 v[65:66], v[67:68], v[55:56], v[53:54]
	ds_read_b128 v[53:56], v52 offset:336
	s_waitcnt vmcnt(18) lgkmcnt(0)
	v_fma_f64 v[53:54], v[69:70], v[53:54], v[65:66]
	s_waitcnt vmcnt(16)
	v_fma_f64 v[65:66], v[71:72], v[55:56], v[53:54]
	ds_read_b128 v[53:56], v52 offset:352
	s_waitcnt vmcnt(14) lgkmcnt(0)
	v_fma_f64 v[53:54], v[73:74], v[53:54], v[65:66]
	;; [unrolled: 5-line block ×4, first 2 shown]
	s_waitcnt vmcnt(4)
	v_fma_f64 v[53:54], v[59:60], v[55:56], v[53:54]
	ds_read_b64 v[55:56], v52 offset:400
	s_waitcnt vmcnt(2) lgkmcnt(0)
	v_fma_f64 v[53:54], v[63:64], v[55:56], v[53:54]
	s_waitcnt vmcnt(0)
	v_add_f64 v[53:54], v[61:62], -v[53:54]
	buffer_store_dword v54, off, s[0:3], 0 offset:76
	buffer_store_dword v53, off, s[0:3], 0 offset:72
	s_and_saveexec_b64 s[4:5], vcc
	s_cbranch_execz .LBB88_141
; %bb.140:
	buffer_load_dword v53, off, s[0:3], 0 offset:64
	buffer_load_dword v54, off, s[0:3], 0 offset:68
	s_waitcnt vmcnt(0)
	ds_write_b64 v51, v[53:54]
	buffer_store_dword v52, off, s[0:3], 0 offset:64
	buffer_store_dword v52, off, s[0:3], 0 offset:68
.LBB88_141:
	s_or_b64 exec, exec, s[4:5]
	s_waitcnt lgkmcnt(0)
	; wave barrier
	buffer_load_dword v57, off, s[0:3], 0 offset:72
	buffer_load_dword v58, off, s[0:3], 0 offset:76
	;; [unrolled: 1-line block ×20, first 2 shown]
	ds_read2_b64 v[53:56], v52 offset0:35 offset1:36
	buffer_load_dword v77, off, s[0:3], 0 offset:152
	buffer_load_dword v78, off, s[0:3], 0 offset:156
	v_cmp_lt_u32_e32 vcc, 7, v0
	s_waitcnt vmcnt(20) lgkmcnt(0)
	v_fma_f64 v[53:54], v[57:58], v[53:54], 0
	buffer_load_dword v58, off, s[0:3], 0 offset:164
	buffer_load_dword v57, off, s[0:3], 0 offset:160
	s_waitcnt vmcnt(20)
	v_fma_f64 v[59:60], v[59:60], v[55:56], v[53:54]
	ds_read2_b64 v[53:56], v52 offset0:37 offset1:38
	buffer_load_dword v79, off, s[0:3], 0 offset:168
	buffer_load_dword v80, off, s[0:3], 0 offset:172
	s_waitcnt vmcnt(20) lgkmcnt(0)
	v_fma_f64 v[53:54], v[61:62], v[53:54], v[59:60]
	buffer_load_dword v59, off, s[0:3], 0 offset:176
	buffer_load_dword v60, off, s[0:3], 0 offset:180
	s_waitcnt vmcnt(20)
	v_fma_f64 v[61:62], v[63:64], v[55:56], v[53:54]
	ds_read2_b64 v[53:56], v52 offset0:39 offset1:40
	buffer_load_dword v63, off, s[0:3], 0 offset:184
	buffer_load_dword v64, off, s[0:3], 0 offset:188
	;; [unrolled: 9-line block ×3, first 2 shown]
	s_waitcnt vmcnt(20) lgkmcnt(0)
	v_fma_f64 v[53:54], v[69:70], v[53:54], v[65:66]
	s_waitcnt vmcnt(18)
	v_fma_f64 v[65:66], v[71:72], v[55:56], v[53:54]
	ds_read2_b64 v[53:56], v52 offset0:43 offset1:44
	s_waitcnt vmcnt(16) lgkmcnt(0)
	v_fma_f64 v[53:54], v[73:74], v[53:54], v[65:66]
	s_waitcnt vmcnt(14)
	v_fma_f64 v[65:66], v[75:76], v[55:56], v[53:54]
	ds_read2_b64 v[53:56], v52 offset0:45 offset1:46
	;; [unrolled: 5-line block ×4, first 2 shown]
	s_waitcnt vmcnt(4) lgkmcnt(0)
	v_fma_f64 v[52:53], v[63:64], v[52:53], v[56:57]
	s_waitcnt vmcnt(2)
	v_fma_f64 v[52:53], v[61:62], v[54:55], v[52:53]
	s_waitcnt vmcnt(0)
	v_add_f64 v[52:53], v[67:68], -v[52:53]
	buffer_store_dword v53, off, s[0:3], 0 offset:68
	buffer_store_dword v52, off, s[0:3], 0 offset:64
	s_and_saveexec_b64 s[4:5], vcc
	s_cbranch_execz .LBB88_143
; %bb.142:
	buffer_load_dword v52, off, s[0:3], 0 offset:56
	buffer_load_dword v53, off, s[0:3], 0 offset:60
	v_mov_b32_e32 v54, 0
	buffer_store_dword v54, off, s[0:3], 0 offset:56
	buffer_store_dword v54, off, s[0:3], 0 offset:60
	s_waitcnt vmcnt(2)
	ds_write_b64 v51, v[52:53]
.LBB88_143:
	s_or_b64 exec, exec, s[4:5]
	s_waitcnt lgkmcnt(0)
	; wave barrier
	buffer_load_dword v57, off, s[0:3], 0 offset:64
	buffer_load_dword v58, off, s[0:3], 0 offset:68
	buffer_load_dword v59, off, s[0:3], 0 offset:72
	buffer_load_dword v60, off, s[0:3], 0 offset:76
	buffer_load_dword v61, off, s[0:3], 0 offset:80
	buffer_load_dword v62, off, s[0:3], 0 offset:84
	buffer_load_dword v63, off, s[0:3], 0 offset:88
	buffer_load_dword v64, off, s[0:3], 0 offset:92
	buffer_load_dword v65, off, s[0:3], 0 offset:96
	buffer_load_dword v66, off, s[0:3], 0 offset:100
	buffer_load_dword v67, off, s[0:3], 0 offset:104
	buffer_load_dword v68, off, s[0:3], 0 offset:108
	buffer_load_dword v69, off, s[0:3], 0 offset:112
	buffer_load_dword v70, off, s[0:3], 0 offset:116
	buffer_load_dword v72, off, s[0:3], 0 offset:124
	buffer_load_dword v71, off, s[0:3], 0 offset:120
	buffer_load_dword v73, off, s[0:3], 0 offset:128
	buffer_load_dword v74, off, s[0:3], 0 offset:132
	buffer_load_dword v75, off, s[0:3], 0 offset:136
	buffer_load_dword v76, off, s[0:3], 0 offset:140
	v_mov_b32_e32 v52, 0
	ds_read_b128 v[53:56], v52 offset:272
	buffer_load_dword v77, off, s[0:3], 0 offset:144
	buffer_load_dword v78, off, s[0:3], 0 offset:148
	v_cmp_lt_u32_e32 vcc, 6, v0
	s_waitcnt vmcnt(20) lgkmcnt(0)
	v_fma_f64 v[53:54], v[57:58], v[53:54], 0
	buffer_load_dword v58, off, s[0:3], 0 offset:156
	buffer_load_dword v57, off, s[0:3], 0 offset:152
	s_waitcnt vmcnt(20)
	v_fma_f64 v[59:60], v[59:60], v[55:56], v[53:54]
	ds_read_b128 v[53:56], v52 offset:288
	buffer_load_dword v79, off, s[0:3], 0 offset:160
	buffer_load_dword v80, off, s[0:3], 0 offset:164
	s_waitcnt vmcnt(20) lgkmcnt(0)
	v_fma_f64 v[53:54], v[61:62], v[53:54], v[59:60]
	buffer_load_dword v59, off, s[0:3], 0 offset:168
	buffer_load_dword v60, off, s[0:3], 0 offset:172
	s_waitcnt vmcnt(20)
	v_fma_f64 v[61:62], v[63:64], v[55:56], v[53:54]
	ds_read_b128 v[53:56], v52 offset:304
	buffer_load_dword v63, off, s[0:3], 0 offset:176
	buffer_load_dword v64, off, s[0:3], 0 offset:180
	;; [unrolled: 9-line block ×3, first 2 shown]
	s_waitcnt vmcnt(20) lgkmcnt(0)
	v_fma_f64 v[53:54], v[69:70], v[53:54], v[65:66]
	buffer_load_dword v65, off, s[0:3], 0 offset:56
	buffer_load_dword v66, off, s[0:3], 0 offset:60
	s_waitcnt vmcnt(20)
	v_fma_f64 v[69:70], v[71:72], v[55:56], v[53:54]
	ds_read_b128 v[53:56], v52 offset:336
	s_waitcnt vmcnt(18) lgkmcnt(0)
	v_fma_f64 v[53:54], v[73:74], v[53:54], v[69:70]
	s_waitcnt vmcnt(16)
	v_fma_f64 v[69:70], v[75:76], v[55:56], v[53:54]
	ds_read_b128 v[53:56], v52 offset:352
	s_waitcnt vmcnt(14) lgkmcnt(0)
	v_fma_f64 v[53:54], v[77:78], v[53:54], v[69:70]
	;; [unrolled: 5-line block ×4, first 2 shown]
	s_waitcnt vmcnt(4)
	v_fma_f64 v[53:54], v[61:62], v[55:56], v[53:54]
	ds_read_b64 v[55:56], v52 offset:400
	s_waitcnt vmcnt(2) lgkmcnt(0)
	v_fma_f64 v[53:54], v[67:68], v[55:56], v[53:54]
	s_waitcnt vmcnt(0)
	v_add_f64 v[53:54], v[65:66], -v[53:54]
	buffer_store_dword v54, off, s[0:3], 0 offset:60
	buffer_store_dword v53, off, s[0:3], 0 offset:56
	s_and_saveexec_b64 s[4:5], vcc
	s_cbranch_execz .LBB88_145
; %bb.144:
	buffer_load_dword v53, off, s[0:3], 0 offset:48
	buffer_load_dword v54, off, s[0:3], 0 offset:52
	s_waitcnt vmcnt(0)
	ds_write_b64 v51, v[53:54]
	buffer_store_dword v52, off, s[0:3], 0 offset:48
	buffer_store_dword v52, off, s[0:3], 0 offset:52
.LBB88_145:
	s_or_b64 exec, exec, s[4:5]
	s_waitcnt lgkmcnt(0)
	; wave barrier
	buffer_load_dword v57, off, s[0:3], 0 offset:56
	buffer_load_dword v58, off, s[0:3], 0 offset:60
	;; [unrolled: 1-line block ×20, first 2 shown]
	ds_read2_b64 v[53:56], v52 offset0:33 offset1:34
	buffer_load_dword v77, off, s[0:3], 0 offset:136
	buffer_load_dword v78, off, s[0:3], 0 offset:140
	v_cmp_lt_u32_e32 vcc, 5, v0
	s_waitcnt vmcnt(20) lgkmcnt(0)
	v_fma_f64 v[53:54], v[57:58], v[53:54], 0
	buffer_load_dword v58, off, s[0:3], 0 offset:148
	buffer_load_dword v57, off, s[0:3], 0 offset:144
	s_waitcnt vmcnt(20)
	v_fma_f64 v[59:60], v[59:60], v[55:56], v[53:54]
	ds_read2_b64 v[53:56], v52 offset0:35 offset1:36
	buffer_load_dword v79, off, s[0:3], 0 offset:152
	buffer_load_dword v80, off, s[0:3], 0 offset:156
	s_waitcnt vmcnt(20) lgkmcnt(0)
	v_fma_f64 v[53:54], v[61:62], v[53:54], v[59:60]
	buffer_load_dword v59, off, s[0:3], 0 offset:160
	buffer_load_dword v60, off, s[0:3], 0 offset:164
	s_waitcnt vmcnt(20)
	v_fma_f64 v[61:62], v[63:64], v[55:56], v[53:54]
	ds_read2_b64 v[53:56], v52 offset0:37 offset1:38
	buffer_load_dword v63, off, s[0:3], 0 offset:168
	buffer_load_dword v64, off, s[0:3], 0 offset:172
	;; [unrolled: 9-line block ×4, first 2 shown]
	s_waitcnt vmcnt(20) lgkmcnt(0)
	v_fma_f64 v[53:54], v[73:74], v[53:54], v[69:70]
	s_waitcnt vmcnt(18)
	v_fma_f64 v[69:70], v[75:76], v[55:56], v[53:54]
	ds_read2_b64 v[53:56], v52 offset0:43 offset1:44
	s_waitcnt vmcnt(16) lgkmcnt(0)
	v_fma_f64 v[53:54], v[77:78], v[53:54], v[69:70]
	s_waitcnt vmcnt(14)
	v_fma_f64 v[57:58], v[57:58], v[55:56], v[53:54]
	ds_read2_b64 v[53:56], v52 offset0:45 offset1:46
	;; [unrolled: 5-line block ×4, first 2 shown]
	s_waitcnt vmcnt(4) lgkmcnt(0)
	v_fma_f64 v[52:53], v[67:68], v[52:53], v[56:57]
	s_waitcnt vmcnt(2)
	v_fma_f64 v[52:53], v[65:66], v[54:55], v[52:53]
	s_waitcnt vmcnt(0)
	v_add_f64 v[52:53], v[71:72], -v[52:53]
	buffer_store_dword v53, off, s[0:3], 0 offset:52
	buffer_store_dword v52, off, s[0:3], 0 offset:48
	s_and_saveexec_b64 s[4:5], vcc
	s_cbranch_execz .LBB88_147
; %bb.146:
	buffer_load_dword v52, off, s[0:3], 0 offset:40
	buffer_load_dword v53, off, s[0:3], 0 offset:44
	v_mov_b32_e32 v54, 0
	buffer_store_dword v54, off, s[0:3], 0 offset:40
	buffer_store_dword v54, off, s[0:3], 0 offset:44
	s_waitcnt vmcnt(2)
	ds_write_b64 v51, v[52:53]
.LBB88_147:
	s_or_b64 exec, exec, s[4:5]
	s_waitcnt lgkmcnt(0)
	; wave barrier
	buffer_load_dword v57, off, s[0:3], 0 offset:48
	buffer_load_dword v58, off, s[0:3], 0 offset:52
	;; [unrolled: 1-line block ×20, first 2 shown]
	v_mov_b32_e32 v52, 0
	ds_read_b128 v[53:56], v52 offset:256
	buffer_load_dword v77, off, s[0:3], 0 offset:128
	buffer_load_dword v78, off, s[0:3], 0 offset:132
	v_cmp_lt_u32_e32 vcc, 4, v0
	s_waitcnt vmcnt(20) lgkmcnt(0)
	v_fma_f64 v[53:54], v[57:58], v[53:54], 0
	buffer_load_dword v58, off, s[0:3], 0 offset:140
	buffer_load_dword v57, off, s[0:3], 0 offset:136
	s_waitcnt vmcnt(20)
	v_fma_f64 v[59:60], v[59:60], v[55:56], v[53:54]
	ds_read_b128 v[53:56], v52 offset:272
	buffer_load_dword v79, off, s[0:3], 0 offset:144
	buffer_load_dword v80, off, s[0:3], 0 offset:148
	s_waitcnt vmcnt(20) lgkmcnt(0)
	v_fma_f64 v[53:54], v[61:62], v[53:54], v[59:60]
	buffer_load_dword v59, off, s[0:3], 0 offset:152
	buffer_load_dword v60, off, s[0:3], 0 offset:156
	s_waitcnt vmcnt(20)
	v_fma_f64 v[61:62], v[63:64], v[55:56], v[53:54]
	ds_read_b128 v[53:56], v52 offset:288
	buffer_load_dword v63, off, s[0:3], 0 offset:160
	buffer_load_dword v64, off, s[0:3], 0 offset:164
	;; [unrolled: 9-line block ×4, first 2 shown]
	s_waitcnt vmcnt(20) lgkmcnt(0)
	v_fma_f64 v[53:54], v[73:74], v[53:54], v[69:70]
	buffer_load_dword v69, off, s[0:3], 0 offset:40
	buffer_load_dword v70, off, s[0:3], 0 offset:44
	s_waitcnt vmcnt(20)
	v_fma_f64 v[73:74], v[75:76], v[55:56], v[53:54]
	ds_read_b128 v[53:56], v52 offset:336
	s_waitcnt vmcnt(18) lgkmcnt(0)
	v_fma_f64 v[53:54], v[77:78], v[53:54], v[73:74]
	s_waitcnt vmcnt(16)
	v_fma_f64 v[57:58], v[57:58], v[55:56], v[53:54]
	ds_read_b128 v[53:56], v52 offset:352
	s_waitcnt vmcnt(14) lgkmcnt(0)
	v_fma_f64 v[53:54], v[79:80], v[53:54], v[57:58]
	;; [unrolled: 5-line block ×4, first 2 shown]
	s_waitcnt vmcnt(4)
	v_fma_f64 v[53:54], v[65:66], v[55:56], v[53:54]
	ds_read_b64 v[55:56], v52 offset:400
	s_waitcnt vmcnt(2) lgkmcnt(0)
	v_fma_f64 v[53:54], v[71:72], v[55:56], v[53:54]
	s_waitcnt vmcnt(0)
	v_add_f64 v[53:54], v[69:70], -v[53:54]
	buffer_store_dword v54, off, s[0:3], 0 offset:44
	buffer_store_dword v53, off, s[0:3], 0 offset:40
	s_and_saveexec_b64 s[4:5], vcc
	s_cbranch_execz .LBB88_149
; %bb.148:
	buffer_load_dword v53, off, s[0:3], 0 offset:32
	buffer_load_dword v54, off, s[0:3], 0 offset:36
	s_waitcnt vmcnt(0)
	ds_write_b64 v51, v[53:54]
	buffer_store_dword v52, off, s[0:3], 0 offset:32
	buffer_store_dword v52, off, s[0:3], 0 offset:36
.LBB88_149:
	s_or_b64 exec, exec, s[4:5]
	s_waitcnt lgkmcnt(0)
	; wave barrier
	buffer_load_dword v57, off, s[0:3], 0 offset:40
	buffer_load_dword v58, off, s[0:3], 0 offset:44
	;; [unrolled: 1-line block ×20, first 2 shown]
	ds_read2_b64 v[53:56], v52 offset0:31 offset1:32
	buffer_load_dword v77, off, s[0:3], 0 offset:120
	buffer_load_dword v78, off, s[0:3], 0 offset:124
	v_cmp_lt_u32_e32 vcc, 3, v0
	s_waitcnt vmcnt(20) lgkmcnt(0)
	v_fma_f64 v[53:54], v[57:58], v[53:54], 0
	buffer_load_dword v58, off, s[0:3], 0 offset:132
	buffer_load_dword v57, off, s[0:3], 0 offset:128
	s_waitcnt vmcnt(20)
	v_fma_f64 v[59:60], v[59:60], v[55:56], v[53:54]
	ds_read2_b64 v[53:56], v52 offset0:33 offset1:34
	buffer_load_dword v79, off, s[0:3], 0 offset:136
	buffer_load_dword v80, off, s[0:3], 0 offset:140
	s_waitcnt vmcnt(20) lgkmcnt(0)
	v_fma_f64 v[53:54], v[61:62], v[53:54], v[59:60]
	buffer_load_dword v59, off, s[0:3], 0 offset:144
	buffer_load_dword v60, off, s[0:3], 0 offset:148
	s_waitcnt vmcnt(20)
	v_fma_f64 v[61:62], v[63:64], v[55:56], v[53:54]
	ds_read2_b64 v[53:56], v52 offset0:35 offset1:36
	buffer_load_dword v63, off, s[0:3], 0 offset:152
	buffer_load_dword v64, off, s[0:3], 0 offset:156
	;; [unrolled: 9-line block ×5, first 2 shown]
	s_waitcnt vmcnt(20) lgkmcnt(0)
	v_fma_f64 v[53:54], v[77:78], v[53:54], v[73:74]
	s_waitcnt vmcnt(18)
	v_fma_f64 v[57:58], v[57:58], v[55:56], v[53:54]
	ds_read2_b64 v[53:56], v52 offset0:43 offset1:44
	s_waitcnt vmcnt(16) lgkmcnt(0)
	v_fma_f64 v[53:54], v[79:80], v[53:54], v[57:58]
	s_waitcnt vmcnt(14)
	v_fma_f64 v[57:58], v[59:60], v[55:56], v[53:54]
	ds_read2_b64 v[53:56], v52 offset0:45 offset1:46
	;; [unrolled: 5-line block ×4, first 2 shown]
	s_waitcnt vmcnt(4) lgkmcnt(0)
	v_fma_f64 v[52:53], v[71:72], v[52:53], v[56:57]
	s_waitcnt vmcnt(2)
	v_fma_f64 v[52:53], v[69:70], v[54:55], v[52:53]
	s_waitcnt vmcnt(0)
	v_add_f64 v[52:53], v[75:76], -v[52:53]
	buffer_store_dword v53, off, s[0:3], 0 offset:36
	buffer_store_dword v52, off, s[0:3], 0 offset:32
	s_and_saveexec_b64 s[4:5], vcc
	s_cbranch_execz .LBB88_151
; %bb.150:
	buffer_load_dword v52, off, s[0:3], 0 offset:24
	buffer_load_dword v53, off, s[0:3], 0 offset:28
	v_mov_b32_e32 v54, 0
	buffer_store_dword v54, off, s[0:3], 0 offset:24
	buffer_store_dword v54, off, s[0:3], 0 offset:28
	s_waitcnt vmcnt(2)
	ds_write_b64 v51, v[52:53]
.LBB88_151:
	s_or_b64 exec, exec, s[4:5]
	s_waitcnt lgkmcnt(0)
	; wave barrier
	buffer_load_dword v57, off, s[0:3], 0 offset:32
	buffer_load_dword v58, off, s[0:3], 0 offset:36
	;; [unrolled: 1-line block ×20, first 2 shown]
	v_mov_b32_e32 v52, 0
	ds_read_b128 v[53:56], v52 offset:240
	buffer_load_dword v77, off, s[0:3], 0 offset:112
	buffer_load_dword v78, off, s[0:3], 0 offset:116
	v_cmp_lt_u32_e32 vcc, 2, v0
	s_waitcnt vmcnt(20) lgkmcnt(0)
	v_fma_f64 v[53:54], v[57:58], v[53:54], 0
	buffer_load_dword v58, off, s[0:3], 0 offset:124
	buffer_load_dword v57, off, s[0:3], 0 offset:120
	s_waitcnt vmcnt(20)
	v_fma_f64 v[59:60], v[59:60], v[55:56], v[53:54]
	ds_read_b128 v[53:56], v52 offset:256
	buffer_load_dword v79, off, s[0:3], 0 offset:128
	buffer_load_dword v80, off, s[0:3], 0 offset:132
	s_waitcnt vmcnt(20) lgkmcnt(0)
	v_fma_f64 v[53:54], v[61:62], v[53:54], v[59:60]
	buffer_load_dword v59, off, s[0:3], 0 offset:136
	buffer_load_dword v60, off, s[0:3], 0 offset:140
	s_waitcnt vmcnt(20)
	v_fma_f64 v[61:62], v[63:64], v[55:56], v[53:54]
	ds_read_b128 v[53:56], v52 offset:272
	buffer_load_dword v63, off, s[0:3], 0 offset:144
	buffer_load_dword v64, off, s[0:3], 0 offset:148
	;; [unrolled: 9-line block ×5, first 2 shown]
	s_waitcnt vmcnt(20) lgkmcnt(0)
	v_fma_f64 v[53:54], v[77:78], v[53:54], v[73:74]
	buffer_load_dword v73, off, s[0:3], 0 offset:24
	buffer_load_dword v74, off, s[0:3], 0 offset:28
	s_waitcnt vmcnt(20)
	v_fma_f64 v[57:58], v[57:58], v[55:56], v[53:54]
	ds_read_b128 v[53:56], v52 offset:336
	s_waitcnt vmcnt(18) lgkmcnt(0)
	v_fma_f64 v[53:54], v[79:80], v[53:54], v[57:58]
	s_waitcnt vmcnt(16)
	v_fma_f64 v[57:58], v[59:60], v[55:56], v[53:54]
	ds_read_b128 v[53:56], v52 offset:352
	s_waitcnt vmcnt(14) lgkmcnt(0)
	v_fma_f64 v[53:54], v[63:64], v[53:54], v[57:58]
	;; [unrolled: 5-line block ×4, first 2 shown]
	s_waitcnt vmcnt(4)
	v_fma_f64 v[53:54], v[69:70], v[55:56], v[53:54]
	ds_read_b64 v[55:56], v52 offset:400
	s_waitcnt vmcnt(2) lgkmcnt(0)
	v_fma_f64 v[53:54], v[75:76], v[55:56], v[53:54]
	s_waitcnt vmcnt(0)
	v_add_f64 v[53:54], v[73:74], -v[53:54]
	buffer_store_dword v54, off, s[0:3], 0 offset:28
	buffer_store_dword v53, off, s[0:3], 0 offset:24
	s_and_saveexec_b64 s[4:5], vcc
	s_cbranch_execz .LBB88_153
; %bb.152:
	buffer_load_dword v53, off, s[0:3], 0 offset:16
	buffer_load_dword v54, off, s[0:3], 0 offset:20
	s_waitcnt vmcnt(0)
	ds_write_b64 v51, v[53:54]
	buffer_store_dword v52, off, s[0:3], 0 offset:16
	buffer_store_dword v52, off, s[0:3], 0 offset:20
.LBB88_153:
	s_or_b64 exec, exec, s[4:5]
	s_waitcnt lgkmcnt(0)
	; wave barrier
	buffer_load_dword v57, off, s[0:3], 0 offset:24
	buffer_load_dword v58, off, s[0:3], 0 offset:28
	;; [unrolled: 1-line block ×20, first 2 shown]
	ds_read2_b64 v[53:56], v52 offset0:29 offset1:30
	buffer_load_dword v77, off, s[0:3], 0 offset:104
	buffer_load_dword v78, off, s[0:3], 0 offset:108
	v_cmp_lt_u32_e32 vcc, 1, v0
	s_waitcnt vmcnt(20) lgkmcnt(0)
	v_fma_f64 v[53:54], v[57:58], v[53:54], 0
	buffer_load_dword v58, off, s[0:3], 0 offset:116
	buffer_load_dword v57, off, s[0:3], 0 offset:112
	s_waitcnt vmcnt(20)
	v_fma_f64 v[59:60], v[59:60], v[55:56], v[53:54]
	ds_read2_b64 v[53:56], v52 offset0:31 offset1:32
	buffer_load_dword v79, off, s[0:3], 0 offset:120
	buffer_load_dword v80, off, s[0:3], 0 offset:124
	s_waitcnt vmcnt(20) lgkmcnt(0)
	v_fma_f64 v[53:54], v[61:62], v[53:54], v[59:60]
	buffer_load_dword v59, off, s[0:3], 0 offset:128
	buffer_load_dword v60, off, s[0:3], 0 offset:132
	s_waitcnt vmcnt(20)
	v_fma_f64 v[61:62], v[63:64], v[55:56], v[53:54]
	ds_read2_b64 v[53:56], v52 offset0:33 offset1:34
	buffer_load_dword v63, off, s[0:3], 0 offset:136
	buffer_load_dword v64, off, s[0:3], 0 offset:140
	;; [unrolled: 9-line block ×6, first 2 shown]
	s_waitcnt vmcnt(20) lgkmcnt(0)
	v_fma_f64 v[53:54], v[79:80], v[53:54], v[57:58]
	s_waitcnt vmcnt(18)
	v_fma_f64 v[57:58], v[59:60], v[55:56], v[53:54]
	ds_read2_b64 v[53:56], v52 offset0:43 offset1:44
	s_waitcnt vmcnt(16) lgkmcnt(0)
	v_fma_f64 v[53:54], v[63:64], v[53:54], v[57:58]
	s_waitcnt vmcnt(14)
	v_fma_f64 v[57:58], v[61:62], v[55:56], v[53:54]
	ds_read2_b64 v[53:56], v52 offset0:45 offset1:46
	;; [unrolled: 5-line block ×4, first 2 shown]
	s_waitcnt vmcnt(4) lgkmcnt(0)
	v_fma_f64 v[52:53], v[75:76], v[52:53], v[56:57]
	s_waitcnt vmcnt(2)
	v_fma_f64 v[52:53], v[73:74], v[54:55], v[52:53]
	s_waitcnt vmcnt(0)
	v_add_f64 v[52:53], v[77:78], -v[52:53]
	buffer_store_dword v53, off, s[0:3], 0 offset:20
	buffer_store_dword v52, off, s[0:3], 0 offset:16
	s_and_saveexec_b64 s[4:5], vcc
	s_cbranch_execz .LBB88_155
; %bb.154:
	buffer_load_dword v52, off, s[0:3], 0 offset:8
	buffer_load_dword v53, off, s[0:3], 0 offset:12
	v_mov_b32_e32 v54, 0
	buffer_store_dword v54, off, s[0:3], 0 offset:8
	buffer_store_dword v54, off, s[0:3], 0 offset:12
	s_waitcnt vmcnt(2)
	ds_write_b64 v51, v[52:53]
.LBB88_155:
	s_or_b64 exec, exec, s[4:5]
	s_waitcnt lgkmcnt(0)
	; wave barrier
	buffer_load_dword v58, off, s[0:3], 0 offset:16
	buffer_load_dword v59, off, s[0:3], 0 offset:20
	;; [unrolled: 1-line block ×20, first 2 shown]
	v_mov_b32_e32 v53, 0
	ds_read_b128 v[54:57], v53 offset:224
	buffer_load_dword v78, off, s[0:3], 0 offset:96
	buffer_load_dword v79, off, s[0:3], 0 offset:100
	v_cmp_ne_u32_e32 vcc, 0, v0
	s_waitcnt vmcnt(20) lgkmcnt(0)
	v_fma_f64 v[54:55], v[58:59], v[54:55], 0
	buffer_load_dword v59, off, s[0:3], 0 offset:108
	buffer_load_dword v58, off, s[0:3], 0 offset:104
	s_waitcnt vmcnt(20)
	v_fma_f64 v[60:61], v[60:61], v[56:57], v[54:55]
	ds_read_b128 v[54:57], v53 offset:240
	buffer_load_dword v80, off, s[0:3], 0 offset:112
	buffer_load_dword v81, off, s[0:3], 0 offset:116
	s_waitcnt vmcnt(20) lgkmcnt(0)
	v_fma_f64 v[54:55], v[62:63], v[54:55], v[60:61]
	buffer_load_dword v60, off, s[0:3], 0 offset:120
	buffer_load_dword v61, off, s[0:3], 0 offset:124
	s_waitcnt vmcnt(20)
	v_fma_f64 v[62:63], v[64:65], v[56:57], v[54:55]
	ds_read_b128 v[54:57], v53 offset:256
	buffer_load_dword v64, off, s[0:3], 0 offset:128
	buffer_load_dword v65, off, s[0:3], 0 offset:132
	;; [unrolled: 9-line block ×6, first 2 shown]
	s_waitcnt vmcnt(20) lgkmcnt(0)
	v_fma_f64 v[54:55], v[80:81], v[54:55], v[58:59]
	buffer_load_dword v58, off, s[0:3], 0 offset:8
	buffer_load_dword v59, off, s[0:3], 0 offset:12
	s_waitcnt vmcnt(20)
	v_fma_f64 v[60:61], v[60:61], v[56:57], v[54:55]
	ds_read_b128 v[54:57], v53 offset:336
	s_waitcnt vmcnt(18) lgkmcnt(0)
	v_fma_f64 v[54:55], v[64:65], v[54:55], v[60:61]
	s_waitcnt vmcnt(16)
	v_fma_f64 v[60:61], v[62:63], v[56:57], v[54:55]
	ds_read_b128 v[54:57], v53 offset:352
	s_waitcnt vmcnt(14) lgkmcnt(0)
	v_fma_f64 v[54:55], v[68:69], v[54:55], v[60:61]
	;; [unrolled: 5-line block ×4, first 2 shown]
	s_waitcnt vmcnt(4)
	v_fma_f64 v[54:55], v[74:75], v[56:57], v[54:55]
	ds_read_b64 v[56:57], v53 offset:400
	s_waitcnt vmcnt(2) lgkmcnt(0)
	v_fma_f64 v[54:55], v[78:79], v[56:57], v[54:55]
	s_waitcnt vmcnt(0)
	v_add_f64 v[54:55], v[58:59], -v[54:55]
	buffer_store_dword v55, off, s[0:3], 0 offset:12
	buffer_store_dword v54, off, s[0:3], 0 offset:8
	s_and_saveexec_b64 s[4:5], vcc
	s_cbranch_execz .LBB88_157
; %bb.156:
	buffer_load_dword v54, off, s[0:3], 0
	buffer_load_dword v55, off, s[0:3], 0 offset:4
	s_waitcnt vmcnt(0)
	ds_write_b64 v51, v[54:55]
	buffer_store_dword v53, off, s[0:3], 0
	buffer_store_dword v53, off, s[0:3], 0 offset:4
.LBB88_157:
	s_or_b64 exec, exec, s[4:5]
	s_waitcnt lgkmcnt(0)
	; wave barrier
	buffer_load_dword v51, off, s[0:3], 0 offset:8
	buffer_load_dword v52, off, s[0:3], 0 offset:12
	;; [unrolled: 1-line block ×20, first 2 shown]
	ds_read2_b64 v[54:57], v53 offset0:27 offset1:28
	buffer_load_dword v76, off, s[0:3], 0 offset:88
	buffer_load_dword v77, off, s[0:3], 0 offset:92
	buffer_load_dword v79, off, s[0:3], 0 offset:100
	buffer_load_dword v78, off, s[0:3], 0 offset:96
	s_and_b64 vcc, exec, s[14:15]
	s_waitcnt vmcnt(22) lgkmcnt(0)
	v_fma_f64 v[51:52], v[51:52], v[54:55], 0
	s_waitcnt vmcnt(20)
	v_fma_f64 v[51:52], v[58:59], v[56:57], v[51:52]
	ds_read2_b64 v[54:57], v53 offset0:29 offset1:30
	buffer_load_dword v58, off, s[0:3], 0 offset:104
	buffer_load_dword v59, off, s[0:3], 0 offset:108
	s_waitcnt vmcnt(20) lgkmcnt(0)
	v_fma_f64 v[51:52], v[60:61], v[54:55], v[51:52]
	buffer_load_dword v60, off, s[0:3], 0 offset:112
	buffer_load_dword v61, off, s[0:3], 0 offset:116
	s_waitcnt vmcnt(20)
	v_fma_f64 v[51:52], v[62:63], v[56:57], v[51:52]
	ds_read2_b64 v[54:57], v53 offset0:31 offset1:32
	buffer_load_dword v62, off, s[0:3], 0 offset:120
	buffer_load_dword v63, off, s[0:3], 0 offset:124
	s_waitcnt vmcnt(20) lgkmcnt(0)
	v_fma_f64 v[51:52], v[64:65], v[54:55], v[51:52]
	buffer_load_dword v65, off, s[0:3], 0 offset:132
	buffer_load_dword v64, off, s[0:3], 0 offset:128
	;; [unrolled: 9-line block ×6, first 2 shown]
	s_waitcnt vmcnt(20)
	v_fma_f64 v[60:61], v[60:61], v[56:57], v[54:55]
	ds_read2_b64 v[54:57], v53 offset0:41 offset1:42
	buffer_load_dword v78, off, s[0:3], 0
	buffer_load_dword v79, off, s[0:3], 0 offset:4
	s_waitcnt vmcnt(20) lgkmcnt(0)
	v_fma_f64 v[54:55], v[62:63], v[54:55], v[60:61]
	s_waitcnt vmcnt(18)
	v_fma_f64 v[60:61], v[64:65], v[56:57], v[54:55]
	ds_read2_b64 v[54:57], v53 offset0:43 offset1:44
	s_waitcnt vmcnt(16) lgkmcnt(0)
	v_fma_f64 v[54:55], v[66:67], v[54:55], v[60:61]
	s_waitcnt vmcnt(14)
	v_fma_f64 v[60:61], v[68:69], v[56:57], v[54:55]
	ds_read2_b64 v[54:57], v53 offset0:45 offset1:46
	;; [unrolled: 5-line block ×4, first 2 shown]
	s_waitcnt vmcnt(4) lgkmcnt(0)
	v_fma_f64 v[53:54], v[51:52], v[53:54], v[60:61]
	s_waitcnt vmcnt(2)
	v_fma_f64 v[53:54], v[58:59], v[55:56], v[53:54]
	s_waitcnt vmcnt(0)
	v_add_f64 v[53:54], v[78:79], -v[53:54]
	buffer_store_dword v54, off, s[0:3], 0 offset:4
	buffer_store_dword v53, off, s[0:3], 0
	s_cbranch_vccz .LBB88_206
; %bb.158:
	v_mov_b32_e32 v0, 0
	global_load_dword v53, v0, s[12:13] offset:92
	s_waitcnt vmcnt(0)
	v_add_u32_e32 v53, -1, v53
	v_cmp_ne_u32_e32 vcc, 23, v53
	s_cbranch_vccz .LBB88_160
; %bb.159:
	v_lshlrev_b32_e32 v53, 3, v53
	buffer_load_dword v54, v53, s[0:3], 0 offen
	buffer_load_dword v55, v53, s[0:3], 0 offen offset:4
	s_waitcnt vmcnt(1)
	buffer_store_dword v54, off, s[0:3], 0 offset:184
	s_waitcnt vmcnt(1)
	buffer_store_dword v55, off, s[0:3], 0 offset:188
	buffer_store_dword v51, v53, s[0:3], 0 offen
	buffer_store_dword v52, v53, s[0:3], 0 offen offset:4
.LBB88_160:
	global_load_dword v0, v0, s[12:13] offset:88
	s_waitcnt vmcnt(0)
	v_add_u32_e32 v0, -1, v0
	v_cmp_eq_u32_e32 vcc, 22, v0
	s_cbranch_vccnz .LBB88_162
; %bb.161:
	v_lshlrev_b32_e32 v0, 3, v0
	buffer_load_dword v51, v0, s[0:3], 0 offen
	buffer_load_dword v52, v0, s[0:3], 0 offen offset:4
	buffer_load_dword v53, off, s[0:3], 0 offset:180
	buffer_load_dword v54, off, s[0:3], 0 offset:176
	s_waitcnt vmcnt(3)
	buffer_store_dword v51, off, s[0:3], 0 offset:176
	s_waitcnt vmcnt(3)
	buffer_store_dword v52, off, s[0:3], 0 offset:180
	s_waitcnt vmcnt(3)
	buffer_store_dword v53, v0, s[0:3], 0 offen offset:4
	s_waitcnt vmcnt(3)
	buffer_store_dword v54, v0, s[0:3], 0 offen
.LBB88_162:
	v_mov_b32_e32 v0, 0
	global_load_dword v51, v0, s[12:13] offset:84
	s_waitcnt vmcnt(0)
	v_add_u32_e32 v51, -1, v51
	v_cmp_eq_u32_e32 vcc, 21, v51
	s_cbranch_vccnz .LBB88_164
; %bb.163:
	v_lshlrev_b32_e32 v51, 3, v51
	buffer_load_dword v52, v51, s[0:3], 0 offen
	buffer_load_dword v53, v51, s[0:3], 0 offen offset:4
	buffer_load_dword v54, off, s[0:3], 0 offset:168
	buffer_load_dword v55, off, s[0:3], 0 offset:172
	s_waitcnt vmcnt(3)
	buffer_store_dword v52, off, s[0:3], 0 offset:168
	s_waitcnt vmcnt(3)
	buffer_store_dword v53, off, s[0:3], 0 offset:172
	s_waitcnt vmcnt(3)
	buffer_store_dword v54, v51, s[0:3], 0 offen
	s_waitcnt vmcnt(3)
	buffer_store_dword v55, v51, s[0:3], 0 offen offset:4
.LBB88_164:
	global_load_dword v0, v0, s[12:13] offset:80
	s_waitcnt vmcnt(0)
	v_add_u32_e32 v0, -1, v0
	v_cmp_eq_u32_e32 vcc, 20, v0
	s_cbranch_vccnz .LBB88_166
; %bb.165:
	v_lshlrev_b32_e32 v0, 3, v0
	buffer_load_dword v51, v0, s[0:3], 0 offen
	buffer_load_dword v52, v0, s[0:3], 0 offen offset:4
	buffer_load_dword v53, off, s[0:3], 0 offset:164
	buffer_load_dword v54, off, s[0:3], 0 offset:160
	s_waitcnt vmcnt(3)
	buffer_store_dword v51, off, s[0:3], 0 offset:160
	s_waitcnt vmcnt(3)
	buffer_store_dword v52, off, s[0:3], 0 offset:164
	s_waitcnt vmcnt(3)
	buffer_store_dword v53, v0, s[0:3], 0 offen offset:4
	s_waitcnt vmcnt(3)
	buffer_store_dword v54, v0, s[0:3], 0 offen
.LBB88_166:
	v_mov_b32_e32 v0, 0
	global_load_dword v51, v0, s[12:13] offset:76
	s_waitcnt vmcnt(0)
	v_add_u32_e32 v51, -1, v51
	v_cmp_eq_u32_e32 vcc, 19, v51
	s_cbranch_vccnz .LBB88_168
; %bb.167:
	v_lshlrev_b32_e32 v51, 3, v51
	buffer_load_dword v52, v51, s[0:3], 0 offen
	buffer_load_dword v53, v51, s[0:3], 0 offen offset:4
	buffer_load_dword v54, off, s[0:3], 0 offset:152
	buffer_load_dword v55, off, s[0:3], 0 offset:156
	s_waitcnt vmcnt(3)
	buffer_store_dword v52, off, s[0:3], 0 offset:152
	s_waitcnt vmcnt(3)
	buffer_store_dword v53, off, s[0:3], 0 offset:156
	s_waitcnt vmcnt(3)
	buffer_store_dword v54, v51, s[0:3], 0 offen
	s_waitcnt vmcnt(3)
	buffer_store_dword v55, v51, s[0:3], 0 offen offset:4
.LBB88_168:
	;; [unrolled: 41-line block ×11, first 2 shown]
	global_load_dword v0, v0, s[12:13]
	s_nop 0
	buffer_load_dword v53, off, s[0:3], 0
	buffer_load_dword v54, off, s[0:3], 0 offset:4
	s_waitcnt vmcnt(2)
	v_add_u32_e32 v0, -1, v0
	v_cmp_eq_u32_e32 vcc, 0, v0
	s_cbranch_vccnz .LBB88_206
; %bb.205:
	v_lshlrev_b32_e32 v0, 3, v0
	buffer_load_dword v51, v0, s[0:3], 0 offen offset:4
	buffer_load_dword v52, v0, s[0:3], 0 offen
	s_waitcnt vmcnt(1)
	buffer_store_dword v51, off, s[0:3], 0 offset:4
	s_waitcnt vmcnt(1)
	buffer_store_dword v52, off, s[0:3], 0
	buffer_store_dword v54, v0, s[0:3], 0 offen offset:4
	buffer_store_dword v53, v0, s[0:3], 0 offen
	buffer_load_dword v53, off, s[0:3], 0
	s_nop 0
	buffer_load_dword v54, off, s[0:3], 0 offset:4
.LBB88_206:
	s_waitcnt vmcnt(0)
	flat_store_dwordx2 v[1:2], v[53:54]
	buffer_load_dword v0, off, s[0:3], 0 offset:8
	s_nop 0
	buffer_load_dword v1, off, s[0:3], 0 offset:12
	s_waitcnt vmcnt(0)
	flat_store_dwordx2 v[3:4], v[0:1]
	buffer_load_dword v0, off, s[0:3], 0 offset:16
	s_nop 0
	buffer_load_dword v1, off, s[0:3], 0 offset:20
	;; [unrolled: 5-line block ×24, first 2 shown]
	s_waitcnt vmcnt(0)
	flat_store_dwordx2 v[49:50], v[0:1]
	s_endpgm
	.section	.rodata,"a",@progbits
	.p2align	6, 0x0
	.amdhsa_kernel _ZN9rocsolver6v33100L18getri_kernel_smallILi25EdPKPdEEvT1_iilPiilS6_bb
		.amdhsa_group_segment_fixed_size 408
		.amdhsa_private_segment_fixed_size 208
		.amdhsa_kernarg_size 60
		.amdhsa_user_sgpr_count 6
		.amdhsa_user_sgpr_private_segment_buffer 1
		.amdhsa_user_sgpr_dispatch_ptr 0
		.amdhsa_user_sgpr_queue_ptr 0
		.amdhsa_user_sgpr_kernarg_segment_ptr 1
		.amdhsa_user_sgpr_dispatch_id 0
		.amdhsa_user_sgpr_flat_scratch_init 0
		.amdhsa_user_sgpr_private_segment_size 0
		.amdhsa_uses_dynamic_stack 0
		.amdhsa_system_sgpr_private_segment_wavefront_offset 1
		.amdhsa_system_sgpr_workgroup_id_x 1
		.amdhsa_system_sgpr_workgroup_id_y 0
		.amdhsa_system_sgpr_workgroup_id_z 0
		.amdhsa_system_sgpr_workgroup_info 0
		.amdhsa_system_vgpr_workitem_id 0
		.amdhsa_next_free_vgpr 82
		.amdhsa_next_free_sgpr 21
		.amdhsa_reserve_vcc 1
		.amdhsa_reserve_flat_scratch 0
		.amdhsa_float_round_mode_32 0
		.amdhsa_float_round_mode_16_64 0
		.amdhsa_float_denorm_mode_32 3
		.amdhsa_float_denorm_mode_16_64 3
		.amdhsa_dx10_clamp 1
		.amdhsa_ieee_mode 1
		.amdhsa_fp16_overflow 0
		.amdhsa_exception_fp_ieee_invalid_op 0
		.amdhsa_exception_fp_denorm_src 0
		.amdhsa_exception_fp_ieee_div_zero 0
		.amdhsa_exception_fp_ieee_overflow 0
		.amdhsa_exception_fp_ieee_underflow 0
		.amdhsa_exception_fp_ieee_inexact 0
		.amdhsa_exception_int_div_zero 0
	.end_amdhsa_kernel
	.section	.text._ZN9rocsolver6v33100L18getri_kernel_smallILi25EdPKPdEEvT1_iilPiilS6_bb,"axG",@progbits,_ZN9rocsolver6v33100L18getri_kernel_smallILi25EdPKPdEEvT1_iilPiilS6_bb,comdat
.Lfunc_end88:
	.size	_ZN9rocsolver6v33100L18getri_kernel_smallILi25EdPKPdEEvT1_iilPiilS6_bb, .Lfunc_end88-_ZN9rocsolver6v33100L18getri_kernel_smallILi25EdPKPdEEvT1_iilPiilS6_bb
                                        ; -- End function
	.set _ZN9rocsolver6v33100L18getri_kernel_smallILi25EdPKPdEEvT1_iilPiilS6_bb.num_vgpr, 82
	.set _ZN9rocsolver6v33100L18getri_kernel_smallILi25EdPKPdEEvT1_iilPiilS6_bb.num_agpr, 0
	.set _ZN9rocsolver6v33100L18getri_kernel_smallILi25EdPKPdEEvT1_iilPiilS6_bb.numbered_sgpr, 21
	.set _ZN9rocsolver6v33100L18getri_kernel_smallILi25EdPKPdEEvT1_iilPiilS6_bb.num_named_barrier, 0
	.set _ZN9rocsolver6v33100L18getri_kernel_smallILi25EdPKPdEEvT1_iilPiilS6_bb.private_seg_size, 208
	.set _ZN9rocsolver6v33100L18getri_kernel_smallILi25EdPKPdEEvT1_iilPiilS6_bb.uses_vcc, 1
	.set _ZN9rocsolver6v33100L18getri_kernel_smallILi25EdPKPdEEvT1_iilPiilS6_bb.uses_flat_scratch, 0
	.set _ZN9rocsolver6v33100L18getri_kernel_smallILi25EdPKPdEEvT1_iilPiilS6_bb.has_dyn_sized_stack, 0
	.set _ZN9rocsolver6v33100L18getri_kernel_smallILi25EdPKPdEEvT1_iilPiilS6_bb.has_recursion, 0
	.set _ZN9rocsolver6v33100L18getri_kernel_smallILi25EdPKPdEEvT1_iilPiilS6_bb.has_indirect_call, 0
	.section	.AMDGPU.csdata,"",@progbits
; Kernel info:
; codeLenInByte = 22144
; TotalNumSgprs: 25
; NumVgprs: 82
; ScratchSize: 208
; MemoryBound: 0
; FloatMode: 240
; IeeeMode: 1
; LDSByteSize: 408 bytes/workgroup (compile time only)
; SGPRBlocks: 3
; VGPRBlocks: 20
; NumSGPRsForWavesPerEU: 25
; NumVGPRsForWavesPerEU: 82
; Occupancy: 3
; WaveLimiterHint : 1
; COMPUTE_PGM_RSRC2:SCRATCH_EN: 1
; COMPUTE_PGM_RSRC2:USER_SGPR: 6
; COMPUTE_PGM_RSRC2:TRAP_HANDLER: 0
; COMPUTE_PGM_RSRC2:TGID_X_EN: 1
; COMPUTE_PGM_RSRC2:TGID_Y_EN: 0
; COMPUTE_PGM_RSRC2:TGID_Z_EN: 0
; COMPUTE_PGM_RSRC2:TIDIG_COMP_CNT: 0
	.section	.text._ZN9rocsolver6v33100L18getri_kernel_smallILi26EdPKPdEEvT1_iilPiilS6_bb,"axG",@progbits,_ZN9rocsolver6v33100L18getri_kernel_smallILi26EdPKPdEEvT1_iilPiilS6_bb,comdat
	.globl	_ZN9rocsolver6v33100L18getri_kernel_smallILi26EdPKPdEEvT1_iilPiilS6_bb ; -- Begin function _ZN9rocsolver6v33100L18getri_kernel_smallILi26EdPKPdEEvT1_iilPiilS6_bb
	.p2align	8
	.type	_ZN9rocsolver6v33100L18getri_kernel_smallILi26EdPKPdEEvT1_iilPiilS6_bb,@function
_ZN9rocsolver6v33100L18getri_kernel_smallILi26EdPKPdEEvT1_iilPiilS6_bb: ; @_ZN9rocsolver6v33100L18getri_kernel_smallILi26EdPKPdEEvT1_iilPiilS6_bb
; %bb.0:
	s_add_u32 s0, s0, s7
	s_addc_u32 s1, s1, 0
	v_cmp_gt_u32_e32 vcc, 26, v0
	s_and_saveexec_b64 s[8:9], vcc
	s_cbranch_execz .LBB89_112
; %bb.1:
	s_load_dword s18, s[4:5], 0x38
	s_load_dwordx2 s[12:13], s[4:5], 0x0
	s_load_dwordx4 s[8:11], s[4:5], 0x28
	s_waitcnt lgkmcnt(0)
	s_bitcmp1_b32 s18, 8
	s_cselect_b64 s[14:15], -1, 0
	s_ashr_i32 s7, s6, 31
	s_lshl_b64 s[16:17], s[6:7], 3
	s_add_u32 s12, s12, s16
	s_addc_u32 s13, s13, s17
	s_load_dwordx2 s[16:17], s[12:13], 0x0
	s_bfe_u32 s12, s18, 0x10008
	s_cmp_eq_u32 s12, 0
                                        ; implicit-def: $sgpr12_sgpr13
	s_cbranch_scc1 .LBB89_3
; %bb.2:
	s_load_dword s12, s[4:5], 0x20
	s_load_dwordx2 s[18:19], s[4:5], 0x18
	s_mul_i32 s13, s8, s7
	s_mul_hi_u32 s20, s8, s6
	s_add_i32 s20, s20, s13
	s_mul_i32 s9, s9, s6
	s_add_i32 s9, s20, s9
	s_mul_i32 s8, s8, s6
	s_waitcnt lgkmcnt(0)
	s_ashr_i32 s13, s12, 31
	s_lshl_b64 s[8:9], s[8:9], 2
	s_add_u32 s18, s18, s8
	s_addc_u32 s19, s19, s9
	s_lshl_b64 s[8:9], s[12:13], 2
	s_add_u32 s12, s18, s8
	s_addc_u32 s13, s19, s9
.LBB89_3:
	s_load_dwordx2 s[8:9], s[4:5], 0x8
	s_load_dword s18, s[4:5], 0x38
	v_lshlrev_b32_e32 v55, 3, v0
	s_waitcnt lgkmcnt(0)
	s_ashr_i32 s5, s8, 31
	s_mov_b32 s4, s8
	s_lshl_b64 s[4:5], s[4:5], 3
	s_add_u32 s4, s16, s4
	s_addc_u32 s5, s17, s5
	v_mov_b32_e32 v2, s5
	v_add_co_u32_e32 v1, vcc, s4, v55
	v_addc_co_u32_e32 v2, vcc, 0, v2, vcc
	flat_load_dwordx2 v[5:6], v[1:2]
	s_mov_b32 s16, s9
	s_ashr_i32 s17, s9, 31
	s_lshl_b64 s[16:17], s[16:17], 3
	v_mov_b32_e32 v4, s17
	v_add_co_u32_e32 v3, vcc, s16, v1
	v_addc_co_u32_e32 v4, vcc, v2, v4, vcc
	s_add_i32 s8, s9, s9
	v_add_u32_e32 v9, s8, v0
	v_ashrrev_i32_e32 v10, 31, v9
	v_mov_b32_e32 v11, s5
	v_add_u32_e32 v12, s9, v9
	v_ashrrev_i32_e32 v13, 31, v12
	v_mov_b32_e32 v14, s5
	v_mov_b32_e32 v15, s5
	v_mov_b32_e32 v17, s5
	v_mov_b32_e32 v20, s5
	v_mov_b32_e32 v21, s5
	v_mov_b32_e32 v23, s5
	v_mov_b32_e32 v26, s5
	v_mov_b32_e32 v27, s5
	v_mov_b32_e32 v29, s5
	v_mov_b32_e32 v32, s5
	v_mov_b32_e32 v33, s5
	v_mov_b32_e32 v35, s5
	v_mov_b32_e32 v38, s5
	v_mov_b32_e32 v39, s5
	v_mov_b32_e32 v41, s5
	v_mov_b32_e32 v44, s5
	v_mov_b32_e32 v45, s5
	v_mov_b32_e32 v47, s5
	v_mov_b32_e32 v50, s5
	v_mov_b32_e32 v51, s5
	v_mov_b32_e32 v53, s5
	v_mov_b32_e32 v54, s5
	s_bitcmp0_b32 s18, 0
	s_waitcnt vmcnt(0) lgkmcnt(0)
	buffer_store_dword v6, off, s[0:3], 0 offset:4
	buffer_store_dword v5, off, s[0:3], 0
	flat_load_dwordx2 v[7:8], v[3:4]
	v_lshlrev_b64 v[5:6], 3, v[9:10]
	s_waitcnt vmcnt(0) lgkmcnt(0)
	buffer_store_dword v8, off, s[0:3], 0 offset:12
	buffer_store_dword v7, off, s[0:3], 0 offset:8
	v_add_co_u32_e32 v5, vcc, s4, v5
	v_addc_co_u32_e32 v6, vcc, v11, v6, vcc
	flat_load_dwordx2 v[10:11], v[5:6]
	v_lshlrev_b64 v[7:8], 3, v[12:13]
	s_waitcnt vmcnt(0) lgkmcnt(0)
	buffer_store_dword v11, off, s[0:3], 0 offset:20
	buffer_store_dword v10, off, s[0:3], 0 offset:16
	v_add_co_u32_e32 v7, vcc, s4, v7
	v_addc_co_u32_e32 v8, vcc, v14, v8, vcc
	flat_load_dwordx2 v[13:14], v[7:8]
	v_add_u32_e32 v11, s9, v12
	v_ashrrev_i32_e32 v12, 31, v11
	v_lshlrev_b64 v[9:10], 3, v[11:12]
	s_waitcnt vmcnt(0) lgkmcnt(0)
	buffer_store_dword v14, off, s[0:3], 0 offset:28
	buffer_store_dword v13, off, s[0:3], 0 offset:24
	v_add_co_u32_e32 v9, vcc, s4, v9
	v_addc_co_u32_e32 v10, vcc, v15, v10, vcc
	flat_load_dwordx2 v[13:14], v[9:10]
	v_add_u32_e32 v15, s9, v11
	v_ashrrev_i32_e32 v16, 31, v15
	v_lshlrev_b64 v[11:12], 3, v[15:16]
	v_add_u32_e32 v18, s9, v15
	v_add_co_u32_e32 v11, vcc, s4, v11
	v_addc_co_u32_e32 v12, vcc, v17, v12, vcc
	v_ashrrev_i32_e32 v19, 31, v18
	s_waitcnt vmcnt(0) lgkmcnt(0)
	buffer_store_dword v14, off, s[0:3], 0 offset:36
	buffer_store_dword v13, off, s[0:3], 0 offset:32
	flat_load_dwordx2 v[16:17], v[11:12]
	v_lshlrev_b64 v[13:14], 3, v[18:19]
	s_waitcnt vmcnt(0) lgkmcnt(0)
	buffer_store_dword v17, off, s[0:3], 0 offset:44
	buffer_store_dword v16, off, s[0:3], 0 offset:40
	v_add_co_u32_e32 v13, vcc, s4, v13
	v_addc_co_u32_e32 v14, vcc, v20, v14, vcc
	flat_load_dwordx2 v[19:20], v[13:14]
	v_add_u32_e32 v17, s9, v18
	v_ashrrev_i32_e32 v18, 31, v17
	v_lshlrev_b64 v[15:16], 3, v[17:18]
	s_waitcnt vmcnt(0) lgkmcnt(0)
	buffer_store_dword v20, off, s[0:3], 0 offset:52
	buffer_store_dword v19, off, s[0:3], 0 offset:48
	v_add_co_u32_e32 v15, vcc, s4, v15
	v_addc_co_u32_e32 v16, vcc, v21, v16, vcc
	flat_load_dwordx2 v[19:20], v[15:16]
	v_add_u32_e32 v21, s9, v17
	v_ashrrev_i32_e32 v22, 31, v21
	v_lshlrev_b64 v[17:18], 3, v[21:22]
	v_add_u32_e32 v24, s9, v21
	v_add_co_u32_e32 v17, vcc, s4, v17
	v_addc_co_u32_e32 v18, vcc, v23, v18, vcc
	v_ashrrev_i32_e32 v25, 31, v24
	s_waitcnt vmcnt(0) lgkmcnt(0)
	buffer_store_dword v20, off, s[0:3], 0 offset:60
	buffer_store_dword v19, off, s[0:3], 0 offset:56
	;; [unrolled: 27-line block ×6, first 2 shown]
	flat_load_dwordx2 v[46:47], v[41:42]
	v_lshlrev_b64 v[43:44], 3, v[48:49]
	s_waitcnt vmcnt(0) lgkmcnt(0)
	buffer_store_dword v47, off, s[0:3], 0 offset:164
	buffer_store_dword v46, off, s[0:3], 0 offset:160
	v_add_co_u32_e32 v43, vcc, s4, v43
	v_addc_co_u32_e32 v44, vcc, v50, v44, vcc
	flat_load_dwordx2 v[49:50], v[43:44]
	v_add_u32_e32 v47, s9, v48
	v_ashrrev_i32_e32 v48, 31, v47
	v_lshlrev_b64 v[45:46], 3, v[47:48]
	s_waitcnt vmcnt(0) lgkmcnt(0)
	buffer_store_dword v50, off, s[0:3], 0 offset:172
	buffer_store_dword v49, off, s[0:3], 0 offset:168
	v_add_co_u32_e32 v45, vcc, s4, v45
	v_addc_co_u32_e32 v46, vcc, v51, v46, vcc
	flat_load_dwordx2 v[49:50], v[45:46]
	v_add_u32_e32 v51, s9, v47
	v_ashrrev_i32_e32 v52, 31, v51
	v_lshlrev_b64 v[47:48], 3, v[51:52]
	v_add_u32_e32 v56, s9, v51
	v_add_co_u32_e32 v47, vcc, s4, v47
	v_addc_co_u32_e32 v48, vcc, v53, v48, vcc
	v_ashrrev_i32_e32 v57, 31, v56
	v_add_u32_e32 v51, s9, v56
	s_mov_b64 s[8:9], -1
	s_waitcnt vmcnt(0) lgkmcnt(0)
	buffer_store_dword v50, off, s[0:3], 0 offset:180
	buffer_store_dword v49, off, s[0:3], 0 offset:176
	flat_load_dwordx2 v[52:53], v[47:48]
	v_lshlrev_b64 v[49:50], 3, v[56:57]
	v_mov_b32_e32 v57, s5
	v_add_co_u32_e32 v49, vcc, s4, v49
	v_addc_co_u32_e32 v50, vcc, v54, v50, vcc
	s_waitcnt vmcnt(0) lgkmcnt(0)
	buffer_store_dword v53, off, s[0:3], 0 offset:188
	buffer_store_dword v52, off, s[0:3], 0 offset:184
	flat_load_dwordx2 v[53:54], v[49:50]
	v_ashrrev_i32_e32 v52, 31, v51
	v_lshlrev_b64 v[51:52], 3, v[51:52]
	s_waitcnt vmcnt(0) lgkmcnt(0)
	buffer_store_dword v54, off, s[0:3], 0 offset:196
	buffer_store_dword v53, off, s[0:3], 0 offset:192
	v_add_co_u32_e32 v51, vcc, s4, v51
	v_addc_co_u32_e32 v52, vcc, v57, v52, vcc
	flat_load_dwordx2 v[53:54], v[51:52]
	s_waitcnt vmcnt(0) lgkmcnt(0)
	buffer_store_dword v54, off, s[0:3], 0 offset:204
	buffer_store_dword v53, off, s[0:3], 0 offset:200
	s_cbranch_scc1 .LBB89_110
; %bb.4:
	v_cmp_eq_u32_e64 s[4:5], 0, v0
	s_and_saveexec_b64 s[8:9], s[4:5]
; %bb.5:
	v_mov_b32_e32 v53, 0
	ds_write_b32 v53, v53 offset:416
; %bb.6:
	s_or_b64 exec, exec, s[8:9]
	v_mov_b32_e32 v53, 0
	v_lshl_add_u32 v53, v0, 3, v53
	s_waitcnt lgkmcnt(0)
	; wave barrier
	buffer_load_dword v56, v53, s[0:3], 0 offen
	buffer_load_dword v57, v53, s[0:3], 0 offen offset:4
	s_waitcnt vmcnt(0)
	v_cmp_eq_f64_e32 vcc, 0, v[56:57]
	s_and_saveexec_b64 s[16:17], vcc
	s_cbranch_execz .LBB89_10
; %bb.7:
	v_mov_b32_e32 v54, 0
	ds_read_b32 v57, v54 offset:416
	v_add_u32_e32 v56, 1, v0
	s_waitcnt lgkmcnt(0)
	v_readfirstlane_b32 s8, v57
	s_cmp_eq_u32 s8, 0
	s_cselect_b64 s[18:19], -1, 0
	v_cmp_gt_i32_e32 vcc, s8, v56
	s_or_b64 s[18:19], s[18:19], vcc
	s_and_b64 exec, exec, s[18:19]
	s_cbranch_execz .LBB89_10
; %bb.8:
	s_mov_b64 s[18:19], 0
	v_mov_b32_e32 v57, s8
.LBB89_9:                               ; =>This Inner Loop Header: Depth=1
	ds_cmpst_rtn_b32 v57, v54, v57, v56 offset:416
	s_waitcnt lgkmcnt(0)
	v_cmp_ne_u32_e32 vcc, 0, v57
	v_cmp_le_i32_e64 s[8:9], v57, v56
	s_and_b64 s[8:9], vcc, s[8:9]
	s_and_b64 s[8:9], exec, s[8:9]
	s_or_b64 s[18:19], s[8:9], s[18:19]
	s_andn2_b64 exec, exec, s[18:19]
	s_cbranch_execnz .LBB89_9
.LBB89_10:
	s_or_b64 exec, exec, s[16:17]
	v_mov_b32_e32 v56, 0
	; wave barrier
	ds_read_b32 v54, v56 offset:416
	s_and_saveexec_b64 s[8:9], s[4:5]
	s_cbranch_execz .LBB89_12
; %bb.11:
	s_lshl_b64 s[16:17], s[6:7], 2
	s_add_u32 s16, s10, s16
	s_addc_u32 s17, s11, s17
	s_waitcnt lgkmcnt(0)
	global_store_dword v56, v54, s[16:17]
.LBB89_12:
	s_or_b64 exec, exec, s[8:9]
	s_waitcnt lgkmcnt(0)
	v_cmp_ne_u32_e32 vcc, 0, v54
	s_mov_b64 s[8:9], 0
	s_cbranch_vccnz .LBB89_110
; %bb.13:
	buffer_load_dword v56, v53, s[0:3], 0 offen
	buffer_load_dword v57, v53, s[0:3], 0 offen offset:4
	s_waitcnt vmcnt(0)
	v_div_scale_f64 v[58:59], s[8:9], v[56:57], v[56:57], 1.0
	v_rcp_f64_e32 v[60:61], v[58:59]
	v_fma_f64 v[62:63], -v[58:59], v[60:61], 1.0
	v_fma_f64 v[60:61], v[60:61], v[62:63], v[60:61]
	v_div_scale_f64 v[62:63], vcc, 1.0, v[56:57], 1.0
	v_fma_f64 v[64:65], -v[58:59], v[60:61], 1.0
	v_fma_f64 v[60:61], v[60:61], v[64:65], v[60:61]
	v_mul_f64 v[64:65], v[62:63], v[60:61]
	v_fma_f64 v[58:59], -v[58:59], v[64:65], v[62:63]
	v_div_fmas_f64 v[58:59], v[58:59], v[60:61], v[64:65]
	v_div_fixup_f64 v[57:58], v[58:59], v[56:57], 1.0
	v_add_u32_e32 v56, 0xd0, v55
	buffer_store_dword v58, v53, s[0:3], 0 offen offset:4
	buffer_store_dword v57, v53, s[0:3], 0 offen
	buffer_load_dword v60, off, s[0:3], 0 offset:12
	buffer_load_dword v59, off, s[0:3], 0 offset:8
	v_xor_b32_e32 v58, 0x80000000, v58
	s_waitcnt vmcnt(0)
	ds_write2_b64 v55, v[57:58], v[59:60] offset1:26
	s_waitcnt lgkmcnt(0)
	; wave barrier
	s_and_saveexec_b64 s[8:9], s[4:5]
	s_cbranch_execz .LBB89_15
; %bb.14:
	buffer_load_dword v57, v53, s[0:3], 0 offen
	buffer_load_dword v58, v53, s[0:3], 0 offen offset:4
	ds_read_b64 v[59:60], v56
	v_mov_b32_e32 v54, 0
	ds_read_b64 v[61:62], v54 offset:8
	s_waitcnt vmcnt(0) lgkmcnt(1)
	v_fma_f64 v[57:58], v[57:58], v[59:60], 0
	s_waitcnt lgkmcnt(0)
	v_mul_f64 v[57:58], v[57:58], v[61:62]
	buffer_store_dword v57, off, s[0:3], 0 offset:8
	buffer_store_dword v58, off, s[0:3], 0 offset:12
.LBB89_15:
	s_or_b64 exec, exec, s[8:9]
	; wave barrier
	buffer_load_dword v57, off, s[0:3], 0 offset:16
	buffer_load_dword v58, off, s[0:3], 0 offset:20
	v_cmp_gt_u32_e32 vcc, 2, v0
	s_waitcnt vmcnt(0)
	ds_write_b64 v56, v[57:58]
	s_waitcnt lgkmcnt(0)
	; wave barrier
	s_and_saveexec_b64 s[8:9], vcc
	s_cbranch_execz .LBB89_17
; %bb.16:
	buffer_load_dword v57, v53, s[0:3], 0 offen
	buffer_load_dword v58, v53, s[0:3], 0 offen offset:4
                                        ; kill: killed $vgpr53
	s_nop 0
	buffer_load_dword v53, off, s[0:3], 0 offset:8
	buffer_load_dword v54, off, s[0:3], 0 offset:12
	ds_read_b64 v[59:60], v56
	s_waitcnt vmcnt(2) lgkmcnt(0)
	v_fma_f64 v[61:62], v[57:58], v[59:60], 0
	v_mov_b32_e32 v57, 0
	ds_read2_b64 v[57:60], v57 offset0:2 offset1:27
	s_waitcnt vmcnt(0) lgkmcnt(0)
	v_fma_f64 v[53:54], v[53:54], v[59:60], v[61:62]
	v_cndmask_b32_e64 v54, v62, v54, s[4:5]
	v_cndmask_b32_e64 v53, v61, v53, s[4:5]
	v_mul_f64 v[53:54], v[53:54], v[57:58]
	buffer_store_dword v54, off, s[0:3], 0 offset:20
	buffer_store_dword v53, off, s[0:3], 0 offset:16
.LBB89_17:
	s_or_b64 exec, exec, s[8:9]
	; wave barrier
	buffer_load_dword v53, off, s[0:3], 0 offset:24
	buffer_load_dword v54, off, s[0:3], 0 offset:28
	v_cmp_gt_u32_e32 vcc, 3, v0
	v_add_u32_e32 v57, -1, v0
	s_waitcnt vmcnt(0)
	ds_write_b64 v56, v[53:54]
	s_waitcnt lgkmcnt(0)
	; wave barrier
	s_and_saveexec_b64 s[4:5], vcc
	s_cbranch_execz .LBB89_21
; %bb.18:
	v_mov_b32_e32 v53, 0
	v_add_u32_e32 v58, -1, v0
	v_add_u32_e32 v59, 0xd0, v55
	v_mov_b32_e32 v60, v55
	v_mov_b32_e32 v54, 0
	s_mov_b64 s[8:9], 0
.LBB89_19:                              ; =>This Inner Loop Header: Depth=1
	buffer_load_dword v61, v60, s[0:3], 0 offen
	buffer_load_dword v62, v60, s[0:3], 0 offen offset:4
	ds_read_b64 v[63:64], v59
	v_add_u32_e32 v58, 1, v58
	v_cmp_lt_u32_e32 vcc, 1, v58
	v_add_u32_e32 v59, 8, v59
	s_or_b64 s[8:9], vcc, s[8:9]
	v_add_u32_e32 v60, 8, v60
	s_waitcnt vmcnt(0) lgkmcnt(0)
	v_fma_f64 v[53:54], v[61:62], v[63:64], v[53:54]
	s_andn2_b64 exec, exec, s[8:9]
	s_cbranch_execnz .LBB89_19
; %bb.20:
	s_or_b64 exec, exec, s[8:9]
	v_mov_b32_e32 v58, 0
	ds_read_b64 v[58:59], v58 offset:24
	s_waitcnt lgkmcnt(0)
	v_mul_f64 v[53:54], v[53:54], v[58:59]
	buffer_store_dword v54, off, s[0:3], 0 offset:28
	buffer_store_dword v53, off, s[0:3], 0 offset:24
.LBB89_21:
	s_or_b64 exec, exec, s[4:5]
	; wave barrier
	buffer_load_dword v53, off, s[0:3], 0 offset:32
	buffer_load_dword v54, off, s[0:3], 0 offset:36
	v_cmp_gt_u32_e32 vcc, 4, v0
	s_waitcnt vmcnt(0)
	ds_write_b64 v56, v[53:54]
	s_waitcnt lgkmcnt(0)
	; wave barrier
	s_and_saveexec_b64 s[4:5], vcc
	s_cbranch_execz .LBB89_25
; %bb.22:
	v_mov_b32_e32 v53, 0
	v_add_u32_e32 v58, -1, v0
	v_add_u32_e32 v59, 0xd0, v55
	v_mov_b32_e32 v60, v55
	v_mov_b32_e32 v54, 0
	s_mov_b64 s[8:9], 0
.LBB89_23:                              ; =>This Inner Loop Header: Depth=1
	buffer_load_dword v61, v60, s[0:3], 0 offen
	buffer_load_dword v62, v60, s[0:3], 0 offen offset:4
	ds_read_b64 v[63:64], v59
	v_add_u32_e32 v58, 1, v58
	v_cmp_lt_u32_e32 vcc, 2, v58
	v_add_u32_e32 v59, 8, v59
	s_or_b64 s[8:9], vcc, s[8:9]
	v_add_u32_e32 v60, 8, v60
	s_waitcnt vmcnt(0) lgkmcnt(0)
	v_fma_f64 v[53:54], v[61:62], v[63:64], v[53:54]
	s_andn2_b64 exec, exec, s[8:9]
	s_cbranch_execnz .LBB89_23
; %bb.24:
	s_or_b64 exec, exec, s[8:9]
	v_mov_b32_e32 v58, 0
	ds_read_b64 v[58:59], v58 offset:32
	s_waitcnt lgkmcnt(0)
	v_mul_f64 v[53:54], v[53:54], v[58:59]
	buffer_store_dword v54, off, s[0:3], 0 offset:36
	buffer_store_dword v53, off, s[0:3], 0 offset:32
.LBB89_25:
	s_or_b64 exec, exec, s[4:5]
	; wave barrier
	buffer_load_dword v53, off, s[0:3], 0 offset:40
	buffer_load_dword v54, off, s[0:3], 0 offset:44
	v_cmp_gt_u32_e32 vcc, 5, v0
	;; [unrolled: 40-line block ×21, first 2 shown]
	s_waitcnt vmcnt(0)
	ds_write_b64 v56, v[53:54]
	s_waitcnt lgkmcnt(0)
	; wave barrier
	s_and_saveexec_b64 s[4:5], vcc
	s_cbranch_execz .LBB89_105
; %bb.102:
	v_mov_b32_e32 v53, 0
	v_add_u32_e32 v58, -1, v0
	v_add_u32_e32 v59, 0xd0, v55
	v_mov_b32_e32 v60, v55
	v_mov_b32_e32 v54, 0
	s_mov_b64 s[8:9], 0
.LBB89_103:                             ; =>This Inner Loop Header: Depth=1
	buffer_load_dword v61, v60, s[0:3], 0 offen
	buffer_load_dword v62, v60, s[0:3], 0 offen offset:4
	ds_read_b64 v[63:64], v59
	v_add_u32_e32 v58, 1, v58
	v_cmp_lt_u32_e32 vcc, 22, v58
	v_add_u32_e32 v59, 8, v59
	s_or_b64 s[8:9], vcc, s[8:9]
	v_add_u32_e32 v60, 8, v60
	s_waitcnt vmcnt(0) lgkmcnt(0)
	v_fma_f64 v[53:54], v[61:62], v[63:64], v[53:54]
	s_andn2_b64 exec, exec, s[8:9]
	s_cbranch_execnz .LBB89_103
; %bb.104:
	s_or_b64 exec, exec, s[8:9]
	v_mov_b32_e32 v58, 0
	ds_read_b64 v[58:59], v58 offset:192
	s_waitcnt lgkmcnt(0)
	v_mul_f64 v[53:54], v[53:54], v[58:59]
	buffer_store_dword v54, off, s[0:3], 0 offset:196
	buffer_store_dword v53, off, s[0:3], 0 offset:192
.LBB89_105:
	s_or_b64 exec, exec, s[4:5]
	; wave barrier
	buffer_load_dword v53, off, s[0:3], 0 offset:200
	buffer_load_dword v54, off, s[0:3], 0 offset:204
	v_cmp_ne_u32_e32 vcc, 25, v0
	s_waitcnt vmcnt(0)
	ds_write_b64 v56, v[53:54]
	s_waitcnt lgkmcnt(0)
	; wave barrier
	s_and_saveexec_b64 s[4:5], vcc
	s_cbranch_execz .LBB89_109
; %bb.106:
	v_mov_b32_e32 v53, 0
	v_add_u32_e32 v56, 0xd0, v55
	v_mov_b32_e32 v54, 0
	s_mov_b64 s[8:9], 0
.LBB89_107:                             ; =>This Inner Loop Header: Depth=1
	buffer_load_dword v58, v55, s[0:3], 0 offen
	buffer_load_dword v59, v55, s[0:3], 0 offen offset:4
	ds_read_b64 v[60:61], v56
	v_add_u32_e32 v57, 1, v57
	v_cmp_lt_u32_e32 vcc, 23, v57
	v_add_u32_e32 v56, 8, v56
	s_or_b64 s[8:9], vcc, s[8:9]
	v_add_u32_e32 v55, 8, v55
	s_waitcnt vmcnt(0) lgkmcnt(0)
	v_fma_f64 v[53:54], v[58:59], v[60:61], v[53:54]
	s_andn2_b64 exec, exec, s[8:9]
	s_cbranch_execnz .LBB89_107
; %bb.108:
	s_or_b64 exec, exec, s[8:9]
	v_mov_b32_e32 v55, 0
	ds_read_b64 v[55:56], v55 offset:200
	s_waitcnt lgkmcnt(0)
	v_mul_f64 v[53:54], v[53:54], v[55:56]
	buffer_store_dword v54, off, s[0:3], 0 offset:204
	buffer_store_dword v53, off, s[0:3], 0 offset:200
.LBB89_109:
	s_or_b64 exec, exec, s[4:5]
	s_mov_b64 s[8:9], -1
	; wave barrier
.LBB89_110:
	s_and_b64 vcc, exec, s[8:9]
	s_cbranch_vccz .LBB89_112
; %bb.111:
	s_lshl_b64 s[4:5], s[6:7], 2
	s_add_u32 s4, s10, s4
	s_addc_u32 s5, s11, s5
	v_mov_b32_e32 v53, 0
	global_load_dword v53, v53, s[4:5]
	s_waitcnt vmcnt(0)
	v_cmp_ne_u32_e32 vcc, 0, v53
	s_cbranch_vccz .LBB89_113
.LBB89_112:
	s_endpgm
.LBB89_113:
	v_mov_b32_e32 v53, 0xd0
	v_lshl_add_u32 v53, v0, 3, v53
	v_cmp_eq_u32_e32 vcc, 25, v0
	s_and_saveexec_b64 s[4:5], vcc
	s_cbranch_execz .LBB89_115
; %bb.114:
	buffer_load_dword v54, off, s[0:3], 0 offset:192
	buffer_load_dword v55, off, s[0:3], 0 offset:196
	v_mov_b32_e32 v56, 0
	buffer_store_dword v56, off, s[0:3], 0 offset:192
	buffer_store_dword v56, off, s[0:3], 0 offset:196
	s_waitcnt vmcnt(2)
	ds_write_b64 v53, v[54:55]
.LBB89_115:
	s_or_b64 exec, exec, s[4:5]
	s_waitcnt lgkmcnt(0)
	; wave barrier
	buffer_load_dword v55, off, s[0:3], 0 offset:200
	buffer_load_dword v56, off, s[0:3], 0 offset:204
	;; [unrolled: 1-line block ×4, first 2 shown]
	v_mov_b32_e32 v54, 0
	ds_read_b64 v[59:60], v54 offset:408
	v_cmp_lt_u32_e32 vcc, 23, v0
	s_waitcnt vmcnt(2) lgkmcnt(0)
	v_fma_f64 v[55:56], v[55:56], v[59:60], 0
	s_waitcnt vmcnt(0)
	v_add_f64 v[55:56], v[57:58], -v[55:56]
	buffer_store_dword v55, off, s[0:3], 0 offset:192
	buffer_store_dword v56, off, s[0:3], 0 offset:196
	s_and_saveexec_b64 s[4:5], vcc
	s_cbranch_execz .LBB89_117
; %bb.116:
	buffer_load_dword v55, off, s[0:3], 0 offset:184
	buffer_load_dword v56, off, s[0:3], 0 offset:188
	s_waitcnt vmcnt(0)
	ds_write_b64 v53, v[55:56]
	buffer_store_dword v54, off, s[0:3], 0 offset:184
	buffer_store_dword v54, off, s[0:3], 0 offset:188
.LBB89_117:
	s_or_b64 exec, exec, s[4:5]
	s_waitcnt lgkmcnt(0)
	; wave barrier
	buffer_load_dword v58, off, s[0:3], 0 offset:192
	buffer_load_dword v59, off, s[0:3], 0 offset:196
	buffer_load_dword v60, off, s[0:3], 0 offset:200
	buffer_load_dword v61, off, s[0:3], 0 offset:204
	buffer_load_dword v62, off, s[0:3], 0 offset:184
	buffer_load_dword v63, off, s[0:3], 0 offset:188
	ds_read_b128 v[54:57], v54 offset:400
	v_cmp_lt_u32_e32 vcc, 22, v0
	s_waitcnt vmcnt(4) lgkmcnt(0)
	v_fma_f64 v[54:55], v[58:59], v[54:55], 0
	s_waitcnt vmcnt(2)
	v_fma_f64 v[54:55], v[60:61], v[56:57], v[54:55]
	s_waitcnt vmcnt(0)
	v_add_f64 v[54:55], v[62:63], -v[54:55]
	buffer_store_dword v54, off, s[0:3], 0 offset:184
	buffer_store_dword v55, off, s[0:3], 0 offset:188
	s_and_saveexec_b64 s[4:5], vcc
	s_cbranch_execz .LBB89_119
; %bb.118:
	buffer_load_dword v54, off, s[0:3], 0 offset:176
	buffer_load_dword v55, off, s[0:3], 0 offset:180
	v_mov_b32_e32 v56, 0
	buffer_store_dword v56, off, s[0:3], 0 offset:176
	buffer_store_dword v56, off, s[0:3], 0 offset:180
	s_waitcnt vmcnt(2)
	ds_write_b64 v53, v[54:55]
.LBB89_119:
	s_or_b64 exec, exec, s[4:5]
	s_waitcnt lgkmcnt(0)
	; wave barrier
	buffer_load_dword v59, off, s[0:3], 0 offset:184
	buffer_load_dword v60, off, s[0:3], 0 offset:188
	buffer_load_dword v61, off, s[0:3], 0 offset:192
	buffer_load_dword v62, off, s[0:3], 0 offset:196
	buffer_load_dword v63, off, s[0:3], 0 offset:200
	buffer_load_dword v64, off, s[0:3], 0 offset:204
	buffer_load_dword v65, off, s[0:3], 0 offset:176
	buffer_load_dword v66, off, s[0:3], 0 offset:180
	v_mov_b32_e32 v54, 0
	ds_read2_b64 v[55:58], v54 offset0:49 offset1:50
	ds_read_b64 v[67:68], v54 offset:408
	v_cmp_lt_u32_e32 vcc, 21, v0
	s_waitcnt vmcnt(6) lgkmcnt(1)
	v_fma_f64 v[55:56], v[59:60], v[55:56], 0
	s_waitcnt vmcnt(4)
	v_fma_f64 v[55:56], v[61:62], v[57:58], v[55:56]
	s_waitcnt vmcnt(2) lgkmcnt(0)
	v_fma_f64 v[55:56], v[63:64], v[67:68], v[55:56]
	s_waitcnt vmcnt(0)
	v_add_f64 v[55:56], v[65:66], -v[55:56]
	buffer_store_dword v55, off, s[0:3], 0 offset:176
	buffer_store_dword v56, off, s[0:3], 0 offset:180
	s_and_saveexec_b64 s[4:5], vcc
	s_cbranch_execz .LBB89_121
; %bb.120:
	buffer_load_dword v55, off, s[0:3], 0 offset:168
	buffer_load_dword v56, off, s[0:3], 0 offset:172
	s_waitcnt vmcnt(0)
	ds_write_b64 v53, v[55:56]
	buffer_store_dword v54, off, s[0:3], 0 offset:168
	buffer_store_dword v54, off, s[0:3], 0 offset:172
.LBB89_121:
	s_or_b64 exec, exec, s[4:5]
	s_waitcnt lgkmcnt(0)
	; wave barrier
	buffer_load_dword v63, off, s[0:3], 0 offset:176
	buffer_load_dword v64, off, s[0:3], 0 offset:180
	;; [unrolled: 1-line block ×10, first 2 shown]
	ds_read_b128 v[55:58], v54 offset:384
	ds_read_b128 v[59:62], v54 offset:400
	v_cmp_lt_u32_e32 vcc, 20, v0
	s_waitcnt vmcnt(8) lgkmcnt(1)
	v_fma_f64 v[54:55], v[63:64], v[55:56], 0
	s_waitcnt vmcnt(6)
	v_fma_f64 v[54:55], v[65:66], v[57:58], v[54:55]
	s_waitcnt vmcnt(4) lgkmcnt(0)
	v_fma_f64 v[54:55], v[67:68], v[59:60], v[54:55]
	s_waitcnt vmcnt(2)
	v_fma_f64 v[54:55], v[69:70], v[61:62], v[54:55]
	s_waitcnt vmcnt(0)
	v_add_f64 v[54:55], v[71:72], -v[54:55]
	buffer_store_dword v54, off, s[0:3], 0 offset:168
	buffer_store_dword v55, off, s[0:3], 0 offset:172
	s_and_saveexec_b64 s[4:5], vcc
	s_cbranch_execz .LBB89_123
; %bb.122:
	buffer_load_dword v54, off, s[0:3], 0 offset:160
	buffer_load_dword v55, off, s[0:3], 0 offset:164
	v_mov_b32_e32 v56, 0
	buffer_store_dword v56, off, s[0:3], 0 offset:160
	buffer_store_dword v56, off, s[0:3], 0 offset:164
	s_waitcnt vmcnt(2)
	ds_write_b64 v53, v[54:55]
.LBB89_123:
	s_or_b64 exec, exec, s[4:5]
	s_waitcnt lgkmcnt(0)
	; wave barrier
	buffer_load_dword v63, off, s[0:3], 0 offset:168
	buffer_load_dword v64, off, s[0:3], 0 offset:172
	;; [unrolled: 1-line block ×12, first 2 shown]
	v_mov_b32_e32 v54, 0
	ds_read2_b64 v[55:58], v54 offset0:47 offset1:48
	ds_read2_b64 v[59:62], v54 offset0:49 offset1:50
	v_cmp_lt_u32_e32 vcc, 19, v0
	s_waitcnt vmcnt(10) lgkmcnt(1)
	v_fma_f64 v[55:56], v[63:64], v[55:56], 0
	s_waitcnt vmcnt(8)
	v_fma_f64 v[55:56], v[65:66], v[57:58], v[55:56]
	ds_read_b64 v[57:58], v54 offset:408
	s_waitcnt vmcnt(6) lgkmcnt(1)
	v_fma_f64 v[55:56], v[67:68], v[59:60], v[55:56]
	s_waitcnt vmcnt(4)
	v_fma_f64 v[55:56], v[69:70], v[61:62], v[55:56]
	s_waitcnt vmcnt(2) lgkmcnt(0)
	v_fma_f64 v[55:56], v[71:72], v[57:58], v[55:56]
	s_waitcnt vmcnt(0)
	v_add_f64 v[55:56], v[73:74], -v[55:56]
	buffer_store_dword v55, off, s[0:3], 0 offset:160
	buffer_store_dword v56, off, s[0:3], 0 offset:164
	s_and_saveexec_b64 s[4:5], vcc
	s_cbranch_execz .LBB89_125
; %bb.124:
	buffer_load_dword v55, off, s[0:3], 0 offset:152
	buffer_load_dword v56, off, s[0:3], 0 offset:156
	s_waitcnt vmcnt(0)
	ds_write_b64 v53, v[55:56]
	buffer_store_dword v54, off, s[0:3], 0 offset:152
	buffer_store_dword v54, off, s[0:3], 0 offset:156
.LBB89_125:
	s_or_b64 exec, exec, s[4:5]
	s_waitcnt lgkmcnt(0)
	; wave barrier
	buffer_load_dword v63, off, s[0:3], 0 offset:160
	buffer_load_dword v64, off, s[0:3], 0 offset:164
	;; [unrolled: 1-line block ×14, first 2 shown]
	ds_read_b128 v[55:58], v54 offset:368
	ds_read_b128 v[59:62], v54 offset:384
	v_cmp_lt_u32_e32 vcc, 18, v0
	s_waitcnt vmcnt(12) lgkmcnt(1)
	v_fma_f64 v[55:56], v[63:64], v[55:56], 0
	s_waitcnt vmcnt(10)
	v_fma_f64 v[55:56], v[65:66], v[57:58], v[55:56]
	s_waitcnt vmcnt(8) lgkmcnt(0)
	v_fma_f64 v[55:56], v[67:68], v[59:60], v[55:56]
	s_waitcnt vmcnt(6)
	v_fma_f64 v[58:59], v[69:70], v[61:62], v[55:56]
	ds_read_b128 v[54:57], v54 offset:400
	s_waitcnt vmcnt(4) lgkmcnt(0)
	v_fma_f64 v[54:55], v[71:72], v[54:55], v[58:59]
	s_waitcnt vmcnt(2)
	v_fma_f64 v[54:55], v[73:74], v[56:57], v[54:55]
	s_waitcnt vmcnt(0)
	v_add_f64 v[54:55], v[75:76], -v[54:55]
	buffer_store_dword v54, off, s[0:3], 0 offset:152
	buffer_store_dword v55, off, s[0:3], 0 offset:156
	s_and_saveexec_b64 s[4:5], vcc
	s_cbranch_execz .LBB89_127
; %bb.126:
	buffer_load_dword v54, off, s[0:3], 0 offset:144
	buffer_load_dword v55, off, s[0:3], 0 offset:148
	v_mov_b32_e32 v56, 0
	buffer_store_dword v56, off, s[0:3], 0 offset:144
	buffer_store_dword v56, off, s[0:3], 0 offset:148
	s_waitcnt vmcnt(2)
	ds_write_b64 v53, v[54:55]
.LBB89_127:
	s_or_b64 exec, exec, s[4:5]
	s_waitcnt lgkmcnt(0)
	; wave barrier
	buffer_load_dword v63, off, s[0:3], 0 offset:152
	buffer_load_dword v64, off, s[0:3], 0 offset:156
	;; [unrolled: 1-line block ×16, first 2 shown]
	v_mov_b32_e32 v54, 0
	ds_read2_b64 v[55:58], v54 offset0:45 offset1:46
	ds_read2_b64 v[59:62], v54 offset0:47 offset1:48
	v_cmp_lt_u32_e32 vcc, 17, v0
	s_waitcnt vmcnt(14) lgkmcnt(1)
	v_fma_f64 v[55:56], v[63:64], v[55:56], 0
	s_waitcnt vmcnt(12)
	v_fma_f64 v[55:56], v[65:66], v[57:58], v[55:56]
	s_waitcnt vmcnt(10) lgkmcnt(0)
	v_fma_f64 v[55:56], v[67:68], v[59:60], v[55:56]
	s_waitcnt vmcnt(8)
	v_fma_f64 v[59:60], v[69:70], v[61:62], v[55:56]
	ds_read2_b64 v[55:58], v54 offset0:49 offset1:50
	ds_read_b64 v[61:62], v54 offset:408
	s_waitcnt vmcnt(6) lgkmcnt(1)
	v_fma_f64 v[55:56], v[71:72], v[55:56], v[59:60]
	s_waitcnt vmcnt(4)
	v_fma_f64 v[55:56], v[73:74], v[57:58], v[55:56]
	s_waitcnt vmcnt(2) lgkmcnt(0)
	v_fma_f64 v[55:56], v[75:76], v[61:62], v[55:56]
	s_waitcnt vmcnt(0)
	v_add_f64 v[55:56], v[77:78], -v[55:56]
	buffer_store_dword v55, off, s[0:3], 0 offset:144
	buffer_store_dword v56, off, s[0:3], 0 offset:148
	s_and_saveexec_b64 s[4:5], vcc
	s_cbranch_execz .LBB89_129
; %bb.128:
	buffer_load_dword v55, off, s[0:3], 0 offset:136
	buffer_load_dword v56, off, s[0:3], 0 offset:140
	s_waitcnt vmcnt(0)
	ds_write_b64 v53, v[55:56]
	buffer_store_dword v54, off, s[0:3], 0 offset:136
	buffer_store_dword v54, off, s[0:3], 0 offset:140
.LBB89_129:
	s_or_b64 exec, exec, s[4:5]
	s_waitcnt lgkmcnt(0)
	; wave barrier
	buffer_load_dword v63, off, s[0:3], 0 offset:144
	buffer_load_dword v64, off, s[0:3], 0 offset:148
	;; [unrolled: 1-line block ×18, first 2 shown]
	ds_read_b128 v[55:58], v54 offset:352
	ds_read_b128 v[59:62], v54 offset:368
	v_cmp_lt_u32_e32 vcc, 16, v0
	s_waitcnt vmcnt(16) lgkmcnt(1)
	v_fma_f64 v[55:56], v[63:64], v[55:56], 0
	s_waitcnt vmcnt(14)
	v_fma_f64 v[55:56], v[65:66], v[57:58], v[55:56]
	s_waitcnt vmcnt(12) lgkmcnt(0)
	v_fma_f64 v[55:56], v[67:68], v[59:60], v[55:56]
	s_waitcnt vmcnt(10)
	v_fma_f64 v[63:64], v[69:70], v[61:62], v[55:56]
	ds_read_b128 v[55:58], v54 offset:384
	ds_read_b128 v[59:62], v54 offset:400
	s_waitcnt vmcnt(8) lgkmcnt(1)
	v_fma_f64 v[54:55], v[71:72], v[55:56], v[63:64]
	s_waitcnt vmcnt(6)
	v_fma_f64 v[54:55], v[73:74], v[57:58], v[54:55]
	s_waitcnt vmcnt(4) lgkmcnt(0)
	v_fma_f64 v[54:55], v[75:76], v[59:60], v[54:55]
	s_waitcnt vmcnt(2)
	v_fma_f64 v[54:55], v[77:78], v[61:62], v[54:55]
	s_waitcnt vmcnt(0)
	v_add_f64 v[54:55], v[79:80], -v[54:55]
	buffer_store_dword v54, off, s[0:3], 0 offset:136
	buffer_store_dword v55, off, s[0:3], 0 offset:140
	s_and_saveexec_b64 s[4:5], vcc
	s_cbranch_execz .LBB89_131
; %bb.130:
	buffer_load_dword v54, off, s[0:3], 0 offset:128
	buffer_load_dword v55, off, s[0:3], 0 offset:132
	v_mov_b32_e32 v56, 0
	buffer_store_dword v56, off, s[0:3], 0 offset:128
	buffer_store_dword v56, off, s[0:3], 0 offset:132
	s_waitcnt vmcnt(2)
	ds_write_b64 v53, v[54:55]
.LBB89_131:
	s_or_b64 exec, exec, s[4:5]
	s_waitcnt lgkmcnt(0)
	; wave barrier
	buffer_load_dword v59, off, s[0:3], 0 offset:128
	buffer_load_dword v60, off, s[0:3], 0 offset:132
	;; [unrolled: 1-line block ×16, first 2 shown]
	v_mov_b32_e32 v54, 0
	ds_read2_b64 v[55:58], v54 offset0:43 offset1:44
	v_cmp_lt_u32_e32 vcc, 15, v0
	s_waitcnt vmcnt(12) lgkmcnt(0)
	v_fma_f64 v[55:56], v[61:62], v[55:56], 0
	s_waitcnt vmcnt(10)
	v_fma_f64 v[61:62], v[63:64], v[57:58], v[55:56]
	ds_read2_b64 v[55:58], v54 offset0:45 offset1:46
	s_waitcnt vmcnt(8) lgkmcnt(0)
	v_fma_f64 v[55:56], v[65:66], v[55:56], v[61:62]
	s_waitcnt vmcnt(6)
	v_fma_f64 v[61:62], v[67:68], v[57:58], v[55:56]
	ds_read2_b64 v[55:58], v54 offset0:47 offset1:48
	;; [unrolled: 5-line block ×3, first 2 shown]
	s_waitcnt vmcnt(0) lgkmcnt(0)
	v_fma_f64 v[55:56], v[73:74], v[55:56], v[61:62]
	buffer_load_dword v62, off, s[0:3], 0 offset:196
	buffer_load_dword v61, off, s[0:3], 0 offset:192
	s_waitcnt vmcnt(0)
	v_fma_f64 v[55:56], v[61:62], v[57:58], v[55:56]
	buffer_load_dword v58, off, s[0:3], 0 offset:204
	buffer_load_dword v57, off, s[0:3], 0 offset:200
	ds_read_b64 v[61:62], v54 offset:408
	s_waitcnt vmcnt(0) lgkmcnt(0)
	v_fma_f64 v[55:56], v[57:58], v[61:62], v[55:56]
	v_add_f64 v[55:56], v[59:60], -v[55:56]
	buffer_store_dword v55, off, s[0:3], 0 offset:128
	buffer_store_dword v56, off, s[0:3], 0 offset:132
	s_and_saveexec_b64 s[4:5], vcc
	s_cbranch_execz .LBB89_133
; %bb.132:
	buffer_load_dword v55, off, s[0:3], 0 offset:120
	buffer_load_dword v56, off, s[0:3], 0 offset:124
	s_waitcnt vmcnt(0)
	ds_write_b64 v53, v[55:56]
	buffer_store_dword v54, off, s[0:3], 0 offset:120
	buffer_store_dword v54, off, s[0:3], 0 offset:124
.LBB89_133:
	s_or_b64 exec, exec, s[4:5]
	s_waitcnt lgkmcnt(0)
	; wave barrier
	buffer_load_dword v59, off, s[0:3], 0 offset:128
	buffer_load_dword v60, off, s[0:3], 0 offset:132
	;; [unrolled: 1-line block ×20, first 2 shown]
	ds_read_b128 v[55:58], v54 offset:336
	buffer_load_dword v79, off, s[0:3], 0 offset:120
	buffer_load_dword v80, off, s[0:3], 0 offset:124
	v_cmp_lt_u32_e32 vcc, 14, v0
	s_waitcnt vmcnt(20) lgkmcnt(0)
	v_fma_f64 v[55:56], v[59:60], v[55:56], 0
	s_waitcnt vmcnt(18)
	v_fma_f64 v[59:60], v[61:62], v[57:58], v[55:56]
	ds_read_b128 v[55:58], v54 offset:352
	s_waitcnt vmcnt(16) lgkmcnt(0)
	v_fma_f64 v[55:56], v[63:64], v[55:56], v[59:60]
	s_waitcnt vmcnt(14)
	v_fma_f64 v[59:60], v[65:66], v[57:58], v[55:56]
	ds_read_b128 v[55:58], v54 offset:368
	;; [unrolled: 5-line block ×4, first 2 shown]
	s_waitcnt vmcnt(4) lgkmcnt(0)
	v_fma_f64 v[54:55], v[75:76], v[54:55], v[58:59]
	s_waitcnt vmcnt(2)
	v_fma_f64 v[54:55], v[77:78], v[56:57], v[54:55]
	s_waitcnt vmcnt(0)
	v_add_f64 v[54:55], v[79:80], -v[54:55]
	buffer_store_dword v54, off, s[0:3], 0 offset:120
	buffer_store_dword v55, off, s[0:3], 0 offset:124
	s_and_saveexec_b64 s[4:5], vcc
	s_cbranch_execz .LBB89_135
; %bb.134:
	buffer_load_dword v54, off, s[0:3], 0 offset:112
	buffer_load_dword v55, off, s[0:3], 0 offset:116
	v_mov_b32_e32 v56, 0
	buffer_store_dword v56, off, s[0:3], 0 offset:112
	buffer_store_dword v56, off, s[0:3], 0 offset:116
	s_waitcnt vmcnt(2)
	ds_write_b64 v53, v[54:55]
.LBB89_135:
	s_or_b64 exec, exec, s[4:5]
	s_waitcnt lgkmcnt(0)
	; wave barrier
	buffer_load_dword v59, off, s[0:3], 0 offset:120
	buffer_load_dword v60, off, s[0:3], 0 offset:124
	;; [unrolled: 1-line block ×20, first 2 shown]
	v_mov_b32_e32 v54, 0
	ds_read2_b64 v[55:58], v54 offset0:41 offset1:42
	buffer_load_dword v79, off, s[0:3], 0 offset:200
	buffer_load_dword v80, off, s[0:3], 0 offset:204
	v_cmp_lt_u32_e32 vcc, 13, v0
	s_waitcnt vmcnt(20) lgkmcnt(0)
	v_fma_f64 v[55:56], v[59:60], v[55:56], 0
	buffer_load_dword v59, off, s[0:3], 0 offset:112
	buffer_load_dword v60, off, s[0:3], 0 offset:116
	s_waitcnt vmcnt(20)
	v_fma_f64 v[61:62], v[61:62], v[57:58], v[55:56]
	ds_read2_b64 v[55:58], v54 offset0:43 offset1:44
	s_waitcnt vmcnt(18) lgkmcnt(0)
	v_fma_f64 v[55:56], v[63:64], v[55:56], v[61:62]
	s_waitcnt vmcnt(16)
	v_fma_f64 v[61:62], v[65:66], v[57:58], v[55:56]
	ds_read2_b64 v[55:58], v54 offset0:45 offset1:46
	s_waitcnt vmcnt(14) lgkmcnt(0)
	v_fma_f64 v[55:56], v[67:68], v[55:56], v[61:62]
	;; [unrolled: 5-line block ×4, first 2 shown]
	s_waitcnt vmcnt(4)
	v_fma_f64 v[55:56], v[77:78], v[57:58], v[55:56]
	ds_read_b64 v[57:58], v54 offset:408
	s_waitcnt vmcnt(2) lgkmcnt(0)
	v_fma_f64 v[55:56], v[79:80], v[57:58], v[55:56]
	s_waitcnt vmcnt(0)
	v_add_f64 v[55:56], v[59:60], -v[55:56]
	buffer_store_dword v56, off, s[0:3], 0 offset:116
	buffer_store_dword v55, off, s[0:3], 0 offset:112
	s_and_saveexec_b64 s[4:5], vcc
	s_cbranch_execz .LBB89_137
; %bb.136:
	buffer_load_dword v55, off, s[0:3], 0 offset:104
	buffer_load_dword v56, off, s[0:3], 0 offset:108
	s_waitcnt vmcnt(0)
	ds_write_b64 v53, v[55:56]
	buffer_store_dword v54, off, s[0:3], 0 offset:104
	buffer_store_dword v54, off, s[0:3], 0 offset:108
.LBB89_137:
	s_or_b64 exec, exec, s[4:5]
	s_waitcnt lgkmcnt(0)
	; wave barrier
	buffer_load_dword v59, off, s[0:3], 0 offset:112
	buffer_load_dword v60, off, s[0:3], 0 offset:116
	buffer_load_dword v61, off, s[0:3], 0 offset:120
	buffer_load_dword v62, off, s[0:3], 0 offset:124
	buffer_load_dword v63, off, s[0:3], 0 offset:128
	buffer_load_dword v64, off, s[0:3], 0 offset:132
	buffer_load_dword v65, off, s[0:3], 0 offset:136
	buffer_load_dword v66, off, s[0:3], 0 offset:140
	buffer_load_dword v67, off, s[0:3], 0 offset:144
	buffer_load_dword v68, off, s[0:3], 0 offset:148
	buffer_load_dword v69, off, s[0:3], 0 offset:152
	buffer_load_dword v70, off, s[0:3], 0 offset:156
	buffer_load_dword v71, off, s[0:3], 0 offset:160
	buffer_load_dword v72, off, s[0:3], 0 offset:164
	buffer_load_dword v74, off, s[0:3], 0 offset:172
	buffer_load_dword v73, off, s[0:3], 0 offset:168
	buffer_load_dword v75, off, s[0:3], 0 offset:176
	buffer_load_dword v76, off, s[0:3], 0 offset:180
	buffer_load_dword v77, off, s[0:3], 0 offset:184
	buffer_load_dword v78, off, s[0:3], 0 offset:188
	ds_read_b128 v[55:58], v54 offset:320
	buffer_load_dword v79, off, s[0:3], 0 offset:192
	buffer_load_dword v80, off, s[0:3], 0 offset:196
	v_cmp_lt_u32_e32 vcc, 12, v0
	s_waitcnt vmcnt(20) lgkmcnt(0)
	v_fma_f64 v[55:56], v[59:60], v[55:56], 0
	buffer_load_dword v60, off, s[0:3], 0 offset:204
	buffer_load_dword v59, off, s[0:3], 0 offset:200
	s_waitcnt vmcnt(20)
	v_fma_f64 v[61:62], v[61:62], v[57:58], v[55:56]
	ds_read_b128 v[55:58], v54 offset:336
	buffer_load_dword v81, off, s[0:3], 0 offset:104
	buffer_load_dword v82, off, s[0:3], 0 offset:108
	s_waitcnt vmcnt(20) lgkmcnt(0)
	v_fma_f64 v[55:56], v[63:64], v[55:56], v[61:62]
	s_waitcnt vmcnt(18)
	v_fma_f64 v[61:62], v[65:66], v[57:58], v[55:56]
	ds_read_b128 v[55:58], v54 offset:352
	s_waitcnt vmcnt(16) lgkmcnt(0)
	v_fma_f64 v[55:56], v[67:68], v[55:56], v[61:62]
	s_waitcnt vmcnt(14)
	v_fma_f64 v[61:62], v[69:70], v[57:58], v[55:56]
	ds_read_b128 v[55:58], v54 offset:368
	;; [unrolled: 5-line block ×4, first 2 shown]
	s_waitcnt vmcnt(4) lgkmcnt(0)
	v_fma_f64 v[54:55], v[79:80], v[54:55], v[61:62]
	s_waitcnt vmcnt(2)
	v_fma_f64 v[54:55], v[59:60], v[56:57], v[54:55]
	s_waitcnt vmcnt(0)
	v_add_f64 v[54:55], v[81:82], -v[54:55]
	buffer_store_dword v55, off, s[0:3], 0 offset:108
	buffer_store_dword v54, off, s[0:3], 0 offset:104
	s_and_saveexec_b64 s[4:5], vcc
	s_cbranch_execz .LBB89_139
; %bb.138:
	buffer_load_dword v54, off, s[0:3], 0 offset:96
	buffer_load_dword v55, off, s[0:3], 0 offset:100
	v_mov_b32_e32 v56, 0
	buffer_store_dword v56, off, s[0:3], 0 offset:96
	buffer_store_dword v56, off, s[0:3], 0 offset:100
	s_waitcnt vmcnt(2)
	ds_write_b64 v53, v[54:55]
.LBB89_139:
	s_or_b64 exec, exec, s[4:5]
	s_waitcnt lgkmcnt(0)
	; wave barrier
	buffer_load_dword v63, off, s[0:3], 0 offset:104
	buffer_load_dword v64, off, s[0:3], 0 offset:108
	;; [unrolled: 1-line block ×21, first 2 shown]
	v_mov_b32_e32 v54, 0
	ds_read2_b64 v[55:58], v54 offset0:39 offset1:40
	ds_read2_b64 v[59:62], v54 offset0:41 offset1:42
	buffer_load_dword v80, off, s[0:3], 0 offset:188
	v_cmp_lt_u32_e32 vcc, 11, v0
	s_waitcnt vmcnt(20) lgkmcnt(1)
	v_fma_f64 v[55:56], v[63:64], v[55:56], 0
	s_waitcnt vmcnt(18)
	v_fma_f64 v[55:56], v[65:66], v[57:58], v[55:56]
	buffer_load_dword v64, off, s[0:3], 0 offset:196
	buffer_load_dword v65, off, s[0:3], 0 offset:200
	buffer_load_dword v63, off, s[0:3], 0 offset:192
	buffer_load_dword v66, off, s[0:3], 0 offset:204
	s_waitcnt vmcnt(20) lgkmcnt(0)
	v_fma_f64 v[55:56], v[67:68], v[59:60], v[55:56]
	buffer_load_dword v67, off, s[0:3], 0 offset:96
	buffer_load_dword v68, off, s[0:3], 0 offset:100
	s_waitcnt vmcnt(20)
	v_fma_f64 v[69:70], v[69:70], v[61:62], v[55:56]
	ds_read2_b64 v[55:58], v54 offset0:43 offset1:44
	ds_read2_b64 v[59:62], v54 offset0:45 offset1:46
	s_waitcnt vmcnt(18) lgkmcnt(1)
	v_fma_f64 v[55:56], v[71:72], v[55:56], v[69:70]
	s_waitcnt vmcnt(16)
	v_fma_f64 v[55:56], v[73:74], v[57:58], v[55:56]
	s_waitcnt vmcnt(14) lgkmcnt(0)
	v_fma_f64 v[55:56], v[75:76], v[59:60], v[55:56]
	s_waitcnt vmcnt(9)
	v_fma_f64 v[69:70], v[77:78], v[61:62], v[55:56]
	ds_read2_b64 v[55:58], v54 offset0:47 offset1:48
	ds_read2_b64 v[59:62], v54 offset0:49 offset1:50
	s_waitcnt vmcnt(8) lgkmcnt(1)
	v_fma_f64 v[55:56], v[83:84], v[55:56], v[69:70]
	s_waitcnt vmcnt(7)
	v_fma_f64 v[55:56], v[81:82], v[57:58], v[55:56]
	ds_read_b64 v[57:58], v54 offset:408
	s_waitcnt vmcnt(6) lgkmcnt(1)
	v_fma_f64 v[55:56], v[79:80], v[59:60], v[55:56]
	s_waitcnt vmcnt(3)
	v_fma_f64 v[55:56], v[63:64], v[61:62], v[55:56]
	s_waitcnt vmcnt(2) lgkmcnt(0)
	v_fma_f64 v[55:56], v[65:66], v[57:58], v[55:56]
	s_waitcnt vmcnt(0)
	v_add_f64 v[55:56], v[67:68], -v[55:56]
	buffer_store_dword v56, off, s[0:3], 0 offset:100
	buffer_store_dword v55, off, s[0:3], 0 offset:96
	s_and_saveexec_b64 s[4:5], vcc
	s_cbranch_execz .LBB89_141
; %bb.140:
	buffer_load_dword v55, off, s[0:3], 0 offset:88
	buffer_load_dword v56, off, s[0:3], 0 offset:92
	s_waitcnt vmcnt(0)
	ds_write_b64 v53, v[55:56]
	buffer_store_dword v54, off, s[0:3], 0 offset:88
	buffer_store_dword v54, off, s[0:3], 0 offset:92
.LBB89_141:
	s_or_b64 exec, exec, s[4:5]
	s_waitcnt lgkmcnt(0)
	; wave barrier
	buffer_load_dword v63, off, s[0:3], 0 offset:96
	buffer_load_dword v64, off, s[0:3], 0 offset:100
	;; [unrolled: 1-line block ×22, first 2 shown]
	ds_read_b128 v[55:58], v54 offset:304
	ds_read_b128 v[59:62], v54 offset:320
	v_cmp_lt_u32_e32 vcc, 10, v0
	s_waitcnt vmcnt(20) lgkmcnt(1)
	v_fma_f64 v[55:56], v[63:64], v[55:56], 0
	s_waitcnt vmcnt(18)
	v_fma_f64 v[55:56], v[65:66], v[57:58], v[55:56]
	buffer_load_dword v64, off, s[0:3], 0 offset:188
	buffer_load_dword v65, off, s[0:3], 0 offset:200
	;; [unrolled: 1-line block ×6, first 2 shown]
	s_waitcnt vmcnt(22) lgkmcnt(0)
	v_fma_f64 v[55:56], v[67:68], v[59:60], v[55:56]
	s_waitcnt vmcnt(20)
	v_fma_f64 v[67:68], v[69:70], v[61:62], v[55:56]
	ds_read_b128 v[55:58], v54 offset:336
	buffer_load_dword v69, off, s[0:3], 0 offset:88
	buffer_load_dword v70, off, s[0:3], 0 offset:92
	ds_read_b128 v[59:62], v54 offset:352
	s_waitcnt vmcnt(20) lgkmcnt(1)
	v_fma_f64 v[55:56], v[71:72], v[55:56], v[67:68]
	s_waitcnt vmcnt(18)
	v_fma_f64 v[55:56], v[73:74], v[57:58], v[55:56]
	s_waitcnt vmcnt(16) lgkmcnt(0)
	v_fma_f64 v[55:56], v[75:76], v[59:60], v[55:56]
	s_waitcnt vmcnt(11)
	v_fma_f64 v[67:68], v[77:78], v[61:62], v[55:56]
	ds_read_b128 v[55:58], v54 offset:368
	ds_read_b128 v[59:62], v54 offset:384
	s_waitcnt vmcnt(10) lgkmcnt(1)
	v_fma_f64 v[55:56], v[83:84], v[55:56], v[67:68]
	s_waitcnt vmcnt(9)
	v_fma_f64 v[55:56], v[81:82], v[57:58], v[55:56]
	s_waitcnt vmcnt(8) lgkmcnt(0)
	v_fma_f64 v[55:56], v[79:80], v[59:60], v[55:56]
	s_waitcnt vmcnt(4)
	v_fma_f64 v[58:59], v[63:64], v[61:62], v[55:56]
	ds_read_b128 v[54:57], v54 offset:400
	s_waitcnt vmcnt(3) lgkmcnt(0)
	v_fma_f64 v[54:55], v[85:86], v[54:55], v[58:59]
	s_waitcnt vmcnt(2)
	v_fma_f64 v[54:55], v[65:66], v[56:57], v[54:55]
	s_waitcnt vmcnt(0)
	v_add_f64 v[54:55], v[69:70], -v[54:55]
	buffer_store_dword v55, off, s[0:3], 0 offset:92
	buffer_store_dword v54, off, s[0:3], 0 offset:88
	s_and_saveexec_b64 s[4:5], vcc
	s_cbranch_execz .LBB89_143
; %bb.142:
	buffer_load_dword v54, off, s[0:3], 0 offset:80
	buffer_load_dword v55, off, s[0:3], 0 offset:84
	v_mov_b32_e32 v56, 0
	buffer_store_dword v56, off, s[0:3], 0 offset:80
	buffer_store_dword v56, off, s[0:3], 0 offset:84
	s_waitcnt vmcnt(2)
	ds_write_b64 v53, v[54:55]
.LBB89_143:
	s_or_b64 exec, exec, s[4:5]
	s_waitcnt lgkmcnt(0)
	; wave barrier
	buffer_load_dword v63, off, s[0:3], 0 offset:88
	buffer_load_dword v64, off, s[0:3], 0 offset:92
	;; [unrolled: 1-line block ×22, first 2 shown]
	v_mov_b32_e32 v54, 0
	ds_read2_b64 v[55:58], v54 offset0:37 offset1:38
	ds_read2_b64 v[59:62], v54 offset0:39 offset1:40
	v_cmp_lt_u32_e32 vcc, 9, v0
	s_waitcnt vmcnt(20) lgkmcnt(1)
	v_fma_f64 v[55:56], v[63:64], v[55:56], 0
	s_waitcnt vmcnt(18)
	v_fma_f64 v[55:56], v[65:66], v[57:58], v[55:56]
	buffer_load_dword v64, off, s[0:3], 0 offset:180
	buffer_load_dword v65, off, s[0:3], 0 offset:200
	buffer_load_dword v85, off, s[0:3], 0 offset:192
	buffer_load_dword v87, off, s[0:3], 0 offset:184
	buffer_load_dword v63, off, s[0:3], 0 offset:176
	buffer_load_dword v88, off, s[0:3], 0 offset:188
	buffer_load_dword v86, off, s[0:3], 0 offset:196
	buffer_load_dword v66, off, s[0:3], 0 offset:204
	s_waitcnt vmcnt(24) lgkmcnt(0)
	v_fma_f64 v[55:56], v[67:68], v[59:60], v[55:56]
	s_waitcnt vmcnt(22)
	v_fma_f64 v[67:68], v[69:70], v[61:62], v[55:56]
	ds_read2_b64 v[55:58], v54 offset0:41 offset1:42
	ds_read2_b64 v[59:62], v54 offset0:43 offset1:44
	s_waitcnt vmcnt(20) lgkmcnt(1)
	v_fma_f64 v[55:56], v[71:72], v[55:56], v[67:68]
	buffer_load_dword v67, off, s[0:3], 0 offset:80
	buffer_load_dword v68, off, s[0:3], 0 offset:84
	s_waitcnt vmcnt(20)
	v_fma_f64 v[55:56], v[73:74], v[57:58], v[55:56]
	s_waitcnt vmcnt(18) lgkmcnt(0)
	v_fma_f64 v[55:56], v[75:76], v[59:60], v[55:56]
	s_waitcnt vmcnt(13)
	v_fma_f64 v[69:70], v[77:78], v[61:62], v[55:56]
	ds_read2_b64 v[55:58], v54 offset0:45 offset1:46
	ds_read2_b64 v[59:62], v54 offset0:47 offset1:48
	s_waitcnt vmcnt(12) lgkmcnt(1)
	v_fma_f64 v[55:56], v[83:84], v[55:56], v[69:70]
	s_waitcnt vmcnt(11)
	v_fma_f64 v[55:56], v[81:82], v[57:58], v[55:56]
	s_waitcnt vmcnt(10) lgkmcnt(0)
	v_fma_f64 v[55:56], v[79:80], v[59:60], v[55:56]
	s_waitcnt vmcnt(5)
	v_fma_f64 v[59:60], v[63:64], v[61:62], v[55:56]
	ds_read2_b64 v[55:58], v54 offset0:49 offset1:50
	ds_read_b64 v[61:62], v54 offset:408
	s_waitcnt vmcnt(4) lgkmcnt(1)
	v_fma_f64 v[55:56], v[87:88], v[55:56], v[59:60]
	s_waitcnt vmcnt(3)
	v_fma_f64 v[55:56], v[85:86], v[57:58], v[55:56]
	s_waitcnt vmcnt(2) lgkmcnt(0)
	v_fma_f64 v[55:56], v[65:66], v[61:62], v[55:56]
	s_waitcnt vmcnt(0)
	v_add_f64 v[55:56], v[67:68], -v[55:56]
	buffer_store_dword v56, off, s[0:3], 0 offset:84
	buffer_store_dword v55, off, s[0:3], 0 offset:80
	s_and_saveexec_b64 s[4:5], vcc
	s_cbranch_execz .LBB89_145
; %bb.144:
	buffer_load_dword v55, off, s[0:3], 0 offset:72
	buffer_load_dword v56, off, s[0:3], 0 offset:76
	s_waitcnt vmcnt(0)
	ds_write_b64 v53, v[55:56]
	buffer_store_dword v54, off, s[0:3], 0 offset:72
	buffer_store_dword v54, off, s[0:3], 0 offset:76
.LBB89_145:
	s_or_b64 exec, exec, s[4:5]
	s_waitcnt lgkmcnt(0)
	; wave barrier
	buffer_load_dword v63, off, s[0:3], 0 offset:80
	buffer_load_dword v64, off, s[0:3], 0 offset:84
	;; [unrolled: 1-line block ×22, first 2 shown]
	ds_read_b128 v[55:58], v54 offset:288
	ds_read_b128 v[59:62], v54 offset:304
	v_cmp_lt_u32_e32 vcc, 8, v0
	s_waitcnt vmcnt(20) lgkmcnt(1)
	v_fma_f64 v[55:56], v[63:64], v[55:56], 0
	s_waitcnt vmcnt(18)
	v_fma_f64 v[55:56], v[65:66], v[57:58], v[55:56]
	buffer_load_dword v64, off, s[0:3], 0 offset:172
	buffer_load_dword v65, off, s[0:3], 0 offset:192
	buffer_load_dword v85, off, s[0:3], 0 offset:184
	buffer_load_dword v87, off, s[0:3], 0 offset:176
	buffer_load_dword v63, off, s[0:3], 0 offset:168
	buffer_load_dword v88, off, s[0:3], 0 offset:180
	buffer_load_dword v86, off, s[0:3], 0 offset:188
	buffer_load_dword v66, off, s[0:3], 0 offset:196
	s_waitcnt vmcnt(24) lgkmcnt(0)
	v_fma_f64 v[55:56], v[67:68], v[59:60], v[55:56]
	s_waitcnt vmcnt(22)
	v_fma_f64 v[67:68], v[69:70], v[61:62], v[55:56]
	ds_read_b128 v[55:58], v54 offset:320
	ds_read_b128 v[59:62], v54 offset:336
	s_waitcnt vmcnt(20) lgkmcnt(1)
	v_fma_f64 v[55:56], v[71:72], v[55:56], v[67:68]
	buffer_load_dword v68, off, s[0:3], 0 offset:204
	buffer_load_dword v67, off, s[0:3], 0 offset:200
	;; [unrolled: 1-line block ×4, first 2 shown]
	s_waitcnt vmcnt(22)
	v_fma_f64 v[55:56], v[73:74], v[57:58], v[55:56]
	s_waitcnt vmcnt(20) lgkmcnt(0)
	v_fma_f64 v[55:56], v[75:76], v[59:60], v[55:56]
	s_waitcnt vmcnt(15)
	v_fma_f64 v[71:72], v[77:78], v[61:62], v[55:56]
	ds_read_b128 v[55:58], v54 offset:352
	ds_read_b128 v[59:62], v54 offset:368
	s_waitcnt vmcnt(14) lgkmcnt(1)
	v_fma_f64 v[55:56], v[83:84], v[55:56], v[71:72]
	s_waitcnt vmcnt(13)
	v_fma_f64 v[55:56], v[81:82], v[57:58], v[55:56]
	s_waitcnt vmcnt(12) lgkmcnt(0)
	v_fma_f64 v[55:56], v[79:80], v[59:60], v[55:56]
	s_waitcnt vmcnt(7)
	v_fma_f64 v[63:64], v[63:64], v[61:62], v[55:56]
	ds_read_b128 v[55:58], v54 offset:384
	ds_read_b128 v[59:62], v54 offset:400
	s_waitcnt vmcnt(6) lgkmcnt(1)
	v_fma_f64 v[54:55], v[87:88], v[55:56], v[63:64]
	s_waitcnt vmcnt(5)
	v_fma_f64 v[54:55], v[85:86], v[57:58], v[54:55]
	s_waitcnt vmcnt(4) lgkmcnt(0)
	v_fma_f64 v[54:55], v[65:66], v[59:60], v[54:55]
	s_waitcnt vmcnt(2)
	v_fma_f64 v[54:55], v[67:68], v[61:62], v[54:55]
	s_waitcnt vmcnt(0)
	v_add_f64 v[54:55], v[69:70], -v[54:55]
	buffer_store_dword v55, off, s[0:3], 0 offset:76
	buffer_store_dword v54, off, s[0:3], 0 offset:72
	s_and_saveexec_b64 s[4:5], vcc
	s_cbranch_execz .LBB89_147
; %bb.146:
	buffer_load_dword v54, off, s[0:3], 0 offset:64
	buffer_load_dword v55, off, s[0:3], 0 offset:68
	v_mov_b32_e32 v56, 0
	buffer_store_dword v56, off, s[0:3], 0 offset:64
	buffer_store_dword v56, off, s[0:3], 0 offset:68
	s_waitcnt vmcnt(2)
	ds_write_b64 v53, v[54:55]
.LBB89_147:
	s_or_b64 exec, exec, s[4:5]
	s_waitcnt lgkmcnt(0)
	; wave barrier
	buffer_load_dword v63, off, s[0:3], 0 offset:72
	buffer_load_dword v64, off, s[0:3], 0 offset:76
	buffer_load_dword v65, off, s[0:3], 0 offset:80
	buffer_load_dword v66, off, s[0:3], 0 offset:84
	buffer_load_dword v67, off, s[0:3], 0 offset:88
	buffer_load_dword v68, off, s[0:3], 0 offset:92
	buffer_load_dword v69, off, s[0:3], 0 offset:96
	buffer_load_dword v70, off, s[0:3], 0 offset:100
	buffer_load_dword v71, off, s[0:3], 0 offset:104
	buffer_load_dword v72, off, s[0:3], 0 offset:108
	buffer_load_dword v73, off, s[0:3], 0 offset:112
	buffer_load_dword v74, off, s[0:3], 0 offset:116
	buffer_load_dword v75, off, s[0:3], 0 offset:120
	buffer_load_dword v76, off, s[0:3], 0 offset:124
	buffer_load_dword v78, off, s[0:3], 0 offset:132
	buffer_load_dword v79, off, s[0:3], 0 offset:152
	buffer_load_dword v81, off, s[0:3], 0 offset:144
	buffer_load_dword v83, off, s[0:3], 0 offset:136
	buffer_load_dword v77, off, s[0:3], 0 offset:128
	buffer_load_dword v84, off, s[0:3], 0 offset:140
	buffer_load_dword v82, off, s[0:3], 0 offset:148
	buffer_load_dword v80, off, s[0:3], 0 offset:156
	v_mov_b32_e32 v54, 0
	ds_read2_b64 v[55:58], v54 offset0:35 offset1:36
	ds_read2_b64 v[59:62], v54 offset0:37 offset1:38
	v_cmp_lt_u32_e32 vcc, 7, v0
	s_waitcnt vmcnt(20) lgkmcnt(1)
	v_fma_f64 v[55:56], v[63:64], v[55:56], 0
	s_waitcnt vmcnt(18)
	v_fma_f64 v[55:56], v[65:66], v[57:58], v[55:56]
	buffer_load_dword v64, off, s[0:3], 0 offset:164
	buffer_load_dword v65, off, s[0:3], 0 offset:184
	;; [unrolled: 1-line block ×7, first 2 shown]
	s_waitcnt vmcnt(23) lgkmcnt(0)
	v_fma_f64 v[55:56], v[67:68], v[59:60], v[55:56]
	s_waitcnt vmcnt(21)
	v_fma_f64 v[66:67], v[69:70], v[61:62], v[55:56]
	ds_read2_b64 v[55:58], v54 offset0:39 offset1:40
	ds_read2_b64 v[59:62], v54 offset0:41 offset1:42
	s_waitcnt vmcnt(19) lgkmcnt(1)
	v_fma_f64 v[55:56], v[71:72], v[55:56], v[66:67]
	buffer_load_dword v66, off, s[0:3], 0 offset:188
	buffer_load_dword v68, off, s[0:3], 0 offset:196
	;; [unrolled: 1-line block ×7, first 2 shown]
	s_waitcnt vmcnt(24)
	v_fma_f64 v[55:56], v[73:74], v[57:58], v[55:56]
	s_waitcnt vmcnt(22) lgkmcnt(0)
	v_fma_f64 v[55:56], v[75:76], v[59:60], v[55:56]
	s_waitcnt vmcnt(17)
	v_fma_f64 v[73:74], v[77:78], v[61:62], v[55:56]
	ds_read2_b64 v[55:58], v54 offset0:43 offset1:44
	ds_read2_b64 v[59:62], v54 offset0:45 offset1:46
	s_waitcnt vmcnt(16) lgkmcnt(1)
	v_fma_f64 v[55:56], v[83:84], v[55:56], v[73:74]
	s_waitcnt vmcnt(15)
	v_fma_f64 v[55:56], v[81:82], v[57:58], v[55:56]
	s_waitcnt vmcnt(14) lgkmcnt(0)
	v_fma_f64 v[55:56], v[79:80], v[59:60], v[55:56]
	s_waitcnt vmcnt(9)
	v_fma_f64 v[63:64], v[63:64], v[61:62], v[55:56]
	ds_read2_b64 v[55:58], v54 offset0:47 offset1:48
	ds_read2_b64 v[59:62], v54 offset0:49 offset1:50
	s_waitcnt vmcnt(8) lgkmcnt(1)
	v_fma_f64 v[55:56], v[87:88], v[55:56], v[63:64]
	s_waitcnt vmcnt(7)
	v_fma_f64 v[55:56], v[85:86], v[57:58], v[55:56]
	ds_read_b64 v[57:58], v54 offset:408
	s_waitcnt vmcnt(6) lgkmcnt(1)
	v_fma_f64 v[55:56], v[65:66], v[59:60], v[55:56]
	s_waitcnt vmcnt(3)
	v_fma_f64 v[55:56], v[67:68], v[61:62], v[55:56]
	s_waitcnt vmcnt(2) lgkmcnt(0)
	v_fma_f64 v[55:56], v[69:70], v[57:58], v[55:56]
	s_waitcnt vmcnt(0)
	v_add_f64 v[55:56], v[71:72], -v[55:56]
	buffer_store_dword v56, off, s[0:3], 0 offset:68
	buffer_store_dword v55, off, s[0:3], 0 offset:64
	s_and_saveexec_b64 s[4:5], vcc
	s_cbranch_execz .LBB89_149
; %bb.148:
	buffer_load_dword v55, off, s[0:3], 0 offset:56
	buffer_load_dword v56, off, s[0:3], 0 offset:60
	s_waitcnt vmcnt(0)
	ds_write_b64 v53, v[55:56]
	buffer_store_dword v54, off, s[0:3], 0 offset:56
	buffer_store_dword v54, off, s[0:3], 0 offset:60
.LBB89_149:
	s_or_b64 exec, exec, s[4:5]
	s_waitcnt lgkmcnt(0)
	; wave barrier
	buffer_load_dword v63, off, s[0:3], 0 offset:64
	buffer_load_dword v64, off, s[0:3], 0 offset:68
	;; [unrolled: 1-line block ×22, first 2 shown]
	ds_read_b128 v[55:58], v54 offset:272
	ds_read_b128 v[59:62], v54 offset:288
	v_cmp_lt_u32_e32 vcc, 6, v0
	s_waitcnt vmcnt(20) lgkmcnt(1)
	v_fma_f64 v[55:56], v[63:64], v[55:56], 0
	s_waitcnt vmcnt(18)
	v_fma_f64 v[55:56], v[65:66], v[57:58], v[55:56]
	buffer_load_dword v64, off, s[0:3], 0 offset:156
	buffer_load_dword v65, off, s[0:3], 0 offset:176
	;; [unrolled: 1-line block ×7, first 2 shown]
	s_waitcnt vmcnt(23) lgkmcnt(0)
	v_fma_f64 v[55:56], v[67:68], v[59:60], v[55:56]
	s_waitcnt vmcnt(21)
	v_fma_f64 v[66:67], v[69:70], v[61:62], v[55:56]
	ds_read_b128 v[55:58], v54 offset:304
	ds_read_b128 v[59:62], v54 offset:320
	s_waitcnt vmcnt(19) lgkmcnt(1)
	v_fma_f64 v[55:56], v[71:72], v[55:56], v[66:67]
	buffer_load_dword v66, off, s[0:3], 0 offset:180
	buffer_load_dword v68, off, s[0:3], 0 offset:188
	;; [unrolled: 1-line block ×7, first 2 shown]
	s_waitcnt vmcnt(24)
	v_fma_f64 v[55:56], v[73:74], v[57:58], v[55:56]
	s_waitcnt vmcnt(22) lgkmcnt(0)
	v_fma_f64 v[55:56], v[75:76], v[59:60], v[55:56]
	s_waitcnt vmcnt(17)
	v_fma_f64 v[73:74], v[77:78], v[61:62], v[55:56]
	ds_read_b128 v[55:58], v54 offset:336
	buffer_load_dword v75, off, s[0:3], 0 offset:56
	buffer_load_dword v76, off, s[0:3], 0 offset:60
	ds_read_b128 v[59:62], v54 offset:352
	s_waitcnt vmcnt(18) lgkmcnt(1)
	v_fma_f64 v[55:56], v[83:84], v[55:56], v[73:74]
	s_waitcnt vmcnt(17)
	v_fma_f64 v[55:56], v[81:82], v[57:58], v[55:56]
	s_waitcnt vmcnt(16) lgkmcnt(0)
	v_fma_f64 v[55:56], v[79:80], v[59:60], v[55:56]
	s_waitcnt vmcnt(11)
	v_fma_f64 v[63:64], v[63:64], v[61:62], v[55:56]
	ds_read_b128 v[55:58], v54 offset:368
	ds_read_b128 v[59:62], v54 offset:384
	s_waitcnt vmcnt(10) lgkmcnt(1)
	v_fma_f64 v[55:56], v[87:88], v[55:56], v[63:64]
	s_waitcnt vmcnt(9)
	v_fma_f64 v[55:56], v[85:86], v[57:58], v[55:56]
	s_waitcnt vmcnt(8) lgkmcnt(0)
	v_fma_f64 v[55:56], v[65:66], v[59:60], v[55:56]
	s_waitcnt vmcnt(4)
	v_fma_f64 v[58:59], v[67:68], v[61:62], v[55:56]
	ds_read_b128 v[54:57], v54 offset:400
	s_waitcnt vmcnt(3) lgkmcnt(0)
	v_fma_f64 v[54:55], v[71:72], v[54:55], v[58:59]
	s_waitcnt vmcnt(2)
	v_fma_f64 v[54:55], v[69:70], v[56:57], v[54:55]
	s_waitcnt vmcnt(0)
	v_add_f64 v[54:55], v[75:76], -v[54:55]
	buffer_store_dword v55, off, s[0:3], 0 offset:60
	buffer_store_dword v54, off, s[0:3], 0 offset:56
	s_and_saveexec_b64 s[4:5], vcc
	s_cbranch_execz .LBB89_151
; %bb.150:
	buffer_load_dword v54, off, s[0:3], 0 offset:48
	buffer_load_dword v55, off, s[0:3], 0 offset:52
	v_mov_b32_e32 v56, 0
	buffer_store_dword v56, off, s[0:3], 0 offset:48
	buffer_store_dword v56, off, s[0:3], 0 offset:52
	s_waitcnt vmcnt(2)
	ds_write_b64 v53, v[54:55]
.LBB89_151:
	s_or_b64 exec, exec, s[4:5]
	s_waitcnt lgkmcnt(0)
	; wave barrier
	buffer_load_dword v63, off, s[0:3], 0 offset:56
	buffer_load_dword v64, off, s[0:3], 0 offset:60
	;; [unrolled: 1-line block ×22, first 2 shown]
	v_mov_b32_e32 v54, 0
	ds_read2_b64 v[55:58], v54 offset0:33 offset1:34
	ds_read2_b64 v[59:62], v54 offset0:35 offset1:36
	v_cmp_lt_u32_e32 vcc, 5, v0
	s_waitcnt vmcnt(20) lgkmcnt(1)
	v_fma_f64 v[55:56], v[63:64], v[55:56], 0
	s_waitcnt vmcnt(18)
	v_fma_f64 v[55:56], v[65:66], v[57:58], v[55:56]
	buffer_load_dword v64, off, s[0:3], 0 offset:148
	buffer_load_dword v65, off, s[0:3], 0 offset:168
	;; [unrolled: 1-line block ×7, first 2 shown]
	s_waitcnt vmcnt(23) lgkmcnt(0)
	v_fma_f64 v[55:56], v[67:68], v[59:60], v[55:56]
	s_waitcnt vmcnt(21)
	v_fma_f64 v[66:67], v[69:70], v[61:62], v[55:56]
	ds_read2_b64 v[55:58], v54 offset0:37 offset1:38
	ds_read2_b64 v[59:62], v54 offset0:39 offset1:40
	s_waitcnt vmcnt(19) lgkmcnt(1)
	v_fma_f64 v[55:56], v[71:72], v[55:56], v[66:67]
	buffer_load_dword v66, off, s[0:3], 0 offset:172
	s_waitcnt vmcnt(18)
	v_fma_f64 v[55:56], v[73:74], v[57:58], v[55:56]
	buffer_load_dword v68, off, s[0:3], 0 offset:180
	buffer_load_dword v69, off, s[0:3], 0 offset:200
	;; [unrolled: 1-line block ×8, first 2 shown]
	s_waitcnt vmcnt(24) lgkmcnt(0)
	v_fma_f64 v[55:56], v[75:76], v[59:60], v[55:56]
	s_waitcnt vmcnt(19)
	v_fma_f64 v[75:76], v[77:78], v[61:62], v[55:56]
	ds_read2_b64 v[55:58], v54 offset0:41 offset1:42
	ds_read2_b64 v[59:62], v54 offset0:43 offset1:44
	s_waitcnt vmcnt(18) lgkmcnt(1)
	v_fma_f64 v[55:56], v[83:84], v[55:56], v[75:76]
	buffer_load_dword v75, off, s[0:3], 0 offset:48
	buffer_load_dword v76, off, s[0:3], 0 offset:52
	s_waitcnt vmcnt(19)
	v_fma_f64 v[55:56], v[81:82], v[57:58], v[55:56]
	s_waitcnt vmcnt(18) lgkmcnt(0)
	v_fma_f64 v[55:56], v[79:80], v[59:60], v[55:56]
	s_waitcnt vmcnt(13)
	v_fma_f64 v[63:64], v[63:64], v[61:62], v[55:56]
	ds_read2_b64 v[55:58], v54 offset0:45 offset1:46
	ds_read2_b64 v[59:62], v54 offset0:47 offset1:48
	s_waitcnt vmcnt(12) lgkmcnt(1)
	v_fma_f64 v[55:56], v[87:88], v[55:56], v[63:64]
	s_waitcnt vmcnt(11)
	v_fma_f64 v[55:56], v[85:86], v[57:58], v[55:56]
	s_waitcnt vmcnt(10) lgkmcnt(0)
	v_fma_f64 v[55:56], v[65:66], v[59:60], v[55:56]
	s_waitcnt vmcnt(5)
	v_fma_f64 v[59:60], v[67:68], v[61:62], v[55:56]
	ds_read2_b64 v[55:58], v54 offset0:49 offset1:50
	ds_read_b64 v[61:62], v54 offset:408
	s_waitcnt vmcnt(4) lgkmcnt(1)
	v_fma_f64 v[55:56], v[73:74], v[55:56], v[59:60]
	s_waitcnt vmcnt(3)
	v_fma_f64 v[55:56], v[71:72], v[57:58], v[55:56]
	s_waitcnt vmcnt(2) lgkmcnt(0)
	v_fma_f64 v[55:56], v[69:70], v[61:62], v[55:56]
	s_waitcnt vmcnt(0)
	v_add_f64 v[55:56], v[75:76], -v[55:56]
	buffer_store_dword v56, off, s[0:3], 0 offset:52
	buffer_store_dword v55, off, s[0:3], 0 offset:48
	s_and_saveexec_b64 s[4:5], vcc
	s_cbranch_execz .LBB89_153
; %bb.152:
	buffer_load_dword v55, off, s[0:3], 0 offset:40
	buffer_load_dword v56, off, s[0:3], 0 offset:44
	s_waitcnt vmcnt(0)
	ds_write_b64 v53, v[55:56]
	buffer_store_dword v54, off, s[0:3], 0 offset:40
	buffer_store_dword v54, off, s[0:3], 0 offset:44
.LBB89_153:
	s_or_b64 exec, exec, s[4:5]
	s_waitcnt lgkmcnt(0)
	; wave barrier
	buffer_load_dword v63, off, s[0:3], 0 offset:48
	buffer_load_dword v64, off, s[0:3], 0 offset:52
	;; [unrolled: 1-line block ×22, first 2 shown]
	ds_read_b128 v[55:58], v54 offset:256
	ds_read_b128 v[59:62], v54 offset:272
	v_cmp_lt_u32_e32 vcc, 4, v0
	s_waitcnt vmcnt(20) lgkmcnt(1)
	v_fma_f64 v[55:56], v[63:64], v[55:56], 0
	s_waitcnt vmcnt(18)
	v_fma_f64 v[55:56], v[65:66], v[57:58], v[55:56]
	buffer_load_dword v64, off, s[0:3], 0 offset:140
	buffer_load_dword v65, off, s[0:3], 0 offset:160
	buffer_load_dword v85, off, s[0:3], 0 offset:152
	buffer_load_dword v87, off, s[0:3], 0 offset:144
	buffer_load_dword v63, off, s[0:3], 0 offset:136
	buffer_load_dword v88, off, s[0:3], 0 offset:148
	buffer_load_dword v86, off, s[0:3], 0 offset:156
	s_waitcnt vmcnt(23) lgkmcnt(0)
	v_fma_f64 v[55:56], v[67:68], v[59:60], v[55:56]
	s_waitcnt vmcnt(21)
	v_fma_f64 v[66:67], v[69:70], v[61:62], v[55:56]
	ds_read_b128 v[55:58], v54 offset:288
	ds_read_b128 v[59:62], v54 offset:304
	s_waitcnt vmcnt(19) lgkmcnt(1)
	v_fma_f64 v[55:56], v[71:72], v[55:56], v[66:67]
	buffer_load_dword v66, off, s[0:3], 0 offset:164
	s_waitcnt vmcnt(18)
	v_fma_f64 v[55:56], v[73:74], v[57:58], v[55:56]
	buffer_load_dword v68, off, s[0:3], 0 offset:172
	buffer_load_dword v69, off, s[0:3], 0 offset:192
	;; [unrolled: 1-line block ×8, first 2 shown]
	s_waitcnt vmcnt(24) lgkmcnt(0)
	v_fma_f64 v[55:56], v[75:76], v[59:60], v[55:56]
	s_waitcnt vmcnt(19)
	v_fma_f64 v[75:76], v[77:78], v[61:62], v[55:56]
	ds_read_b128 v[55:58], v54 offset:320
	ds_read_b128 v[59:62], v54 offset:336
	s_waitcnt vmcnt(18) lgkmcnt(1)
	v_fma_f64 v[55:56], v[83:84], v[55:56], v[75:76]
	buffer_load_dword v76, off, s[0:3], 0 offset:204
	buffer_load_dword v75, off, s[0:3], 0 offset:200
	;; [unrolled: 1-line block ×4, first 2 shown]
	s_waitcnt vmcnt(21)
	v_fma_f64 v[55:56], v[81:82], v[57:58], v[55:56]
	s_waitcnt vmcnt(20) lgkmcnt(0)
	v_fma_f64 v[55:56], v[79:80], v[59:60], v[55:56]
	s_waitcnt vmcnt(15)
	v_fma_f64 v[63:64], v[63:64], v[61:62], v[55:56]
	ds_read_b128 v[55:58], v54 offset:352
	ds_read_b128 v[59:62], v54 offset:368
	s_waitcnt vmcnt(14) lgkmcnt(1)
	v_fma_f64 v[55:56], v[87:88], v[55:56], v[63:64]
	s_waitcnt vmcnt(13)
	v_fma_f64 v[55:56], v[85:86], v[57:58], v[55:56]
	s_waitcnt vmcnt(12) lgkmcnt(0)
	v_fma_f64 v[55:56], v[65:66], v[59:60], v[55:56]
	s_waitcnt vmcnt(7)
	v_fma_f64 v[63:64], v[67:68], v[61:62], v[55:56]
	ds_read_b128 v[55:58], v54 offset:384
	ds_read_b128 v[59:62], v54 offset:400
	s_waitcnt vmcnt(6) lgkmcnt(1)
	v_fma_f64 v[54:55], v[73:74], v[55:56], v[63:64]
	s_waitcnt vmcnt(5)
	v_fma_f64 v[54:55], v[71:72], v[57:58], v[54:55]
	s_waitcnt vmcnt(4) lgkmcnt(0)
	v_fma_f64 v[54:55], v[69:70], v[59:60], v[54:55]
	s_waitcnt vmcnt(2)
	v_fma_f64 v[54:55], v[75:76], v[61:62], v[54:55]
	s_waitcnt vmcnt(0)
	v_add_f64 v[54:55], v[77:78], -v[54:55]
	buffer_store_dword v55, off, s[0:3], 0 offset:44
	buffer_store_dword v54, off, s[0:3], 0 offset:40
	s_and_saveexec_b64 s[4:5], vcc
	s_cbranch_execz .LBB89_155
; %bb.154:
	buffer_load_dword v54, off, s[0:3], 0 offset:32
	buffer_load_dword v55, off, s[0:3], 0 offset:36
	v_mov_b32_e32 v56, 0
	buffer_store_dword v56, off, s[0:3], 0 offset:32
	buffer_store_dword v56, off, s[0:3], 0 offset:36
	s_waitcnt vmcnt(2)
	ds_write_b64 v53, v[54:55]
.LBB89_155:
	s_or_b64 exec, exec, s[4:5]
	s_waitcnt lgkmcnt(0)
	; wave barrier
	buffer_load_dword v63, off, s[0:3], 0 offset:40
	buffer_load_dword v64, off, s[0:3], 0 offset:44
	buffer_load_dword v65, off, s[0:3], 0 offset:48
	buffer_load_dword v66, off, s[0:3], 0 offset:52
	buffer_load_dword v67, off, s[0:3], 0 offset:56
	buffer_load_dword v68, off, s[0:3], 0 offset:60
	buffer_load_dword v69, off, s[0:3], 0 offset:64
	buffer_load_dword v70, off, s[0:3], 0 offset:68
	buffer_load_dword v71, off, s[0:3], 0 offset:72
	buffer_load_dword v72, off, s[0:3], 0 offset:76
	buffer_load_dword v73, off, s[0:3], 0 offset:80
	buffer_load_dword v74, off, s[0:3], 0 offset:84
	buffer_load_dword v75, off, s[0:3], 0 offset:88
	buffer_load_dword v76, off, s[0:3], 0 offset:92
	buffer_load_dword v78, off, s[0:3], 0 offset:100
	buffer_load_dword v79, off, s[0:3], 0 offset:120
	buffer_load_dword v81, off, s[0:3], 0 offset:112
	buffer_load_dword v83, off, s[0:3], 0 offset:104
	buffer_load_dword v77, off, s[0:3], 0 offset:96
	buffer_load_dword v84, off, s[0:3], 0 offset:108
	buffer_load_dword v82, off, s[0:3], 0 offset:116
	v_mov_b32_e32 v54, 0
	ds_read2_b64 v[55:58], v54 offset0:31 offset1:32
	ds_read2_b64 v[59:62], v54 offset0:33 offset1:34
	buffer_load_dword v80, off, s[0:3], 0 offset:124
	v_cmp_lt_u32_e32 vcc, 3, v0
	s_waitcnt vmcnt(20) lgkmcnt(1)
	v_fma_f64 v[55:56], v[63:64], v[55:56], 0
	s_waitcnt vmcnt(18)
	v_fma_f64 v[55:56], v[65:66], v[57:58], v[55:56]
	buffer_load_dword v64, off, s[0:3], 0 offset:132
	buffer_load_dword v65, off, s[0:3], 0 offset:152
	;; [unrolled: 1-line block ×7, first 2 shown]
	s_waitcnt vmcnt(23) lgkmcnt(0)
	v_fma_f64 v[55:56], v[67:68], v[59:60], v[55:56]
	s_waitcnt vmcnt(21)
	v_fma_f64 v[66:67], v[69:70], v[61:62], v[55:56]
	ds_read2_b64 v[55:58], v54 offset0:35 offset1:36
	ds_read2_b64 v[59:62], v54 offset0:37 offset1:38
	s_waitcnt vmcnt(19) lgkmcnt(1)
	v_fma_f64 v[55:56], v[71:72], v[55:56], v[66:67]
	buffer_load_dword v66, off, s[0:3], 0 offset:156
	s_waitcnt vmcnt(18)
	v_fma_f64 v[55:56], v[73:74], v[57:58], v[55:56]
	buffer_load_dword v68, off, s[0:3], 0 offset:164
	buffer_load_dword v69, off, s[0:3], 0 offset:184
	;; [unrolled: 1-line block ×7, first 2 shown]
	s_waitcnt vmcnt(23) lgkmcnt(0)
	v_fma_f64 v[55:56], v[75:76], v[59:60], v[55:56]
	s_waitcnt vmcnt(18)
	v_fma_f64 v[75:76], v[77:78], v[61:62], v[55:56]
	ds_read2_b64 v[55:58], v54 offset0:39 offset1:40
	ds_read2_b64 v[59:62], v54 offset0:41 offset1:42
	buffer_load_dword v70, off, s[0:3], 0 offset:188
	s_waitcnt vmcnt(18) lgkmcnt(1)
	v_fma_f64 v[55:56], v[83:84], v[55:56], v[75:76]
	buffer_load_dword v76, off, s[0:3], 0 offset:196
	buffer_load_dword v77, off, s[0:3], 0 offset:200
	;; [unrolled: 1-line block ×4, first 2 shown]
	s_waitcnt vmcnt(21)
	v_fma_f64 v[55:56], v[81:82], v[57:58], v[55:56]
	s_waitcnt vmcnt(20) lgkmcnt(0)
	v_fma_f64 v[55:56], v[79:80], v[59:60], v[55:56]
	buffer_load_dword v79, off, s[0:3], 0 offset:32
	buffer_load_dword v80, off, s[0:3], 0 offset:36
	s_waitcnt vmcnt(17)
	v_fma_f64 v[63:64], v[63:64], v[61:62], v[55:56]
	ds_read2_b64 v[55:58], v54 offset0:43 offset1:44
	ds_read2_b64 v[59:62], v54 offset0:45 offset1:46
	s_waitcnt vmcnt(16) lgkmcnt(1)
	v_fma_f64 v[55:56], v[87:88], v[55:56], v[63:64]
	s_waitcnt vmcnt(15)
	v_fma_f64 v[55:56], v[85:86], v[57:58], v[55:56]
	s_waitcnt vmcnt(14) lgkmcnt(0)
	v_fma_f64 v[55:56], v[65:66], v[59:60], v[55:56]
	s_waitcnt vmcnt(9)
	v_fma_f64 v[63:64], v[67:68], v[61:62], v[55:56]
	ds_read2_b64 v[55:58], v54 offset0:47 offset1:48
	ds_read2_b64 v[59:62], v54 offset0:49 offset1:50
	s_waitcnt vmcnt(8) lgkmcnt(1)
	v_fma_f64 v[55:56], v[73:74], v[55:56], v[63:64]
	s_waitcnt vmcnt(7)
	v_fma_f64 v[55:56], v[71:72], v[57:58], v[55:56]
	ds_read_b64 v[57:58], v54 offset:408
	s_waitcnt vmcnt(6) lgkmcnt(1)
	v_fma_f64 v[55:56], v[69:70], v[59:60], v[55:56]
	s_waitcnt vmcnt(3)
	v_fma_f64 v[55:56], v[75:76], v[61:62], v[55:56]
	s_waitcnt vmcnt(2) lgkmcnt(0)
	v_fma_f64 v[55:56], v[77:78], v[57:58], v[55:56]
	s_waitcnt vmcnt(0)
	v_add_f64 v[55:56], v[79:80], -v[55:56]
	buffer_store_dword v56, off, s[0:3], 0 offset:36
	buffer_store_dword v55, off, s[0:3], 0 offset:32
	s_and_saveexec_b64 s[4:5], vcc
	s_cbranch_execz .LBB89_157
; %bb.156:
	buffer_load_dword v55, off, s[0:3], 0 offset:24
	buffer_load_dword v56, off, s[0:3], 0 offset:28
	s_waitcnt vmcnt(0)
	ds_write_b64 v53, v[55:56]
	buffer_store_dword v54, off, s[0:3], 0 offset:24
	buffer_store_dword v54, off, s[0:3], 0 offset:28
.LBB89_157:
	s_or_b64 exec, exec, s[4:5]
	s_waitcnt lgkmcnt(0)
	; wave barrier
	buffer_load_dword v63, off, s[0:3], 0 offset:32
	buffer_load_dword v64, off, s[0:3], 0 offset:36
	buffer_load_dword v65, off, s[0:3], 0 offset:40
	buffer_load_dword v66, off, s[0:3], 0 offset:44
	buffer_load_dword v67, off, s[0:3], 0 offset:48
	buffer_load_dword v68, off, s[0:3], 0 offset:52
	buffer_load_dword v69, off, s[0:3], 0 offset:56
	buffer_load_dword v70, off, s[0:3], 0 offset:60
	buffer_load_dword v71, off, s[0:3], 0 offset:64
	buffer_load_dword v72, off, s[0:3], 0 offset:68
	buffer_load_dword v73, off, s[0:3], 0 offset:72
	buffer_load_dword v74, off, s[0:3], 0 offset:76
	buffer_load_dword v75, off, s[0:3], 0 offset:80
	buffer_load_dword v76, off, s[0:3], 0 offset:84
	buffer_load_dword v78, off, s[0:3], 0 offset:92
	buffer_load_dword v79, off, s[0:3], 0 offset:112
	buffer_load_dword v81, off, s[0:3], 0 offset:104
	buffer_load_dword v83, off, s[0:3], 0 offset:96
	buffer_load_dword v77, off, s[0:3], 0 offset:88
	buffer_load_dword v84, off, s[0:3], 0 offset:100
	buffer_load_dword v82, off, s[0:3], 0 offset:108
	ds_read_b128 v[55:58], v54 offset:240
	ds_read_b128 v[59:62], v54 offset:256
	buffer_load_dword v80, off, s[0:3], 0 offset:116
	v_cmp_lt_u32_e32 vcc, 2, v0
	s_waitcnt vmcnt(20) lgkmcnt(1)
	v_fma_f64 v[55:56], v[63:64], v[55:56], 0
	s_waitcnt vmcnt(18)
	v_fma_f64 v[55:56], v[65:66], v[57:58], v[55:56]
	buffer_load_dword v64, off, s[0:3], 0 offset:124
	buffer_load_dword v65, off, s[0:3], 0 offset:144
	;; [unrolled: 1-line block ×7, first 2 shown]
	s_waitcnt vmcnt(23) lgkmcnt(0)
	v_fma_f64 v[55:56], v[67:68], v[59:60], v[55:56]
	s_waitcnt vmcnt(21)
	v_fma_f64 v[66:67], v[69:70], v[61:62], v[55:56]
	ds_read_b128 v[55:58], v54 offset:272
	ds_read_b128 v[59:62], v54 offset:288
	s_waitcnt vmcnt(19) lgkmcnt(1)
	v_fma_f64 v[55:56], v[71:72], v[55:56], v[66:67]
	buffer_load_dword v66, off, s[0:3], 0 offset:148
	s_waitcnt vmcnt(18)
	v_fma_f64 v[55:56], v[73:74], v[57:58], v[55:56]
	buffer_load_dword v68, off, s[0:3], 0 offset:156
	buffer_load_dword v69, off, s[0:3], 0 offset:176
	;; [unrolled: 1-line block ×8, first 2 shown]
	s_waitcnt vmcnt(24) lgkmcnt(0)
	v_fma_f64 v[55:56], v[75:76], v[59:60], v[55:56]
	s_waitcnt vmcnt(19)
	v_fma_f64 v[75:76], v[77:78], v[61:62], v[55:56]
	ds_read_b128 v[55:58], v54 offset:304
	ds_read_b128 v[59:62], v54 offset:320
	s_waitcnt vmcnt(18) lgkmcnt(1)
	v_fma_f64 v[55:56], v[83:84], v[55:56], v[75:76]
	s_waitcnt vmcnt(17)
	v_fma_f64 v[55:56], v[81:82], v[57:58], v[55:56]
	buffer_load_dword v76, off, s[0:3], 0 offset:188
	buffer_load_dword v77, off, s[0:3], 0 offset:200
	;; [unrolled: 1-line block ×6, first 2 shown]
	s_waitcnt vmcnt(22) lgkmcnt(0)
	v_fma_f64 v[55:56], v[79:80], v[59:60], v[55:56]
	s_waitcnt vmcnt(17)
	v_fma_f64 v[63:64], v[63:64], v[61:62], v[55:56]
	ds_read_b128 v[55:58], v54 offset:336
	buffer_load_dword v79, off, s[0:3], 0 offset:24
	buffer_load_dword v80, off, s[0:3], 0 offset:28
	ds_read_b128 v[59:62], v54 offset:352
	s_waitcnt vmcnt(18) lgkmcnt(1)
	v_fma_f64 v[55:56], v[87:88], v[55:56], v[63:64]
	s_waitcnt vmcnt(17)
	v_fma_f64 v[55:56], v[85:86], v[57:58], v[55:56]
	s_waitcnt vmcnt(16) lgkmcnt(0)
	v_fma_f64 v[55:56], v[65:66], v[59:60], v[55:56]
	s_waitcnt vmcnt(11)
	v_fma_f64 v[63:64], v[67:68], v[61:62], v[55:56]
	ds_read_b128 v[55:58], v54 offset:368
	ds_read_b128 v[59:62], v54 offset:384
	s_waitcnt vmcnt(10) lgkmcnt(1)
	v_fma_f64 v[55:56], v[73:74], v[55:56], v[63:64]
	s_waitcnt vmcnt(9)
	v_fma_f64 v[55:56], v[71:72], v[57:58], v[55:56]
	s_waitcnt vmcnt(8) lgkmcnt(0)
	v_fma_f64 v[55:56], v[69:70], v[59:60], v[55:56]
	s_waitcnt vmcnt(4)
	v_fma_f64 v[58:59], v[75:76], v[61:62], v[55:56]
	ds_read_b128 v[54:57], v54 offset:400
	s_waitcnt vmcnt(3) lgkmcnt(0)
	v_fma_f64 v[54:55], v[81:82], v[54:55], v[58:59]
	s_waitcnt vmcnt(2)
	v_fma_f64 v[54:55], v[77:78], v[56:57], v[54:55]
	s_waitcnt vmcnt(0)
	v_add_f64 v[54:55], v[79:80], -v[54:55]
	buffer_store_dword v55, off, s[0:3], 0 offset:28
	buffer_store_dword v54, off, s[0:3], 0 offset:24
	s_and_saveexec_b64 s[4:5], vcc
	s_cbranch_execz .LBB89_159
; %bb.158:
	buffer_load_dword v54, off, s[0:3], 0 offset:16
	buffer_load_dword v55, off, s[0:3], 0 offset:20
	v_mov_b32_e32 v56, 0
	buffer_store_dword v56, off, s[0:3], 0 offset:16
	buffer_store_dword v56, off, s[0:3], 0 offset:20
	s_waitcnt vmcnt(2)
	ds_write_b64 v53, v[54:55]
.LBB89_159:
	s_or_b64 exec, exec, s[4:5]
	s_waitcnt lgkmcnt(0)
	; wave barrier
	buffer_load_dword v63, off, s[0:3], 0 offset:24
	buffer_load_dword v64, off, s[0:3], 0 offset:28
	;; [unrolled: 1-line block ×21, first 2 shown]
	v_mov_b32_e32 v54, 0
	ds_read2_b64 v[55:58], v54 offset0:29 offset1:30
	ds_read2_b64 v[59:62], v54 offset0:31 offset1:32
	buffer_load_dword v80, off, s[0:3], 0 offset:108
	v_cmp_lt_u32_e32 vcc, 1, v0
	s_waitcnt vmcnt(20) lgkmcnt(1)
	v_fma_f64 v[55:56], v[63:64], v[55:56], 0
	s_waitcnt vmcnt(18)
	v_fma_f64 v[55:56], v[65:66], v[57:58], v[55:56]
	buffer_load_dword v64, off, s[0:3], 0 offset:116
	buffer_load_dword v65, off, s[0:3], 0 offset:136
	;; [unrolled: 1-line block ×7, first 2 shown]
	s_waitcnt vmcnt(23) lgkmcnt(0)
	v_fma_f64 v[55:56], v[67:68], v[59:60], v[55:56]
	s_waitcnt vmcnt(21)
	v_fma_f64 v[66:67], v[69:70], v[61:62], v[55:56]
	ds_read2_b64 v[55:58], v54 offset0:33 offset1:34
	ds_read2_b64 v[59:62], v54 offset0:35 offset1:36
	s_waitcnt vmcnt(19) lgkmcnt(1)
	v_fma_f64 v[55:56], v[71:72], v[55:56], v[66:67]
	buffer_load_dword v66, off, s[0:3], 0 offset:140
	s_waitcnt vmcnt(18)
	v_fma_f64 v[55:56], v[73:74], v[57:58], v[55:56]
	buffer_load_dword v68, off, s[0:3], 0 offset:148
	buffer_load_dword v69, off, s[0:3], 0 offset:168
	;; [unrolled: 1-line block ×8, first 2 shown]
	s_waitcnt vmcnt(24) lgkmcnt(0)
	v_fma_f64 v[55:56], v[75:76], v[59:60], v[55:56]
	s_waitcnt vmcnt(19)
	v_fma_f64 v[75:76], v[77:78], v[61:62], v[55:56]
	ds_read2_b64 v[55:58], v54 offset0:37 offset1:38
	ds_read2_b64 v[59:62], v54 offset0:39 offset1:40
	s_waitcnt vmcnt(18) lgkmcnt(1)
	v_fma_f64 v[55:56], v[83:84], v[55:56], v[75:76]
	s_waitcnt vmcnt(17)
	v_fma_f64 v[55:56], v[81:82], v[57:58], v[55:56]
	buffer_load_dword v76, off, s[0:3], 0 offset:180
	buffer_load_dword v77, off, s[0:3], 0 offset:200
	;; [unrolled: 1-line block ×8, first 2 shown]
	s_waitcnt vmcnt(24) lgkmcnt(0)
	v_fma_f64 v[55:56], v[79:80], v[59:60], v[55:56]
	s_waitcnt vmcnt(19)
	v_fma_f64 v[63:64], v[63:64], v[61:62], v[55:56]
	ds_read2_b64 v[55:58], v54 offset0:41 offset1:42
	ds_read2_b64 v[59:62], v54 offset0:43 offset1:44
	s_waitcnt vmcnt(18) lgkmcnt(1)
	v_fma_f64 v[55:56], v[87:88], v[55:56], v[63:64]
	buffer_load_dword v63, off, s[0:3], 0 offset:16
	buffer_load_dword v64, off, s[0:3], 0 offset:20
	s_waitcnt vmcnt(19)
	v_fma_f64 v[55:56], v[85:86], v[57:58], v[55:56]
	s_waitcnt vmcnt(18) lgkmcnt(0)
	v_fma_f64 v[55:56], v[65:66], v[59:60], v[55:56]
	s_waitcnt vmcnt(13)
	v_fma_f64 v[65:66], v[67:68], v[61:62], v[55:56]
	ds_read2_b64 v[55:58], v54 offset0:45 offset1:46
	ds_read2_b64 v[59:62], v54 offset0:47 offset1:48
	s_waitcnt vmcnt(12) lgkmcnt(1)
	v_fma_f64 v[55:56], v[73:74], v[55:56], v[65:66]
	s_waitcnt vmcnt(11)
	v_fma_f64 v[55:56], v[71:72], v[57:58], v[55:56]
	s_waitcnt vmcnt(10) lgkmcnt(0)
	v_fma_f64 v[55:56], v[69:70], v[59:60], v[55:56]
	s_waitcnt vmcnt(5)
	v_fma_f64 v[59:60], v[75:76], v[61:62], v[55:56]
	ds_read2_b64 v[55:58], v54 offset0:49 offset1:50
	ds_read_b64 v[61:62], v54 offset:408
	s_waitcnt vmcnt(4) lgkmcnt(1)
	v_fma_f64 v[55:56], v[83:84], v[55:56], v[59:60]
	s_waitcnt vmcnt(3)
	v_fma_f64 v[55:56], v[81:82], v[57:58], v[55:56]
	s_waitcnt vmcnt(2) lgkmcnt(0)
	v_fma_f64 v[55:56], v[77:78], v[61:62], v[55:56]
	s_waitcnt vmcnt(0)
	v_add_f64 v[55:56], v[63:64], -v[55:56]
	buffer_store_dword v56, off, s[0:3], 0 offset:20
	buffer_store_dword v55, off, s[0:3], 0 offset:16
	s_and_saveexec_b64 s[4:5], vcc
	s_cbranch_execz .LBB89_161
; %bb.160:
	buffer_load_dword v55, off, s[0:3], 0 offset:8
	buffer_load_dword v56, off, s[0:3], 0 offset:12
	s_waitcnt vmcnt(0)
	ds_write_b64 v53, v[55:56]
	buffer_store_dword v54, off, s[0:3], 0 offset:8
	buffer_store_dword v54, off, s[0:3], 0 offset:12
.LBB89_161:
	s_or_b64 exec, exec, s[4:5]
	s_waitcnt lgkmcnt(0)
	; wave barrier
	buffer_load_dword v63, off, s[0:3], 0 offset:16
	buffer_load_dword v64, off, s[0:3], 0 offset:20
	;; [unrolled: 1-line block ×21, first 2 shown]
	ds_read_b128 v[55:58], v54 offset:224
	ds_read_b128 v[59:62], v54 offset:240
	buffer_load_dword v80, off, s[0:3], 0 offset:100
	v_cmp_ne_u32_e32 vcc, 0, v0
	s_waitcnt vmcnt(20) lgkmcnt(1)
	v_fma_f64 v[55:56], v[63:64], v[55:56], 0
	s_waitcnt vmcnt(18)
	v_fma_f64 v[55:56], v[65:66], v[57:58], v[55:56]
	buffer_load_dword v64, off, s[0:3], 0 offset:108
	buffer_load_dword v65, off, s[0:3], 0 offset:128
	buffer_load_dword v85, off, s[0:3], 0 offset:120
	buffer_load_dword v87, off, s[0:3], 0 offset:112
	buffer_load_dword v63, off, s[0:3], 0 offset:104
	buffer_load_dword v88, off, s[0:3], 0 offset:116
	buffer_load_dword v86, off, s[0:3], 0 offset:124
	s_waitcnt vmcnt(23) lgkmcnt(0)
	v_fma_f64 v[55:56], v[67:68], v[59:60], v[55:56]
	s_waitcnt vmcnt(21)
	v_fma_f64 v[66:67], v[69:70], v[61:62], v[55:56]
	ds_read_b128 v[55:58], v54 offset:256
	ds_read_b128 v[59:62], v54 offset:272
	s_waitcnt vmcnt(19) lgkmcnt(1)
	v_fma_f64 v[55:56], v[71:72], v[55:56], v[66:67]
	buffer_load_dword v66, off, s[0:3], 0 offset:132
	s_waitcnt vmcnt(18)
	v_fma_f64 v[55:56], v[73:74], v[57:58], v[55:56]
	buffer_load_dword v68, off, s[0:3], 0 offset:140
	buffer_load_dword v69, off, s[0:3], 0 offset:160
	;; [unrolled: 1-line block ×8, first 2 shown]
	s_waitcnt vmcnt(24) lgkmcnt(0)
	v_fma_f64 v[55:56], v[75:76], v[59:60], v[55:56]
	s_waitcnt vmcnt(19)
	v_fma_f64 v[75:76], v[77:78], v[61:62], v[55:56]
	ds_read_b128 v[55:58], v54 offset:288
	ds_read_b128 v[59:62], v54 offset:304
	s_waitcnt vmcnt(18) lgkmcnt(1)
	v_fma_f64 v[55:56], v[83:84], v[55:56], v[75:76]
	s_waitcnt vmcnt(17)
	v_fma_f64 v[55:56], v[81:82], v[57:58], v[55:56]
	buffer_load_dword v76, off, s[0:3], 0 offset:172
	buffer_load_dword v77, off, s[0:3], 0 offset:192
	;; [unrolled: 1-line block ×8, first 2 shown]
	s_waitcnt vmcnt(24) lgkmcnt(0)
	v_fma_f64 v[55:56], v[79:80], v[59:60], v[55:56]
	s_waitcnt vmcnt(19)
	v_fma_f64 v[63:64], v[63:64], v[61:62], v[55:56]
	ds_read_b128 v[55:58], v54 offset:320
	ds_read_b128 v[59:62], v54 offset:336
	s_waitcnt vmcnt(18) lgkmcnt(1)
	v_fma_f64 v[55:56], v[87:88], v[55:56], v[63:64]
	buffer_load_dword v64, off, s[0:3], 0 offset:204
	buffer_load_dword v63, off, s[0:3], 0 offset:200
	;; [unrolled: 1-line block ×4, first 2 shown]
	s_waitcnt vmcnt(21)
	v_fma_f64 v[55:56], v[85:86], v[57:58], v[55:56]
	s_waitcnt vmcnt(20) lgkmcnt(0)
	v_fma_f64 v[55:56], v[65:66], v[59:60], v[55:56]
	s_waitcnt vmcnt(15)
	v_fma_f64 v[65:66], v[67:68], v[61:62], v[55:56]
	ds_read_b128 v[55:58], v54 offset:352
	ds_read_b128 v[59:62], v54 offset:368
	s_waitcnt vmcnt(14) lgkmcnt(1)
	v_fma_f64 v[55:56], v[73:74], v[55:56], v[65:66]
	s_waitcnt vmcnt(13)
	v_fma_f64 v[55:56], v[71:72], v[57:58], v[55:56]
	s_waitcnt vmcnt(12) lgkmcnt(0)
	v_fma_f64 v[55:56], v[69:70], v[59:60], v[55:56]
	s_waitcnt vmcnt(7)
	v_fma_f64 v[65:66], v[75:76], v[61:62], v[55:56]
	ds_read_b128 v[55:58], v54 offset:384
	ds_read_b128 v[59:62], v54 offset:400
	s_waitcnt vmcnt(6) lgkmcnt(1)
	v_fma_f64 v[54:55], v[83:84], v[55:56], v[65:66]
	s_waitcnt vmcnt(5)
	v_fma_f64 v[54:55], v[81:82], v[57:58], v[54:55]
	s_waitcnt vmcnt(4) lgkmcnt(0)
	v_fma_f64 v[54:55], v[77:78], v[59:60], v[54:55]
	s_waitcnt vmcnt(2)
	v_fma_f64 v[54:55], v[63:64], v[61:62], v[54:55]
	s_waitcnt vmcnt(0)
	v_add_f64 v[54:55], v[79:80], -v[54:55]
	buffer_store_dword v55, off, s[0:3], 0 offset:12
	buffer_store_dword v54, off, s[0:3], 0 offset:8
	s_and_saveexec_b64 s[4:5], vcc
	s_cbranch_execz .LBB89_163
; %bb.162:
	buffer_load_dword v54, off, s[0:3], 0
	buffer_load_dword v55, off, s[0:3], 0 offset:4
	v_mov_b32_e32 v0, 0
	buffer_store_dword v0, off, s[0:3], 0
	buffer_store_dword v0, off, s[0:3], 0 offset:4
	s_waitcnt vmcnt(2)
	ds_write_b64 v53, v[54:55]
.LBB89_163:
	s_or_b64 exec, exec, s[4:5]
	s_waitcnt lgkmcnt(0)
	; wave barrier
	buffer_load_dword v61, off, s[0:3], 0 offset:8
	buffer_load_dword v62, off, s[0:3], 0 offset:12
	;; [unrolled: 1-line block ×21, first 2 shown]
	v_mov_b32_e32 v0, 0
	ds_read2_b64 v[53:56], v0 offset0:27 offset1:28
	ds_read2_b64 v[57:60], v0 offset0:29 offset1:30
	buffer_load_dword v78, off, s[0:3], 0 offset:92
	s_and_b64 vcc, exec, s[14:15]
	s_waitcnt vmcnt(20) lgkmcnt(1)
	v_fma_f64 v[53:54], v[61:62], v[53:54], 0
	s_waitcnt vmcnt(18)
	v_fma_f64 v[53:54], v[63:64], v[55:56], v[53:54]
	buffer_load_dword v62, off, s[0:3], 0 offset:100
	buffer_load_dword v63, off, s[0:3], 0 offset:120
	;; [unrolled: 1-line block ×7, first 2 shown]
	s_waitcnt vmcnt(23) lgkmcnt(0)
	v_fma_f64 v[53:54], v[65:66], v[57:58], v[53:54]
	s_waitcnt vmcnt(21)
	v_fma_f64 v[64:65], v[67:68], v[59:60], v[53:54]
	ds_read2_b64 v[53:56], v0 offset0:31 offset1:32
	ds_read2_b64 v[57:60], v0 offset0:33 offset1:34
	s_waitcnt vmcnt(19) lgkmcnt(1)
	v_fma_f64 v[53:54], v[69:70], v[53:54], v[64:65]
	buffer_load_dword v64, off, s[0:3], 0 offset:124
	s_waitcnt vmcnt(18)
	v_fma_f64 v[53:54], v[71:72], v[55:56], v[53:54]
	buffer_load_dword v66, off, s[0:3], 0 offset:132
	buffer_load_dword v67, off, s[0:3], 0 offset:152
	;; [unrolled: 1-line block ×8, first 2 shown]
	s_waitcnt vmcnt(24) lgkmcnt(0)
	v_fma_f64 v[53:54], v[73:74], v[57:58], v[53:54]
	s_waitcnt vmcnt(19)
	v_fma_f64 v[73:74], v[75:76], v[59:60], v[53:54]
	ds_read2_b64 v[53:56], v0 offset0:35 offset1:36
	ds_read2_b64 v[57:60], v0 offset0:37 offset1:38
	s_waitcnt vmcnt(18) lgkmcnt(1)
	v_fma_f64 v[53:54], v[81:82], v[53:54], v[73:74]
	s_waitcnt vmcnt(17)
	v_fma_f64 v[53:54], v[79:80], v[55:56], v[53:54]
	buffer_load_dword v74, off, s[0:3], 0 offset:164
	buffer_load_dword v75, off, s[0:3], 0 offset:184
	;; [unrolled: 1-line block ×7, first 2 shown]
	s_waitcnt vmcnt(23) lgkmcnt(0)
	v_fma_f64 v[53:54], v[77:78], v[57:58], v[53:54]
	s_waitcnt vmcnt(18)
	v_fma_f64 v[61:62], v[61:62], v[59:60], v[53:54]
	ds_read2_b64 v[53:56], v0 offset0:39 offset1:40
	ds_read2_b64 v[57:60], v0 offset0:41 offset1:42
	buffer_load_dword v76, off, s[0:3], 0 offset:188
	s_waitcnt vmcnt(18) lgkmcnt(1)
	v_fma_f64 v[53:54], v[85:86], v[53:54], v[61:62]
	s_waitcnt vmcnt(17)
	v_fma_f64 v[55:56], v[83:84], v[55:56], v[53:54]
	buffer_load_dword v54, off, s[0:3], 0 offset:196
	buffer_load_dword v77, off, s[0:3], 0 offset:200
	buffer_load_dword v53, off, s[0:3], 0 offset:192
	buffer_load_dword v78, off, s[0:3], 0 offset:204
	s_waitcnt vmcnt(20) lgkmcnt(0)
	v_fma_f64 v[55:56], v[63:64], v[57:58], v[55:56]
	buffer_load_dword v63, off, s[0:3], 0
	buffer_load_dword v64, off, s[0:3], 0 offset:4
	s_waitcnt vmcnt(17)
	v_fma_f64 v[65:66], v[65:66], v[59:60], v[55:56]
	ds_read2_b64 v[55:58], v0 offset0:43 offset1:44
	ds_read2_b64 v[59:62], v0 offset0:45 offset1:46
	s_waitcnt vmcnt(16) lgkmcnt(1)
	v_fma_f64 v[55:56], v[71:72], v[55:56], v[65:66]
	s_waitcnt vmcnt(15)
	v_fma_f64 v[55:56], v[69:70], v[57:58], v[55:56]
	s_waitcnt vmcnt(14) lgkmcnt(0)
	v_fma_f64 v[55:56], v[67:68], v[59:60], v[55:56]
	s_waitcnt vmcnt(9)
	v_fma_f64 v[65:66], v[73:74], v[61:62], v[55:56]
	ds_read2_b64 v[55:58], v0 offset0:47 offset1:48
	ds_read2_b64 v[59:62], v0 offset0:49 offset1:50
	s_waitcnt vmcnt(8) lgkmcnt(1)
	v_fma_f64 v[55:56], v[81:82], v[55:56], v[65:66]
	s_waitcnt vmcnt(7)
	v_fma_f64 v[55:56], v[79:80], v[57:58], v[55:56]
	ds_read_b64 v[57:58], v0 offset:408
	s_waitcnt vmcnt(6) lgkmcnt(1)
	v_fma_f64 v[55:56], v[75:76], v[59:60], v[55:56]
	s_waitcnt vmcnt(3)
	v_fma_f64 v[55:56], v[53:54], v[61:62], v[55:56]
	s_waitcnt vmcnt(2) lgkmcnt(0)
	v_fma_f64 v[55:56], v[77:78], v[57:58], v[55:56]
	s_waitcnt vmcnt(0)
	v_add_f64 v[55:56], v[63:64], -v[55:56]
	buffer_store_dword v56, off, s[0:3], 0 offset:4
	buffer_store_dword v55, off, s[0:3], 0
	s_cbranch_vccz .LBB89_214
; %bb.164:
	global_load_dword v0, v0, s[12:13] offset:96
	s_waitcnt vmcnt(0)
	v_add_u32_e32 v0, -1, v0
	v_cmp_ne_u32_e32 vcc, 24, v0
	s_cbranch_vccz .LBB89_166
; %bb.165:
	v_lshlrev_b32_e32 v0, 3, v0
	buffer_load_dword v55, v0, s[0:3], 0 offen offset:4
	buffer_load_dword v56, v0, s[0:3], 0 offen
	s_waitcnt vmcnt(1)
	buffer_store_dword v55, off, s[0:3], 0 offset:196
	s_waitcnt vmcnt(1)
	buffer_store_dword v56, off, s[0:3], 0 offset:192
	buffer_store_dword v54, v0, s[0:3], 0 offen offset:4
	buffer_store_dword v53, v0, s[0:3], 0 offen
.LBB89_166:
	v_mov_b32_e32 v0, 0
	global_load_dword v53, v0, s[12:13] offset:92
	s_waitcnt vmcnt(0)
	v_add_u32_e32 v53, -1, v53
	v_cmp_eq_u32_e32 vcc, 23, v53
	s_cbranch_vccnz .LBB89_168
; %bb.167:
	v_lshlrev_b32_e32 v53, 3, v53
	buffer_load_dword v54, v53, s[0:3], 0 offen
	buffer_load_dword v55, v53, s[0:3], 0 offen offset:4
	buffer_load_dword v56, off, s[0:3], 0 offset:184
	buffer_load_dword v57, off, s[0:3], 0 offset:188
	s_waitcnt vmcnt(3)
	buffer_store_dword v54, off, s[0:3], 0 offset:184
	s_waitcnt vmcnt(3)
	buffer_store_dword v55, off, s[0:3], 0 offset:188
	s_waitcnt vmcnt(3)
	buffer_store_dword v56, v53, s[0:3], 0 offen
	s_waitcnt vmcnt(3)
	buffer_store_dword v57, v53, s[0:3], 0 offen offset:4
.LBB89_168:
	global_load_dword v0, v0, s[12:13] offset:88
	s_waitcnt vmcnt(0)
	v_add_u32_e32 v0, -1, v0
	v_cmp_eq_u32_e32 vcc, 22, v0
	s_cbranch_vccnz .LBB89_170
; %bb.169:
	v_lshlrev_b32_e32 v0, 3, v0
	buffer_load_dword v53, v0, s[0:3], 0 offen
	buffer_load_dword v54, v0, s[0:3], 0 offen offset:4
	buffer_load_dword v55, off, s[0:3], 0 offset:180
	buffer_load_dword v56, off, s[0:3], 0 offset:176
	s_waitcnt vmcnt(3)
	buffer_store_dword v53, off, s[0:3], 0 offset:176
	s_waitcnt vmcnt(3)
	buffer_store_dword v54, off, s[0:3], 0 offset:180
	s_waitcnt vmcnt(3)
	buffer_store_dword v55, v0, s[0:3], 0 offen offset:4
	s_waitcnt vmcnt(3)
	buffer_store_dword v56, v0, s[0:3], 0 offen
.LBB89_170:
	v_mov_b32_e32 v0, 0
	global_load_dword v53, v0, s[12:13] offset:84
	s_waitcnt vmcnt(0)
	v_add_u32_e32 v53, -1, v53
	v_cmp_eq_u32_e32 vcc, 21, v53
	s_cbranch_vccnz .LBB89_172
; %bb.171:
	v_lshlrev_b32_e32 v53, 3, v53
	buffer_load_dword v54, v53, s[0:3], 0 offen
	buffer_load_dword v55, v53, s[0:3], 0 offen offset:4
	buffer_load_dword v56, off, s[0:3], 0 offset:168
	buffer_load_dword v57, off, s[0:3], 0 offset:172
	s_waitcnt vmcnt(3)
	buffer_store_dword v54, off, s[0:3], 0 offset:168
	s_waitcnt vmcnt(3)
	buffer_store_dword v55, off, s[0:3], 0 offset:172
	s_waitcnt vmcnt(3)
	buffer_store_dword v56, v53, s[0:3], 0 offen
	s_waitcnt vmcnt(3)
	buffer_store_dword v57, v53, s[0:3], 0 offen offset:4
.LBB89_172:
	global_load_dword v0, v0, s[12:13] offset:80
	s_waitcnt vmcnt(0)
	v_add_u32_e32 v0, -1, v0
	v_cmp_eq_u32_e32 vcc, 20, v0
	s_cbranch_vccnz .LBB89_174
; %bb.173:
	v_lshlrev_b32_e32 v0, 3, v0
	buffer_load_dword v53, v0, s[0:3], 0 offen
	buffer_load_dword v54, v0, s[0:3], 0 offen offset:4
	buffer_load_dword v55, off, s[0:3], 0 offset:164
	buffer_load_dword v56, off, s[0:3], 0 offset:160
	s_waitcnt vmcnt(3)
	buffer_store_dword v53, off, s[0:3], 0 offset:160
	s_waitcnt vmcnt(3)
	buffer_store_dword v54, off, s[0:3], 0 offset:164
	s_waitcnt vmcnt(3)
	buffer_store_dword v55, v0, s[0:3], 0 offen offset:4
	s_waitcnt vmcnt(3)
	buffer_store_dword v56, v0, s[0:3], 0 offen
.LBB89_174:
	;; [unrolled: 41-line block ×11, first 2 shown]
	v_mov_b32_e32 v0, 0
	global_load_dword v53, v0, s[12:13] offset:4
	s_waitcnt vmcnt(0)
	v_add_u32_e32 v53, -1, v53
	v_cmp_eq_u32_e32 vcc, 1, v53
	s_cbranch_vccnz .LBB89_212
; %bb.211:
	v_lshlrev_b32_e32 v53, 3, v53
	buffer_load_dword v54, v53, s[0:3], 0 offen
	buffer_load_dword v55, v53, s[0:3], 0 offen offset:4
	buffer_load_dword v56, off, s[0:3], 0 offset:8
	buffer_load_dword v57, off, s[0:3], 0 offset:12
	s_waitcnt vmcnt(3)
	buffer_store_dword v54, off, s[0:3], 0 offset:8
	s_waitcnt vmcnt(3)
	buffer_store_dword v55, off, s[0:3], 0 offset:12
	s_waitcnt vmcnt(3)
	buffer_store_dword v56, v53, s[0:3], 0 offen
	s_waitcnt vmcnt(3)
	buffer_store_dword v57, v53, s[0:3], 0 offen offset:4
.LBB89_212:
	global_load_dword v0, v0, s[12:13]
	s_nop 0
	buffer_load_dword v55, off, s[0:3], 0
	buffer_load_dword v56, off, s[0:3], 0 offset:4
	s_waitcnt vmcnt(2)
	v_add_u32_e32 v0, -1, v0
	v_cmp_eq_u32_e32 vcc, 0, v0
	s_cbranch_vccnz .LBB89_214
; %bb.213:
	v_lshlrev_b32_e32 v0, 3, v0
	buffer_load_dword v53, v0, s[0:3], 0 offen offset:4
	buffer_load_dword v54, v0, s[0:3], 0 offen
	s_waitcnt vmcnt(1)
	buffer_store_dword v53, off, s[0:3], 0 offset:4
	s_waitcnt vmcnt(1)
	buffer_store_dword v54, off, s[0:3], 0
	buffer_store_dword v56, v0, s[0:3], 0 offen offset:4
	buffer_store_dword v55, v0, s[0:3], 0 offen
	buffer_load_dword v55, off, s[0:3], 0
	s_nop 0
	buffer_load_dword v56, off, s[0:3], 0 offset:4
.LBB89_214:
	s_waitcnt vmcnt(0)
	flat_store_dwordx2 v[1:2], v[55:56]
	buffer_load_dword v0, off, s[0:3], 0 offset:8
	s_nop 0
	buffer_load_dword v1, off, s[0:3], 0 offset:12
	s_waitcnt vmcnt(0)
	flat_store_dwordx2 v[3:4], v[0:1]
	buffer_load_dword v0, off, s[0:3], 0 offset:16
	s_nop 0
	buffer_load_dword v1, off, s[0:3], 0 offset:20
	s_waitcnt vmcnt(0)
	flat_store_dwordx2 v[5:6], v[0:1]
	buffer_load_dword v0, off, s[0:3], 0 offset:24
	s_nop 0
	buffer_load_dword v1, off, s[0:3], 0 offset:28
	s_waitcnt vmcnt(0)
	flat_store_dwordx2 v[7:8], v[0:1]
	buffer_load_dword v0, off, s[0:3], 0 offset:32
	s_nop 0
	buffer_load_dword v1, off, s[0:3], 0 offset:36
	s_waitcnt vmcnt(0)
	flat_store_dwordx2 v[9:10], v[0:1]
	buffer_load_dword v0, off, s[0:3], 0 offset:40
	s_nop 0
	buffer_load_dword v1, off, s[0:3], 0 offset:44
	s_waitcnt vmcnt(0)
	flat_store_dwordx2 v[11:12], v[0:1]
	buffer_load_dword v0, off, s[0:3], 0 offset:48
	s_nop 0
	buffer_load_dword v1, off, s[0:3], 0 offset:52
	s_waitcnt vmcnt(0)
	flat_store_dwordx2 v[13:14], v[0:1]
	buffer_load_dword v0, off, s[0:3], 0 offset:56
	s_nop 0
	buffer_load_dword v1, off, s[0:3], 0 offset:60
	s_waitcnt vmcnt(0)
	flat_store_dwordx2 v[15:16], v[0:1]
	buffer_load_dword v0, off, s[0:3], 0 offset:64
	s_nop 0
	buffer_load_dword v1, off, s[0:3], 0 offset:68
	s_waitcnt vmcnt(0)
	flat_store_dwordx2 v[17:18], v[0:1]
	buffer_load_dword v0, off, s[0:3], 0 offset:72
	s_nop 0
	buffer_load_dword v1, off, s[0:3], 0 offset:76
	s_waitcnt vmcnt(0)
	flat_store_dwordx2 v[19:20], v[0:1]
	buffer_load_dword v0, off, s[0:3], 0 offset:80
	s_nop 0
	buffer_load_dword v1, off, s[0:3], 0 offset:84
	s_waitcnt vmcnt(0)
	flat_store_dwordx2 v[21:22], v[0:1]
	buffer_load_dword v0, off, s[0:3], 0 offset:88
	s_nop 0
	buffer_load_dword v1, off, s[0:3], 0 offset:92
	s_waitcnt vmcnt(0)
	flat_store_dwordx2 v[23:24], v[0:1]
	buffer_load_dword v0, off, s[0:3], 0 offset:96
	s_nop 0
	buffer_load_dword v1, off, s[0:3], 0 offset:100
	s_waitcnt vmcnt(0)
	flat_store_dwordx2 v[25:26], v[0:1]
	buffer_load_dword v0, off, s[0:3], 0 offset:104
	s_nop 0
	buffer_load_dword v1, off, s[0:3], 0 offset:108
	s_waitcnt vmcnt(0)
	flat_store_dwordx2 v[27:28], v[0:1]
	buffer_load_dword v0, off, s[0:3], 0 offset:112
	s_nop 0
	buffer_load_dword v1, off, s[0:3], 0 offset:116
	s_waitcnt vmcnt(0)
	flat_store_dwordx2 v[29:30], v[0:1]
	buffer_load_dword v0, off, s[0:3], 0 offset:120
	s_nop 0
	buffer_load_dword v1, off, s[0:3], 0 offset:124
	s_waitcnt vmcnt(0)
	flat_store_dwordx2 v[31:32], v[0:1]
	buffer_load_dword v0, off, s[0:3], 0 offset:128
	s_nop 0
	buffer_load_dword v1, off, s[0:3], 0 offset:132
	s_waitcnt vmcnt(0)
	flat_store_dwordx2 v[33:34], v[0:1]
	buffer_load_dword v0, off, s[0:3], 0 offset:136
	s_nop 0
	buffer_load_dword v1, off, s[0:3], 0 offset:140
	s_waitcnt vmcnt(0)
	flat_store_dwordx2 v[35:36], v[0:1]
	buffer_load_dword v0, off, s[0:3], 0 offset:144
	s_nop 0
	buffer_load_dword v1, off, s[0:3], 0 offset:148
	s_waitcnt vmcnt(0)
	flat_store_dwordx2 v[37:38], v[0:1]
	buffer_load_dword v0, off, s[0:3], 0 offset:152
	s_nop 0
	buffer_load_dword v1, off, s[0:3], 0 offset:156
	s_waitcnt vmcnt(0)
	flat_store_dwordx2 v[39:40], v[0:1]
	buffer_load_dword v0, off, s[0:3], 0 offset:160
	s_nop 0
	buffer_load_dword v1, off, s[0:3], 0 offset:164
	s_waitcnt vmcnt(0)
	flat_store_dwordx2 v[41:42], v[0:1]
	buffer_load_dword v0, off, s[0:3], 0 offset:168
	s_nop 0
	buffer_load_dword v1, off, s[0:3], 0 offset:172
	s_waitcnt vmcnt(0)
	flat_store_dwordx2 v[43:44], v[0:1]
	buffer_load_dword v0, off, s[0:3], 0 offset:176
	s_nop 0
	buffer_load_dword v1, off, s[0:3], 0 offset:180
	s_waitcnt vmcnt(0)
	flat_store_dwordx2 v[45:46], v[0:1]
	buffer_load_dword v0, off, s[0:3], 0 offset:184
	s_nop 0
	buffer_load_dword v1, off, s[0:3], 0 offset:188
	s_waitcnt vmcnt(0)
	flat_store_dwordx2 v[47:48], v[0:1]
	buffer_load_dword v0, off, s[0:3], 0 offset:192
	s_nop 0
	buffer_load_dword v1, off, s[0:3], 0 offset:196
	s_waitcnt vmcnt(0)
	flat_store_dwordx2 v[49:50], v[0:1]
	buffer_load_dword v0, off, s[0:3], 0 offset:200
	s_nop 0
	buffer_load_dword v1, off, s[0:3], 0 offset:204
	s_waitcnt vmcnt(0)
	flat_store_dwordx2 v[51:52], v[0:1]
	s_endpgm
	.section	.rodata,"a",@progbits
	.p2align	6, 0x0
	.amdhsa_kernel _ZN9rocsolver6v33100L18getri_kernel_smallILi26EdPKPdEEvT1_iilPiilS6_bb
		.amdhsa_group_segment_fixed_size 424
		.amdhsa_private_segment_fixed_size 224
		.amdhsa_kernarg_size 60
		.amdhsa_user_sgpr_count 6
		.amdhsa_user_sgpr_private_segment_buffer 1
		.amdhsa_user_sgpr_dispatch_ptr 0
		.amdhsa_user_sgpr_queue_ptr 0
		.amdhsa_user_sgpr_kernarg_segment_ptr 1
		.amdhsa_user_sgpr_dispatch_id 0
		.amdhsa_user_sgpr_flat_scratch_init 0
		.amdhsa_user_sgpr_private_segment_size 0
		.amdhsa_uses_dynamic_stack 0
		.amdhsa_system_sgpr_private_segment_wavefront_offset 1
		.amdhsa_system_sgpr_workgroup_id_x 1
		.amdhsa_system_sgpr_workgroup_id_y 0
		.amdhsa_system_sgpr_workgroup_id_z 0
		.amdhsa_system_sgpr_workgroup_info 0
		.amdhsa_system_vgpr_workitem_id 0
		.amdhsa_next_free_vgpr 89
		.amdhsa_next_free_sgpr 21
		.amdhsa_reserve_vcc 1
		.amdhsa_reserve_flat_scratch 0
		.amdhsa_float_round_mode_32 0
		.amdhsa_float_round_mode_16_64 0
		.amdhsa_float_denorm_mode_32 3
		.amdhsa_float_denorm_mode_16_64 3
		.amdhsa_dx10_clamp 1
		.amdhsa_ieee_mode 1
		.amdhsa_fp16_overflow 0
		.amdhsa_exception_fp_ieee_invalid_op 0
		.amdhsa_exception_fp_denorm_src 0
		.amdhsa_exception_fp_ieee_div_zero 0
		.amdhsa_exception_fp_ieee_overflow 0
		.amdhsa_exception_fp_ieee_underflow 0
		.amdhsa_exception_fp_ieee_inexact 0
		.amdhsa_exception_int_div_zero 0
	.end_amdhsa_kernel
	.section	.text._ZN9rocsolver6v33100L18getri_kernel_smallILi26EdPKPdEEvT1_iilPiilS6_bb,"axG",@progbits,_ZN9rocsolver6v33100L18getri_kernel_smallILi26EdPKPdEEvT1_iilPiilS6_bb,comdat
.Lfunc_end89:
	.size	_ZN9rocsolver6v33100L18getri_kernel_smallILi26EdPKPdEEvT1_iilPiilS6_bb, .Lfunc_end89-_ZN9rocsolver6v33100L18getri_kernel_smallILi26EdPKPdEEvT1_iilPiilS6_bb
                                        ; -- End function
	.set _ZN9rocsolver6v33100L18getri_kernel_smallILi26EdPKPdEEvT1_iilPiilS6_bb.num_vgpr, 89
	.set _ZN9rocsolver6v33100L18getri_kernel_smallILi26EdPKPdEEvT1_iilPiilS6_bb.num_agpr, 0
	.set _ZN9rocsolver6v33100L18getri_kernel_smallILi26EdPKPdEEvT1_iilPiilS6_bb.numbered_sgpr, 21
	.set _ZN9rocsolver6v33100L18getri_kernel_smallILi26EdPKPdEEvT1_iilPiilS6_bb.num_named_barrier, 0
	.set _ZN9rocsolver6v33100L18getri_kernel_smallILi26EdPKPdEEvT1_iilPiilS6_bb.private_seg_size, 224
	.set _ZN9rocsolver6v33100L18getri_kernel_smallILi26EdPKPdEEvT1_iilPiilS6_bb.uses_vcc, 1
	.set _ZN9rocsolver6v33100L18getri_kernel_smallILi26EdPKPdEEvT1_iilPiilS6_bb.uses_flat_scratch, 0
	.set _ZN9rocsolver6v33100L18getri_kernel_smallILi26EdPKPdEEvT1_iilPiilS6_bb.has_dyn_sized_stack, 0
	.set _ZN9rocsolver6v33100L18getri_kernel_smallILi26EdPKPdEEvT1_iilPiilS6_bb.has_recursion, 0
	.set _ZN9rocsolver6v33100L18getri_kernel_smallILi26EdPKPdEEvT1_iilPiilS6_bb.has_indirect_call, 0
	.section	.AMDGPU.csdata,"",@progbits
; Kernel info:
; codeLenInByte = 23444
; TotalNumSgprs: 25
; NumVgprs: 89
; ScratchSize: 224
; MemoryBound: 0
; FloatMode: 240
; IeeeMode: 1
; LDSByteSize: 424 bytes/workgroup (compile time only)
; SGPRBlocks: 3
; VGPRBlocks: 22
; NumSGPRsForWavesPerEU: 25
; NumVGPRsForWavesPerEU: 89
; Occupancy: 2
; WaveLimiterHint : 1
; COMPUTE_PGM_RSRC2:SCRATCH_EN: 1
; COMPUTE_PGM_RSRC2:USER_SGPR: 6
; COMPUTE_PGM_RSRC2:TRAP_HANDLER: 0
; COMPUTE_PGM_RSRC2:TGID_X_EN: 1
; COMPUTE_PGM_RSRC2:TGID_Y_EN: 0
; COMPUTE_PGM_RSRC2:TGID_Z_EN: 0
; COMPUTE_PGM_RSRC2:TIDIG_COMP_CNT: 0
	.section	.text._ZN9rocsolver6v33100L18getri_kernel_smallILi27EdPKPdEEvT1_iilPiilS6_bb,"axG",@progbits,_ZN9rocsolver6v33100L18getri_kernel_smallILi27EdPKPdEEvT1_iilPiilS6_bb,comdat
	.globl	_ZN9rocsolver6v33100L18getri_kernel_smallILi27EdPKPdEEvT1_iilPiilS6_bb ; -- Begin function _ZN9rocsolver6v33100L18getri_kernel_smallILi27EdPKPdEEvT1_iilPiilS6_bb
	.p2align	8
	.type	_ZN9rocsolver6v33100L18getri_kernel_smallILi27EdPKPdEEvT1_iilPiilS6_bb,@function
_ZN9rocsolver6v33100L18getri_kernel_smallILi27EdPKPdEEvT1_iilPiilS6_bb: ; @_ZN9rocsolver6v33100L18getri_kernel_smallILi27EdPKPdEEvT1_iilPiilS6_bb
; %bb.0:
	s_add_u32 s0, s0, s7
	s_addc_u32 s1, s1, 0
	v_cmp_gt_u32_e32 vcc, 27, v0
	s_and_saveexec_b64 s[8:9], vcc
	s_cbranch_execz .LBB90_116
; %bb.1:
	s_load_dword s18, s[4:5], 0x38
	s_load_dwordx2 s[12:13], s[4:5], 0x0
	s_load_dwordx4 s[8:11], s[4:5], 0x28
	s_waitcnt lgkmcnt(0)
	s_bitcmp1_b32 s18, 8
	s_cselect_b64 s[14:15], -1, 0
	s_ashr_i32 s7, s6, 31
	s_lshl_b64 s[16:17], s[6:7], 3
	s_add_u32 s12, s12, s16
	s_addc_u32 s13, s13, s17
	s_load_dwordx2 s[16:17], s[12:13], 0x0
	s_bfe_u32 s12, s18, 0x10008
	s_cmp_eq_u32 s12, 0
                                        ; implicit-def: $sgpr12_sgpr13
	s_cbranch_scc1 .LBB90_3
; %bb.2:
	s_load_dword s12, s[4:5], 0x20
	s_load_dwordx2 s[18:19], s[4:5], 0x18
	s_mul_i32 s13, s8, s7
	s_mul_hi_u32 s20, s8, s6
	s_add_i32 s20, s20, s13
	s_mul_i32 s9, s9, s6
	s_add_i32 s9, s20, s9
	s_mul_i32 s8, s8, s6
	s_waitcnt lgkmcnt(0)
	s_ashr_i32 s13, s12, 31
	s_lshl_b64 s[8:9], s[8:9], 2
	s_add_u32 s18, s18, s8
	s_addc_u32 s19, s19, s9
	s_lshl_b64 s[8:9], s[12:13], 2
	s_add_u32 s12, s18, s8
	s_addc_u32 s13, s19, s9
.LBB90_3:
	s_load_dwordx2 s[8:9], s[4:5], 0x8
	s_load_dword s18, s[4:5], 0x38
	v_lshlrev_b32_e32 v57, 3, v0
	s_waitcnt lgkmcnt(0)
	s_ashr_i32 s5, s8, 31
	s_mov_b32 s4, s8
	s_lshl_b64 s[4:5], s[4:5], 3
	s_add_u32 s4, s16, s4
	s_addc_u32 s5, s17, s5
	v_mov_b32_e32 v2, s5
	v_add_co_u32_e32 v1, vcc, s4, v57
	v_addc_co_u32_e32 v2, vcc, 0, v2, vcc
	flat_load_dwordx2 v[5:6], v[1:2]
	s_mov_b32 s16, s9
	s_ashr_i32 s17, s9, 31
	s_lshl_b64 s[16:17], s[16:17], 3
	v_mov_b32_e32 v4, s17
	v_add_co_u32_e32 v3, vcc, s16, v1
	v_addc_co_u32_e32 v4, vcc, v2, v4, vcc
	s_add_i32 s8, s9, s9
	v_add_u32_e32 v9, s8, v0
	v_ashrrev_i32_e32 v10, 31, v9
	v_mov_b32_e32 v11, s5
	v_add_u32_e32 v12, s9, v9
	v_ashrrev_i32_e32 v13, 31, v12
	v_mov_b32_e32 v14, s5
	v_mov_b32_e32 v15, s5
	;; [unrolled: 1-line block ×23, first 2 shown]
	s_bitcmp0_b32 s18, 0
	s_waitcnt vmcnt(0) lgkmcnt(0)
	buffer_store_dword v6, off, s[0:3], 0 offset:4
	buffer_store_dword v5, off, s[0:3], 0
	flat_load_dwordx2 v[7:8], v[3:4]
	v_lshlrev_b64 v[5:6], 3, v[9:10]
	s_waitcnt vmcnt(0) lgkmcnt(0)
	buffer_store_dword v8, off, s[0:3], 0 offset:12
	buffer_store_dword v7, off, s[0:3], 0 offset:8
	v_add_co_u32_e32 v5, vcc, s4, v5
	v_addc_co_u32_e32 v6, vcc, v11, v6, vcc
	flat_load_dwordx2 v[10:11], v[5:6]
	v_lshlrev_b64 v[7:8], 3, v[12:13]
	s_waitcnt vmcnt(0) lgkmcnt(0)
	buffer_store_dword v11, off, s[0:3], 0 offset:20
	buffer_store_dword v10, off, s[0:3], 0 offset:16
	v_add_co_u32_e32 v7, vcc, s4, v7
	v_addc_co_u32_e32 v8, vcc, v14, v8, vcc
	flat_load_dwordx2 v[13:14], v[7:8]
	v_add_u32_e32 v11, s9, v12
	v_ashrrev_i32_e32 v12, 31, v11
	v_lshlrev_b64 v[9:10], 3, v[11:12]
	s_waitcnt vmcnt(0) lgkmcnt(0)
	buffer_store_dword v14, off, s[0:3], 0 offset:28
	buffer_store_dword v13, off, s[0:3], 0 offset:24
	v_add_co_u32_e32 v9, vcc, s4, v9
	v_addc_co_u32_e32 v10, vcc, v15, v10, vcc
	flat_load_dwordx2 v[13:14], v[9:10]
	v_add_u32_e32 v15, s9, v11
	v_ashrrev_i32_e32 v16, 31, v15
	v_lshlrev_b64 v[11:12], 3, v[15:16]
	v_add_u32_e32 v18, s9, v15
	v_add_co_u32_e32 v11, vcc, s4, v11
	v_addc_co_u32_e32 v12, vcc, v17, v12, vcc
	v_ashrrev_i32_e32 v19, 31, v18
	s_waitcnt vmcnt(0) lgkmcnt(0)
	buffer_store_dword v14, off, s[0:3], 0 offset:36
	buffer_store_dword v13, off, s[0:3], 0 offset:32
	flat_load_dwordx2 v[16:17], v[11:12]
	v_lshlrev_b64 v[13:14], 3, v[18:19]
	s_waitcnt vmcnt(0) lgkmcnt(0)
	buffer_store_dword v17, off, s[0:3], 0 offset:44
	buffer_store_dword v16, off, s[0:3], 0 offset:40
	v_add_co_u32_e32 v13, vcc, s4, v13
	v_addc_co_u32_e32 v14, vcc, v20, v14, vcc
	flat_load_dwordx2 v[19:20], v[13:14]
	v_add_u32_e32 v17, s9, v18
	v_ashrrev_i32_e32 v18, 31, v17
	v_lshlrev_b64 v[15:16], 3, v[17:18]
	s_waitcnt vmcnt(0) lgkmcnt(0)
	buffer_store_dword v20, off, s[0:3], 0 offset:52
	buffer_store_dword v19, off, s[0:3], 0 offset:48
	v_add_co_u32_e32 v15, vcc, s4, v15
	v_addc_co_u32_e32 v16, vcc, v21, v16, vcc
	flat_load_dwordx2 v[19:20], v[15:16]
	v_add_u32_e32 v21, s9, v17
	v_ashrrev_i32_e32 v22, 31, v21
	v_lshlrev_b64 v[17:18], 3, v[21:22]
	v_add_u32_e32 v24, s9, v21
	v_add_co_u32_e32 v17, vcc, s4, v17
	v_addc_co_u32_e32 v18, vcc, v23, v18, vcc
	v_ashrrev_i32_e32 v25, 31, v24
	s_waitcnt vmcnt(0) lgkmcnt(0)
	buffer_store_dword v20, off, s[0:3], 0 offset:60
	buffer_store_dword v19, off, s[0:3], 0 offset:56
	;; [unrolled: 27-line block ×7, first 2 shown]
	flat_load_dwordx2 v[52:53], v[47:48]
	v_lshlrev_b64 v[49:50], 3, v[54:55]
	s_waitcnt vmcnt(0) lgkmcnt(0)
	buffer_store_dword v53, off, s[0:3], 0 offset:188
	buffer_store_dword v52, off, s[0:3], 0 offset:184
	v_add_co_u32_e32 v49, vcc, s4, v49
	v_addc_co_u32_e32 v50, vcc, v56, v50, vcc
	flat_load_dwordx2 v[55:56], v[49:50]
	v_add_u32_e32 v53, s9, v54
	v_ashrrev_i32_e32 v54, 31, v53
	v_lshlrev_b64 v[51:52], 3, v[53:54]
	v_add_u32_e32 v53, s9, v53
	v_add_co_u32_e32 v51, vcc, s4, v51
	v_addc_co_u32_e32 v52, vcc, v58, v52, vcc
	v_ashrrev_i32_e32 v54, 31, v53
	v_lshlrev_b64 v[53:54], 3, v[53:54]
	s_mov_b64 s[8:9], -1
	s_waitcnt vmcnt(0) lgkmcnt(0)
	buffer_store_dword v56, off, s[0:3], 0 offset:196
	buffer_store_dword v55, off, s[0:3], 0 offset:192
	flat_load_dwordx2 v[55:56], v[51:52]
	v_add_co_u32_e32 v53, vcc, s4, v53
	v_addc_co_u32_e32 v54, vcc, v58, v54, vcc
	s_waitcnt vmcnt(0) lgkmcnt(0)
	buffer_store_dword v56, off, s[0:3], 0 offset:204
	buffer_store_dword v55, off, s[0:3], 0 offset:200
	flat_load_dwordx2 v[55:56], v[53:54]
	s_waitcnt vmcnt(0) lgkmcnt(0)
	buffer_store_dword v56, off, s[0:3], 0 offset:212
	buffer_store_dword v55, off, s[0:3], 0 offset:208
	s_cbranch_scc1 .LBB90_114
; %bb.4:
	v_cmp_eq_u32_e64 s[4:5], 0, v0
	s_and_saveexec_b64 s[8:9], s[4:5]
; %bb.5:
	v_mov_b32_e32 v55, 0
	ds_write_b32 v55, v55 offset:216
; %bb.6:
	s_or_b64 exec, exec, s[8:9]
	v_mov_b32_e32 v55, 0
	v_lshl_add_u32 v55, v0, 3, v55
	s_waitcnt lgkmcnt(0)
	; wave barrier
	buffer_load_dword v58, v55, s[0:3], 0 offen
	buffer_load_dword v59, v55, s[0:3], 0 offen offset:4
	s_waitcnt vmcnt(0)
	v_cmp_eq_f64_e32 vcc, 0, v[58:59]
	s_and_saveexec_b64 s[16:17], vcc
	s_cbranch_execz .LBB90_10
; %bb.7:
	v_mov_b32_e32 v56, 0
	ds_read_b32 v59, v56 offset:216
	v_add_u32_e32 v58, 1, v0
	s_waitcnt lgkmcnt(0)
	v_readfirstlane_b32 s8, v59
	s_cmp_eq_u32 s8, 0
	s_cselect_b64 s[18:19], -1, 0
	v_cmp_gt_i32_e32 vcc, s8, v58
	s_or_b64 s[18:19], s[18:19], vcc
	s_and_b64 exec, exec, s[18:19]
	s_cbranch_execz .LBB90_10
; %bb.8:
	s_mov_b64 s[18:19], 0
	v_mov_b32_e32 v59, s8
.LBB90_9:                               ; =>This Inner Loop Header: Depth=1
	ds_cmpst_rtn_b32 v59, v56, v59, v58 offset:216
	s_waitcnt lgkmcnt(0)
	v_cmp_ne_u32_e32 vcc, 0, v59
	v_cmp_le_i32_e64 s[8:9], v59, v58
	s_and_b64 s[8:9], vcc, s[8:9]
	s_and_b64 s[8:9], exec, s[8:9]
	s_or_b64 s[18:19], s[8:9], s[18:19]
	s_andn2_b64 exec, exec, s[18:19]
	s_cbranch_execnz .LBB90_9
.LBB90_10:
	s_or_b64 exec, exec, s[16:17]
	v_mov_b32_e32 v58, 0
	; wave barrier
	ds_read_b32 v56, v58 offset:216
	s_and_saveexec_b64 s[8:9], s[4:5]
	s_cbranch_execz .LBB90_12
; %bb.11:
	s_lshl_b64 s[16:17], s[6:7], 2
	s_add_u32 s16, s10, s16
	s_addc_u32 s17, s11, s17
	s_waitcnt lgkmcnt(0)
	global_store_dword v58, v56, s[16:17]
.LBB90_12:
	s_or_b64 exec, exec, s[8:9]
	s_waitcnt lgkmcnt(0)
	v_cmp_ne_u32_e32 vcc, 0, v56
	s_mov_b64 s[8:9], 0
	s_cbranch_vccnz .LBB90_114
; %bb.13:
	buffer_load_dword v58, v55, s[0:3], 0 offen
	buffer_load_dword v59, v55, s[0:3], 0 offen offset:4
	s_waitcnt vmcnt(0)
	v_div_scale_f64 v[60:61], s[8:9], v[58:59], v[58:59], 1.0
	v_rcp_f64_e32 v[62:63], v[60:61]
	v_fma_f64 v[64:65], -v[60:61], v[62:63], 1.0
	v_fma_f64 v[62:63], v[62:63], v[64:65], v[62:63]
	v_div_scale_f64 v[64:65], vcc, 1.0, v[58:59], 1.0
	v_fma_f64 v[66:67], -v[60:61], v[62:63], 1.0
	v_fma_f64 v[62:63], v[62:63], v[66:67], v[62:63]
	v_mul_f64 v[66:67], v[64:65], v[62:63]
	v_fma_f64 v[60:61], -v[60:61], v[66:67], v[64:65]
	v_div_fmas_f64 v[60:61], v[60:61], v[62:63], v[66:67]
	v_div_fixup_f64 v[59:60], v[60:61], v[58:59], 1.0
	v_add_u32_e32 v58, 0xe0, v57
	buffer_store_dword v60, v55, s[0:3], 0 offen offset:4
	buffer_store_dword v59, v55, s[0:3], 0 offen
	buffer_load_dword v62, off, s[0:3], 0 offset:12
	buffer_load_dword v61, off, s[0:3], 0 offset:8
	v_xor_b32_e32 v60, 0x80000000, v60
	s_waitcnt vmcnt(0)
	ds_write2_b64 v57, v[59:60], v[61:62] offset1:28
	s_waitcnt lgkmcnt(0)
	; wave barrier
	s_and_saveexec_b64 s[8:9], s[4:5]
	s_cbranch_execz .LBB90_15
; %bb.14:
	buffer_load_dword v59, v55, s[0:3], 0 offen
	buffer_load_dword v60, v55, s[0:3], 0 offen offset:4
	ds_read_b64 v[61:62], v58
	v_mov_b32_e32 v56, 0
	ds_read_b64 v[63:64], v56 offset:8
	s_waitcnt vmcnt(0) lgkmcnt(1)
	v_fma_f64 v[59:60], v[59:60], v[61:62], 0
	s_waitcnt lgkmcnt(0)
	v_mul_f64 v[59:60], v[59:60], v[63:64]
	buffer_store_dword v59, off, s[0:3], 0 offset:8
	buffer_store_dword v60, off, s[0:3], 0 offset:12
.LBB90_15:
	s_or_b64 exec, exec, s[8:9]
	; wave barrier
	buffer_load_dword v59, off, s[0:3], 0 offset:16
	buffer_load_dword v60, off, s[0:3], 0 offset:20
	v_cmp_gt_u32_e32 vcc, 2, v0
	s_waitcnt vmcnt(0)
	ds_write_b64 v58, v[59:60]
	s_waitcnt lgkmcnt(0)
	; wave barrier
	s_and_saveexec_b64 s[8:9], vcc
	s_cbranch_execz .LBB90_17
; %bb.16:
	buffer_load_dword v59, v55, s[0:3], 0 offen
	buffer_load_dword v60, v55, s[0:3], 0 offen offset:4
                                        ; kill: killed $vgpr55
	s_nop 0
	buffer_load_dword v55, off, s[0:3], 0 offset:8
	buffer_load_dword v56, off, s[0:3], 0 offset:12
	ds_read_b64 v[61:62], v58
	s_waitcnt vmcnt(2) lgkmcnt(0)
	v_fma_f64 v[63:64], v[59:60], v[61:62], 0
	v_mov_b32_e32 v59, 0
	ds_read2_b64 v[59:62], v59 offset0:2 offset1:29
	s_waitcnt vmcnt(0) lgkmcnt(0)
	v_fma_f64 v[55:56], v[55:56], v[61:62], v[63:64]
	v_cndmask_b32_e64 v56, v64, v56, s[4:5]
	v_cndmask_b32_e64 v55, v63, v55, s[4:5]
	v_mul_f64 v[55:56], v[55:56], v[59:60]
	buffer_store_dword v56, off, s[0:3], 0 offset:20
	buffer_store_dword v55, off, s[0:3], 0 offset:16
.LBB90_17:
	s_or_b64 exec, exec, s[8:9]
	; wave barrier
	buffer_load_dword v55, off, s[0:3], 0 offset:24
	buffer_load_dword v56, off, s[0:3], 0 offset:28
	v_cmp_gt_u32_e32 vcc, 3, v0
	v_add_u32_e32 v59, -1, v0
	s_waitcnt vmcnt(0)
	ds_write_b64 v58, v[55:56]
	s_waitcnt lgkmcnt(0)
	; wave barrier
	s_and_saveexec_b64 s[4:5], vcc
	s_cbranch_execz .LBB90_21
; %bb.18:
	v_mov_b32_e32 v55, 0
	v_add_u32_e32 v60, -1, v0
	v_add_u32_e32 v61, 0xe0, v57
	v_mov_b32_e32 v62, v57
	v_mov_b32_e32 v56, 0
	s_mov_b64 s[8:9], 0
.LBB90_19:                              ; =>This Inner Loop Header: Depth=1
	buffer_load_dword v63, v62, s[0:3], 0 offen
	buffer_load_dword v64, v62, s[0:3], 0 offen offset:4
	ds_read_b64 v[65:66], v61
	v_add_u32_e32 v60, 1, v60
	v_cmp_lt_u32_e32 vcc, 1, v60
	v_add_u32_e32 v61, 8, v61
	s_or_b64 s[8:9], vcc, s[8:9]
	v_add_u32_e32 v62, 8, v62
	s_waitcnt vmcnt(0) lgkmcnt(0)
	v_fma_f64 v[55:56], v[63:64], v[65:66], v[55:56]
	s_andn2_b64 exec, exec, s[8:9]
	s_cbranch_execnz .LBB90_19
; %bb.20:
	s_or_b64 exec, exec, s[8:9]
	v_mov_b32_e32 v60, 0
	ds_read_b64 v[60:61], v60 offset:24
	s_waitcnt lgkmcnt(0)
	v_mul_f64 v[55:56], v[55:56], v[60:61]
	buffer_store_dword v56, off, s[0:3], 0 offset:28
	buffer_store_dword v55, off, s[0:3], 0 offset:24
.LBB90_21:
	s_or_b64 exec, exec, s[4:5]
	; wave barrier
	buffer_load_dword v55, off, s[0:3], 0 offset:32
	buffer_load_dword v56, off, s[0:3], 0 offset:36
	v_cmp_gt_u32_e32 vcc, 4, v0
	s_waitcnt vmcnt(0)
	ds_write_b64 v58, v[55:56]
	s_waitcnt lgkmcnt(0)
	; wave barrier
	s_and_saveexec_b64 s[4:5], vcc
	s_cbranch_execz .LBB90_25
; %bb.22:
	v_mov_b32_e32 v55, 0
	v_add_u32_e32 v60, -1, v0
	v_add_u32_e32 v61, 0xe0, v57
	v_mov_b32_e32 v62, v57
	v_mov_b32_e32 v56, 0
	s_mov_b64 s[8:9], 0
.LBB90_23:                              ; =>This Inner Loop Header: Depth=1
	buffer_load_dword v63, v62, s[0:3], 0 offen
	buffer_load_dword v64, v62, s[0:3], 0 offen offset:4
	ds_read_b64 v[65:66], v61
	v_add_u32_e32 v60, 1, v60
	v_cmp_lt_u32_e32 vcc, 2, v60
	v_add_u32_e32 v61, 8, v61
	s_or_b64 s[8:9], vcc, s[8:9]
	v_add_u32_e32 v62, 8, v62
	s_waitcnt vmcnt(0) lgkmcnt(0)
	v_fma_f64 v[55:56], v[63:64], v[65:66], v[55:56]
	s_andn2_b64 exec, exec, s[8:9]
	s_cbranch_execnz .LBB90_23
; %bb.24:
	s_or_b64 exec, exec, s[8:9]
	v_mov_b32_e32 v60, 0
	ds_read_b64 v[60:61], v60 offset:32
	s_waitcnt lgkmcnt(0)
	v_mul_f64 v[55:56], v[55:56], v[60:61]
	buffer_store_dword v56, off, s[0:3], 0 offset:36
	buffer_store_dword v55, off, s[0:3], 0 offset:32
.LBB90_25:
	s_or_b64 exec, exec, s[4:5]
	; wave barrier
	buffer_load_dword v55, off, s[0:3], 0 offset:40
	buffer_load_dword v56, off, s[0:3], 0 offset:44
	v_cmp_gt_u32_e32 vcc, 5, v0
	;; [unrolled: 40-line block ×21, first 2 shown]
	s_waitcnt vmcnt(0)
	ds_write_b64 v58, v[55:56]
	s_waitcnt lgkmcnt(0)
	; wave barrier
	s_and_saveexec_b64 s[4:5], vcc
	s_cbranch_execz .LBB90_105
; %bb.102:
	v_mov_b32_e32 v55, 0
	v_add_u32_e32 v60, -1, v0
	v_add_u32_e32 v61, 0xe0, v57
	v_mov_b32_e32 v62, v57
	v_mov_b32_e32 v56, 0
	s_mov_b64 s[8:9], 0
.LBB90_103:                             ; =>This Inner Loop Header: Depth=1
	buffer_load_dword v63, v62, s[0:3], 0 offen
	buffer_load_dword v64, v62, s[0:3], 0 offen offset:4
	ds_read_b64 v[65:66], v61
	v_add_u32_e32 v60, 1, v60
	v_cmp_lt_u32_e32 vcc, 22, v60
	v_add_u32_e32 v61, 8, v61
	s_or_b64 s[8:9], vcc, s[8:9]
	v_add_u32_e32 v62, 8, v62
	s_waitcnt vmcnt(0) lgkmcnt(0)
	v_fma_f64 v[55:56], v[63:64], v[65:66], v[55:56]
	s_andn2_b64 exec, exec, s[8:9]
	s_cbranch_execnz .LBB90_103
; %bb.104:
	s_or_b64 exec, exec, s[8:9]
	v_mov_b32_e32 v60, 0
	ds_read_b64 v[60:61], v60 offset:192
	s_waitcnt lgkmcnt(0)
	v_mul_f64 v[55:56], v[55:56], v[60:61]
	buffer_store_dword v56, off, s[0:3], 0 offset:196
	buffer_store_dword v55, off, s[0:3], 0 offset:192
.LBB90_105:
	s_or_b64 exec, exec, s[4:5]
	; wave barrier
	buffer_load_dword v55, off, s[0:3], 0 offset:200
	buffer_load_dword v56, off, s[0:3], 0 offset:204
	v_cmp_gt_u32_e32 vcc, 25, v0
	s_waitcnt vmcnt(0)
	ds_write_b64 v58, v[55:56]
	s_waitcnt lgkmcnt(0)
	; wave barrier
	s_and_saveexec_b64 s[4:5], vcc
	s_cbranch_execz .LBB90_109
; %bb.106:
	v_mov_b32_e32 v55, 0
	v_add_u32_e32 v60, -1, v0
	v_add_u32_e32 v61, 0xe0, v57
	v_mov_b32_e32 v62, v57
	v_mov_b32_e32 v56, 0
	s_mov_b64 s[8:9], 0
.LBB90_107:                             ; =>This Inner Loop Header: Depth=1
	buffer_load_dword v63, v62, s[0:3], 0 offen
	buffer_load_dword v64, v62, s[0:3], 0 offen offset:4
	ds_read_b64 v[65:66], v61
	v_add_u32_e32 v60, 1, v60
	v_cmp_lt_u32_e32 vcc, 23, v60
	v_add_u32_e32 v61, 8, v61
	s_or_b64 s[8:9], vcc, s[8:9]
	v_add_u32_e32 v62, 8, v62
	s_waitcnt vmcnt(0) lgkmcnt(0)
	v_fma_f64 v[55:56], v[63:64], v[65:66], v[55:56]
	s_andn2_b64 exec, exec, s[8:9]
	s_cbranch_execnz .LBB90_107
; %bb.108:
	s_or_b64 exec, exec, s[8:9]
	v_mov_b32_e32 v60, 0
	ds_read_b64 v[60:61], v60 offset:200
	s_waitcnt lgkmcnt(0)
	v_mul_f64 v[55:56], v[55:56], v[60:61]
	buffer_store_dword v56, off, s[0:3], 0 offset:204
	buffer_store_dword v55, off, s[0:3], 0 offset:200
.LBB90_109:
	s_or_b64 exec, exec, s[4:5]
	; wave barrier
	buffer_load_dword v55, off, s[0:3], 0 offset:208
	buffer_load_dword v56, off, s[0:3], 0 offset:212
	v_cmp_ne_u32_e32 vcc, 26, v0
	s_waitcnt vmcnt(0)
	ds_write_b64 v58, v[55:56]
	s_waitcnt lgkmcnt(0)
	; wave barrier
	s_and_saveexec_b64 s[4:5], vcc
	s_cbranch_execz .LBB90_113
; %bb.110:
	v_mov_b32_e32 v55, 0
	v_add_u32_e32 v58, 0xe0, v57
	v_mov_b32_e32 v56, 0
	s_mov_b64 s[8:9], 0
.LBB90_111:                             ; =>This Inner Loop Header: Depth=1
	buffer_load_dword v60, v57, s[0:3], 0 offen
	buffer_load_dword v61, v57, s[0:3], 0 offen offset:4
	ds_read_b64 v[62:63], v58
	v_add_u32_e32 v59, 1, v59
	v_cmp_lt_u32_e32 vcc, 24, v59
	v_add_u32_e32 v58, 8, v58
	s_or_b64 s[8:9], vcc, s[8:9]
	v_add_u32_e32 v57, 8, v57
	s_waitcnt vmcnt(0) lgkmcnt(0)
	v_fma_f64 v[55:56], v[60:61], v[62:63], v[55:56]
	s_andn2_b64 exec, exec, s[8:9]
	s_cbranch_execnz .LBB90_111
; %bb.112:
	s_or_b64 exec, exec, s[8:9]
	v_mov_b32_e32 v57, 0
	ds_read_b64 v[57:58], v57 offset:208
	s_waitcnt lgkmcnt(0)
	v_mul_f64 v[55:56], v[55:56], v[57:58]
	buffer_store_dword v56, off, s[0:3], 0 offset:212
	buffer_store_dword v55, off, s[0:3], 0 offset:208
.LBB90_113:
	s_or_b64 exec, exec, s[4:5]
	s_mov_b64 s[8:9], -1
	; wave barrier
.LBB90_114:
	s_and_b64 vcc, exec, s[8:9]
	s_cbranch_vccz .LBB90_116
; %bb.115:
	s_lshl_b64 s[4:5], s[6:7], 2
	s_add_u32 s4, s10, s4
	s_addc_u32 s5, s11, s5
	v_mov_b32_e32 v55, 0
	global_load_dword v55, v55, s[4:5]
	s_waitcnt vmcnt(0)
	v_cmp_ne_u32_e32 vcc, 0, v55
	s_cbranch_vccz .LBB90_117
.LBB90_116:
	s_endpgm
.LBB90_117:
	v_mov_b32_e32 v55, 0xe0
	v_lshl_add_u32 v55, v0, 3, v55
	v_cmp_eq_u32_e32 vcc, 26, v0
	s_and_saveexec_b64 s[4:5], vcc
	s_cbranch_execz .LBB90_119
; %bb.118:
	buffer_load_dword v56, off, s[0:3], 0 offset:200
	buffer_load_dword v57, off, s[0:3], 0 offset:204
	v_mov_b32_e32 v58, 0
	buffer_store_dword v58, off, s[0:3], 0 offset:200
	buffer_store_dword v58, off, s[0:3], 0 offset:204
	s_waitcnt vmcnt(2)
	ds_write_b64 v55, v[56:57]
.LBB90_119:
	s_or_b64 exec, exec, s[4:5]
	s_waitcnt lgkmcnt(0)
	; wave barrier
	buffer_load_dword v57, off, s[0:3], 0 offset:208
	buffer_load_dword v58, off, s[0:3], 0 offset:212
	;; [unrolled: 1-line block ×4, first 2 shown]
	v_mov_b32_e32 v56, 0
	ds_read_b64 v[61:62], v56 offset:432
	v_cmp_lt_u32_e32 vcc, 24, v0
	s_waitcnt vmcnt(2) lgkmcnt(0)
	v_fma_f64 v[57:58], v[57:58], v[61:62], 0
	s_waitcnt vmcnt(0)
	v_add_f64 v[57:58], v[59:60], -v[57:58]
	buffer_store_dword v57, off, s[0:3], 0 offset:200
	buffer_store_dword v58, off, s[0:3], 0 offset:204
	s_and_saveexec_b64 s[4:5], vcc
	s_cbranch_execz .LBB90_121
; %bb.120:
	buffer_load_dword v57, off, s[0:3], 0 offset:192
	buffer_load_dword v58, off, s[0:3], 0 offset:196
	s_waitcnt vmcnt(0)
	ds_write_b64 v55, v[57:58]
	buffer_store_dword v56, off, s[0:3], 0 offset:192
	buffer_store_dword v56, off, s[0:3], 0 offset:196
.LBB90_121:
	s_or_b64 exec, exec, s[4:5]
	s_waitcnt lgkmcnt(0)
	; wave barrier
	buffer_load_dword v60, off, s[0:3], 0 offset:200
	buffer_load_dword v61, off, s[0:3], 0 offset:204
	;; [unrolled: 1-line block ×6, first 2 shown]
	ds_read2_b64 v[56:59], v56 offset0:53 offset1:54
	v_cmp_lt_u32_e32 vcc, 23, v0
	s_waitcnt vmcnt(4) lgkmcnt(0)
	v_fma_f64 v[56:57], v[60:61], v[56:57], 0
	s_waitcnt vmcnt(2)
	v_fma_f64 v[56:57], v[62:63], v[58:59], v[56:57]
	s_waitcnt vmcnt(0)
	v_add_f64 v[56:57], v[64:65], -v[56:57]
	buffer_store_dword v56, off, s[0:3], 0 offset:192
	buffer_store_dword v57, off, s[0:3], 0 offset:196
	s_and_saveexec_b64 s[4:5], vcc
	s_cbranch_execz .LBB90_123
; %bb.122:
	buffer_load_dword v56, off, s[0:3], 0 offset:184
	buffer_load_dword v57, off, s[0:3], 0 offset:188
	v_mov_b32_e32 v58, 0
	buffer_store_dword v58, off, s[0:3], 0 offset:184
	buffer_store_dword v58, off, s[0:3], 0 offset:188
	s_waitcnt vmcnt(2)
	ds_write_b64 v55, v[56:57]
.LBB90_123:
	s_or_b64 exec, exec, s[4:5]
	s_waitcnt lgkmcnt(0)
	; wave barrier
	buffer_load_dword v61, off, s[0:3], 0 offset:192
	buffer_load_dword v62, off, s[0:3], 0 offset:196
	;; [unrolled: 1-line block ×8, first 2 shown]
	v_mov_b32_e32 v56, 0
	ds_read_b128 v[57:60], v56 offset:416
	ds_read_b64 v[69:70], v56 offset:432
	v_cmp_lt_u32_e32 vcc, 22, v0
	s_waitcnt vmcnt(6) lgkmcnt(1)
	v_fma_f64 v[57:58], v[61:62], v[57:58], 0
	s_waitcnt vmcnt(4)
	v_fma_f64 v[57:58], v[63:64], v[59:60], v[57:58]
	s_waitcnt vmcnt(2) lgkmcnt(0)
	v_fma_f64 v[57:58], v[65:66], v[69:70], v[57:58]
	s_waitcnt vmcnt(0)
	v_add_f64 v[57:58], v[67:68], -v[57:58]
	buffer_store_dword v57, off, s[0:3], 0 offset:184
	buffer_store_dword v58, off, s[0:3], 0 offset:188
	s_and_saveexec_b64 s[4:5], vcc
	s_cbranch_execz .LBB90_125
; %bb.124:
	buffer_load_dword v57, off, s[0:3], 0 offset:176
	buffer_load_dword v58, off, s[0:3], 0 offset:180
	s_waitcnt vmcnt(0)
	ds_write_b64 v55, v[57:58]
	buffer_store_dword v56, off, s[0:3], 0 offset:176
	buffer_store_dword v56, off, s[0:3], 0 offset:180
.LBB90_125:
	s_or_b64 exec, exec, s[4:5]
	s_waitcnt lgkmcnt(0)
	; wave barrier
	buffer_load_dword v65, off, s[0:3], 0 offset:184
	buffer_load_dword v66, off, s[0:3], 0 offset:188
	;; [unrolled: 1-line block ×10, first 2 shown]
	ds_read2_b64 v[57:60], v56 offset0:51 offset1:52
	ds_read2_b64 v[61:64], v56 offset0:53 offset1:54
	v_cmp_lt_u32_e32 vcc, 21, v0
	s_waitcnt vmcnt(8) lgkmcnt(1)
	v_fma_f64 v[56:57], v[65:66], v[57:58], 0
	s_waitcnt vmcnt(6)
	v_fma_f64 v[56:57], v[67:68], v[59:60], v[56:57]
	s_waitcnt vmcnt(4) lgkmcnt(0)
	v_fma_f64 v[56:57], v[69:70], v[61:62], v[56:57]
	s_waitcnt vmcnt(2)
	v_fma_f64 v[56:57], v[71:72], v[63:64], v[56:57]
	s_waitcnt vmcnt(0)
	v_add_f64 v[56:57], v[73:74], -v[56:57]
	buffer_store_dword v56, off, s[0:3], 0 offset:176
	buffer_store_dword v57, off, s[0:3], 0 offset:180
	s_and_saveexec_b64 s[4:5], vcc
	s_cbranch_execz .LBB90_127
; %bb.126:
	buffer_load_dword v56, off, s[0:3], 0 offset:168
	buffer_load_dword v57, off, s[0:3], 0 offset:172
	v_mov_b32_e32 v58, 0
	buffer_store_dword v58, off, s[0:3], 0 offset:168
	buffer_store_dword v58, off, s[0:3], 0 offset:172
	s_waitcnt vmcnt(2)
	ds_write_b64 v55, v[56:57]
.LBB90_127:
	s_or_b64 exec, exec, s[4:5]
	s_waitcnt lgkmcnt(0)
	; wave barrier
	buffer_load_dword v65, off, s[0:3], 0 offset:176
	buffer_load_dword v66, off, s[0:3], 0 offset:180
	;; [unrolled: 1-line block ×12, first 2 shown]
	v_mov_b32_e32 v56, 0
	ds_read_b128 v[57:60], v56 offset:400
	ds_read_b128 v[61:64], v56 offset:416
	v_cmp_lt_u32_e32 vcc, 20, v0
	s_waitcnt vmcnt(10) lgkmcnt(1)
	v_fma_f64 v[57:58], v[65:66], v[57:58], 0
	s_waitcnt vmcnt(8)
	v_fma_f64 v[57:58], v[67:68], v[59:60], v[57:58]
	ds_read_b64 v[59:60], v56 offset:432
	s_waitcnt vmcnt(6) lgkmcnt(1)
	v_fma_f64 v[57:58], v[69:70], v[61:62], v[57:58]
	s_waitcnt vmcnt(4)
	v_fma_f64 v[57:58], v[71:72], v[63:64], v[57:58]
	s_waitcnt vmcnt(2) lgkmcnt(0)
	v_fma_f64 v[57:58], v[73:74], v[59:60], v[57:58]
	s_waitcnt vmcnt(0)
	v_add_f64 v[57:58], v[75:76], -v[57:58]
	buffer_store_dword v57, off, s[0:3], 0 offset:168
	buffer_store_dword v58, off, s[0:3], 0 offset:172
	s_and_saveexec_b64 s[4:5], vcc
	s_cbranch_execz .LBB90_129
; %bb.128:
	buffer_load_dword v57, off, s[0:3], 0 offset:160
	buffer_load_dword v58, off, s[0:3], 0 offset:164
	s_waitcnt vmcnt(0)
	ds_write_b64 v55, v[57:58]
	buffer_store_dword v56, off, s[0:3], 0 offset:160
	buffer_store_dword v56, off, s[0:3], 0 offset:164
.LBB90_129:
	s_or_b64 exec, exec, s[4:5]
	s_waitcnt lgkmcnt(0)
	; wave barrier
	buffer_load_dword v65, off, s[0:3], 0 offset:168
	buffer_load_dword v66, off, s[0:3], 0 offset:172
	;; [unrolled: 1-line block ×14, first 2 shown]
	ds_read2_b64 v[57:60], v56 offset0:49 offset1:50
	ds_read2_b64 v[61:64], v56 offset0:51 offset1:52
	v_cmp_lt_u32_e32 vcc, 19, v0
	s_waitcnt vmcnt(12) lgkmcnt(1)
	v_fma_f64 v[57:58], v[65:66], v[57:58], 0
	s_waitcnt vmcnt(10)
	v_fma_f64 v[57:58], v[67:68], v[59:60], v[57:58]
	s_waitcnt vmcnt(8) lgkmcnt(0)
	v_fma_f64 v[57:58], v[69:70], v[61:62], v[57:58]
	s_waitcnt vmcnt(6)
	v_fma_f64 v[60:61], v[71:72], v[63:64], v[57:58]
	ds_read2_b64 v[56:59], v56 offset0:53 offset1:54
	s_waitcnt vmcnt(4) lgkmcnt(0)
	v_fma_f64 v[56:57], v[73:74], v[56:57], v[60:61]
	s_waitcnt vmcnt(2)
	v_fma_f64 v[56:57], v[75:76], v[58:59], v[56:57]
	s_waitcnt vmcnt(0)
	v_add_f64 v[56:57], v[77:78], -v[56:57]
	buffer_store_dword v56, off, s[0:3], 0 offset:160
	buffer_store_dword v57, off, s[0:3], 0 offset:164
	s_and_saveexec_b64 s[4:5], vcc
	s_cbranch_execz .LBB90_131
; %bb.130:
	buffer_load_dword v56, off, s[0:3], 0 offset:152
	buffer_load_dword v57, off, s[0:3], 0 offset:156
	v_mov_b32_e32 v58, 0
	buffer_store_dword v58, off, s[0:3], 0 offset:152
	buffer_store_dword v58, off, s[0:3], 0 offset:156
	s_waitcnt vmcnt(2)
	ds_write_b64 v55, v[56:57]
.LBB90_131:
	s_or_b64 exec, exec, s[4:5]
	s_waitcnt lgkmcnt(0)
	; wave barrier
	buffer_load_dword v65, off, s[0:3], 0 offset:160
	buffer_load_dword v66, off, s[0:3], 0 offset:164
	;; [unrolled: 1-line block ×16, first 2 shown]
	v_mov_b32_e32 v56, 0
	ds_read_b128 v[57:60], v56 offset:384
	ds_read_b128 v[61:64], v56 offset:400
	v_cmp_lt_u32_e32 vcc, 18, v0
	s_waitcnt vmcnt(14) lgkmcnt(1)
	v_fma_f64 v[57:58], v[65:66], v[57:58], 0
	s_waitcnt vmcnt(12)
	v_fma_f64 v[57:58], v[67:68], v[59:60], v[57:58]
	s_waitcnt vmcnt(10) lgkmcnt(0)
	v_fma_f64 v[57:58], v[69:70], v[61:62], v[57:58]
	s_waitcnt vmcnt(8)
	v_fma_f64 v[61:62], v[71:72], v[63:64], v[57:58]
	ds_read_b128 v[57:60], v56 offset:416
	ds_read_b64 v[63:64], v56 offset:432
	s_waitcnt vmcnt(6) lgkmcnt(1)
	v_fma_f64 v[57:58], v[73:74], v[57:58], v[61:62]
	s_waitcnt vmcnt(4)
	v_fma_f64 v[57:58], v[75:76], v[59:60], v[57:58]
	s_waitcnt vmcnt(2) lgkmcnt(0)
	v_fma_f64 v[57:58], v[77:78], v[63:64], v[57:58]
	s_waitcnt vmcnt(0)
	v_add_f64 v[57:58], v[79:80], -v[57:58]
	buffer_store_dword v57, off, s[0:3], 0 offset:152
	buffer_store_dword v58, off, s[0:3], 0 offset:156
	s_and_saveexec_b64 s[4:5], vcc
	s_cbranch_execz .LBB90_133
; %bb.132:
	buffer_load_dword v57, off, s[0:3], 0 offset:144
	buffer_load_dword v58, off, s[0:3], 0 offset:148
	s_waitcnt vmcnt(0)
	ds_write_b64 v55, v[57:58]
	buffer_store_dword v56, off, s[0:3], 0 offset:144
	buffer_store_dword v56, off, s[0:3], 0 offset:148
.LBB90_133:
	s_or_b64 exec, exec, s[4:5]
	s_waitcnt lgkmcnt(0)
	; wave barrier
	buffer_load_dword v61, off, s[0:3], 0 offset:144
	buffer_load_dword v62, off, s[0:3], 0 offset:148
	;; [unrolled: 1-line block ×16, first 2 shown]
	ds_read2_b64 v[57:60], v56 offset0:47 offset1:48
	v_cmp_lt_u32_e32 vcc, 17, v0
	s_waitcnt vmcnt(12) lgkmcnt(0)
	v_fma_f64 v[57:58], v[63:64], v[57:58], 0
	s_waitcnt vmcnt(10)
	v_fma_f64 v[63:64], v[65:66], v[59:60], v[57:58]
	ds_read2_b64 v[57:60], v56 offset0:49 offset1:50
	s_waitcnt vmcnt(8) lgkmcnt(0)
	v_fma_f64 v[57:58], v[67:68], v[57:58], v[63:64]
	s_waitcnt vmcnt(6)
	v_fma_f64 v[63:64], v[69:70], v[59:60], v[57:58]
	ds_read2_b64 v[57:60], v56 offset0:51 offset1:52
	;; [unrolled: 5-line block ×3, first 2 shown]
	s_waitcnt vmcnt(0) lgkmcnt(0)
	v_fma_f64 v[56:57], v[75:76], v[56:57], v[63:64]
	buffer_load_dword v64, off, s[0:3], 0 offset:212
	buffer_load_dword v63, off, s[0:3], 0 offset:208
	s_waitcnt vmcnt(0)
	v_fma_f64 v[56:57], v[63:64], v[58:59], v[56:57]
	v_add_f64 v[56:57], v[61:62], -v[56:57]
	buffer_store_dword v56, off, s[0:3], 0 offset:144
	buffer_store_dword v57, off, s[0:3], 0 offset:148
	s_and_saveexec_b64 s[4:5], vcc
	s_cbranch_execz .LBB90_135
; %bb.134:
	buffer_load_dword v56, off, s[0:3], 0 offset:136
	buffer_load_dword v57, off, s[0:3], 0 offset:140
	v_mov_b32_e32 v58, 0
	buffer_store_dword v58, off, s[0:3], 0 offset:136
	buffer_store_dword v58, off, s[0:3], 0 offset:140
	s_waitcnt vmcnt(2)
	ds_write_b64 v55, v[56:57]
.LBB90_135:
	s_or_b64 exec, exec, s[4:5]
	s_waitcnt lgkmcnt(0)
	; wave barrier
	buffer_load_dword v61, off, s[0:3], 0 offset:144
	buffer_load_dword v62, off, s[0:3], 0 offset:148
	;; [unrolled: 1-line block ×20, first 2 shown]
	v_mov_b32_e32 v56, 0
	ds_read_b128 v[57:60], v56 offset:368
	v_cmp_lt_u32_e32 vcc, 16, v0
	s_waitcnt vmcnt(18) lgkmcnt(0)
	v_fma_f64 v[57:58], v[61:62], v[57:58], 0
	s_waitcnt vmcnt(16)
	v_fma_f64 v[61:62], v[63:64], v[59:60], v[57:58]
	ds_read_b128 v[57:60], v56 offset:384
	s_waitcnt vmcnt(14) lgkmcnt(0)
	v_fma_f64 v[57:58], v[65:66], v[57:58], v[61:62]
	s_waitcnt vmcnt(12)
	v_fma_f64 v[61:62], v[67:68], v[59:60], v[57:58]
	ds_read_b128 v[57:60], v56 offset:400
	;; [unrolled: 5-line block ×3, first 2 shown]
	s_waitcnt vmcnt(6) lgkmcnt(0)
	v_fma_f64 v[57:58], v[73:74], v[57:58], v[61:62]
	s_waitcnt vmcnt(4)
	v_fma_f64 v[57:58], v[75:76], v[59:60], v[57:58]
	ds_read_b64 v[59:60], v56 offset:432
	s_waitcnt vmcnt(2) lgkmcnt(0)
	v_fma_f64 v[57:58], v[77:78], v[59:60], v[57:58]
	s_waitcnt vmcnt(0)
	v_add_f64 v[57:58], v[79:80], -v[57:58]
	buffer_store_dword v57, off, s[0:3], 0 offset:136
	buffer_store_dword v58, off, s[0:3], 0 offset:140
	s_and_saveexec_b64 s[4:5], vcc
	s_cbranch_execz .LBB90_137
; %bb.136:
	buffer_load_dword v57, off, s[0:3], 0 offset:128
	buffer_load_dword v58, off, s[0:3], 0 offset:132
	s_waitcnt vmcnt(0)
	ds_write_b64 v55, v[57:58]
	buffer_store_dword v56, off, s[0:3], 0 offset:128
	buffer_store_dword v56, off, s[0:3], 0 offset:132
.LBB90_137:
	s_or_b64 exec, exec, s[4:5]
	s_waitcnt lgkmcnt(0)
	; wave barrier
	buffer_load_dword v61, off, s[0:3], 0 offset:136
	buffer_load_dword v62, off, s[0:3], 0 offset:140
	;; [unrolled: 1-line block ×20, first 2 shown]
	ds_read2_b64 v[57:60], v56 offset0:45 offset1:46
	buffer_load_dword v81, off, s[0:3], 0 offset:128
	buffer_load_dword v82, off, s[0:3], 0 offset:132
	v_cmp_lt_u32_e32 vcc, 15, v0
	s_waitcnt vmcnt(20) lgkmcnt(0)
	v_fma_f64 v[57:58], v[61:62], v[57:58], 0
	s_waitcnt vmcnt(18)
	v_fma_f64 v[61:62], v[63:64], v[59:60], v[57:58]
	ds_read2_b64 v[57:60], v56 offset0:47 offset1:48
	s_waitcnt vmcnt(16) lgkmcnt(0)
	v_fma_f64 v[57:58], v[65:66], v[57:58], v[61:62]
	s_waitcnt vmcnt(14)
	v_fma_f64 v[61:62], v[67:68], v[59:60], v[57:58]
	ds_read2_b64 v[57:60], v56 offset0:49 offset1:50
	;; [unrolled: 5-line block ×4, first 2 shown]
	s_waitcnt vmcnt(4) lgkmcnt(0)
	v_fma_f64 v[56:57], v[77:78], v[56:57], v[60:61]
	s_waitcnt vmcnt(2)
	v_fma_f64 v[56:57], v[79:80], v[58:59], v[56:57]
	s_waitcnt vmcnt(0)
	v_add_f64 v[56:57], v[81:82], -v[56:57]
	buffer_store_dword v56, off, s[0:3], 0 offset:128
	buffer_store_dword v57, off, s[0:3], 0 offset:132
	s_and_saveexec_b64 s[4:5], vcc
	s_cbranch_execz .LBB90_139
; %bb.138:
	buffer_load_dword v56, off, s[0:3], 0 offset:120
	buffer_load_dword v57, off, s[0:3], 0 offset:124
	v_mov_b32_e32 v58, 0
	buffer_store_dword v58, off, s[0:3], 0 offset:120
	buffer_store_dword v58, off, s[0:3], 0 offset:124
	s_waitcnt vmcnt(2)
	ds_write_b64 v55, v[56:57]
.LBB90_139:
	s_or_b64 exec, exec, s[4:5]
	s_waitcnt lgkmcnt(0)
	; wave barrier
	buffer_load_dword v65, off, s[0:3], 0 offset:128
	buffer_load_dword v66, off, s[0:3], 0 offset:132
	;; [unrolled: 1-line block ×21, first 2 shown]
	v_mov_b32_e32 v56, 0
	ds_read_b128 v[57:60], v56 offset:352
	ds_read_b128 v[61:64], v56 offset:368
	buffer_load_dword v82, off, s[0:3], 0 offset:212
	v_cmp_lt_u32_e32 vcc, 14, v0
	s_waitcnt vmcnt(20) lgkmcnt(1)
	v_fma_f64 v[57:58], v[65:66], v[57:58], 0
	buffer_load_dword v65, off, s[0:3], 0 offset:120
	buffer_load_dword v66, off, s[0:3], 0 offset:124
	s_waitcnt vmcnt(20)
	v_fma_f64 v[57:58], v[67:68], v[59:60], v[57:58]
	s_waitcnt vmcnt(18) lgkmcnt(0)
	v_fma_f64 v[57:58], v[69:70], v[61:62], v[57:58]
	s_waitcnt vmcnt(16)
	v_fma_f64 v[67:68], v[71:72], v[63:64], v[57:58]
	ds_read_b128 v[57:60], v56 offset:384
	ds_read_b128 v[61:64], v56 offset:400
	s_waitcnt vmcnt(14) lgkmcnt(1)
	v_fma_f64 v[57:58], v[73:74], v[57:58], v[67:68]
	s_waitcnt vmcnt(12)
	v_fma_f64 v[57:58], v[75:76], v[59:60], v[57:58]
	s_waitcnt vmcnt(10) lgkmcnt(0)
	v_fma_f64 v[57:58], v[77:78], v[61:62], v[57:58]
	s_waitcnt vmcnt(5)
	v_fma_f64 v[61:62], v[79:80], v[63:64], v[57:58]
	ds_read_b128 v[57:60], v56 offset:416
	ds_read_b64 v[63:64], v56 offset:432
	s_waitcnt vmcnt(4) lgkmcnt(1)
	v_fma_f64 v[57:58], v[85:86], v[57:58], v[61:62]
	s_waitcnt vmcnt(3)
	v_fma_f64 v[57:58], v[83:84], v[59:60], v[57:58]
	s_waitcnt vmcnt(2) lgkmcnt(0)
	v_fma_f64 v[57:58], v[81:82], v[63:64], v[57:58]
	s_waitcnt vmcnt(0)
	v_add_f64 v[57:58], v[65:66], -v[57:58]
	buffer_store_dword v58, off, s[0:3], 0 offset:124
	buffer_store_dword v57, off, s[0:3], 0 offset:120
	s_and_saveexec_b64 s[4:5], vcc
	s_cbranch_execz .LBB90_141
; %bb.140:
	buffer_load_dword v57, off, s[0:3], 0 offset:112
	buffer_load_dword v58, off, s[0:3], 0 offset:116
	s_waitcnt vmcnt(0)
	ds_write_b64 v55, v[57:58]
	buffer_store_dword v56, off, s[0:3], 0 offset:112
	buffer_store_dword v56, off, s[0:3], 0 offset:116
.LBB90_141:
	s_or_b64 exec, exec, s[4:5]
	s_waitcnt lgkmcnt(0)
	; wave barrier
	buffer_load_dword v65, off, s[0:3], 0 offset:120
	buffer_load_dword v66, off, s[0:3], 0 offset:124
	;; [unrolled: 1-line block ×21, first 2 shown]
	ds_read2_b64 v[57:60], v56 offset0:43 offset1:44
	ds_read2_b64 v[61:64], v56 offset0:45 offset1:46
	buffer_load_dword v82, off, s[0:3], 0 offset:204
	v_cmp_lt_u32_e32 vcc, 13, v0
	s_waitcnt vmcnt(20) lgkmcnt(1)
	v_fma_f64 v[57:58], v[65:66], v[57:58], 0
	buffer_load_dword v66, off, s[0:3], 0 offset:212
	buffer_load_dword v65, off, s[0:3], 0 offset:208
	s_waitcnt vmcnt(20)
	v_fma_f64 v[57:58], v[67:68], v[59:60], v[57:58]
	buffer_load_dword v67, off, s[0:3], 0 offset:112
	buffer_load_dword v68, off, s[0:3], 0 offset:116
	s_waitcnt vmcnt(20) lgkmcnt(0)
	v_fma_f64 v[57:58], v[69:70], v[61:62], v[57:58]
	s_waitcnt vmcnt(18)
	v_fma_f64 v[69:70], v[71:72], v[63:64], v[57:58]
	ds_read2_b64 v[57:60], v56 offset0:47 offset1:48
	ds_read2_b64 v[61:64], v56 offset0:49 offset1:50
	s_waitcnt vmcnt(16) lgkmcnt(1)
	v_fma_f64 v[57:58], v[73:74], v[57:58], v[69:70]
	s_waitcnt vmcnt(14)
	v_fma_f64 v[57:58], v[75:76], v[59:60], v[57:58]
	s_waitcnt vmcnt(12) lgkmcnt(0)
	v_fma_f64 v[57:58], v[77:78], v[61:62], v[57:58]
	s_waitcnt vmcnt(7)
	v_fma_f64 v[69:70], v[79:80], v[63:64], v[57:58]
	ds_read2_b64 v[57:60], v56 offset0:51 offset1:52
	ds_read2_b64 v[61:64], v56 offset0:53 offset1:54
	s_waitcnt vmcnt(6) lgkmcnt(1)
	v_fma_f64 v[56:57], v[85:86], v[57:58], v[69:70]
	s_waitcnt vmcnt(5)
	v_fma_f64 v[56:57], v[83:84], v[59:60], v[56:57]
	s_waitcnt vmcnt(4) lgkmcnt(0)
	v_fma_f64 v[56:57], v[81:82], v[61:62], v[56:57]
	s_waitcnt vmcnt(2)
	v_fma_f64 v[56:57], v[65:66], v[63:64], v[56:57]
	s_waitcnt vmcnt(0)
	v_add_f64 v[56:57], v[67:68], -v[56:57]
	buffer_store_dword v57, off, s[0:3], 0 offset:116
	buffer_store_dword v56, off, s[0:3], 0 offset:112
	s_and_saveexec_b64 s[4:5], vcc
	s_cbranch_execz .LBB90_143
; %bb.142:
	buffer_load_dword v56, off, s[0:3], 0 offset:104
	buffer_load_dword v57, off, s[0:3], 0 offset:108
	v_mov_b32_e32 v58, 0
	buffer_store_dword v58, off, s[0:3], 0 offset:104
	buffer_store_dword v58, off, s[0:3], 0 offset:108
	s_waitcnt vmcnt(2)
	ds_write_b64 v55, v[56:57]
.LBB90_143:
	s_or_b64 exec, exec, s[4:5]
	s_waitcnt lgkmcnt(0)
	; wave barrier
	buffer_load_dword v65, off, s[0:3], 0 offset:112
	buffer_load_dword v66, off, s[0:3], 0 offset:116
	;; [unrolled: 1-line block ×21, first 2 shown]
	v_mov_b32_e32 v56, 0
	ds_read_b128 v[57:60], v56 offset:336
	ds_read_b128 v[61:64], v56 offset:352
	buffer_load_dword v82, off, s[0:3], 0 offset:196
	v_cmp_lt_u32_e32 vcc, 12, v0
	s_waitcnt vmcnt(20) lgkmcnt(1)
	v_fma_f64 v[57:58], v[65:66], v[57:58], 0
	s_waitcnt vmcnt(18)
	v_fma_f64 v[57:58], v[67:68], v[59:60], v[57:58]
	buffer_load_dword v66, off, s[0:3], 0 offset:204
	buffer_load_dword v67, off, s[0:3], 0 offset:208
	;; [unrolled: 1-line block ×4, first 2 shown]
	s_waitcnt vmcnt(20) lgkmcnt(0)
	v_fma_f64 v[57:58], v[69:70], v[61:62], v[57:58]
	buffer_load_dword v69, off, s[0:3], 0 offset:104
	buffer_load_dword v70, off, s[0:3], 0 offset:108
	s_waitcnt vmcnt(20)
	v_fma_f64 v[71:72], v[71:72], v[63:64], v[57:58]
	ds_read_b128 v[57:60], v56 offset:368
	ds_read_b128 v[61:64], v56 offset:384
	s_waitcnt vmcnt(18) lgkmcnt(1)
	v_fma_f64 v[57:58], v[73:74], v[57:58], v[71:72]
	s_waitcnt vmcnt(16)
	v_fma_f64 v[57:58], v[75:76], v[59:60], v[57:58]
	s_waitcnt vmcnt(14) lgkmcnt(0)
	v_fma_f64 v[57:58], v[77:78], v[61:62], v[57:58]
	s_waitcnt vmcnt(9)
	v_fma_f64 v[71:72], v[79:80], v[63:64], v[57:58]
	ds_read_b128 v[57:60], v56 offset:400
	ds_read_b128 v[61:64], v56 offset:416
	s_waitcnt vmcnt(8) lgkmcnt(1)
	v_fma_f64 v[57:58], v[85:86], v[57:58], v[71:72]
	s_waitcnt vmcnt(7)
	v_fma_f64 v[57:58], v[83:84], v[59:60], v[57:58]
	ds_read_b64 v[59:60], v56 offset:432
	s_waitcnt vmcnt(6) lgkmcnt(1)
	v_fma_f64 v[57:58], v[81:82], v[61:62], v[57:58]
	s_waitcnt vmcnt(3)
	v_fma_f64 v[57:58], v[65:66], v[63:64], v[57:58]
	s_waitcnt vmcnt(2) lgkmcnt(0)
	v_fma_f64 v[57:58], v[67:68], v[59:60], v[57:58]
	s_waitcnt vmcnt(0)
	v_add_f64 v[57:58], v[69:70], -v[57:58]
	buffer_store_dword v58, off, s[0:3], 0 offset:108
	buffer_store_dword v57, off, s[0:3], 0 offset:104
	s_and_saveexec_b64 s[4:5], vcc
	s_cbranch_execz .LBB90_145
; %bb.144:
	buffer_load_dword v57, off, s[0:3], 0 offset:96
	buffer_load_dword v58, off, s[0:3], 0 offset:100
	s_waitcnt vmcnt(0)
	ds_write_b64 v55, v[57:58]
	buffer_store_dword v56, off, s[0:3], 0 offset:96
	buffer_store_dword v56, off, s[0:3], 0 offset:100
.LBB90_145:
	s_or_b64 exec, exec, s[4:5]
	s_waitcnt lgkmcnt(0)
	; wave barrier
	buffer_load_dword v65, off, s[0:3], 0 offset:104
	buffer_load_dword v66, off, s[0:3], 0 offset:108
	;; [unrolled: 1-line block ×22, first 2 shown]
	ds_read2_b64 v[57:60], v56 offset0:41 offset1:42
	ds_read2_b64 v[61:64], v56 offset0:43 offset1:44
	v_cmp_lt_u32_e32 vcc, 11, v0
	s_waitcnt vmcnt(20) lgkmcnt(1)
	v_fma_f64 v[57:58], v[65:66], v[57:58], 0
	s_waitcnt vmcnt(18)
	v_fma_f64 v[57:58], v[67:68], v[59:60], v[57:58]
	buffer_load_dword v66, off, s[0:3], 0 offset:196
	buffer_load_dword v67, off, s[0:3], 0 offset:208
	;; [unrolled: 1-line block ×6, first 2 shown]
	s_waitcnt vmcnt(22) lgkmcnt(0)
	v_fma_f64 v[57:58], v[69:70], v[61:62], v[57:58]
	s_waitcnt vmcnt(20)
	v_fma_f64 v[69:70], v[71:72], v[63:64], v[57:58]
	ds_read2_b64 v[57:60], v56 offset0:45 offset1:46
	buffer_load_dword v71, off, s[0:3], 0 offset:96
	buffer_load_dword v72, off, s[0:3], 0 offset:100
	ds_read2_b64 v[61:64], v56 offset0:47 offset1:48
	s_waitcnt vmcnt(20) lgkmcnt(1)
	v_fma_f64 v[57:58], v[73:74], v[57:58], v[69:70]
	s_waitcnt vmcnt(18)
	v_fma_f64 v[57:58], v[75:76], v[59:60], v[57:58]
	s_waitcnt vmcnt(16) lgkmcnt(0)
	v_fma_f64 v[57:58], v[77:78], v[61:62], v[57:58]
	s_waitcnt vmcnt(11)
	v_fma_f64 v[69:70], v[79:80], v[63:64], v[57:58]
	ds_read2_b64 v[57:60], v56 offset0:49 offset1:50
	ds_read2_b64 v[61:64], v56 offset0:51 offset1:52
	s_waitcnt vmcnt(10) lgkmcnt(1)
	v_fma_f64 v[57:58], v[85:86], v[57:58], v[69:70]
	s_waitcnt vmcnt(9)
	v_fma_f64 v[57:58], v[83:84], v[59:60], v[57:58]
	s_waitcnt vmcnt(8) lgkmcnt(0)
	v_fma_f64 v[57:58], v[81:82], v[61:62], v[57:58]
	s_waitcnt vmcnt(4)
	v_fma_f64 v[60:61], v[65:66], v[63:64], v[57:58]
	ds_read2_b64 v[56:59], v56 offset0:53 offset1:54
	s_waitcnt vmcnt(3) lgkmcnt(0)
	v_fma_f64 v[56:57], v[87:88], v[56:57], v[60:61]
	s_waitcnt vmcnt(2)
	v_fma_f64 v[56:57], v[67:68], v[58:59], v[56:57]
	s_waitcnt vmcnt(0)
	v_add_f64 v[56:57], v[71:72], -v[56:57]
	buffer_store_dword v57, off, s[0:3], 0 offset:100
	buffer_store_dword v56, off, s[0:3], 0 offset:96
	s_and_saveexec_b64 s[4:5], vcc
	s_cbranch_execz .LBB90_147
; %bb.146:
	buffer_load_dword v56, off, s[0:3], 0 offset:88
	buffer_load_dword v57, off, s[0:3], 0 offset:92
	v_mov_b32_e32 v58, 0
	buffer_store_dword v58, off, s[0:3], 0 offset:88
	buffer_store_dword v58, off, s[0:3], 0 offset:92
	s_waitcnt vmcnt(2)
	ds_write_b64 v55, v[56:57]
.LBB90_147:
	s_or_b64 exec, exec, s[4:5]
	s_waitcnt lgkmcnt(0)
	; wave barrier
	buffer_load_dword v65, off, s[0:3], 0 offset:96
	buffer_load_dword v66, off, s[0:3], 0 offset:100
	;; [unrolled: 1-line block ×22, first 2 shown]
	v_mov_b32_e32 v56, 0
	ds_read_b128 v[57:60], v56 offset:320
	ds_read_b128 v[61:64], v56 offset:336
	v_cmp_lt_u32_e32 vcc, 10, v0
	s_waitcnt vmcnt(20) lgkmcnt(1)
	v_fma_f64 v[57:58], v[65:66], v[57:58], 0
	s_waitcnt vmcnt(18)
	v_fma_f64 v[57:58], v[67:68], v[59:60], v[57:58]
	buffer_load_dword v66, off, s[0:3], 0 offset:188
	buffer_load_dword v67, off, s[0:3], 0 offset:208
	;; [unrolled: 1-line block ×8, first 2 shown]
	s_waitcnt vmcnt(24) lgkmcnt(0)
	v_fma_f64 v[57:58], v[69:70], v[61:62], v[57:58]
	s_waitcnt vmcnt(22)
	v_fma_f64 v[69:70], v[71:72], v[63:64], v[57:58]
	ds_read_b128 v[57:60], v56 offset:352
	ds_read_b128 v[61:64], v56 offset:368
	s_waitcnt vmcnt(20) lgkmcnt(1)
	v_fma_f64 v[57:58], v[73:74], v[57:58], v[69:70]
	buffer_load_dword v69, off, s[0:3], 0 offset:88
	buffer_load_dword v70, off, s[0:3], 0 offset:92
	s_waitcnt vmcnt(20)
	v_fma_f64 v[57:58], v[75:76], v[59:60], v[57:58]
	s_waitcnt vmcnt(18) lgkmcnt(0)
	v_fma_f64 v[57:58], v[77:78], v[61:62], v[57:58]
	s_waitcnt vmcnt(13)
	v_fma_f64 v[71:72], v[79:80], v[63:64], v[57:58]
	ds_read_b128 v[57:60], v56 offset:384
	ds_read_b128 v[61:64], v56 offset:400
	s_waitcnt vmcnt(12) lgkmcnt(1)
	v_fma_f64 v[57:58], v[85:86], v[57:58], v[71:72]
	s_waitcnt vmcnt(11)
	v_fma_f64 v[57:58], v[83:84], v[59:60], v[57:58]
	s_waitcnt vmcnt(10) lgkmcnt(0)
	v_fma_f64 v[57:58], v[81:82], v[61:62], v[57:58]
	s_waitcnt vmcnt(5)
	v_fma_f64 v[61:62], v[65:66], v[63:64], v[57:58]
	ds_read_b128 v[57:60], v56 offset:416
	ds_read_b64 v[63:64], v56 offset:432
	s_waitcnt vmcnt(4) lgkmcnt(1)
	v_fma_f64 v[57:58], v[89:90], v[57:58], v[61:62]
	s_waitcnt vmcnt(3)
	v_fma_f64 v[57:58], v[87:88], v[59:60], v[57:58]
	s_waitcnt vmcnt(2) lgkmcnt(0)
	v_fma_f64 v[57:58], v[67:68], v[63:64], v[57:58]
	s_waitcnt vmcnt(0)
	v_add_f64 v[57:58], v[69:70], -v[57:58]
	buffer_store_dword v58, off, s[0:3], 0 offset:92
	buffer_store_dword v57, off, s[0:3], 0 offset:88
	s_and_saveexec_b64 s[4:5], vcc
	s_cbranch_execz .LBB90_149
; %bb.148:
	buffer_load_dword v57, off, s[0:3], 0 offset:80
	buffer_load_dword v58, off, s[0:3], 0 offset:84
	s_waitcnt vmcnt(0)
	ds_write_b64 v55, v[57:58]
	buffer_store_dword v56, off, s[0:3], 0 offset:80
	buffer_store_dword v56, off, s[0:3], 0 offset:84
.LBB90_149:
	s_or_b64 exec, exec, s[4:5]
	s_waitcnt lgkmcnt(0)
	; wave barrier
	buffer_load_dword v65, off, s[0:3], 0 offset:88
	buffer_load_dword v66, off, s[0:3], 0 offset:92
	;; [unrolled: 1-line block ×22, first 2 shown]
	ds_read2_b64 v[57:60], v56 offset0:39 offset1:40
	ds_read2_b64 v[61:64], v56 offset0:41 offset1:42
	v_cmp_lt_u32_e32 vcc, 9, v0
	s_waitcnt vmcnt(20) lgkmcnt(1)
	v_fma_f64 v[57:58], v[65:66], v[57:58], 0
	s_waitcnt vmcnt(18)
	v_fma_f64 v[57:58], v[67:68], v[59:60], v[57:58]
	buffer_load_dword v66, off, s[0:3], 0 offset:180
	buffer_load_dword v67, off, s[0:3], 0 offset:200
	;; [unrolled: 1-line block ×8, first 2 shown]
	s_waitcnt vmcnt(24) lgkmcnt(0)
	v_fma_f64 v[57:58], v[69:70], v[61:62], v[57:58]
	s_waitcnt vmcnt(22)
	v_fma_f64 v[69:70], v[71:72], v[63:64], v[57:58]
	ds_read2_b64 v[57:60], v56 offset0:43 offset1:44
	ds_read2_b64 v[61:64], v56 offset0:45 offset1:46
	s_waitcnt vmcnt(20) lgkmcnt(1)
	v_fma_f64 v[57:58], v[73:74], v[57:58], v[69:70]
	buffer_load_dword v70, off, s[0:3], 0 offset:212
	buffer_load_dword v69, off, s[0:3], 0 offset:208
	;; [unrolled: 1-line block ×4, first 2 shown]
	s_waitcnt vmcnt(22)
	v_fma_f64 v[57:58], v[75:76], v[59:60], v[57:58]
	s_waitcnt vmcnt(20) lgkmcnt(0)
	v_fma_f64 v[57:58], v[77:78], v[61:62], v[57:58]
	s_waitcnt vmcnt(15)
	v_fma_f64 v[73:74], v[79:80], v[63:64], v[57:58]
	ds_read2_b64 v[57:60], v56 offset0:47 offset1:48
	ds_read2_b64 v[61:64], v56 offset0:49 offset1:50
	s_waitcnt vmcnt(14) lgkmcnt(1)
	v_fma_f64 v[57:58], v[85:86], v[57:58], v[73:74]
	s_waitcnt vmcnt(13)
	v_fma_f64 v[57:58], v[83:84], v[59:60], v[57:58]
	s_waitcnt vmcnt(12) lgkmcnt(0)
	v_fma_f64 v[57:58], v[81:82], v[61:62], v[57:58]
	s_waitcnt vmcnt(7)
	v_fma_f64 v[65:66], v[65:66], v[63:64], v[57:58]
	ds_read2_b64 v[57:60], v56 offset0:51 offset1:52
	ds_read2_b64 v[61:64], v56 offset0:53 offset1:54
	s_waitcnt vmcnt(6) lgkmcnt(1)
	v_fma_f64 v[56:57], v[89:90], v[57:58], v[65:66]
	s_waitcnt vmcnt(5)
	v_fma_f64 v[56:57], v[87:88], v[59:60], v[56:57]
	s_waitcnt vmcnt(4) lgkmcnt(0)
	v_fma_f64 v[56:57], v[67:68], v[61:62], v[56:57]
	s_waitcnt vmcnt(2)
	v_fma_f64 v[56:57], v[69:70], v[63:64], v[56:57]
	s_waitcnt vmcnt(0)
	v_add_f64 v[56:57], v[71:72], -v[56:57]
	buffer_store_dword v57, off, s[0:3], 0 offset:84
	buffer_store_dword v56, off, s[0:3], 0 offset:80
	s_and_saveexec_b64 s[4:5], vcc
	s_cbranch_execz .LBB90_151
; %bb.150:
	buffer_load_dword v56, off, s[0:3], 0 offset:72
	buffer_load_dword v57, off, s[0:3], 0 offset:76
	v_mov_b32_e32 v58, 0
	buffer_store_dword v58, off, s[0:3], 0 offset:72
	buffer_store_dword v58, off, s[0:3], 0 offset:76
	s_waitcnt vmcnt(2)
	ds_write_b64 v55, v[56:57]
.LBB90_151:
	s_or_b64 exec, exec, s[4:5]
	s_waitcnt lgkmcnt(0)
	; wave barrier
	buffer_load_dword v65, off, s[0:3], 0 offset:80
	buffer_load_dword v66, off, s[0:3], 0 offset:84
	;; [unrolled: 1-line block ×22, first 2 shown]
	v_mov_b32_e32 v56, 0
	ds_read_b128 v[57:60], v56 offset:304
	ds_read_b128 v[61:64], v56 offset:320
	v_cmp_lt_u32_e32 vcc, 8, v0
	s_waitcnt vmcnt(20) lgkmcnt(1)
	v_fma_f64 v[57:58], v[65:66], v[57:58], 0
	s_waitcnt vmcnt(18)
	v_fma_f64 v[57:58], v[67:68], v[59:60], v[57:58]
	buffer_load_dword v66, off, s[0:3], 0 offset:172
	buffer_load_dword v67, off, s[0:3], 0 offset:192
	;; [unrolled: 1-line block ×7, first 2 shown]
	s_waitcnt vmcnt(23) lgkmcnt(0)
	v_fma_f64 v[57:58], v[69:70], v[61:62], v[57:58]
	s_waitcnt vmcnt(21)
	v_fma_f64 v[68:69], v[71:72], v[63:64], v[57:58]
	ds_read_b128 v[57:60], v56 offset:336
	ds_read_b128 v[61:64], v56 offset:352
	s_waitcnt vmcnt(19) lgkmcnt(1)
	v_fma_f64 v[57:58], v[73:74], v[57:58], v[68:69]
	buffer_load_dword v68, off, s[0:3], 0 offset:196
	buffer_load_dword v70, off, s[0:3], 0 offset:204
	buffer_load_dword v71, off, s[0:3], 0 offset:208
	buffer_load_dword v69, off, s[0:3], 0 offset:200
	buffer_load_dword v72, off, s[0:3], 0 offset:212
	buffer_load_dword v73, off, s[0:3], 0 offset:72
	buffer_load_dword v74, off, s[0:3], 0 offset:76
	s_waitcnt vmcnt(24)
	v_fma_f64 v[57:58], v[75:76], v[59:60], v[57:58]
	s_waitcnt vmcnt(22) lgkmcnt(0)
	v_fma_f64 v[57:58], v[77:78], v[61:62], v[57:58]
	s_waitcnt vmcnt(17)
	v_fma_f64 v[75:76], v[79:80], v[63:64], v[57:58]
	ds_read_b128 v[57:60], v56 offset:368
	ds_read_b128 v[61:64], v56 offset:384
	s_waitcnt vmcnt(16) lgkmcnt(1)
	v_fma_f64 v[57:58], v[85:86], v[57:58], v[75:76]
	s_waitcnt vmcnt(15)
	v_fma_f64 v[57:58], v[83:84], v[59:60], v[57:58]
	s_waitcnt vmcnt(14) lgkmcnt(0)
	v_fma_f64 v[57:58], v[81:82], v[61:62], v[57:58]
	s_waitcnt vmcnt(9)
	v_fma_f64 v[65:66], v[65:66], v[63:64], v[57:58]
	ds_read_b128 v[57:60], v56 offset:400
	ds_read_b128 v[61:64], v56 offset:416
	s_waitcnt vmcnt(8) lgkmcnt(1)
	v_fma_f64 v[57:58], v[89:90], v[57:58], v[65:66]
	s_waitcnt vmcnt(7)
	v_fma_f64 v[57:58], v[87:88], v[59:60], v[57:58]
	ds_read_b64 v[59:60], v56 offset:432
	s_waitcnt vmcnt(6) lgkmcnt(1)
	v_fma_f64 v[57:58], v[67:68], v[61:62], v[57:58]
	s_waitcnt vmcnt(3)
	v_fma_f64 v[57:58], v[69:70], v[63:64], v[57:58]
	s_waitcnt vmcnt(2) lgkmcnt(0)
	v_fma_f64 v[57:58], v[71:72], v[59:60], v[57:58]
	s_waitcnt vmcnt(0)
	v_add_f64 v[57:58], v[73:74], -v[57:58]
	buffer_store_dword v58, off, s[0:3], 0 offset:76
	buffer_store_dword v57, off, s[0:3], 0 offset:72
	s_and_saveexec_b64 s[4:5], vcc
	s_cbranch_execz .LBB90_153
; %bb.152:
	buffer_load_dword v57, off, s[0:3], 0 offset:64
	buffer_load_dword v58, off, s[0:3], 0 offset:68
	s_waitcnt vmcnt(0)
	ds_write_b64 v55, v[57:58]
	buffer_store_dword v56, off, s[0:3], 0 offset:64
	buffer_store_dword v56, off, s[0:3], 0 offset:68
.LBB90_153:
	s_or_b64 exec, exec, s[4:5]
	s_waitcnt lgkmcnt(0)
	; wave barrier
	buffer_load_dword v65, off, s[0:3], 0 offset:72
	buffer_load_dword v66, off, s[0:3], 0 offset:76
	;; [unrolled: 1-line block ×22, first 2 shown]
	ds_read2_b64 v[57:60], v56 offset0:37 offset1:38
	ds_read2_b64 v[61:64], v56 offset0:39 offset1:40
	v_cmp_lt_u32_e32 vcc, 7, v0
	s_waitcnt vmcnt(20) lgkmcnt(1)
	v_fma_f64 v[57:58], v[65:66], v[57:58], 0
	s_waitcnt vmcnt(18)
	v_fma_f64 v[57:58], v[67:68], v[59:60], v[57:58]
	buffer_load_dword v66, off, s[0:3], 0 offset:164
	buffer_load_dword v67, off, s[0:3], 0 offset:184
	;; [unrolled: 1-line block ×7, first 2 shown]
	s_waitcnt vmcnt(23) lgkmcnt(0)
	v_fma_f64 v[57:58], v[69:70], v[61:62], v[57:58]
	s_waitcnt vmcnt(21)
	v_fma_f64 v[68:69], v[71:72], v[63:64], v[57:58]
	ds_read2_b64 v[57:60], v56 offset0:41 offset1:42
	ds_read2_b64 v[61:64], v56 offset0:43 offset1:44
	s_waitcnt vmcnt(19) lgkmcnt(1)
	v_fma_f64 v[57:58], v[73:74], v[57:58], v[68:69]
	buffer_load_dword v68, off, s[0:3], 0 offset:188
	buffer_load_dword v70, off, s[0:3], 0 offset:196
	;; [unrolled: 1-line block ×7, first 2 shown]
	s_waitcnt vmcnt(24)
	v_fma_f64 v[57:58], v[75:76], v[59:60], v[57:58]
	s_waitcnt vmcnt(22) lgkmcnt(0)
	v_fma_f64 v[57:58], v[77:78], v[61:62], v[57:58]
	s_waitcnt vmcnt(17)
	v_fma_f64 v[75:76], v[79:80], v[63:64], v[57:58]
	ds_read2_b64 v[57:60], v56 offset0:45 offset1:46
	buffer_load_dword v77, off, s[0:3], 0 offset:64
	buffer_load_dword v78, off, s[0:3], 0 offset:68
	ds_read2_b64 v[61:64], v56 offset0:47 offset1:48
	s_waitcnt vmcnt(18) lgkmcnt(1)
	v_fma_f64 v[57:58], v[85:86], v[57:58], v[75:76]
	s_waitcnt vmcnt(17)
	v_fma_f64 v[57:58], v[83:84], v[59:60], v[57:58]
	s_waitcnt vmcnt(16) lgkmcnt(0)
	v_fma_f64 v[57:58], v[81:82], v[61:62], v[57:58]
	s_waitcnt vmcnt(11)
	v_fma_f64 v[65:66], v[65:66], v[63:64], v[57:58]
	ds_read2_b64 v[57:60], v56 offset0:49 offset1:50
	ds_read2_b64 v[61:64], v56 offset0:51 offset1:52
	s_waitcnt vmcnt(10) lgkmcnt(1)
	v_fma_f64 v[57:58], v[89:90], v[57:58], v[65:66]
	s_waitcnt vmcnt(9)
	v_fma_f64 v[57:58], v[87:88], v[59:60], v[57:58]
	s_waitcnt vmcnt(8) lgkmcnt(0)
	v_fma_f64 v[57:58], v[67:68], v[61:62], v[57:58]
	s_waitcnt vmcnt(4)
	v_fma_f64 v[60:61], v[69:70], v[63:64], v[57:58]
	ds_read2_b64 v[56:59], v56 offset0:53 offset1:54
	s_waitcnt vmcnt(3) lgkmcnt(0)
	v_fma_f64 v[56:57], v[73:74], v[56:57], v[60:61]
	s_waitcnt vmcnt(2)
	v_fma_f64 v[56:57], v[71:72], v[58:59], v[56:57]
	s_waitcnt vmcnt(0)
	v_add_f64 v[56:57], v[77:78], -v[56:57]
	buffer_store_dword v57, off, s[0:3], 0 offset:68
	buffer_store_dword v56, off, s[0:3], 0 offset:64
	s_and_saveexec_b64 s[4:5], vcc
	s_cbranch_execz .LBB90_155
; %bb.154:
	buffer_load_dword v56, off, s[0:3], 0 offset:56
	buffer_load_dword v57, off, s[0:3], 0 offset:60
	v_mov_b32_e32 v58, 0
	buffer_store_dword v58, off, s[0:3], 0 offset:56
	buffer_store_dword v58, off, s[0:3], 0 offset:60
	s_waitcnt vmcnt(2)
	ds_write_b64 v55, v[56:57]
.LBB90_155:
	s_or_b64 exec, exec, s[4:5]
	s_waitcnt lgkmcnt(0)
	; wave barrier
	buffer_load_dword v65, off, s[0:3], 0 offset:64
	buffer_load_dword v66, off, s[0:3], 0 offset:68
	;; [unrolled: 1-line block ×22, first 2 shown]
	v_mov_b32_e32 v56, 0
	ds_read_b128 v[57:60], v56 offset:288
	ds_read_b128 v[61:64], v56 offset:304
	v_cmp_lt_u32_e32 vcc, 6, v0
	s_waitcnt vmcnt(20) lgkmcnt(1)
	v_fma_f64 v[57:58], v[65:66], v[57:58], 0
	s_waitcnt vmcnt(18)
	v_fma_f64 v[57:58], v[67:68], v[59:60], v[57:58]
	buffer_load_dword v66, off, s[0:3], 0 offset:156
	buffer_load_dword v67, off, s[0:3], 0 offset:176
	;; [unrolled: 1-line block ×7, first 2 shown]
	s_waitcnt vmcnt(23) lgkmcnt(0)
	v_fma_f64 v[57:58], v[69:70], v[61:62], v[57:58]
	s_waitcnt vmcnt(21)
	v_fma_f64 v[68:69], v[71:72], v[63:64], v[57:58]
	ds_read_b128 v[57:60], v56 offset:320
	ds_read_b128 v[61:64], v56 offset:336
	s_waitcnt vmcnt(19) lgkmcnt(1)
	v_fma_f64 v[57:58], v[73:74], v[57:58], v[68:69]
	buffer_load_dword v68, off, s[0:3], 0 offset:180
	s_waitcnt vmcnt(18)
	v_fma_f64 v[57:58], v[75:76], v[59:60], v[57:58]
	buffer_load_dword v70, off, s[0:3], 0 offset:188
	buffer_load_dword v71, off, s[0:3], 0 offset:208
	;; [unrolled: 1-line block ×8, first 2 shown]
	s_waitcnt vmcnt(24) lgkmcnt(0)
	v_fma_f64 v[57:58], v[77:78], v[61:62], v[57:58]
	s_waitcnt vmcnt(19)
	v_fma_f64 v[77:78], v[79:80], v[63:64], v[57:58]
	ds_read_b128 v[57:60], v56 offset:352
	ds_read_b128 v[61:64], v56 offset:368
	s_waitcnt vmcnt(18) lgkmcnt(1)
	v_fma_f64 v[57:58], v[85:86], v[57:58], v[77:78]
	buffer_load_dword v77, off, s[0:3], 0 offset:56
	buffer_load_dword v78, off, s[0:3], 0 offset:60
	s_waitcnt vmcnt(19)
	v_fma_f64 v[57:58], v[83:84], v[59:60], v[57:58]
	s_waitcnt vmcnt(18) lgkmcnt(0)
	v_fma_f64 v[57:58], v[81:82], v[61:62], v[57:58]
	s_waitcnt vmcnt(13)
	v_fma_f64 v[65:66], v[65:66], v[63:64], v[57:58]
	ds_read_b128 v[57:60], v56 offset:384
	ds_read_b128 v[61:64], v56 offset:400
	s_waitcnt vmcnt(12) lgkmcnt(1)
	v_fma_f64 v[57:58], v[89:90], v[57:58], v[65:66]
	s_waitcnt vmcnt(11)
	v_fma_f64 v[57:58], v[87:88], v[59:60], v[57:58]
	s_waitcnt vmcnt(10) lgkmcnt(0)
	v_fma_f64 v[57:58], v[67:68], v[61:62], v[57:58]
	s_waitcnt vmcnt(5)
	v_fma_f64 v[61:62], v[69:70], v[63:64], v[57:58]
	ds_read_b128 v[57:60], v56 offset:416
	ds_read_b64 v[63:64], v56 offset:432
	s_waitcnt vmcnt(4) lgkmcnt(1)
	v_fma_f64 v[57:58], v[75:76], v[57:58], v[61:62]
	s_waitcnt vmcnt(3)
	v_fma_f64 v[57:58], v[73:74], v[59:60], v[57:58]
	s_waitcnt vmcnt(2) lgkmcnt(0)
	v_fma_f64 v[57:58], v[71:72], v[63:64], v[57:58]
	s_waitcnt vmcnt(0)
	v_add_f64 v[57:58], v[77:78], -v[57:58]
	buffer_store_dword v58, off, s[0:3], 0 offset:60
	buffer_store_dword v57, off, s[0:3], 0 offset:56
	s_and_saveexec_b64 s[4:5], vcc
	s_cbranch_execz .LBB90_157
; %bb.156:
	buffer_load_dword v57, off, s[0:3], 0 offset:48
	buffer_load_dword v58, off, s[0:3], 0 offset:52
	s_waitcnt vmcnt(0)
	ds_write_b64 v55, v[57:58]
	buffer_store_dword v56, off, s[0:3], 0 offset:48
	buffer_store_dword v56, off, s[0:3], 0 offset:52
.LBB90_157:
	s_or_b64 exec, exec, s[4:5]
	s_waitcnt lgkmcnt(0)
	; wave barrier
	buffer_load_dword v65, off, s[0:3], 0 offset:56
	buffer_load_dword v66, off, s[0:3], 0 offset:60
	;; [unrolled: 1-line block ×22, first 2 shown]
	ds_read2_b64 v[57:60], v56 offset0:35 offset1:36
	ds_read2_b64 v[61:64], v56 offset0:37 offset1:38
	v_cmp_lt_u32_e32 vcc, 5, v0
	s_waitcnt vmcnt(20) lgkmcnt(1)
	v_fma_f64 v[57:58], v[65:66], v[57:58], 0
	s_waitcnt vmcnt(18)
	v_fma_f64 v[57:58], v[67:68], v[59:60], v[57:58]
	buffer_load_dword v66, off, s[0:3], 0 offset:148
	buffer_load_dword v67, off, s[0:3], 0 offset:168
	;; [unrolled: 1-line block ×7, first 2 shown]
	s_waitcnt vmcnt(23) lgkmcnt(0)
	v_fma_f64 v[57:58], v[69:70], v[61:62], v[57:58]
	s_waitcnt vmcnt(21)
	v_fma_f64 v[68:69], v[71:72], v[63:64], v[57:58]
	ds_read2_b64 v[57:60], v56 offset0:39 offset1:40
	ds_read2_b64 v[61:64], v56 offset0:41 offset1:42
	s_waitcnt vmcnt(19) lgkmcnt(1)
	v_fma_f64 v[57:58], v[73:74], v[57:58], v[68:69]
	buffer_load_dword v68, off, s[0:3], 0 offset:172
	s_waitcnt vmcnt(18)
	v_fma_f64 v[57:58], v[75:76], v[59:60], v[57:58]
	buffer_load_dword v70, off, s[0:3], 0 offset:180
	buffer_load_dword v71, off, s[0:3], 0 offset:200
	;; [unrolled: 1-line block ×8, first 2 shown]
	s_waitcnt vmcnt(24) lgkmcnt(0)
	v_fma_f64 v[57:58], v[77:78], v[61:62], v[57:58]
	s_waitcnt vmcnt(19)
	v_fma_f64 v[77:78], v[79:80], v[63:64], v[57:58]
	ds_read2_b64 v[57:60], v56 offset0:43 offset1:44
	ds_read2_b64 v[61:64], v56 offset0:45 offset1:46
	s_waitcnt vmcnt(18) lgkmcnt(1)
	v_fma_f64 v[57:58], v[85:86], v[57:58], v[77:78]
	buffer_load_dword v78, off, s[0:3], 0 offset:212
	buffer_load_dword v77, off, s[0:3], 0 offset:208
	;; [unrolled: 1-line block ×4, first 2 shown]
	s_waitcnt vmcnt(21)
	v_fma_f64 v[57:58], v[83:84], v[59:60], v[57:58]
	s_waitcnt vmcnt(20) lgkmcnt(0)
	v_fma_f64 v[57:58], v[81:82], v[61:62], v[57:58]
	s_waitcnt vmcnt(15)
	v_fma_f64 v[65:66], v[65:66], v[63:64], v[57:58]
	ds_read2_b64 v[57:60], v56 offset0:47 offset1:48
	ds_read2_b64 v[61:64], v56 offset0:49 offset1:50
	s_waitcnt vmcnt(14) lgkmcnt(1)
	v_fma_f64 v[57:58], v[89:90], v[57:58], v[65:66]
	s_waitcnt vmcnt(13)
	v_fma_f64 v[57:58], v[87:88], v[59:60], v[57:58]
	s_waitcnt vmcnt(12) lgkmcnt(0)
	v_fma_f64 v[57:58], v[67:68], v[61:62], v[57:58]
	s_waitcnt vmcnt(7)
	v_fma_f64 v[65:66], v[69:70], v[63:64], v[57:58]
	ds_read2_b64 v[57:60], v56 offset0:51 offset1:52
	ds_read2_b64 v[61:64], v56 offset0:53 offset1:54
	s_waitcnt vmcnt(6) lgkmcnt(1)
	v_fma_f64 v[56:57], v[75:76], v[57:58], v[65:66]
	s_waitcnt vmcnt(5)
	v_fma_f64 v[56:57], v[73:74], v[59:60], v[56:57]
	s_waitcnt vmcnt(4) lgkmcnt(0)
	v_fma_f64 v[56:57], v[71:72], v[61:62], v[56:57]
	s_waitcnt vmcnt(2)
	v_fma_f64 v[56:57], v[77:78], v[63:64], v[56:57]
	s_waitcnt vmcnt(0)
	v_add_f64 v[56:57], v[79:80], -v[56:57]
	buffer_store_dword v57, off, s[0:3], 0 offset:52
	buffer_store_dword v56, off, s[0:3], 0 offset:48
	s_and_saveexec_b64 s[4:5], vcc
	s_cbranch_execz .LBB90_159
; %bb.158:
	buffer_load_dword v56, off, s[0:3], 0 offset:40
	buffer_load_dword v57, off, s[0:3], 0 offset:44
	v_mov_b32_e32 v58, 0
	buffer_store_dword v58, off, s[0:3], 0 offset:40
	buffer_store_dword v58, off, s[0:3], 0 offset:44
	s_waitcnt vmcnt(2)
	ds_write_b64 v55, v[56:57]
.LBB90_159:
	s_or_b64 exec, exec, s[4:5]
	s_waitcnt lgkmcnt(0)
	; wave barrier
	buffer_load_dword v65, off, s[0:3], 0 offset:48
	buffer_load_dword v66, off, s[0:3], 0 offset:52
	;; [unrolled: 1-line block ×21, first 2 shown]
	v_mov_b32_e32 v56, 0
	ds_read_b128 v[57:60], v56 offset:272
	ds_read_b128 v[61:64], v56 offset:288
	buffer_load_dword v82, off, s[0:3], 0 offset:132
	v_cmp_lt_u32_e32 vcc, 4, v0
	s_waitcnt vmcnt(20) lgkmcnt(1)
	v_fma_f64 v[57:58], v[65:66], v[57:58], 0
	s_waitcnt vmcnt(18)
	v_fma_f64 v[57:58], v[67:68], v[59:60], v[57:58]
	buffer_load_dword v66, off, s[0:3], 0 offset:140
	buffer_load_dword v67, off, s[0:3], 0 offset:160
	;; [unrolled: 1-line block ×7, first 2 shown]
	s_waitcnt vmcnt(23) lgkmcnt(0)
	v_fma_f64 v[57:58], v[69:70], v[61:62], v[57:58]
	s_waitcnt vmcnt(21)
	v_fma_f64 v[68:69], v[71:72], v[63:64], v[57:58]
	ds_read_b128 v[57:60], v56 offset:304
	ds_read_b128 v[61:64], v56 offset:320
	s_waitcnt vmcnt(19) lgkmcnt(1)
	v_fma_f64 v[57:58], v[73:74], v[57:58], v[68:69]
	buffer_load_dword v68, off, s[0:3], 0 offset:164
	s_waitcnt vmcnt(18)
	v_fma_f64 v[57:58], v[75:76], v[59:60], v[57:58]
	buffer_load_dword v70, off, s[0:3], 0 offset:172
	buffer_load_dword v71, off, s[0:3], 0 offset:192
	buffer_load_dword v73, off, s[0:3], 0 offset:184
	buffer_load_dword v75, off, s[0:3], 0 offset:176
	buffer_load_dword v69, off, s[0:3], 0 offset:168
	buffer_load_dword v76, off, s[0:3], 0 offset:180
	buffer_load_dword v74, off, s[0:3], 0 offset:188
	s_waitcnt vmcnt(23) lgkmcnt(0)
	v_fma_f64 v[57:58], v[77:78], v[61:62], v[57:58]
	s_waitcnt vmcnt(18)
	v_fma_f64 v[77:78], v[79:80], v[63:64], v[57:58]
	ds_read_b128 v[57:60], v56 offset:336
	ds_read_b128 v[61:64], v56 offset:352
	buffer_load_dword v72, off, s[0:3], 0 offset:196
	s_waitcnt vmcnt(18) lgkmcnt(1)
	v_fma_f64 v[57:58], v[85:86], v[57:58], v[77:78]
	buffer_load_dword v78, off, s[0:3], 0 offset:204
	buffer_load_dword v79, off, s[0:3], 0 offset:208
	buffer_load_dword v77, off, s[0:3], 0 offset:200
	buffer_load_dword v80, off, s[0:3], 0 offset:212
	s_waitcnt vmcnt(21)
	v_fma_f64 v[57:58], v[83:84], v[59:60], v[57:58]
	s_waitcnt vmcnt(20) lgkmcnt(0)
	v_fma_f64 v[57:58], v[81:82], v[61:62], v[57:58]
	buffer_load_dword v81, off, s[0:3], 0 offset:40
	buffer_load_dword v82, off, s[0:3], 0 offset:44
	s_waitcnt vmcnt(17)
	v_fma_f64 v[65:66], v[65:66], v[63:64], v[57:58]
	ds_read_b128 v[57:60], v56 offset:368
	ds_read_b128 v[61:64], v56 offset:384
	s_waitcnt vmcnt(16) lgkmcnt(1)
	v_fma_f64 v[57:58], v[89:90], v[57:58], v[65:66]
	s_waitcnt vmcnt(15)
	v_fma_f64 v[57:58], v[87:88], v[59:60], v[57:58]
	s_waitcnt vmcnt(14) lgkmcnt(0)
	v_fma_f64 v[57:58], v[67:68], v[61:62], v[57:58]
	s_waitcnt vmcnt(9)
	v_fma_f64 v[65:66], v[69:70], v[63:64], v[57:58]
	ds_read_b128 v[57:60], v56 offset:400
	ds_read_b128 v[61:64], v56 offset:416
	s_waitcnt vmcnt(8) lgkmcnt(1)
	v_fma_f64 v[57:58], v[75:76], v[57:58], v[65:66]
	s_waitcnt vmcnt(7)
	v_fma_f64 v[57:58], v[73:74], v[59:60], v[57:58]
	ds_read_b64 v[59:60], v56 offset:432
	s_waitcnt vmcnt(6) lgkmcnt(1)
	v_fma_f64 v[57:58], v[71:72], v[61:62], v[57:58]
	s_waitcnt vmcnt(3)
	v_fma_f64 v[57:58], v[77:78], v[63:64], v[57:58]
	s_waitcnt vmcnt(2) lgkmcnt(0)
	v_fma_f64 v[57:58], v[79:80], v[59:60], v[57:58]
	s_waitcnt vmcnt(0)
	v_add_f64 v[57:58], v[81:82], -v[57:58]
	buffer_store_dword v58, off, s[0:3], 0 offset:44
	buffer_store_dword v57, off, s[0:3], 0 offset:40
	s_and_saveexec_b64 s[4:5], vcc
	s_cbranch_execz .LBB90_161
; %bb.160:
	buffer_load_dword v57, off, s[0:3], 0 offset:32
	buffer_load_dword v58, off, s[0:3], 0 offset:36
	s_waitcnt vmcnt(0)
	ds_write_b64 v55, v[57:58]
	buffer_store_dword v56, off, s[0:3], 0 offset:32
	buffer_store_dword v56, off, s[0:3], 0 offset:36
.LBB90_161:
	s_or_b64 exec, exec, s[4:5]
	s_waitcnt lgkmcnt(0)
	; wave barrier
	buffer_load_dword v65, off, s[0:3], 0 offset:40
	buffer_load_dword v66, off, s[0:3], 0 offset:44
	;; [unrolled: 1-line block ×21, first 2 shown]
	ds_read2_b64 v[57:60], v56 offset0:33 offset1:34
	ds_read2_b64 v[61:64], v56 offset0:35 offset1:36
	buffer_load_dword v82, off, s[0:3], 0 offset:124
	v_cmp_lt_u32_e32 vcc, 3, v0
	s_waitcnt vmcnt(20) lgkmcnt(1)
	v_fma_f64 v[57:58], v[65:66], v[57:58], 0
	s_waitcnt vmcnt(18)
	v_fma_f64 v[57:58], v[67:68], v[59:60], v[57:58]
	buffer_load_dword v66, off, s[0:3], 0 offset:132
	buffer_load_dword v67, off, s[0:3], 0 offset:152
	;; [unrolled: 1-line block ×7, first 2 shown]
	s_waitcnt vmcnt(23) lgkmcnt(0)
	v_fma_f64 v[57:58], v[69:70], v[61:62], v[57:58]
	s_waitcnt vmcnt(21)
	v_fma_f64 v[68:69], v[71:72], v[63:64], v[57:58]
	ds_read2_b64 v[57:60], v56 offset0:37 offset1:38
	ds_read2_b64 v[61:64], v56 offset0:39 offset1:40
	s_waitcnt vmcnt(19) lgkmcnt(1)
	v_fma_f64 v[57:58], v[73:74], v[57:58], v[68:69]
	buffer_load_dword v68, off, s[0:3], 0 offset:156
	s_waitcnt vmcnt(18)
	v_fma_f64 v[57:58], v[75:76], v[59:60], v[57:58]
	buffer_load_dword v70, off, s[0:3], 0 offset:164
	buffer_load_dword v71, off, s[0:3], 0 offset:184
	;; [unrolled: 1-line block ×8, first 2 shown]
	s_waitcnt vmcnt(24) lgkmcnt(0)
	v_fma_f64 v[57:58], v[77:78], v[61:62], v[57:58]
	s_waitcnt vmcnt(19)
	v_fma_f64 v[77:78], v[79:80], v[63:64], v[57:58]
	ds_read2_b64 v[57:60], v56 offset0:41 offset1:42
	ds_read2_b64 v[61:64], v56 offset0:43 offset1:44
	s_waitcnt vmcnt(18) lgkmcnt(1)
	v_fma_f64 v[57:58], v[85:86], v[57:58], v[77:78]
	s_waitcnt vmcnt(17)
	v_fma_f64 v[57:58], v[83:84], v[59:60], v[57:58]
	buffer_load_dword v78, off, s[0:3], 0 offset:196
	buffer_load_dword v79, off, s[0:3], 0 offset:208
	;; [unrolled: 1-line block ×6, first 2 shown]
	s_waitcnt vmcnt(22) lgkmcnt(0)
	v_fma_f64 v[57:58], v[81:82], v[61:62], v[57:58]
	s_waitcnt vmcnt(17)
	v_fma_f64 v[65:66], v[65:66], v[63:64], v[57:58]
	ds_read2_b64 v[57:60], v56 offset0:45 offset1:46
	buffer_load_dword v81, off, s[0:3], 0 offset:32
	buffer_load_dword v82, off, s[0:3], 0 offset:36
	ds_read2_b64 v[61:64], v56 offset0:47 offset1:48
	s_waitcnt vmcnt(18) lgkmcnt(1)
	v_fma_f64 v[57:58], v[89:90], v[57:58], v[65:66]
	s_waitcnt vmcnt(17)
	v_fma_f64 v[57:58], v[87:88], v[59:60], v[57:58]
	s_waitcnt vmcnt(16) lgkmcnt(0)
	v_fma_f64 v[57:58], v[67:68], v[61:62], v[57:58]
	s_waitcnt vmcnt(11)
	v_fma_f64 v[65:66], v[69:70], v[63:64], v[57:58]
	ds_read2_b64 v[57:60], v56 offset0:49 offset1:50
	ds_read2_b64 v[61:64], v56 offset0:51 offset1:52
	s_waitcnt vmcnt(10) lgkmcnt(1)
	v_fma_f64 v[57:58], v[75:76], v[57:58], v[65:66]
	s_waitcnt vmcnt(9)
	v_fma_f64 v[57:58], v[73:74], v[59:60], v[57:58]
	s_waitcnt vmcnt(8) lgkmcnt(0)
	v_fma_f64 v[57:58], v[71:72], v[61:62], v[57:58]
	s_waitcnt vmcnt(4)
	v_fma_f64 v[60:61], v[77:78], v[63:64], v[57:58]
	ds_read2_b64 v[56:59], v56 offset0:53 offset1:54
	s_waitcnt vmcnt(3) lgkmcnt(0)
	v_fma_f64 v[56:57], v[83:84], v[56:57], v[60:61]
	s_waitcnt vmcnt(2)
	v_fma_f64 v[56:57], v[79:80], v[58:59], v[56:57]
	s_waitcnt vmcnt(0)
	v_add_f64 v[56:57], v[81:82], -v[56:57]
	buffer_store_dword v57, off, s[0:3], 0 offset:36
	buffer_store_dword v56, off, s[0:3], 0 offset:32
	s_and_saveexec_b64 s[4:5], vcc
	s_cbranch_execz .LBB90_163
; %bb.162:
	buffer_load_dword v56, off, s[0:3], 0 offset:24
	buffer_load_dword v57, off, s[0:3], 0 offset:28
	v_mov_b32_e32 v58, 0
	buffer_store_dword v58, off, s[0:3], 0 offset:24
	buffer_store_dword v58, off, s[0:3], 0 offset:28
	s_waitcnt vmcnt(2)
	ds_write_b64 v55, v[56:57]
.LBB90_163:
	s_or_b64 exec, exec, s[4:5]
	s_waitcnt lgkmcnt(0)
	; wave barrier
	buffer_load_dword v65, off, s[0:3], 0 offset:32
	buffer_load_dword v66, off, s[0:3], 0 offset:36
	;; [unrolled: 1-line block ×21, first 2 shown]
	v_mov_b32_e32 v56, 0
	ds_read_b128 v[57:60], v56 offset:256
	ds_read_b128 v[61:64], v56 offset:272
	buffer_load_dword v82, off, s[0:3], 0 offset:116
	v_cmp_lt_u32_e32 vcc, 2, v0
	s_waitcnt vmcnt(20) lgkmcnt(1)
	v_fma_f64 v[57:58], v[65:66], v[57:58], 0
	s_waitcnt vmcnt(18)
	v_fma_f64 v[57:58], v[67:68], v[59:60], v[57:58]
	buffer_load_dword v66, off, s[0:3], 0 offset:124
	buffer_load_dword v67, off, s[0:3], 0 offset:144
	;; [unrolled: 1-line block ×7, first 2 shown]
	s_waitcnt vmcnt(23) lgkmcnt(0)
	v_fma_f64 v[57:58], v[69:70], v[61:62], v[57:58]
	s_waitcnt vmcnt(21)
	v_fma_f64 v[68:69], v[71:72], v[63:64], v[57:58]
	ds_read_b128 v[57:60], v56 offset:288
	ds_read_b128 v[61:64], v56 offset:304
	s_waitcnt vmcnt(19) lgkmcnt(1)
	v_fma_f64 v[57:58], v[73:74], v[57:58], v[68:69]
	buffer_load_dword v68, off, s[0:3], 0 offset:148
	s_waitcnt vmcnt(18)
	v_fma_f64 v[57:58], v[75:76], v[59:60], v[57:58]
	buffer_load_dword v70, off, s[0:3], 0 offset:156
	buffer_load_dword v71, off, s[0:3], 0 offset:176
	;; [unrolled: 1-line block ×8, first 2 shown]
	s_waitcnt vmcnt(24) lgkmcnt(0)
	v_fma_f64 v[57:58], v[77:78], v[61:62], v[57:58]
	s_waitcnt vmcnt(19)
	v_fma_f64 v[77:78], v[79:80], v[63:64], v[57:58]
	ds_read_b128 v[57:60], v56 offset:320
	ds_read_b128 v[61:64], v56 offset:336
	s_waitcnt vmcnt(18) lgkmcnt(1)
	v_fma_f64 v[57:58], v[85:86], v[57:58], v[77:78]
	s_waitcnt vmcnt(17)
	v_fma_f64 v[57:58], v[83:84], v[59:60], v[57:58]
	buffer_load_dword v78, off, s[0:3], 0 offset:188
	buffer_load_dword v79, off, s[0:3], 0 offset:208
	;; [unrolled: 1-line block ×8, first 2 shown]
	s_waitcnt vmcnt(24) lgkmcnt(0)
	v_fma_f64 v[57:58], v[81:82], v[61:62], v[57:58]
	s_waitcnt vmcnt(19)
	v_fma_f64 v[65:66], v[65:66], v[63:64], v[57:58]
	ds_read_b128 v[57:60], v56 offset:352
	ds_read_b128 v[61:64], v56 offset:368
	s_waitcnt vmcnt(18) lgkmcnt(1)
	v_fma_f64 v[57:58], v[89:90], v[57:58], v[65:66]
	buffer_load_dword v65, off, s[0:3], 0 offset:24
	buffer_load_dword v66, off, s[0:3], 0 offset:28
	s_waitcnt vmcnt(19)
	v_fma_f64 v[57:58], v[87:88], v[59:60], v[57:58]
	s_waitcnt vmcnt(18) lgkmcnt(0)
	v_fma_f64 v[57:58], v[67:68], v[61:62], v[57:58]
	s_waitcnt vmcnt(13)
	v_fma_f64 v[67:68], v[69:70], v[63:64], v[57:58]
	ds_read_b128 v[57:60], v56 offset:384
	ds_read_b128 v[61:64], v56 offset:400
	s_waitcnt vmcnt(12) lgkmcnt(1)
	v_fma_f64 v[57:58], v[75:76], v[57:58], v[67:68]
	s_waitcnt vmcnt(11)
	v_fma_f64 v[57:58], v[73:74], v[59:60], v[57:58]
	s_waitcnt vmcnt(10) lgkmcnt(0)
	v_fma_f64 v[57:58], v[71:72], v[61:62], v[57:58]
	s_waitcnt vmcnt(5)
	v_fma_f64 v[61:62], v[77:78], v[63:64], v[57:58]
	ds_read_b128 v[57:60], v56 offset:416
	ds_read_b64 v[63:64], v56 offset:432
	s_waitcnt vmcnt(4) lgkmcnt(1)
	v_fma_f64 v[57:58], v[85:86], v[57:58], v[61:62]
	s_waitcnt vmcnt(3)
	v_fma_f64 v[57:58], v[83:84], v[59:60], v[57:58]
	s_waitcnt vmcnt(2) lgkmcnt(0)
	v_fma_f64 v[57:58], v[79:80], v[63:64], v[57:58]
	s_waitcnt vmcnt(0)
	v_add_f64 v[57:58], v[65:66], -v[57:58]
	buffer_store_dword v58, off, s[0:3], 0 offset:28
	buffer_store_dword v57, off, s[0:3], 0 offset:24
	s_and_saveexec_b64 s[4:5], vcc
	s_cbranch_execz .LBB90_165
; %bb.164:
	buffer_load_dword v57, off, s[0:3], 0 offset:16
	buffer_load_dword v58, off, s[0:3], 0 offset:20
	s_waitcnt vmcnt(0)
	ds_write_b64 v55, v[57:58]
	buffer_store_dword v56, off, s[0:3], 0 offset:16
	buffer_store_dword v56, off, s[0:3], 0 offset:20
.LBB90_165:
	s_or_b64 exec, exec, s[4:5]
	s_waitcnt lgkmcnt(0)
	; wave barrier
	buffer_load_dword v65, off, s[0:3], 0 offset:24
	buffer_load_dword v66, off, s[0:3], 0 offset:28
	;; [unrolled: 1-line block ×21, first 2 shown]
	ds_read2_b64 v[57:60], v56 offset0:31 offset1:32
	ds_read2_b64 v[61:64], v56 offset0:33 offset1:34
	buffer_load_dword v82, off, s[0:3], 0 offset:108
	v_cmp_lt_u32_e32 vcc, 1, v0
	s_waitcnt vmcnt(20) lgkmcnt(1)
	v_fma_f64 v[57:58], v[65:66], v[57:58], 0
	s_waitcnt vmcnt(18)
	v_fma_f64 v[57:58], v[67:68], v[59:60], v[57:58]
	buffer_load_dword v66, off, s[0:3], 0 offset:116
	buffer_load_dword v67, off, s[0:3], 0 offset:136
	;; [unrolled: 1-line block ×7, first 2 shown]
	s_waitcnt vmcnt(23) lgkmcnt(0)
	v_fma_f64 v[57:58], v[69:70], v[61:62], v[57:58]
	s_waitcnt vmcnt(21)
	v_fma_f64 v[68:69], v[71:72], v[63:64], v[57:58]
	ds_read2_b64 v[57:60], v56 offset0:35 offset1:36
	ds_read2_b64 v[61:64], v56 offset0:37 offset1:38
	s_waitcnt vmcnt(19) lgkmcnt(1)
	v_fma_f64 v[57:58], v[73:74], v[57:58], v[68:69]
	buffer_load_dword v68, off, s[0:3], 0 offset:140
	s_waitcnt vmcnt(18)
	v_fma_f64 v[57:58], v[75:76], v[59:60], v[57:58]
	buffer_load_dword v70, off, s[0:3], 0 offset:148
	buffer_load_dword v71, off, s[0:3], 0 offset:168
	;; [unrolled: 1-line block ×8, first 2 shown]
	s_waitcnt vmcnt(24) lgkmcnt(0)
	v_fma_f64 v[57:58], v[77:78], v[61:62], v[57:58]
	s_waitcnt vmcnt(19)
	v_fma_f64 v[77:78], v[79:80], v[63:64], v[57:58]
	ds_read2_b64 v[57:60], v56 offset0:39 offset1:40
	ds_read2_b64 v[61:64], v56 offset0:41 offset1:42
	s_waitcnt vmcnt(18) lgkmcnt(1)
	v_fma_f64 v[57:58], v[85:86], v[57:58], v[77:78]
	s_waitcnt vmcnt(17)
	v_fma_f64 v[57:58], v[83:84], v[59:60], v[57:58]
	buffer_load_dword v78, off, s[0:3], 0 offset:180
	buffer_load_dword v79, off, s[0:3], 0 offset:200
	buffer_load_dword v83, off, s[0:3], 0 offset:192
	buffer_load_dword v85, off, s[0:3], 0 offset:184
	buffer_load_dword v77, off, s[0:3], 0 offset:176
	buffer_load_dword v86, off, s[0:3], 0 offset:188
	buffer_load_dword v84, off, s[0:3], 0 offset:196
	buffer_load_dword v80, off, s[0:3], 0 offset:204
	s_waitcnt vmcnt(24) lgkmcnt(0)
	v_fma_f64 v[57:58], v[81:82], v[61:62], v[57:58]
	s_waitcnt vmcnt(19)
	v_fma_f64 v[65:66], v[65:66], v[63:64], v[57:58]
	ds_read2_b64 v[57:60], v56 offset0:43 offset1:44
	ds_read2_b64 v[61:64], v56 offset0:45 offset1:46
	s_waitcnt vmcnt(18) lgkmcnt(1)
	v_fma_f64 v[57:58], v[89:90], v[57:58], v[65:66]
	buffer_load_dword v66, off, s[0:3], 0 offset:212
	buffer_load_dword v65, off, s[0:3], 0 offset:208
	;; [unrolled: 1-line block ×4, first 2 shown]
	s_waitcnt vmcnt(21)
	v_fma_f64 v[57:58], v[87:88], v[59:60], v[57:58]
	s_waitcnt vmcnt(20) lgkmcnt(0)
	v_fma_f64 v[57:58], v[67:68], v[61:62], v[57:58]
	s_waitcnt vmcnt(15)
	v_fma_f64 v[67:68], v[69:70], v[63:64], v[57:58]
	ds_read2_b64 v[57:60], v56 offset0:47 offset1:48
	ds_read2_b64 v[61:64], v56 offset0:49 offset1:50
	s_waitcnt vmcnt(14) lgkmcnt(1)
	v_fma_f64 v[57:58], v[75:76], v[57:58], v[67:68]
	s_waitcnt vmcnt(13)
	v_fma_f64 v[57:58], v[73:74], v[59:60], v[57:58]
	s_waitcnt vmcnt(12) lgkmcnt(0)
	v_fma_f64 v[57:58], v[71:72], v[61:62], v[57:58]
	s_waitcnt vmcnt(7)
	v_fma_f64 v[67:68], v[77:78], v[63:64], v[57:58]
	ds_read2_b64 v[57:60], v56 offset0:51 offset1:52
	ds_read2_b64 v[61:64], v56 offset0:53 offset1:54
	s_waitcnt vmcnt(6) lgkmcnt(1)
	v_fma_f64 v[56:57], v[85:86], v[57:58], v[67:68]
	s_waitcnt vmcnt(5)
	v_fma_f64 v[56:57], v[83:84], v[59:60], v[56:57]
	s_waitcnt vmcnt(4) lgkmcnt(0)
	v_fma_f64 v[56:57], v[79:80], v[61:62], v[56:57]
	s_waitcnt vmcnt(2)
	v_fma_f64 v[56:57], v[65:66], v[63:64], v[56:57]
	s_waitcnt vmcnt(0)
	v_add_f64 v[56:57], v[81:82], -v[56:57]
	buffer_store_dword v57, off, s[0:3], 0 offset:20
	buffer_store_dword v56, off, s[0:3], 0 offset:16
	s_and_saveexec_b64 s[4:5], vcc
	s_cbranch_execz .LBB90_167
; %bb.166:
	buffer_load_dword v56, off, s[0:3], 0 offset:8
	buffer_load_dword v57, off, s[0:3], 0 offset:12
	v_mov_b32_e32 v58, 0
	buffer_store_dword v58, off, s[0:3], 0 offset:8
	buffer_store_dword v58, off, s[0:3], 0 offset:12
	s_waitcnt vmcnt(2)
	ds_write_b64 v55, v[56:57]
.LBB90_167:
	s_or_b64 exec, exec, s[4:5]
	s_waitcnt lgkmcnt(0)
	; wave barrier
	buffer_load_dword v66, off, s[0:3], 0 offset:16
	buffer_load_dword v67, off, s[0:3], 0 offset:20
	;; [unrolled: 1-line block ×21, first 2 shown]
	v_mov_b32_e32 v57, 0
	ds_read_b128 v[58:61], v57 offset:240
	ds_read_b128 v[62:65], v57 offset:256
	buffer_load_dword v83, off, s[0:3], 0 offset:100
	v_cmp_ne_u32_e32 vcc, 0, v0
	s_waitcnt vmcnt(20) lgkmcnt(1)
	v_fma_f64 v[58:59], v[66:67], v[58:59], 0
	s_waitcnt vmcnt(18)
	v_fma_f64 v[58:59], v[68:69], v[60:61], v[58:59]
	buffer_load_dword v67, off, s[0:3], 0 offset:108
	buffer_load_dword v68, off, s[0:3], 0 offset:128
	;; [unrolled: 1-line block ×7, first 2 shown]
	s_waitcnt vmcnt(23) lgkmcnt(0)
	v_fma_f64 v[58:59], v[70:71], v[62:63], v[58:59]
	s_waitcnt vmcnt(21)
	v_fma_f64 v[69:70], v[72:73], v[64:65], v[58:59]
	ds_read_b128 v[58:61], v57 offset:272
	ds_read_b128 v[62:65], v57 offset:288
	s_waitcnt vmcnt(19) lgkmcnt(1)
	v_fma_f64 v[58:59], v[74:75], v[58:59], v[69:70]
	buffer_load_dword v69, off, s[0:3], 0 offset:132
	s_waitcnt vmcnt(18)
	v_fma_f64 v[58:59], v[76:77], v[60:61], v[58:59]
	buffer_load_dword v71, off, s[0:3], 0 offset:140
	buffer_load_dword v72, off, s[0:3], 0 offset:160
	;; [unrolled: 1-line block ×8, first 2 shown]
	s_waitcnt vmcnt(24) lgkmcnt(0)
	v_fma_f64 v[58:59], v[78:79], v[62:63], v[58:59]
	s_waitcnt vmcnt(19)
	v_fma_f64 v[78:79], v[80:81], v[64:65], v[58:59]
	ds_read_b128 v[58:61], v57 offset:304
	ds_read_b128 v[62:65], v57 offset:320
	s_waitcnt vmcnt(18) lgkmcnt(1)
	v_fma_f64 v[58:59], v[86:87], v[58:59], v[78:79]
	s_waitcnt vmcnt(17)
	v_fma_f64 v[58:59], v[84:85], v[60:61], v[58:59]
	buffer_load_dword v79, off, s[0:3], 0 offset:172
	buffer_load_dword v80, off, s[0:3], 0 offset:192
	;; [unrolled: 1-line block ×7, first 2 shown]
	s_waitcnt vmcnt(23) lgkmcnt(0)
	v_fma_f64 v[58:59], v[82:83], v[62:63], v[58:59]
	s_waitcnt vmcnt(18)
	v_fma_f64 v[66:67], v[66:67], v[64:65], v[58:59]
	ds_read_b128 v[58:61], v57 offset:336
	ds_read_b128 v[62:65], v57 offset:352
	buffer_load_dword v81, off, s[0:3], 0 offset:196
	s_waitcnt vmcnt(18) lgkmcnt(1)
	v_fma_f64 v[58:59], v[90:91], v[58:59], v[66:67]
	buffer_load_dword v67, off, s[0:3], 0 offset:204
	buffer_load_dword v82, off, s[0:3], 0 offset:208
	;; [unrolled: 1-line block ×4, first 2 shown]
	s_waitcnt vmcnt(21)
	v_fma_f64 v[58:59], v[88:89], v[60:61], v[58:59]
	s_waitcnt vmcnt(20) lgkmcnt(0)
	v_fma_f64 v[58:59], v[68:69], v[62:63], v[58:59]
	buffer_load_dword v68, off, s[0:3], 0 offset:8
	buffer_load_dword v69, off, s[0:3], 0 offset:12
	s_waitcnt vmcnt(17)
	v_fma_f64 v[70:71], v[70:71], v[64:65], v[58:59]
	ds_read_b128 v[58:61], v57 offset:368
	ds_read_b128 v[62:65], v57 offset:384
	s_waitcnt vmcnt(16) lgkmcnt(1)
	v_fma_f64 v[58:59], v[76:77], v[58:59], v[70:71]
	s_waitcnt vmcnt(15)
	v_fma_f64 v[58:59], v[74:75], v[60:61], v[58:59]
	s_waitcnt vmcnt(14) lgkmcnt(0)
	v_fma_f64 v[58:59], v[72:73], v[62:63], v[58:59]
	s_waitcnt vmcnt(9)
	v_fma_f64 v[70:71], v[78:79], v[64:65], v[58:59]
	ds_read_b128 v[58:61], v57 offset:400
	ds_read_b128 v[62:65], v57 offset:416
	s_waitcnt vmcnt(8) lgkmcnt(1)
	v_fma_f64 v[58:59], v[86:87], v[58:59], v[70:71]
	s_waitcnt vmcnt(7)
	v_fma_f64 v[58:59], v[84:85], v[60:61], v[58:59]
	ds_read_b64 v[60:61], v57 offset:432
	s_waitcnt vmcnt(6) lgkmcnt(1)
	v_fma_f64 v[58:59], v[80:81], v[62:63], v[58:59]
	s_waitcnt vmcnt(3)
	v_fma_f64 v[58:59], v[66:67], v[64:65], v[58:59]
	s_waitcnt vmcnt(2) lgkmcnt(0)
	v_fma_f64 v[58:59], v[82:83], v[60:61], v[58:59]
	s_waitcnt vmcnt(0)
	v_add_f64 v[58:59], v[68:69], -v[58:59]
	buffer_store_dword v59, off, s[0:3], 0 offset:12
	buffer_store_dword v58, off, s[0:3], 0 offset:8
	s_and_saveexec_b64 s[4:5], vcc
	s_cbranch_execz .LBB90_169
; %bb.168:
	buffer_load_dword v58, off, s[0:3], 0
	buffer_load_dword v59, off, s[0:3], 0 offset:4
	s_waitcnt vmcnt(0)
	ds_write_b64 v55, v[58:59]
	buffer_store_dword v57, off, s[0:3], 0
	buffer_store_dword v57, off, s[0:3], 0 offset:4
.LBB90_169:
	s_or_b64 exec, exec, s[4:5]
	s_waitcnt lgkmcnt(0)
	; wave barrier
	buffer_load_dword v55, off, s[0:3], 0 offset:8
	buffer_load_dword v56, off, s[0:3], 0 offset:12
	;; [unrolled: 1-line block ×22, first 2 shown]
	ds_read2_b64 v[58:61], v57 offset0:29 offset1:30
	ds_read2_b64 v[62:65], v57 offset0:31 offset1:32
	s_and_b64 vcc, exec, s[14:15]
	s_waitcnt vmcnt(20) lgkmcnt(1)
	v_fma_f64 v[55:56], v[55:56], v[58:59], 0
	s_waitcnt vmcnt(18)
	v_fma_f64 v[55:56], v[66:67], v[60:61], v[55:56]
	buffer_load_dword v67, off, s[0:3], 0 offset:100
	buffer_load_dword v86, off, s[0:3], 0 offset:120
	;; [unrolled: 1-line block ×7, first 2 shown]
	s_waitcnt vmcnt(23) lgkmcnt(0)
	v_fma_f64 v[55:56], v[68:69], v[62:63], v[55:56]
	s_waitcnt vmcnt(21)
	v_fma_f64 v[55:56], v[70:71], v[64:65], v[55:56]
	ds_read2_b64 v[58:61], v57 offset0:33 offset1:34
	ds_read2_b64 v[62:65], v57 offset0:35 offset1:36
	buffer_load_dword v87, off, s[0:3], 0 offset:124
	s_waitcnt vmcnt(20) lgkmcnt(1)
	v_fma_f64 v[55:56], v[72:73], v[58:59], v[55:56]
	s_waitcnt vmcnt(18)
	v_fma_f64 v[55:56], v[74:75], v[60:61], v[55:56]
	buffer_load_dword v69, off, s[0:3], 0 offset:132
	buffer_load_dword v70, off, s[0:3], 0 offset:152
	buffer_load_dword v72, off, s[0:3], 0 offset:144
	buffer_load_dword v74, off, s[0:3], 0 offset:136
	buffer_load_dword v68, off, s[0:3], 0 offset:128
	buffer_load_dword v75, off, s[0:3], 0 offset:140
	buffer_load_dword v73, off, s[0:3], 0 offset:148
	buffer_load_dword v71, off, s[0:3], 0 offset:156
	ds_read2_b64 v[58:61], v57 offset0:37 offset1:38
	s_waitcnt vmcnt(24) lgkmcnt(1)
	v_fma_f64 v[55:56], v[76:77], v[62:63], v[55:56]
	s_waitcnt vmcnt(19)
	v_fma_f64 v[55:56], v[78:79], v[64:65], v[55:56]
	ds_read2_b64 v[62:65], v57 offset0:39 offset1:40
	s_waitcnt vmcnt(18) lgkmcnt(1)
	v_fma_f64 v[55:56], v[84:85], v[58:59], v[55:56]
	s_waitcnt vmcnt(17)
	v_fma_f64 v[55:56], v[82:83], v[60:61], v[55:56]
	buffer_load_dword v77, off, s[0:3], 0 offset:164
	buffer_load_dword v78, off, s[0:3], 0 offset:184
	;; [unrolled: 1-line block ×8, first 2 shown]
	ds_read2_b64 v[58:61], v57 offset0:41 offset1:42
	s_waitcnt vmcnt(24) lgkmcnt(1)
	v_fma_f64 v[55:56], v[80:81], v[62:63], v[55:56]
	s_waitcnt vmcnt(19)
	v_fma_f64 v[55:56], v[66:67], v[64:65], v[55:56]
	ds_read2_b64 v[62:65], v57 offset0:43 offset1:44
	s_waitcnt vmcnt(18) lgkmcnt(1)
	v_fma_f64 v[55:56], v[90:91], v[58:59], v[55:56]
	s_waitcnt vmcnt(17)
	v_fma_f64 v[58:59], v[88:89], v[60:61], v[55:56]
	buffer_load_dword v67, off, s[0:3], 0 offset:196
	buffer_load_dword v80, off, s[0:3], 0 offset:208
	;; [unrolled: 1-line block ×6, first 2 shown]
	s_waitcnt vmcnt(22) lgkmcnt(0)
	v_fma_f64 v[58:59], v[86:87], v[62:63], v[58:59]
	s_waitcnt vmcnt(17)
	v_fma_f64 v[68:69], v[68:69], v[64:65], v[58:59]
	ds_read2_b64 v[58:61], v57 offset0:45 offset1:46
	buffer_load_dword v86, off, s[0:3], 0
	buffer_load_dword v87, off, s[0:3], 0 offset:4
	ds_read2_b64 v[62:65], v57 offset0:47 offset1:48
	s_waitcnt vmcnt(18) lgkmcnt(1)
	v_fma_f64 v[58:59], v[74:75], v[58:59], v[68:69]
	s_waitcnt vmcnt(17)
	v_fma_f64 v[58:59], v[72:73], v[60:61], v[58:59]
	s_waitcnt vmcnt(16) lgkmcnt(0)
	v_fma_f64 v[58:59], v[70:71], v[62:63], v[58:59]
	s_waitcnt vmcnt(11)
	v_fma_f64 v[68:69], v[76:77], v[64:65], v[58:59]
	ds_read2_b64 v[58:61], v57 offset0:49 offset1:50
	ds_read2_b64 v[62:65], v57 offset0:51 offset1:52
	s_waitcnt vmcnt(10) lgkmcnt(1)
	v_fma_f64 v[58:59], v[84:85], v[58:59], v[68:69]
	s_waitcnt vmcnt(9)
	v_fma_f64 v[58:59], v[82:83], v[60:61], v[58:59]
	s_waitcnt vmcnt(8) lgkmcnt(0)
	v_fma_f64 v[58:59], v[78:79], v[62:63], v[58:59]
	s_waitcnt vmcnt(4)
	v_fma_f64 v[61:62], v[66:67], v[64:65], v[58:59]
	ds_read2_b64 v[57:60], v57 offset0:53 offset1:54
	s_waitcnt vmcnt(3) lgkmcnt(0)
	v_fma_f64 v[57:58], v[55:56], v[57:58], v[61:62]
	s_waitcnt vmcnt(2)
	v_fma_f64 v[57:58], v[80:81], v[59:60], v[57:58]
	s_waitcnt vmcnt(0)
	v_add_f64 v[57:58], v[86:87], -v[57:58]
	buffer_store_dword v58, off, s[0:3], 0 offset:4
	buffer_store_dword v57, off, s[0:3], 0
	s_cbranch_vccz .LBB90_222
; %bb.170:
	v_mov_b32_e32 v0, 0
	global_load_dword v57, v0, s[12:13] offset:100
	s_waitcnt vmcnt(0)
	v_add_u32_e32 v57, -1, v57
	v_cmp_ne_u32_e32 vcc, 25, v57
	s_cbranch_vccz .LBB90_172
; %bb.171:
	v_lshlrev_b32_e32 v57, 3, v57
	buffer_load_dword v58, v57, s[0:3], 0 offen
	buffer_load_dword v59, v57, s[0:3], 0 offen offset:4
	s_waitcnt vmcnt(1)
	buffer_store_dword v58, off, s[0:3], 0 offset:200
	s_waitcnt vmcnt(1)
	buffer_store_dword v59, off, s[0:3], 0 offset:204
	buffer_store_dword v55, v57, s[0:3], 0 offen
	buffer_store_dword v56, v57, s[0:3], 0 offen offset:4
.LBB90_172:
	global_load_dword v0, v0, s[12:13] offset:96
	s_waitcnt vmcnt(0)
	v_add_u32_e32 v0, -1, v0
	v_cmp_eq_u32_e32 vcc, 24, v0
	s_cbranch_vccnz .LBB90_174
; %bb.173:
	v_lshlrev_b32_e32 v0, 3, v0
	buffer_load_dword v55, v0, s[0:3], 0 offen
	buffer_load_dword v56, v0, s[0:3], 0 offen offset:4
	buffer_load_dword v57, off, s[0:3], 0 offset:196
	buffer_load_dword v58, off, s[0:3], 0 offset:192
	s_waitcnt vmcnt(3)
	buffer_store_dword v55, off, s[0:3], 0 offset:192
	s_waitcnt vmcnt(3)
	buffer_store_dword v56, off, s[0:3], 0 offset:196
	s_waitcnt vmcnt(3)
	buffer_store_dword v57, v0, s[0:3], 0 offen offset:4
	s_waitcnt vmcnt(3)
	buffer_store_dword v58, v0, s[0:3], 0 offen
.LBB90_174:
	v_mov_b32_e32 v0, 0
	global_load_dword v55, v0, s[12:13] offset:92
	s_waitcnt vmcnt(0)
	v_add_u32_e32 v55, -1, v55
	v_cmp_eq_u32_e32 vcc, 23, v55
	s_cbranch_vccnz .LBB90_176
; %bb.175:
	v_lshlrev_b32_e32 v55, 3, v55
	buffer_load_dword v56, v55, s[0:3], 0 offen
	buffer_load_dword v57, v55, s[0:3], 0 offen offset:4
	buffer_load_dword v58, off, s[0:3], 0 offset:184
	buffer_load_dword v59, off, s[0:3], 0 offset:188
	s_waitcnt vmcnt(3)
	buffer_store_dword v56, off, s[0:3], 0 offset:184
	s_waitcnt vmcnt(3)
	buffer_store_dword v57, off, s[0:3], 0 offset:188
	s_waitcnt vmcnt(3)
	buffer_store_dword v58, v55, s[0:3], 0 offen
	s_waitcnt vmcnt(3)
	buffer_store_dword v59, v55, s[0:3], 0 offen offset:4
.LBB90_176:
	global_load_dword v0, v0, s[12:13] offset:88
	s_waitcnt vmcnt(0)
	v_add_u32_e32 v0, -1, v0
	v_cmp_eq_u32_e32 vcc, 22, v0
	s_cbranch_vccnz .LBB90_178
; %bb.177:
	v_lshlrev_b32_e32 v0, 3, v0
	buffer_load_dword v55, v0, s[0:3], 0 offen
	buffer_load_dword v56, v0, s[0:3], 0 offen offset:4
	buffer_load_dword v57, off, s[0:3], 0 offset:180
	buffer_load_dword v58, off, s[0:3], 0 offset:176
	s_waitcnt vmcnt(3)
	buffer_store_dword v55, off, s[0:3], 0 offset:176
	s_waitcnt vmcnt(3)
	buffer_store_dword v56, off, s[0:3], 0 offset:180
	s_waitcnt vmcnt(3)
	buffer_store_dword v57, v0, s[0:3], 0 offen offset:4
	s_waitcnt vmcnt(3)
	buffer_store_dword v58, v0, s[0:3], 0 offen
.LBB90_178:
	v_mov_b32_e32 v0, 0
	global_load_dword v55, v0, s[12:13] offset:84
	s_waitcnt vmcnt(0)
	v_add_u32_e32 v55, -1, v55
	v_cmp_eq_u32_e32 vcc, 21, v55
	s_cbranch_vccnz .LBB90_180
; %bb.179:
	v_lshlrev_b32_e32 v55, 3, v55
	buffer_load_dword v56, v55, s[0:3], 0 offen
	buffer_load_dword v57, v55, s[0:3], 0 offen offset:4
	buffer_load_dword v58, off, s[0:3], 0 offset:168
	buffer_load_dword v59, off, s[0:3], 0 offset:172
	s_waitcnt vmcnt(3)
	buffer_store_dword v56, off, s[0:3], 0 offset:168
	s_waitcnt vmcnt(3)
	buffer_store_dword v57, off, s[0:3], 0 offset:172
	s_waitcnt vmcnt(3)
	buffer_store_dword v58, v55, s[0:3], 0 offen
	s_waitcnt vmcnt(3)
	buffer_store_dword v59, v55, s[0:3], 0 offen offset:4
.LBB90_180:
	;; [unrolled: 41-line block ×12, first 2 shown]
	global_load_dword v0, v0, s[12:13]
	s_nop 0
	buffer_load_dword v57, off, s[0:3], 0
	buffer_load_dword v58, off, s[0:3], 0 offset:4
	s_waitcnt vmcnt(2)
	v_add_u32_e32 v0, -1, v0
	v_cmp_eq_u32_e32 vcc, 0, v0
	s_cbranch_vccnz .LBB90_222
; %bb.221:
	v_lshlrev_b32_e32 v0, 3, v0
	buffer_load_dword v55, v0, s[0:3], 0 offen offset:4
	buffer_load_dword v56, v0, s[0:3], 0 offen
	s_waitcnt vmcnt(1)
	buffer_store_dword v55, off, s[0:3], 0 offset:4
	s_waitcnt vmcnt(1)
	buffer_store_dword v56, off, s[0:3], 0
	buffer_store_dword v58, v0, s[0:3], 0 offen offset:4
	buffer_store_dword v57, v0, s[0:3], 0 offen
	buffer_load_dword v57, off, s[0:3], 0
	s_nop 0
	buffer_load_dword v58, off, s[0:3], 0 offset:4
.LBB90_222:
	s_waitcnt vmcnt(0)
	flat_store_dwordx2 v[1:2], v[57:58]
	buffer_load_dword v0, off, s[0:3], 0 offset:8
	s_nop 0
	buffer_load_dword v1, off, s[0:3], 0 offset:12
	s_waitcnt vmcnt(0)
	flat_store_dwordx2 v[3:4], v[0:1]
	buffer_load_dword v0, off, s[0:3], 0 offset:16
	s_nop 0
	buffer_load_dword v1, off, s[0:3], 0 offset:20
	;; [unrolled: 5-line block ×26, first 2 shown]
	s_waitcnt vmcnt(0)
	flat_store_dwordx2 v[53:54], v[0:1]
	s_endpgm
	.section	.rodata,"a",@progbits
	.p2align	6, 0x0
	.amdhsa_kernel _ZN9rocsolver6v33100L18getri_kernel_smallILi27EdPKPdEEvT1_iilPiilS6_bb
		.amdhsa_group_segment_fixed_size 440
		.amdhsa_private_segment_fixed_size 224
		.amdhsa_kernarg_size 60
		.amdhsa_user_sgpr_count 6
		.amdhsa_user_sgpr_private_segment_buffer 1
		.amdhsa_user_sgpr_dispatch_ptr 0
		.amdhsa_user_sgpr_queue_ptr 0
		.amdhsa_user_sgpr_kernarg_segment_ptr 1
		.amdhsa_user_sgpr_dispatch_id 0
		.amdhsa_user_sgpr_flat_scratch_init 0
		.amdhsa_user_sgpr_private_segment_size 0
		.amdhsa_uses_dynamic_stack 0
		.amdhsa_system_sgpr_private_segment_wavefront_offset 1
		.amdhsa_system_sgpr_workgroup_id_x 1
		.amdhsa_system_sgpr_workgroup_id_y 0
		.amdhsa_system_sgpr_workgroup_id_z 0
		.amdhsa_system_sgpr_workgroup_info 0
		.amdhsa_system_vgpr_workitem_id 0
		.amdhsa_next_free_vgpr 92
		.amdhsa_next_free_sgpr 21
		.amdhsa_reserve_vcc 1
		.amdhsa_reserve_flat_scratch 0
		.amdhsa_float_round_mode_32 0
		.amdhsa_float_round_mode_16_64 0
		.amdhsa_float_denorm_mode_32 3
		.amdhsa_float_denorm_mode_16_64 3
		.amdhsa_dx10_clamp 1
		.amdhsa_ieee_mode 1
		.amdhsa_fp16_overflow 0
		.amdhsa_exception_fp_ieee_invalid_op 0
		.amdhsa_exception_fp_denorm_src 0
		.amdhsa_exception_fp_ieee_div_zero 0
		.amdhsa_exception_fp_ieee_overflow 0
		.amdhsa_exception_fp_ieee_underflow 0
		.amdhsa_exception_fp_ieee_inexact 0
		.amdhsa_exception_int_div_zero 0
	.end_amdhsa_kernel
	.section	.text._ZN9rocsolver6v33100L18getri_kernel_smallILi27EdPKPdEEvT1_iilPiilS6_bb,"axG",@progbits,_ZN9rocsolver6v33100L18getri_kernel_smallILi27EdPKPdEEvT1_iilPiilS6_bb,comdat
.Lfunc_end90:
	.size	_ZN9rocsolver6v33100L18getri_kernel_smallILi27EdPKPdEEvT1_iilPiilS6_bb, .Lfunc_end90-_ZN9rocsolver6v33100L18getri_kernel_smallILi27EdPKPdEEvT1_iilPiilS6_bb
                                        ; -- End function
	.set _ZN9rocsolver6v33100L18getri_kernel_smallILi27EdPKPdEEvT1_iilPiilS6_bb.num_vgpr, 92
	.set _ZN9rocsolver6v33100L18getri_kernel_smallILi27EdPKPdEEvT1_iilPiilS6_bb.num_agpr, 0
	.set _ZN9rocsolver6v33100L18getri_kernel_smallILi27EdPKPdEEvT1_iilPiilS6_bb.numbered_sgpr, 21
	.set _ZN9rocsolver6v33100L18getri_kernel_smallILi27EdPKPdEEvT1_iilPiilS6_bb.num_named_barrier, 0
	.set _ZN9rocsolver6v33100L18getri_kernel_smallILi27EdPKPdEEvT1_iilPiilS6_bb.private_seg_size, 224
	.set _ZN9rocsolver6v33100L18getri_kernel_smallILi27EdPKPdEEvT1_iilPiilS6_bb.uses_vcc, 1
	.set _ZN9rocsolver6v33100L18getri_kernel_smallILi27EdPKPdEEvT1_iilPiilS6_bb.uses_flat_scratch, 0
	.set _ZN9rocsolver6v33100L18getri_kernel_smallILi27EdPKPdEEvT1_iilPiilS6_bb.has_dyn_sized_stack, 0
	.set _ZN9rocsolver6v33100L18getri_kernel_smallILi27EdPKPdEEvT1_iilPiilS6_bb.has_recursion, 0
	.set _ZN9rocsolver6v33100L18getri_kernel_smallILi27EdPKPdEEvT1_iilPiilS6_bb.has_indirect_call, 0
	.section	.AMDGPU.csdata,"",@progbits
; Kernel info:
; codeLenInByte = 24764
; TotalNumSgprs: 25
; NumVgprs: 92
; ScratchSize: 224
; MemoryBound: 0
; FloatMode: 240
; IeeeMode: 1
; LDSByteSize: 440 bytes/workgroup (compile time only)
; SGPRBlocks: 3
; VGPRBlocks: 22
; NumSGPRsForWavesPerEU: 25
; NumVGPRsForWavesPerEU: 92
; Occupancy: 2
; WaveLimiterHint : 1
; COMPUTE_PGM_RSRC2:SCRATCH_EN: 1
; COMPUTE_PGM_RSRC2:USER_SGPR: 6
; COMPUTE_PGM_RSRC2:TRAP_HANDLER: 0
; COMPUTE_PGM_RSRC2:TGID_X_EN: 1
; COMPUTE_PGM_RSRC2:TGID_Y_EN: 0
; COMPUTE_PGM_RSRC2:TGID_Z_EN: 0
; COMPUTE_PGM_RSRC2:TIDIG_COMP_CNT: 0
	.section	.text._ZN9rocsolver6v33100L18getri_kernel_smallILi28EdPKPdEEvT1_iilPiilS6_bb,"axG",@progbits,_ZN9rocsolver6v33100L18getri_kernel_smallILi28EdPKPdEEvT1_iilPiilS6_bb,comdat
	.globl	_ZN9rocsolver6v33100L18getri_kernel_smallILi28EdPKPdEEvT1_iilPiilS6_bb ; -- Begin function _ZN9rocsolver6v33100L18getri_kernel_smallILi28EdPKPdEEvT1_iilPiilS6_bb
	.p2align	8
	.type	_ZN9rocsolver6v33100L18getri_kernel_smallILi28EdPKPdEEvT1_iilPiilS6_bb,@function
_ZN9rocsolver6v33100L18getri_kernel_smallILi28EdPKPdEEvT1_iilPiilS6_bb: ; @_ZN9rocsolver6v33100L18getri_kernel_smallILi28EdPKPdEEvT1_iilPiilS6_bb
; %bb.0:
	s_add_u32 s0, s0, s7
	s_addc_u32 s1, s1, 0
	v_cmp_gt_u32_e32 vcc, 28, v0
	s_and_saveexec_b64 s[8:9], vcc
	s_cbranch_execz .LBB91_120
; %bb.1:
	s_load_dword s18, s[4:5], 0x38
	s_load_dwordx2 s[12:13], s[4:5], 0x0
	s_load_dwordx4 s[8:11], s[4:5], 0x28
	s_waitcnt lgkmcnt(0)
	s_bitcmp1_b32 s18, 8
	s_cselect_b64 s[14:15], -1, 0
	s_ashr_i32 s7, s6, 31
	s_lshl_b64 s[16:17], s[6:7], 3
	s_add_u32 s12, s12, s16
	s_addc_u32 s13, s13, s17
	s_load_dwordx2 s[16:17], s[12:13], 0x0
	s_bfe_u32 s12, s18, 0x10008
	s_cmp_eq_u32 s12, 0
                                        ; implicit-def: $sgpr12_sgpr13
	s_cbranch_scc1 .LBB91_3
; %bb.2:
	s_load_dword s12, s[4:5], 0x20
	s_load_dwordx2 s[18:19], s[4:5], 0x18
	s_mul_i32 s13, s8, s7
	s_mul_hi_u32 s20, s8, s6
	s_add_i32 s20, s20, s13
	s_mul_i32 s9, s9, s6
	s_add_i32 s9, s20, s9
	s_mul_i32 s8, s8, s6
	s_waitcnt lgkmcnt(0)
	s_ashr_i32 s13, s12, 31
	s_lshl_b64 s[8:9], s[8:9], 2
	s_add_u32 s18, s18, s8
	s_addc_u32 s19, s19, s9
	s_lshl_b64 s[8:9], s[12:13], 2
	s_add_u32 s12, s18, s8
	s_addc_u32 s13, s19, s9
.LBB91_3:
	s_load_dwordx2 s[8:9], s[4:5], 0x8
	s_load_dword s18, s[4:5], 0x38
	v_lshlrev_b32_e32 v59, 3, v0
	s_waitcnt lgkmcnt(0)
	s_ashr_i32 s5, s8, 31
	s_mov_b32 s4, s8
	s_lshl_b64 s[4:5], s[4:5], 3
	s_add_u32 s4, s16, s4
	s_addc_u32 s5, s17, s5
	v_mov_b32_e32 v2, s5
	v_add_co_u32_e32 v1, vcc, s4, v59
	v_addc_co_u32_e32 v2, vcc, 0, v2, vcc
	flat_load_dwordx2 v[5:6], v[1:2]
	s_mov_b32 s16, s9
	s_ashr_i32 s17, s9, 31
	s_lshl_b64 s[16:17], s[16:17], 3
	v_mov_b32_e32 v4, s17
	v_add_co_u32_e32 v3, vcc, s16, v1
	v_addc_co_u32_e32 v4, vcc, v2, v4, vcc
	s_add_i32 s8, s9, s9
	v_add_u32_e32 v9, s8, v0
	v_ashrrev_i32_e32 v10, 31, v9
	v_mov_b32_e32 v11, s5
	v_add_u32_e32 v12, s9, v9
	v_ashrrev_i32_e32 v13, 31, v12
	v_mov_b32_e32 v14, s5
	v_mov_b32_e32 v15, s5
	;; [unrolled: 1-line block ×24, first 2 shown]
	s_bitcmp0_b32 s18, 0
	s_waitcnt vmcnt(0) lgkmcnt(0)
	buffer_store_dword v6, off, s[0:3], 0 offset:4
	buffer_store_dword v5, off, s[0:3], 0
	flat_load_dwordx2 v[7:8], v[3:4]
	v_lshlrev_b64 v[5:6], 3, v[9:10]
	s_waitcnt vmcnt(0) lgkmcnt(0)
	buffer_store_dword v8, off, s[0:3], 0 offset:12
	buffer_store_dword v7, off, s[0:3], 0 offset:8
	v_add_co_u32_e32 v5, vcc, s4, v5
	v_addc_co_u32_e32 v6, vcc, v11, v6, vcc
	flat_load_dwordx2 v[10:11], v[5:6]
	v_lshlrev_b64 v[7:8], 3, v[12:13]
	s_waitcnt vmcnt(0) lgkmcnt(0)
	buffer_store_dword v11, off, s[0:3], 0 offset:20
	buffer_store_dword v10, off, s[0:3], 0 offset:16
	v_add_co_u32_e32 v7, vcc, s4, v7
	v_addc_co_u32_e32 v8, vcc, v14, v8, vcc
	flat_load_dwordx2 v[13:14], v[7:8]
	v_add_u32_e32 v11, s9, v12
	v_ashrrev_i32_e32 v12, 31, v11
	v_lshlrev_b64 v[9:10], 3, v[11:12]
	s_waitcnt vmcnt(0) lgkmcnt(0)
	buffer_store_dword v14, off, s[0:3], 0 offset:28
	buffer_store_dword v13, off, s[0:3], 0 offset:24
	v_add_co_u32_e32 v9, vcc, s4, v9
	v_addc_co_u32_e32 v10, vcc, v15, v10, vcc
	flat_load_dwordx2 v[13:14], v[9:10]
	v_add_u32_e32 v15, s9, v11
	v_ashrrev_i32_e32 v16, 31, v15
	v_lshlrev_b64 v[11:12], 3, v[15:16]
	v_add_u32_e32 v18, s9, v15
	v_add_co_u32_e32 v11, vcc, s4, v11
	v_addc_co_u32_e32 v12, vcc, v17, v12, vcc
	v_ashrrev_i32_e32 v19, 31, v18
	s_waitcnt vmcnt(0) lgkmcnt(0)
	buffer_store_dword v14, off, s[0:3], 0 offset:36
	buffer_store_dword v13, off, s[0:3], 0 offset:32
	flat_load_dwordx2 v[16:17], v[11:12]
	v_lshlrev_b64 v[13:14], 3, v[18:19]
	s_waitcnt vmcnt(0) lgkmcnt(0)
	buffer_store_dword v17, off, s[0:3], 0 offset:44
	buffer_store_dword v16, off, s[0:3], 0 offset:40
	v_add_co_u32_e32 v13, vcc, s4, v13
	v_addc_co_u32_e32 v14, vcc, v20, v14, vcc
	flat_load_dwordx2 v[19:20], v[13:14]
	v_add_u32_e32 v17, s9, v18
	v_ashrrev_i32_e32 v18, 31, v17
	v_lshlrev_b64 v[15:16], 3, v[17:18]
	s_waitcnt vmcnt(0) lgkmcnt(0)
	buffer_store_dword v20, off, s[0:3], 0 offset:52
	buffer_store_dword v19, off, s[0:3], 0 offset:48
	v_add_co_u32_e32 v15, vcc, s4, v15
	v_addc_co_u32_e32 v16, vcc, v21, v16, vcc
	flat_load_dwordx2 v[19:20], v[15:16]
	v_add_u32_e32 v21, s9, v17
	v_ashrrev_i32_e32 v22, 31, v21
	v_lshlrev_b64 v[17:18], 3, v[21:22]
	v_add_u32_e32 v24, s9, v21
	v_add_co_u32_e32 v17, vcc, s4, v17
	v_addc_co_u32_e32 v18, vcc, v23, v18, vcc
	v_ashrrev_i32_e32 v25, 31, v24
	s_waitcnt vmcnt(0) lgkmcnt(0)
	buffer_store_dword v20, off, s[0:3], 0 offset:60
	buffer_store_dword v19, off, s[0:3], 0 offset:56
	;; [unrolled: 27-line block ×7, first 2 shown]
	flat_load_dwordx2 v[52:53], v[47:48]
	v_lshlrev_b64 v[49:50], 3, v[54:55]
	s_waitcnt vmcnt(0) lgkmcnt(0)
	buffer_store_dword v53, off, s[0:3], 0 offset:188
	buffer_store_dword v52, off, s[0:3], 0 offset:184
	v_add_co_u32_e32 v49, vcc, s4, v49
	v_addc_co_u32_e32 v50, vcc, v56, v50, vcc
	flat_load_dwordx2 v[55:56], v[49:50]
	v_add_u32_e32 v53, s9, v54
	v_ashrrev_i32_e32 v54, 31, v53
	v_lshlrev_b64 v[51:52], 3, v[53:54]
	s_waitcnt vmcnt(0) lgkmcnt(0)
	buffer_store_dword v56, off, s[0:3], 0 offset:196
	buffer_store_dword v55, off, s[0:3], 0 offset:192
	v_add_co_u32_e32 v51, vcc, s4, v51
	v_addc_co_u32_e32 v52, vcc, v57, v52, vcc
	flat_load_dwordx2 v[55:56], v[51:52]
	v_add_u32_e32 v57, s9, v53
	v_ashrrev_i32_e32 v58, 31, v57
	v_lshlrev_b64 v[53:54], 3, v[57:58]
	v_mov_b32_e32 v58, s5
	v_add_co_u32_e32 v53, vcc, s4, v53
	v_addc_co_u32_e32 v54, vcc, v60, v54, vcc
	s_waitcnt vmcnt(0) lgkmcnt(0)
	buffer_store_dword v56, off, s[0:3], 0 offset:204
	buffer_store_dword v55, off, s[0:3], 0 offset:200
	flat_load_dwordx2 v[60:61], v[53:54]
	v_add_u32_e32 v55, s9, v57
	v_ashrrev_i32_e32 v56, 31, v55
	v_lshlrev_b64 v[55:56], 3, v[55:56]
	s_mov_b64 s[8:9], -1
	v_add_co_u32_e32 v55, vcc, s4, v55
	v_addc_co_u32_e32 v56, vcc, v58, v56, vcc
	s_waitcnt vmcnt(0) lgkmcnt(0)
	buffer_store_dword v61, off, s[0:3], 0 offset:212
	buffer_store_dword v60, off, s[0:3], 0 offset:208
	flat_load_dwordx2 v[57:58], v[55:56]
	s_waitcnt vmcnt(0) lgkmcnt(0)
	buffer_store_dword v58, off, s[0:3], 0 offset:220
	buffer_store_dword v57, off, s[0:3], 0 offset:216
	s_cbranch_scc1 .LBB91_118
; %bb.4:
	v_cmp_eq_u32_e64 s[4:5], 0, v0
	s_and_saveexec_b64 s[8:9], s[4:5]
; %bb.5:
	v_mov_b32_e32 v57, 0
	ds_write_b32 v57, v57 offset:448
; %bb.6:
	s_or_b64 exec, exec, s[8:9]
	v_mov_b32_e32 v57, 0
	v_lshl_add_u32 v57, v0, 3, v57
	s_waitcnt lgkmcnt(0)
	; wave barrier
	buffer_load_dword v60, v57, s[0:3], 0 offen
	buffer_load_dword v61, v57, s[0:3], 0 offen offset:4
	s_waitcnt vmcnt(0)
	v_cmp_eq_f64_e32 vcc, 0, v[60:61]
	s_and_saveexec_b64 s[16:17], vcc
	s_cbranch_execz .LBB91_10
; %bb.7:
	v_mov_b32_e32 v58, 0
	ds_read_b32 v61, v58 offset:448
	v_add_u32_e32 v60, 1, v0
	s_waitcnt lgkmcnt(0)
	v_readfirstlane_b32 s8, v61
	s_cmp_eq_u32 s8, 0
	s_cselect_b64 s[18:19], -1, 0
	v_cmp_gt_i32_e32 vcc, s8, v60
	s_or_b64 s[18:19], s[18:19], vcc
	s_and_b64 exec, exec, s[18:19]
	s_cbranch_execz .LBB91_10
; %bb.8:
	s_mov_b64 s[18:19], 0
	v_mov_b32_e32 v61, s8
.LBB91_9:                               ; =>This Inner Loop Header: Depth=1
	ds_cmpst_rtn_b32 v61, v58, v61, v60 offset:448
	s_waitcnt lgkmcnt(0)
	v_cmp_ne_u32_e32 vcc, 0, v61
	v_cmp_le_i32_e64 s[8:9], v61, v60
	s_and_b64 s[8:9], vcc, s[8:9]
	s_and_b64 s[8:9], exec, s[8:9]
	s_or_b64 s[18:19], s[8:9], s[18:19]
	s_andn2_b64 exec, exec, s[18:19]
	s_cbranch_execnz .LBB91_9
.LBB91_10:
	s_or_b64 exec, exec, s[16:17]
	v_mov_b32_e32 v60, 0
	; wave barrier
	ds_read_b32 v58, v60 offset:448
	s_and_saveexec_b64 s[8:9], s[4:5]
	s_cbranch_execz .LBB91_12
; %bb.11:
	s_lshl_b64 s[16:17], s[6:7], 2
	s_add_u32 s16, s10, s16
	s_addc_u32 s17, s11, s17
	s_waitcnt lgkmcnt(0)
	global_store_dword v60, v58, s[16:17]
.LBB91_12:
	s_or_b64 exec, exec, s[8:9]
	s_waitcnt lgkmcnt(0)
	v_cmp_ne_u32_e32 vcc, 0, v58
	s_mov_b64 s[8:9], 0
	s_cbranch_vccnz .LBB91_118
; %bb.13:
	buffer_load_dword v60, v57, s[0:3], 0 offen
	buffer_load_dword v61, v57, s[0:3], 0 offen offset:4
	s_waitcnt vmcnt(0)
	v_div_scale_f64 v[62:63], s[8:9], v[60:61], v[60:61], 1.0
	v_rcp_f64_e32 v[64:65], v[62:63]
	v_fma_f64 v[66:67], -v[62:63], v[64:65], 1.0
	v_fma_f64 v[64:65], v[64:65], v[66:67], v[64:65]
	v_div_scale_f64 v[66:67], vcc, 1.0, v[60:61], 1.0
	v_fma_f64 v[68:69], -v[62:63], v[64:65], 1.0
	v_fma_f64 v[64:65], v[64:65], v[68:69], v[64:65]
	v_mul_f64 v[68:69], v[66:67], v[64:65]
	v_fma_f64 v[62:63], -v[62:63], v[68:69], v[66:67]
	v_div_fmas_f64 v[62:63], v[62:63], v[64:65], v[68:69]
	v_div_fixup_f64 v[61:62], v[62:63], v[60:61], 1.0
	v_add_u32_e32 v60, 0xe0, v59
	buffer_store_dword v62, v57, s[0:3], 0 offen offset:4
	buffer_store_dword v61, v57, s[0:3], 0 offen
	buffer_load_dword v64, off, s[0:3], 0 offset:12
	buffer_load_dword v63, off, s[0:3], 0 offset:8
	v_xor_b32_e32 v62, 0x80000000, v62
	s_waitcnt vmcnt(0)
	ds_write2_b64 v59, v[61:62], v[63:64] offset1:28
	s_waitcnt lgkmcnt(0)
	; wave barrier
	s_and_saveexec_b64 s[8:9], s[4:5]
	s_cbranch_execz .LBB91_15
; %bb.14:
	buffer_load_dword v61, v57, s[0:3], 0 offen
	buffer_load_dword v62, v57, s[0:3], 0 offen offset:4
	ds_read_b64 v[63:64], v60
	v_mov_b32_e32 v58, 0
	ds_read_b64 v[65:66], v58 offset:8
	s_waitcnt vmcnt(0) lgkmcnt(1)
	v_fma_f64 v[61:62], v[61:62], v[63:64], 0
	s_waitcnt lgkmcnt(0)
	v_mul_f64 v[61:62], v[61:62], v[65:66]
	buffer_store_dword v61, off, s[0:3], 0 offset:8
	buffer_store_dword v62, off, s[0:3], 0 offset:12
.LBB91_15:
	s_or_b64 exec, exec, s[8:9]
	; wave barrier
	buffer_load_dword v61, off, s[0:3], 0 offset:16
	buffer_load_dword v62, off, s[0:3], 0 offset:20
	v_cmp_gt_u32_e32 vcc, 2, v0
	s_waitcnt vmcnt(0)
	ds_write_b64 v60, v[61:62]
	s_waitcnt lgkmcnt(0)
	; wave barrier
	s_and_saveexec_b64 s[8:9], vcc
	s_cbranch_execz .LBB91_17
; %bb.16:
	buffer_load_dword v61, v57, s[0:3], 0 offen
	buffer_load_dword v62, v57, s[0:3], 0 offen offset:4
                                        ; kill: killed $vgpr57
	s_nop 0
	buffer_load_dword v57, off, s[0:3], 0 offset:8
	buffer_load_dword v58, off, s[0:3], 0 offset:12
	ds_read_b64 v[63:64], v60
	s_waitcnt vmcnt(2) lgkmcnt(0)
	v_fma_f64 v[65:66], v[61:62], v[63:64], 0
	v_mov_b32_e32 v61, 0
	ds_read2_b64 v[61:64], v61 offset0:2 offset1:29
	s_waitcnt vmcnt(0) lgkmcnt(0)
	v_fma_f64 v[57:58], v[57:58], v[63:64], v[65:66]
	v_cndmask_b32_e64 v58, v66, v58, s[4:5]
	v_cndmask_b32_e64 v57, v65, v57, s[4:5]
	v_mul_f64 v[57:58], v[57:58], v[61:62]
	buffer_store_dword v58, off, s[0:3], 0 offset:20
	buffer_store_dword v57, off, s[0:3], 0 offset:16
.LBB91_17:
	s_or_b64 exec, exec, s[8:9]
	; wave barrier
	buffer_load_dword v57, off, s[0:3], 0 offset:24
	buffer_load_dword v58, off, s[0:3], 0 offset:28
	v_cmp_gt_u32_e32 vcc, 3, v0
	v_add_u32_e32 v61, -1, v0
	s_waitcnt vmcnt(0)
	ds_write_b64 v60, v[57:58]
	s_waitcnt lgkmcnt(0)
	; wave barrier
	s_and_saveexec_b64 s[4:5], vcc
	s_cbranch_execz .LBB91_21
; %bb.18:
	v_mov_b32_e32 v57, 0
	v_add_u32_e32 v62, -1, v0
	v_add_u32_e32 v63, 0xe0, v59
	v_mov_b32_e32 v64, v59
	v_mov_b32_e32 v58, 0
	s_mov_b64 s[8:9], 0
.LBB91_19:                              ; =>This Inner Loop Header: Depth=1
	buffer_load_dword v65, v64, s[0:3], 0 offen
	buffer_load_dword v66, v64, s[0:3], 0 offen offset:4
	ds_read_b64 v[67:68], v63
	v_add_u32_e32 v62, 1, v62
	v_cmp_lt_u32_e32 vcc, 1, v62
	v_add_u32_e32 v63, 8, v63
	s_or_b64 s[8:9], vcc, s[8:9]
	v_add_u32_e32 v64, 8, v64
	s_waitcnt vmcnt(0) lgkmcnt(0)
	v_fma_f64 v[57:58], v[65:66], v[67:68], v[57:58]
	s_andn2_b64 exec, exec, s[8:9]
	s_cbranch_execnz .LBB91_19
; %bb.20:
	s_or_b64 exec, exec, s[8:9]
	v_mov_b32_e32 v62, 0
	ds_read_b64 v[62:63], v62 offset:24
	s_waitcnt lgkmcnt(0)
	v_mul_f64 v[57:58], v[57:58], v[62:63]
	buffer_store_dword v58, off, s[0:3], 0 offset:28
	buffer_store_dword v57, off, s[0:3], 0 offset:24
.LBB91_21:
	s_or_b64 exec, exec, s[4:5]
	; wave barrier
	buffer_load_dword v57, off, s[0:3], 0 offset:32
	buffer_load_dword v58, off, s[0:3], 0 offset:36
	v_cmp_gt_u32_e32 vcc, 4, v0
	s_waitcnt vmcnt(0)
	ds_write_b64 v60, v[57:58]
	s_waitcnt lgkmcnt(0)
	; wave barrier
	s_and_saveexec_b64 s[4:5], vcc
	s_cbranch_execz .LBB91_25
; %bb.22:
	v_mov_b32_e32 v57, 0
	v_add_u32_e32 v62, -1, v0
	v_add_u32_e32 v63, 0xe0, v59
	v_mov_b32_e32 v64, v59
	v_mov_b32_e32 v58, 0
	s_mov_b64 s[8:9], 0
.LBB91_23:                              ; =>This Inner Loop Header: Depth=1
	buffer_load_dword v65, v64, s[0:3], 0 offen
	buffer_load_dword v66, v64, s[0:3], 0 offen offset:4
	ds_read_b64 v[67:68], v63
	v_add_u32_e32 v62, 1, v62
	v_cmp_lt_u32_e32 vcc, 2, v62
	v_add_u32_e32 v63, 8, v63
	s_or_b64 s[8:9], vcc, s[8:9]
	v_add_u32_e32 v64, 8, v64
	s_waitcnt vmcnt(0) lgkmcnt(0)
	v_fma_f64 v[57:58], v[65:66], v[67:68], v[57:58]
	s_andn2_b64 exec, exec, s[8:9]
	s_cbranch_execnz .LBB91_23
; %bb.24:
	s_or_b64 exec, exec, s[8:9]
	v_mov_b32_e32 v62, 0
	ds_read_b64 v[62:63], v62 offset:32
	s_waitcnt lgkmcnt(0)
	v_mul_f64 v[57:58], v[57:58], v[62:63]
	buffer_store_dword v58, off, s[0:3], 0 offset:36
	buffer_store_dword v57, off, s[0:3], 0 offset:32
.LBB91_25:
	s_or_b64 exec, exec, s[4:5]
	; wave barrier
	buffer_load_dword v57, off, s[0:3], 0 offset:40
	buffer_load_dword v58, off, s[0:3], 0 offset:44
	v_cmp_gt_u32_e32 vcc, 5, v0
	;; [unrolled: 40-line block ×21, first 2 shown]
	s_waitcnt vmcnt(0)
	ds_write_b64 v60, v[57:58]
	s_waitcnt lgkmcnt(0)
	; wave barrier
	s_and_saveexec_b64 s[4:5], vcc
	s_cbranch_execz .LBB91_105
; %bb.102:
	v_mov_b32_e32 v57, 0
	v_add_u32_e32 v62, -1, v0
	v_add_u32_e32 v63, 0xe0, v59
	v_mov_b32_e32 v64, v59
	v_mov_b32_e32 v58, 0
	s_mov_b64 s[8:9], 0
.LBB91_103:                             ; =>This Inner Loop Header: Depth=1
	buffer_load_dword v65, v64, s[0:3], 0 offen
	buffer_load_dword v66, v64, s[0:3], 0 offen offset:4
	ds_read_b64 v[67:68], v63
	v_add_u32_e32 v62, 1, v62
	v_cmp_lt_u32_e32 vcc, 22, v62
	v_add_u32_e32 v63, 8, v63
	s_or_b64 s[8:9], vcc, s[8:9]
	v_add_u32_e32 v64, 8, v64
	s_waitcnt vmcnt(0) lgkmcnt(0)
	v_fma_f64 v[57:58], v[65:66], v[67:68], v[57:58]
	s_andn2_b64 exec, exec, s[8:9]
	s_cbranch_execnz .LBB91_103
; %bb.104:
	s_or_b64 exec, exec, s[8:9]
	v_mov_b32_e32 v62, 0
	ds_read_b64 v[62:63], v62 offset:192
	s_waitcnt lgkmcnt(0)
	v_mul_f64 v[57:58], v[57:58], v[62:63]
	buffer_store_dword v58, off, s[0:3], 0 offset:196
	buffer_store_dword v57, off, s[0:3], 0 offset:192
.LBB91_105:
	s_or_b64 exec, exec, s[4:5]
	; wave barrier
	buffer_load_dword v57, off, s[0:3], 0 offset:200
	buffer_load_dword v58, off, s[0:3], 0 offset:204
	v_cmp_gt_u32_e32 vcc, 25, v0
	s_waitcnt vmcnt(0)
	ds_write_b64 v60, v[57:58]
	s_waitcnt lgkmcnt(0)
	; wave barrier
	s_and_saveexec_b64 s[4:5], vcc
	s_cbranch_execz .LBB91_109
; %bb.106:
	v_mov_b32_e32 v57, 0
	v_add_u32_e32 v62, -1, v0
	v_add_u32_e32 v63, 0xe0, v59
	v_mov_b32_e32 v64, v59
	v_mov_b32_e32 v58, 0
	s_mov_b64 s[8:9], 0
.LBB91_107:                             ; =>This Inner Loop Header: Depth=1
	buffer_load_dword v65, v64, s[0:3], 0 offen
	buffer_load_dword v66, v64, s[0:3], 0 offen offset:4
	ds_read_b64 v[67:68], v63
	v_add_u32_e32 v62, 1, v62
	v_cmp_lt_u32_e32 vcc, 23, v62
	v_add_u32_e32 v63, 8, v63
	s_or_b64 s[8:9], vcc, s[8:9]
	v_add_u32_e32 v64, 8, v64
	s_waitcnt vmcnt(0) lgkmcnt(0)
	v_fma_f64 v[57:58], v[65:66], v[67:68], v[57:58]
	s_andn2_b64 exec, exec, s[8:9]
	s_cbranch_execnz .LBB91_107
; %bb.108:
	s_or_b64 exec, exec, s[8:9]
	v_mov_b32_e32 v62, 0
	ds_read_b64 v[62:63], v62 offset:200
	s_waitcnt lgkmcnt(0)
	v_mul_f64 v[57:58], v[57:58], v[62:63]
	buffer_store_dword v58, off, s[0:3], 0 offset:204
	buffer_store_dword v57, off, s[0:3], 0 offset:200
.LBB91_109:
	s_or_b64 exec, exec, s[4:5]
	; wave barrier
	buffer_load_dword v57, off, s[0:3], 0 offset:208
	buffer_load_dword v58, off, s[0:3], 0 offset:212
	v_cmp_gt_u32_e32 vcc, 26, v0
	s_waitcnt vmcnt(0)
	ds_write_b64 v60, v[57:58]
	s_waitcnt lgkmcnt(0)
	; wave barrier
	s_and_saveexec_b64 s[4:5], vcc
	s_cbranch_execz .LBB91_113
; %bb.110:
	v_mov_b32_e32 v57, 0
	v_add_u32_e32 v62, -1, v0
	v_add_u32_e32 v63, 0xe0, v59
	v_mov_b32_e32 v64, v59
	v_mov_b32_e32 v58, 0
	s_mov_b64 s[8:9], 0
.LBB91_111:                             ; =>This Inner Loop Header: Depth=1
	buffer_load_dword v65, v64, s[0:3], 0 offen
	buffer_load_dword v66, v64, s[0:3], 0 offen offset:4
	ds_read_b64 v[67:68], v63
	v_add_u32_e32 v62, 1, v62
	v_cmp_lt_u32_e32 vcc, 24, v62
	v_add_u32_e32 v63, 8, v63
	s_or_b64 s[8:9], vcc, s[8:9]
	v_add_u32_e32 v64, 8, v64
	s_waitcnt vmcnt(0) lgkmcnt(0)
	v_fma_f64 v[57:58], v[65:66], v[67:68], v[57:58]
	s_andn2_b64 exec, exec, s[8:9]
	s_cbranch_execnz .LBB91_111
; %bb.112:
	s_or_b64 exec, exec, s[8:9]
	v_mov_b32_e32 v62, 0
	ds_read_b64 v[62:63], v62 offset:208
	s_waitcnt lgkmcnt(0)
	v_mul_f64 v[57:58], v[57:58], v[62:63]
	buffer_store_dword v58, off, s[0:3], 0 offset:212
	buffer_store_dword v57, off, s[0:3], 0 offset:208
.LBB91_113:
	s_or_b64 exec, exec, s[4:5]
	; wave barrier
	buffer_load_dword v57, off, s[0:3], 0 offset:216
	buffer_load_dword v58, off, s[0:3], 0 offset:220
	v_cmp_ne_u32_e32 vcc, 27, v0
	s_waitcnt vmcnt(0)
	ds_write_b64 v60, v[57:58]
	s_waitcnt lgkmcnt(0)
	; wave barrier
	s_and_saveexec_b64 s[4:5], vcc
	s_cbranch_execz .LBB91_117
; %bb.114:
	v_mov_b32_e32 v57, 0
	v_add_u32_e32 v60, 0xe0, v59
	v_mov_b32_e32 v58, 0
	s_mov_b64 s[8:9], 0
.LBB91_115:                             ; =>This Inner Loop Header: Depth=1
	buffer_load_dword v62, v59, s[0:3], 0 offen
	buffer_load_dword v63, v59, s[0:3], 0 offen offset:4
	ds_read_b64 v[64:65], v60
	v_add_u32_e32 v61, 1, v61
	v_cmp_lt_u32_e32 vcc, 25, v61
	v_add_u32_e32 v60, 8, v60
	s_or_b64 s[8:9], vcc, s[8:9]
	v_add_u32_e32 v59, 8, v59
	s_waitcnt vmcnt(0) lgkmcnt(0)
	v_fma_f64 v[57:58], v[62:63], v[64:65], v[57:58]
	s_andn2_b64 exec, exec, s[8:9]
	s_cbranch_execnz .LBB91_115
; %bb.116:
	s_or_b64 exec, exec, s[8:9]
	v_mov_b32_e32 v59, 0
	ds_read_b64 v[59:60], v59 offset:216
	s_waitcnt lgkmcnt(0)
	v_mul_f64 v[57:58], v[57:58], v[59:60]
	buffer_store_dword v58, off, s[0:3], 0 offset:220
	buffer_store_dword v57, off, s[0:3], 0 offset:216
.LBB91_117:
	s_or_b64 exec, exec, s[4:5]
	s_mov_b64 s[8:9], -1
	; wave barrier
.LBB91_118:
	s_and_b64 vcc, exec, s[8:9]
	s_cbranch_vccz .LBB91_120
; %bb.119:
	s_lshl_b64 s[4:5], s[6:7], 2
	s_add_u32 s4, s10, s4
	s_addc_u32 s5, s11, s5
	v_mov_b32_e32 v57, 0
	global_load_dword v57, v57, s[4:5]
	s_waitcnt vmcnt(0)
	v_cmp_ne_u32_e32 vcc, 0, v57
	s_cbranch_vccz .LBB91_121
.LBB91_120:
	s_endpgm
.LBB91_121:
	v_mov_b32_e32 v57, 0xe0
	v_lshl_add_u32 v57, v0, 3, v57
	v_cmp_eq_u32_e32 vcc, 27, v0
	s_and_saveexec_b64 s[4:5], vcc
	s_cbranch_execz .LBB91_123
; %bb.122:
	buffer_load_dword v58, off, s[0:3], 0 offset:208
	buffer_load_dword v59, off, s[0:3], 0 offset:212
	v_mov_b32_e32 v60, 0
	buffer_store_dword v60, off, s[0:3], 0 offset:208
	buffer_store_dword v60, off, s[0:3], 0 offset:212
	s_waitcnt vmcnt(2)
	ds_write_b64 v57, v[58:59]
.LBB91_123:
	s_or_b64 exec, exec, s[4:5]
	s_waitcnt lgkmcnt(0)
	; wave barrier
	buffer_load_dword v59, off, s[0:3], 0 offset:216
	buffer_load_dword v60, off, s[0:3], 0 offset:220
	;; [unrolled: 1-line block ×4, first 2 shown]
	v_mov_b32_e32 v58, 0
	ds_read_b64 v[63:64], v58 offset:440
	v_cmp_lt_u32_e32 vcc, 25, v0
	s_waitcnt vmcnt(2) lgkmcnt(0)
	v_fma_f64 v[59:60], v[59:60], v[63:64], 0
	s_waitcnt vmcnt(0)
	v_add_f64 v[59:60], v[61:62], -v[59:60]
	buffer_store_dword v59, off, s[0:3], 0 offset:208
	buffer_store_dword v60, off, s[0:3], 0 offset:212
	s_and_saveexec_b64 s[4:5], vcc
	s_cbranch_execz .LBB91_125
; %bb.124:
	buffer_load_dword v59, off, s[0:3], 0 offset:200
	buffer_load_dword v60, off, s[0:3], 0 offset:204
	s_waitcnt vmcnt(0)
	ds_write_b64 v57, v[59:60]
	buffer_store_dword v58, off, s[0:3], 0 offset:200
	buffer_store_dword v58, off, s[0:3], 0 offset:204
.LBB91_125:
	s_or_b64 exec, exec, s[4:5]
	s_waitcnt lgkmcnt(0)
	; wave barrier
	buffer_load_dword v62, off, s[0:3], 0 offset:208
	buffer_load_dword v63, off, s[0:3], 0 offset:212
	;; [unrolled: 1-line block ×6, first 2 shown]
	ds_read_b128 v[58:61], v58 offset:432
	v_cmp_lt_u32_e32 vcc, 24, v0
	s_waitcnt vmcnt(4) lgkmcnt(0)
	v_fma_f64 v[58:59], v[62:63], v[58:59], 0
	s_waitcnt vmcnt(2)
	v_fma_f64 v[58:59], v[64:65], v[60:61], v[58:59]
	s_waitcnt vmcnt(0)
	v_add_f64 v[58:59], v[66:67], -v[58:59]
	buffer_store_dword v58, off, s[0:3], 0 offset:200
	buffer_store_dword v59, off, s[0:3], 0 offset:204
	s_and_saveexec_b64 s[4:5], vcc
	s_cbranch_execz .LBB91_127
; %bb.126:
	buffer_load_dword v58, off, s[0:3], 0 offset:192
	buffer_load_dword v59, off, s[0:3], 0 offset:196
	v_mov_b32_e32 v60, 0
	buffer_store_dword v60, off, s[0:3], 0 offset:192
	buffer_store_dword v60, off, s[0:3], 0 offset:196
	s_waitcnt vmcnt(2)
	ds_write_b64 v57, v[58:59]
.LBB91_127:
	s_or_b64 exec, exec, s[4:5]
	s_waitcnt lgkmcnt(0)
	; wave barrier
	buffer_load_dword v63, off, s[0:3], 0 offset:200
	buffer_load_dword v64, off, s[0:3], 0 offset:204
	;; [unrolled: 1-line block ×8, first 2 shown]
	v_mov_b32_e32 v58, 0
	ds_read2_b64 v[59:62], v58 offset0:53 offset1:54
	ds_read_b64 v[71:72], v58 offset:440
	v_cmp_lt_u32_e32 vcc, 23, v0
	s_waitcnt vmcnt(6) lgkmcnt(1)
	v_fma_f64 v[59:60], v[63:64], v[59:60], 0
	s_waitcnt vmcnt(4)
	v_fma_f64 v[59:60], v[65:66], v[61:62], v[59:60]
	s_waitcnt vmcnt(2) lgkmcnt(0)
	v_fma_f64 v[59:60], v[67:68], v[71:72], v[59:60]
	s_waitcnt vmcnt(0)
	v_add_f64 v[59:60], v[69:70], -v[59:60]
	buffer_store_dword v59, off, s[0:3], 0 offset:192
	buffer_store_dword v60, off, s[0:3], 0 offset:196
	s_and_saveexec_b64 s[4:5], vcc
	s_cbranch_execz .LBB91_129
; %bb.128:
	buffer_load_dword v59, off, s[0:3], 0 offset:184
	buffer_load_dword v60, off, s[0:3], 0 offset:188
	s_waitcnt vmcnt(0)
	ds_write_b64 v57, v[59:60]
	buffer_store_dword v58, off, s[0:3], 0 offset:184
	buffer_store_dword v58, off, s[0:3], 0 offset:188
.LBB91_129:
	s_or_b64 exec, exec, s[4:5]
	s_waitcnt lgkmcnt(0)
	; wave barrier
	buffer_load_dword v67, off, s[0:3], 0 offset:192
	buffer_load_dword v68, off, s[0:3], 0 offset:196
	;; [unrolled: 1-line block ×10, first 2 shown]
	ds_read_b128 v[59:62], v58 offset:416
	ds_read_b128 v[63:66], v58 offset:432
	v_cmp_lt_u32_e32 vcc, 22, v0
	s_waitcnt vmcnt(8) lgkmcnt(1)
	v_fma_f64 v[58:59], v[67:68], v[59:60], 0
	s_waitcnt vmcnt(6)
	v_fma_f64 v[58:59], v[69:70], v[61:62], v[58:59]
	s_waitcnt vmcnt(4) lgkmcnt(0)
	v_fma_f64 v[58:59], v[71:72], v[63:64], v[58:59]
	s_waitcnt vmcnt(2)
	v_fma_f64 v[58:59], v[73:74], v[65:66], v[58:59]
	s_waitcnt vmcnt(0)
	v_add_f64 v[58:59], v[75:76], -v[58:59]
	buffer_store_dword v58, off, s[0:3], 0 offset:184
	buffer_store_dword v59, off, s[0:3], 0 offset:188
	s_and_saveexec_b64 s[4:5], vcc
	s_cbranch_execz .LBB91_131
; %bb.130:
	buffer_load_dword v58, off, s[0:3], 0 offset:176
	buffer_load_dword v59, off, s[0:3], 0 offset:180
	v_mov_b32_e32 v60, 0
	buffer_store_dword v60, off, s[0:3], 0 offset:176
	buffer_store_dword v60, off, s[0:3], 0 offset:180
	s_waitcnt vmcnt(2)
	ds_write_b64 v57, v[58:59]
.LBB91_131:
	s_or_b64 exec, exec, s[4:5]
	s_waitcnt lgkmcnt(0)
	; wave barrier
	buffer_load_dword v67, off, s[0:3], 0 offset:184
	buffer_load_dword v68, off, s[0:3], 0 offset:188
	;; [unrolled: 1-line block ×12, first 2 shown]
	v_mov_b32_e32 v58, 0
	ds_read2_b64 v[59:62], v58 offset0:51 offset1:52
	ds_read2_b64 v[63:66], v58 offset0:53 offset1:54
	v_cmp_lt_u32_e32 vcc, 21, v0
	s_waitcnt vmcnt(10) lgkmcnt(1)
	v_fma_f64 v[59:60], v[67:68], v[59:60], 0
	s_waitcnt vmcnt(8)
	v_fma_f64 v[59:60], v[69:70], v[61:62], v[59:60]
	ds_read_b64 v[61:62], v58 offset:440
	s_waitcnt vmcnt(6) lgkmcnt(1)
	v_fma_f64 v[59:60], v[71:72], v[63:64], v[59:60]
	s_waitcnt vmcnt(4)
	v_fma_f64 v[59:60], v[73:74], v[65:66], v[59:60]
	s_waitcnt vmcnt(2) lgkmcnt(0)
	v_fma_f64 v[59:60], v[75:76], v[61:62], v[59:60]
	s_waitcnt vmcnt(0)
	v_add_f64 v[59:60], v[77:78], -v[59:60]
	buffer_store_dword v59, off, s[0:3], 0 offset:176
	buffer_store_dword v60, off, s[0:3], 0 offset:180
	s_and_saveexec_b64 s[4:5], vcc
	s_cbranch_execz .LBB91_133
; %bb.132:
	buffer_load_dword v59, off, s[0:3], 0 offset:168
	buffer_load_dword v60, off, s[0:3], 0 offset:172
	s_waitcnt vmcnt(0)
	ds_write_b64 v57, v[59:60]
	buffer_store_dword v58, off, s[0:3], 0 offset:168
	buffer_store_dword v58, off, s[0:3], 0 offset:172
.LBB91_133:
	s_or_b64 exec, exec, s[4:5]
	s_waitcnt lgkmcnt(0)
	; wave barrier
	buffer_load_dword v67, off, s[0:3], 0 offset:176
	buffer_load_dword v68, off, s[0:3], 0 offset:180
	;; [unrolled: 1-line block ×14, first 2 shown]
	ds_read_b128 v[59:62], v58 offset:400
	ds_read_b128 v[63:66], v58 offset:416
	v_cmp_lt_u32_e32 vcc, 20, v0
	s_waitcnt vmcnt(12) lgkmcnt(1)
	v_fma_f64 v[59:60], v[67:68], v[59:60], 0
	s_waitcnt vmcnt(10)
	v_fma_f64 v[59:60], v[69:70], v[61:62], v[59:60]
	s_waitcnt vmcnt(8) lgkmcnt(0)
	v_fma_f64 v[59:60], v[71:72], v[63:64], v[59:60]
	s_waitcnt vmcnt(6)
	v_fma_f64 v[62:63], v[73:74], v[65:66], v[59:60]
	ds_read_b128 v[58:61], v58 offset:432
	s_waitcnt vmcnt(4) lgkmcnt(0)
	v_fma_f64 v[58:59], v[75:76], v[58:59], v[62:63]
	s_waitcnt vmcnt(2)
	v_fma_f64 v[58:59], v[77:78], v[60:61], v[58:59]
	s_waitcnt vmcnt(0)
	v_add_f64 v[58:59], v[79:80], -v[58:59]
	buffer_store_dword v58, off, s[0:3], 0 offset:168
	buffer_store_dword v59, off, s[0:3], 0 offset:172
	s_and_saveexec_b64 s[4:5], vcc
	s_cbranch_execz .LBB91_135
; %bb.134:
	buffer_load_dword v58, off, s[0:3], 0 offset:160
	buffer_load_dword v59, off, s[0:3], 0 offset:164
	v_mov_b32_e32 v60, 0
	buffer_store_dword v60, off, s[0:3], 0 offset:160
	buffer_store_dword v60, off, s[0:3], 0 offset:164
	s_waitcnt vmcnt(2)
	ds_write_b64 v57, v[58:59]
.LBB91_135:
	s_or_b64 exec, exec, s[4:5]
	s_waitcnt lgkmcnt(0)
	; wave barrier
	buffer_load_dword v63, off, s[0:3], 0 offset:160
	buffer_load_dword v64, off, s[0:3], 0 offset:164
	;; [unrolled: 1-line block ×16, first 2 shown]
	v_mov_b32_e32 v58, 0
	ds_read2_b64 v[59:62], v58 offset0:49 offset1:50
	v_cmp_lt_u32_e32 vcc, 19, v0
	s_waitcnt vmcnt(12) lgkmcnt(0)
	v_fma_f64 v[59:60], v[65:66], v[59:60], 0
	s_waitcnt vmcnt(10)
	v_fma_f64 v[65:66], v[67:68], v[61:62], v[59:60]
	ds_read2_b64 v[59:62], v58 offset0:51 offset1:52
	s_waitcnt vmcnt(8) lgkmcnt(0)
	v_fma_f64 v[59:60], v[69:70], v[59:60], v[65:66]
	s_waitcnt vmcnt(6)
	v_fma_f64 v[65:66], v[71:72], v[61:62], v[59:60]
	ds_read2_b64 v[59:62], v58 offset0:53 offset1:54
	s_waitcnt vmcnt(4) lgkmcnt(0)
	v_fma_f64 v[59:60], v[73:74], v[59:60], v[65:66]
	s_waitcnt vmcnt(2)
	v_fma_f64 v[59:60], v[75:76], v[61:62], v[59:60]
	ds_read_b64 v[61:62], v58 offset:440
	s_waitcnt vmcnt(0) lgkmcnt(0)
	v_fma_f64 v[59:60], v[77:78], v[61:62], v[59:60]
	v_add_f64 v[59:60], v[63:64], -v[59:60]
	buffer_store_dword v59, off, s[0:3], 0 offset:160
	buffer_store_dword v60, off, s[0:3], 0 offset:164
	s_and_saveexec_b64 s[4:5], vcc
	s_cbranch_execz .LBB91_137
; %bb.136:
	buffer_load_dword v59, off, s[0:3], 0 offset:152
	buffer_load_dword v60, off, s[0:3], 0 offset:156
	s_waitcnt vmcnt(0)
	ds_write_b64 v57, v[59:60]
	buffer_store_dword v58, off, s[0:3], 0 offset:152
	buffer_store_dword v58, off, s[0:3], 0 offset:156
.LBB91_137:
	s_or_b64 exec, exec, s[4:5]
	s_waitcnt lgkmcnt(0)
	; wave barrier
	buffer_load_dword v63, off, s[0:3], 0 offset:160
	buffer_load_dword v64, off, s[0:3], 0 offset:164
	;; [unrolled: 1-line block ×18, first 2 shown]
	ds_read_b128 v[59:62], v58 offset:384
	v_cmp_lt_u32_e32 vcc, 18, v0
	s_waitcnt vmcnt(16) lgkmcnt(0)
	v_fma_f64 v[59:60], v[63:64], v[59:60], 0
	s_waitcnt vmcnt(14)
	v_fma_f64 v[63:64], v[65:66], v[61:62], v[59:60]
	ds_read_b128 v[59:62], v58 offset:400
	s_waitcnt vmcnt(12) lgkmcnt(0)
	v_fma_f64 v[59:60], v[67:68], v[59:60], v[63:64]
	s_waitcnt vmcnt(10)
	v_fma_f64 v[63:64], v[69:70], v[61:62], v[59:60]
	ds_read_b128 v[59:62], v58 offset:416
	;; [unrolled: 5-line block ×3, first 2 shown]
	s_waitcnt vmcnt(4) lgkmcnt(0)
	v_fma_f64 v[58:59], v[75:76], v[58:59], v[62:63]
	s_waitcnt vmcnt(2)
	v_fma_f64 v[58:59], v[77:78], v[60:61], v[58:59]
	s_waitcnt vmcnt(0)
	v_add_f64 v[58:59], v[79:80], -v[58:59]
	buffer_store_dword v58, off, s[0:3], 0 offset:152
	buffer_store_dword v59, off, s[0:3], 0 offset:156
	s_and_saveexec_b64 s[4:5], vcc
	s_cbranch_execz .LBB91_139
; %bb.138:
	buffer_load_dword v58, off, s[0:3], 0 offset:144
	buffer_load_dword v59, off, s[0:3], 0 offset:148
	v_mov_b32_e32 v60, 0
	buffer_store_dword v60, off, s[0:3], 0 offset:144
	buffer_store_dword v60, off, s[0:3], 0 offset:148
	s_waitcnt vmcnt(2)
	ds_write_b64 v57, v[58:59]
.LBB91_139:
	s_or_b64 exec, exec, s[4:5]
	s_waitcnt lgkmcnt(0)
	; wave barrier
	buffer_load_dword v63, off, s[0:3], 0 offset:152
	buffer_load_dword v64, off, s[0:3], 0 offset:156
	;; [unrolled: 1-line block ×20, first 2 shown]
	v_mov_b32_e32 v58, 0
	ds_read2_b64 v[59:62], v58 offset0:47 offset1:48
	v_cmp_lt_u32_e32 vcc, 17, v0
	s_waitcnt vmcnt(18) lgkmcnt(0)
	v_fma_f64 v[59:60], v[63:64], v[59:60], 0
	s_waitcnt vmcnt(16)
	v_fma_f64 v[63:64], v[65:66], v[61:62], v[59:60]
	ds_read2_b64 v[59:62], v58 offset0:49 offset1:50
	s_waitcnt vmcnt(14) lgkmcnt(0)
	v_fma_f64 v[59:60], v[67:68], v[59:60], v[63:64]
	s_waitcnt vmcnt(12)
	v_fma_f64 v[63:64], v[69:70], v[61:62], v[59:60]
	ds_read2_b64 v[59:62], v58 offset0:51 offset1:52
	;; [unrolled: 5-line block ×3, first 2 shown]
	s_waitcnt vmcnt(6) lgkmcnt(0)
	v_fma_f64 v[59:60], v[75:76], v[59:60], v[63:64]
	s_waitcnt vmcnt(4)
	v_fma_f64 v[59:60], v[77:78], v[61:62], v[59:60]
	ds_read_b64 v[61:62], v58 offset:440
	s_waitcnt vmcnt(2) lgkmcnt(0)
	v_fma_f64 v[59:60], v[79:80], v[61:62], v[59:60]
	s_waitcnt vmcnt(0)
	v_add_f64 v[59:60], v[81:82], -v[59:60]
	buffer_store_dword v59, off, s[0:3], 0 offset:144
	buffer_store_dword v60, off, s[0:3], 0 offset:148
	s_and_saveexec_b64 s[4:5], vcc
	s_cbranch_execz .LBB91_141
; %bb.140:
	buffer_load_dword v59, off, s[0:3], 0 offset:136
	buffer_load_dword v60, off, s[0:3], 0 offset:140
	s_waitcnt vmcnt(0)
	ds_write_b64 v57, v[59:60]
	buffer_store_dword v58, off, s[0:3], 0 offset:136
	buffer_store_dword v58, off, s[0:3], 0 offset:140
.LBB91_141:
	s_or_b64 exec, exec, s[4:5]
	s_waitcnt lgkmcnt(0)
	; wave barrier
	buffer_load_dword v67, off, s[0:3], 0 offset:144
	buffer_load_dword v68, off, s[0:3], 0 offset:148
	;; [unrolled: 1-line block ×20, first 2 shown]
	ds_read_b128 v[59:62], v58 offset:368
	buffer_load_dword v87, off, s[0:3], 0 offset:136
	buffer_load_dword v88, off, s[0:3], 0 offset:140
	ds_read_b128 v[63:66], v58 offset:384
	v_cmp_lt_u32_e32 vcc, 16, v0
	s_waitcnt vmcnt(20) lgkmcnt(1)
	v_fma_f64 v[59:60], v[67:68], v[59:60], 0
	s_waitcnt vmcnt(18)
	v_fma_f64 v[59:60], v[69:70], v[61:62], v[59:60]
	s_waitcnt vmcnt(16) lgkmcnt(0)
	v_fma_f64 v[59:60], v[71:72], v[63:64], v[59:60]
	s_waitcnt vmcnt(14)
	v_fma_f64 v[67:68], v[73:74], v[65:66], v[59:60]
	ds_read_b128 v[59:62], v58 offset:400
	ds_read_b128 v[63:66], v58 offset:416
	s_waitcnt vmcnt(12) lgkmcnt(1)
	v_fma_f64 v[59:60], v[75:76], v[59:60], v[67:68]
	s_waitcnt vmcnt(10)
	v_fma_f64 v[59:60], v[77:78], v[61:62], v[59:60]
	s_waitcnt vmcnt(8) lgkmcnt(0)
	v_fma_f64 v[59:60], v[79:80], v[63:64], v[59:60]
	s_waitcnt vmcnt(4)
	v_fma_f64 v[62:63], v[81:82], v[65:66], v[59:60]
	ds_read_b128 v[58:61], v58 offset:432
	s_waitcnt vmcnt(3) lgkmcnt(0)
	v_fma_f64 v[58:59], v[85:86], v[58:59], v[62:63]
	s_waitcnt vmcnt(2)
	v_fma_f64 v[58:59], v[83:84], v[60:61], v[58:59]
	s_waitcnt vmcnt(0)
	v_add_f64 v[58:59], v[87:88], -v[58:59]
	buffer_store_dword v58, off, s[0:3], 0 offset:136
	buffer_store_dword v59, off, s[0:3], 0 offset:140
	s_and_saveexec_b64 s[4:5], vcc
	s_cbranch_execz .LBB91_143
; %bb.142:
	buffer_load_dword v58, off, s[0:3], 0 offset:128
	buffer_load_dword v59, off, s[0:3], 0 offset:132
	v_mov_b32_e32 v60, 0
	buffer_store_dword v60, off, s[0:3], 0 offset:128
	buffer_store_dword v60, off, s[0:3], 0 offset:132
	s_waitcnt vmcnt(2)
	ds_write_b64 v57, v[58:59]
.LBB91_143:
	s_or_b64 exec, exec, s[4:5]
	s_waitcnt lgkmcnt(0)
	; wave barrier
	buffer_load_dword v67, off, s[0:3], 0 offset:136
	buffer_load_dword v68, off, s[0:3], 0 offset:140
	;; [unrolled: 1-line block ×21, first 2 shown]
	v_mov_b32_e32 v58, 0
	ds_read2_b64 v[59:62], v58 offset0:45 offset1:46
	ds_read2_b64 v[63:66], v58 offset0:47 offset1:48
	buffer_load_dword v84, off, s[0:3], 0 offset:220
	v_cmp_lt_u32_e32 vcc, 15, v0
	s_waitcnt vmcnt(20) lgkmcnt(1)
	v_fma_f64 v[59:60], v[67:68], v[59:60], 0
	buffer_load_dword v67, off, s[0:3], 0 offset:128
	buffer_load_dword v68, off, s[0:3], 0 offset:132
	s_waitcnt vmcnt(20)
	v_fma_f64 v[59:60], v[69:70], v[61:62], v[59:60]
	s_waitcnt vmcnt(18) lgkmcnt(0)
	v_fma_f64 v[59:60], v[71:72], v[63:64], v[59:60]
	s_waitcnt vmcnt(16)
	v_fma_f64 v[69:70], v[73:74], v[65:66], v[59:60]
	ds_read2_b64 v[59:62], v58 offset0:49 offset1:50
	ds_read2_b64 v[63:66], v58 offset0:51 offset1:52
	s_waitcnt vmcnt(14) lgkmcnt(1)
	v_fma_f64 v[59:60], v[75:76], v[59:60], v[69:70]
	s_waitcnt vmcnt(12)
	v_fma_f64 v[59:60], v[77:78], v[61:62], v[59:60]
	s_waitcnt vmcnt(10) lgkmcnt(0)
	v_fma_f64 v[59:60], v[79:80], v[63:64], v[59:60]
	s_waitcnt vmcnt(5)
	v_fma_f64 v[63:64], v[81:82], v[65:66], v[59:60]
	ds_read2_b64 v[59:62], v58 offset0:53 offset1:54
	ds_read_b64 v[65:66], v58 offset:440
	s_waitcnt vmcnt(4) lgkmcnt(1)
	v_fma_f64 v[59:60], v[87:88], v[59:60], v[63:64]
	s_waitcnt vmcnt(3)
	v_fma_f64 v[59:60], v[85:86], v[61:62], v[59:60]
	s_waitcnt vmcnt(2) lgkmcnt(0)
	v_fma_f64 v[59:60], v[83:84], v[65:66], v[59:60]
	s_waitcnt vmcnt(0)
	v_add_f64 v[59:60], v[67:68], -v[59:60]
	buffer_store_dword v60, off, s[0:3], 0 offset:132
	buffer_store_dword v59, off, s[0:3], 0 offset:128
	s_and_saveexec_b64 s[4:5], vcc
	s_cbranch_execz .LBB91_145
; %bb.144:
	buffer_load_dword v59, off, s[0:3], 0 offset:120
	buffer_load_dword v60, off, s[0:3], 0 offset:124
	s_waitcnt vmcnt(0)
	ds_write_b64 v57, v[59:60]
	buffer_store_dword v58, off, s[0:3], 0 offset:120
	buffer_store_dword v58, off, s[0:3], 0 offset:124
.LBB91_145:
	s_or_b64 exec, exec, s[4:5]
	s_waitcnt lgkmcnt(0)
	; wave barrier
	buffer_load_dword v67, off, s[0:3], 0 offset:128
	buffer_load_dword v68, off, s[0:3], 0 offset:132
	;; [unrolled: 1-line block ×21, first 2 shown]
	ds_read_b128 v[59:62], v58 offset:352
	ds_read_b128 v[63:66], v58 offset:368
	buffer_load_dword v84, off, s[0:3], 0 offset:212
	v_cmp_lt_u32_e32 vcc, 14, v0
	s_waitcnt vmcnt(20) lgkmcnt(1)
	v_fma_f64 v[59:60], v[67:68], v[59:60], 0
	buffer_load_dword v68, off, s[0:3], 0 offset:220
	buffer_load_dword v67, off, s[0:3], 0 offset:216
	s_waitcnt vmcnt(20)
	v_fma_f64 v[59:60], v[69:70], v[61:62], v[59:60]
	buffer_load_dword v69, off, s[0:3], 0 offset:120
	buffer_load_dword v70, off, s[0:3], 0 offset:124
	s_waitcnt vmcnt(20) lgkmcnt(0)
	v_fma_f64 v[59:60], v[71:72], v[63:64], v[59:60]
	s_waitcnt vmcnt(18)
	v_fma_f64 v[71:72], v[73:74], v[65:66], v[59:60]
	ds_read_b128 v[59:62], v58 offset:384
	ds_read_b128 v[63:66], v58 offset:400
	s_waitcnt vmcnt(16) lgkmcnt(1)
	v_fma_f64 v[59:60], v[75:76], v[59:60], v[71:72]
	s_waitcnt vmcnt(14)
	v_fma_f64 v[59:60], v[77:78], v[61:62], v[59:60]
	s_waitcnt vmcnt(12) lgkmcnt(0)
	v_fma_f64 v[59:60], v[79:80], v[63:64], v[59:60]
	s_waitcnt vmcnt(7)
	v_fma_f64 v[71:72], v[81:82], v[65:66], v[59:60]
	ds_read_b128 v[59:62], v58 offset:416
	ds_read_b128 v[63:66], v58 offset:432
	s_waitcnt vmcnt(6) lgkmcnt(1)
	v_fma_f64 v[58:59], v[87:88], v[59:60], v[71:72]
	s_waitcnt vmcnt(5)
	v_fma_f64 v[58:59], v[85:86], v[61:62], v[58:59]
	s_waitcnt vmcnt(4) lgkmcnt(0)
	v_fma_f64 v[58:59], v[83:84], v[63:64], v[58:59]
	s_waitcnt vmcnt(2)
	v_fma_f64 v[58:59], v[67:68], v[65:66], v[58:59]
	s_waitcnt vmcnt(0)
	v_add_f64 v[58:59], v[69:70], -v[58:59]
	buffer_store_dword v59, off, s[0:3], 0 offset:124
	buffer_store_dword v58, off, s[0:3], 0 offset:120
	s_and_saveexec_b64 s[4:5], vcc
	s_cbranch_execz .LBB91_147
; %bb.146:
	buffer_load_dword v58, off, s[0:3], 0 offset:112
	buffer_load_dword v59, off, s[0:3], 0 offset:116
	v_mov_b32_e32 v60, 0
	buffer_store_dword v60, off, s[0:3], 0 offset:112
	buffer_store_dword v60, off, s[0:3], 0 offset:116
	s_waitcnt vmcnt(2)
	ds_write_b64 v57, v[58:59]
.LBB91_147:
	s_or_b64 exec, exec, s[4:5]
	s_waitcnt lgkmcnt(0)
	; wave barrier
	buffer_load_dword v67, off, s[0:3], 0 offset:120
	buffer_load_dword v68, off, s[0:3], 0 offset:124
	;; [unrolled: 1-line block ×21, first 2 shown]
	v_mov_b32_e32 v58, 0
	ds_read2_b64 v[59:62], v58 offset0:43 offset1:44
	ds_read2_b64 v[63:66], v58 offset0:45 offset1:46
	buffer_load_dword v84, off, s[0:3], 0 offset:204
	v_cmp_lt_u32_e32 vcc, 13, v0
	s_waitcnt vmcnt(20) lgkmcnt(1)
	v_fma_f64 v[59:60], v[67:68], v[59:60], 0
	s_waitcnt vmcnt(18)
	v_fma_f64 v[59:60], v[69:70], v[61:62], v[59:60]
	buffer_load_dword v68, off, s[0:3], 0 offset:212
	buffer_load_dword v69, off, s[0:3], 0 offset:216
	;; [unrolled: 1-line block ×4, first 2 shown]
	s_waitcnt vmcnt(20) lgkmcnt(0)
	v_fma_f64 v[59:60], v[71:72], v[63:64], v[59:60]
	buffer_load_dword v71, off, s[0:3], 0 offset:112
	buffer_load_dword v72, off, s[0:3], 0 offset:116
	s_waitcnt vmcnt(20)
	v_fma_f64 v[73:74], v[73:74], v[65:66], v[59:60]
	ds_read2_b64 v[59:62], v58 offset0:47 offset1:48
	ds_read2_b64 v[63:66], v58 offset0:49 offset1:50
	s_waitcnt vmcnt(18) lgkmcnt(1)
	v_fma_f64 v[59:60], v[75:76], v[59:60], v[73:74]
	s_waitcnt vmcnt(16)
	v_fma_f64 v[59:60], v[77:78], v[61:62], v[59:60]
	s_waitcnt vmcnt(14) lgkmcnt(0)
	v_fma_f64 v[59:60], v[79:80], v[63:64], v[59:60]
	s_waitcnt vmcnt(9)
	v_fma_f64 v[73:74], v[81:82], v[65:66], v[59:60]
	ds_read2_b64 v[59:62], v58 offset0:51 offset1:52
	ds_read2_b64 v[63:66], v58 offset0:53 offset1:54
	s_waitcnt vmcnt(8) lgkmcnt(1)
	v_fma_f64 v[59:60], v[87:88], v[59:60], v[73:74]
	s_waitcnt vmcnt(7)
	v_fma_f64 v[59:60], v[85:86], v[61:62], v[59:60]
	ds_read_b64 v[61:62], v58 offset:440
	s_waitcnt vmcnt(6) lgkmcnt(1)
	v_fma_f64 v[59:60], v[83:84], v[63:64], v[59:60]
	s_waitcnt vmcnt(3)
	v_fma_f64 v[59:60], v[67:68], v[65:66], v[59:60]
	s_waitcnt vmcnt(2) lgkmcnt(0)
	v_fma_f64 v[59:60], v[69:70], v[61:62], v[59:60]
	s_waitcnt vmcnt(0)
	v_add_f64 v[59:60], v[71:72], -v[59:60]
	buffer_store_dword v60, off, s[0:3], 0 offset:116
	buffer_store_dword v59, off, s[0:3], 0 offset:112
	s_and_saveexec_b64 s[4:5], vcc
	s_cbranch_execz .LBB91_149
; %bb.148:
	buffer_load_dword v59, off, s[0:3], 0 offset:104
	buffer_load_dword v60, off, s[0:3], 0 offset:108
	s_waitcnt vmcnt(0)
	ds_write_b64 v57, v[59:60]
	buffer_store_dword v58, off, s[0:3], 0 offset:104
	buffer_store_dword v58, off, s[0:3], 0 offset:108
.LBB91_149:
	s_or_b64 exec, exec, s[4:5]
	s_waitcnt lgkmcnt(0)
	; wave barrier
	buffer_load_dword v67, off, s[0:3], 0 offset:112
	buffer_load_dword v68, off, s[0:3], 0 offset:116
	;; [unrolled: 1-line block ×22, first 2 shown]
	ds_read_b128 v[59:62], v58 offset:336
	ds_read_b128 v[63:66], v58 offset:352
	v_cmp_lt_u32_e32 vcc, 12, v0
	s_waitcnt vmcnt(20) lgkmcnt(1)
	v_fma_f64 v[59:60], v[67:68], v[59:60], 0
	s_waitcnt vmcnt(18)
	v_fma_f64 v[59:60], v[69:70], v[61:62], v[59:60]
	buffer_load_dword v68, off, s[0:3], 0 offset:204
	buffer_load_dword v69, off, s[0:3], 0 offset:216
	;; [unrolled: 1-line block ×6, first 2 shown]
	s_waitcnt vmcnt(22) lgkmcnt(0)
	v_fma_f64 v[59:60], v[71:72], v[63:64], v[59:60]
	s_waitcnt vmcnt(20)
	v_fma_f64 v[71:72], v[73:74], v[65:66], v[59:60]
	ds_read_b128 v[59:62], v58 offset:368
	buffer_load_dword v73, off, s[0:3], 0 offset:104
	buffer_load_dword v74, off, s[0:3], 0 offset:108
	ds_read_b128 v[63:66], v58 offset:384
	s_waitcnt vmcnt(20) lgkmcnt(1)
	v_fma_f64 v[59:60], v[75:76], v[59:60], v[71:72]
	s_waitcnt vmcnt(18)
	v_fma_f64 v[59:60], v[77:78], v[61:62], v[59:60]
	s_waitcnt vmcnt(16) lgkmcnt(0)
	v_fma_f64 v[59:60], v[79:80], v[63:64], v[59:60]
	s_waitcnt vmcnt(11)
	v_fma_f64 v[71:72], v[81:82], v[65:66], v[59:60]
	ds_read_b128 v[59:62], v58 offset:400
	ds_read_b128 v[63:66], v58 offset:416
	s_waitcnt vmcnt(10) lgkmcnt(1)
	v_fma_f64 v[59:60], v[87:88], v[59:60], v[71:72]
	s_waitcnt vmcnt(9)
	v_fma_f64 v[59:60], v[85:86], v[61:62], v[59:60]
	s_waitcnt vmcnt(8) lgkmcnt(0)
	v_fma_f64 v[59:60], v[83:84], v[63:64], v[59:60]
	s_waitcnt vmcnt(4)
	v_fma_f64 v[62:63], v[67:68], v[65:66], v[59:60]
	ds_read_b128 v[58:61], v58 offset:432
	s_waitcnt vmcnt(3) lgkmcnt(0)
	v_fma_f64 v[58:59], v[89:90], v[58:59], v[62:63]
	s_waitcnt vmcnt(2)
	v_fma_f64 v[58:59], v[69:70], v[60:61], v[58:59]
	s_waitcnt vmcnt(0)
	v_add_f64 v[58:59], v[73:74], -v[58:59]
	buffer_store_dword v59, off, s[0:3], 0 offset:108
	buffer_store_dword v58, off, s[0:3], 0 offset:104
	s_and_saveexec_b64 s[4:5], vcc
	s_cbranch_execz .LBB91_151
; %bb.150:
	buffer_load_dword v58, off, s[0:3], 0 offset:96
	buffer_load_dword v59, off, s[0:3], 0 offset:100
	v_mov_b32_e32 v60, 0
	buffer_store_dword v60, off, s[0:3], 0 offset:96
	buffer_store_dword v60, off, s[0:3], 0 offset:100
	s_waitcnt vmcnt(2)
	ds_write_b64 v57, v[58:59]
.LBB91_151:
	s_or_b64 exec, exec, s[4:5]
	s_waitcnt lgkmcnt(0)
	; wave barrier
	buffer_load_dword v67, off, s[0:3], 0 offset:104
	buffer_load_dword v68, off, s[0:3], 0 offset:108
	;; [unrolled: 1-line block ×22, first 2 shown]
	v_mov_b32_e32 v58, 0
	ds_read2_b64 v[59:62], v58 offset0:41 offset1:42
	ds_read2_b64 v[63:66], v58 offset0:43 offset1:44
	v_cmp_lt_u32_e32 vcc, 11, v0
	s_waitcnt vmcnt(20) lgkmcnt(1)
	v_fma_f64 v[59:60], v[67:68], v[59:60], 0
	s_waitcnt vmcnt(18)
	v_fma_f64 v[59:60], v[69:70], v[61:62], v[59:60]
	buffer_load_dword v68, off, s[0:3], 0 offset:196
	buffer_load_dword v69, off, s[0:3], 0 offset:216
	;; [unrolled: 1-line block ×8, first 2 shown]
	s_waitcnt vmcnt(24) lgkmcnt(0)
	v_fma_f64 v[59:60], v[71:72], v[63:64], v[59:60]
	s_waitcnt vmcnt(22)
	v_fma_f64 v[71:72], v[73:74], v[65:66], v[59:60]
	ds_read2_b64 v[59:62], v58 offset0:45 offset1:46
	ds_read2_b64 v[63:66], v58 offset0:47 offset1:48
	s_waitcnt vmcnt(20) lgkmcnt(1)
	v_fma_f64 v[59:60], v[75:76], v[59:60], v[71:72]
	buffer_load_dword v71, off, s[0:3], 0 offset:96
	buffer_load_dword v72, off, s[0:3], 0 offset:100
	s_waitcnt vmcnt(20)
	v_fma_f64 v[59:60], v[77:78], v[61:62], v[59:60]
	s_waitcnt vmcnt(18) lgkmcnt(0)
	v_fma_f64 v[59:60], v[79:80], v[63:64], v[59:60]
	s_waitcnt vmcnt(13)
	v_fma_f64 v[73:74], v[81:82], v[65:66], v[59:60]
	ds_read2_b64 v[59:62], v58 offset0:49 offset1:50
	ds_read2_b64 v[63:66], v58 offset0:51 offset1:52
	s_waitcnt vmcnt(12) lgkmcnt(1)
	v_fma_f64 v[59:60], v[87:88], v[59:60], v[73:74]
	s_waitcnt vmcnt(11)
	v_fma_f64 v[59:60], v[85:86], v[61:62], v[59:60]
	s_waitcnt vmcnt(10) lgkmcnt(0)
	v_fma_f64 v[59:60], v[83:84], v[63:64], v[59:60]
	s_waitcnt vmcnt(5)
	v_fma_f64 v[63:64], v[67:68], v[65:66], v[59:60]
	ds_read2_b64 v[59:62], v58 offset0:53 offset1:54
	ds_read_b64 v[65:66], v58 offset:440
	s_waitcnt vmcnt(4) lgkmcnt(1)
	v_fma_f64 v[59:60], v[91:92], v[59:60], v[63:64]
	s_waitcnt vmcnt(3)
	v_fma_f64 v[59:60], v[89:90], v[61:62], v[59:60]
	s_waitcnt vmcnt(2) lgkmcnt(0)
	v_fma_f64 v[59:60], v[69:70], v[65:66], v[59:60]
	s_waitcnt vmcnt(0)
	v_add_f64 v[59:60], v[71:72], -v[59:60]
	buffer_store_dword v60, off, s[0:3], 0 offset:100
	buffer_store_dword v59, off, s[0:3], 0 offset:96
	s_and_saveexec_b64 s[4:5], vcc
	s_cbranch_execz .LBB91_153
; %bb.152:
	buffer_load_dword v59, off, s[0:3], 0 offset:88
	buffer_load_dword v60, off, s[0:3], 0 offset:92
	s_waitcnt vmcnt(0)
	ds_write_b64 v57, v[59:60]
	buffer_store_dword v58, off, s[0:3], 0 offset:88
	buffer_store_dword v58, off, s[0:3], 0 offset:92
.LBB91_153:
	s_or_b64 exec, exec, s[4:5]
	s_waitcnt lgkmcnt(0)
	; wave barrier
	buffer_load_dword v67, off, s[0:3], 0 offset:96
	buffer_load_dword v68, off, s[0:3], 0 offset:100
	;; [unrolled: 1-line block ×22, first 2 shown]
	ds_read_b128 v[59:62], v58 offset:320
	ds_read_b128 v[63:66], v58 offset:336
	v_cmp_lt_u32_e32 vcc, 10, v0
	s_waitcnt vmcnt(20) lgkmcnt(1)
	v_fma_f64 v[59:60], v[67:68], v[59:60], 0
	s_waitcnt vmcnt(18)
	v_fma_f64 v[59:60], v[69:70], v[61:62], v[59:60]
	buffer_load_dword v68, off, s[0:3], 0 offset:188
	buffer_load_dword v69, off, s[0:3], 0 offset:208
	;; [unrolled: 1-line block ×8, first 2 shown]
	s_waitcnt vmcnt(24) lgkmcnt(0)
	v_fma_f64 v[59:60], v[71:72], v[63:64], v[59:60]
	s_waitcnt vmcnt(22)
	v_fma_f64 v[71:72], v[73:74], v[65:66], v[59:60]
	ds_read_b128 v[59:62], v58 offset:352
	ds_read_b128 v[63:66], v58 offset:368
	s_waitcnt vmcnt(20) lgkmcnt(1)
	v_fma_f64 v[59:60], v[75:76], v[59:60], v[71:72]
	buffer_load_dword v72, off, s[0:3], 0 offset:220
	buffer_load_dword v71, off, s[0:3], 0 offset:216
	buffer_load_dword v73, off, s[0:3], 0 offset:88
	buffer_load_dword v74, off, s[0:3], 0 offset:92
	s_waitcnt vmcnt(22)
	v_fma_f64 v[59:60], v[77:78], v[61:62], v[59:60]
	s_waitcnt vmcnt(20) lgkmcnt(0)
	v_fma_f64 v[59:60], v[79:80], v[63:64], v[59:60]
	s_waitcnt vmcnt(15)
	v_fma_f64 v[75:76], v[81:82], v[65:66], v[59:60]
	ds_read_b128 v[59:62], v58 offset:384
	ds_read_b128 v[63:66], v58 offset:400
	s_waitcnt vmcnt(14) lgkmcnt(1)
	v_fma_f64 v[59:60], v[87:88], v[59:60], v[75:76]
	s_waitcnt vmcnt(13)
	v_fma_f64 v[59:60], v[85:86], v[61:62], v[59:60]
	s_waitcnt vmcnt(12) lgkmcnt(0)
	v_fma_f64 v[59:60], v[83:84], v[63:64], v[59:60]
	s_waitcnt vmcnt(7)
	v_fma_f64 v[67:68], v[67:68], v[65:66], v[59:60]
	ds_read_b128 v[59:62], v58 offset:416
	ds_read_b128 v[63:66], v58 offset:432
	s_waitcnt vmcnt(6) lgkmcnt(1)
	v_fma_f64 v[58:59], v[91:92], v[59:60], v[67:68]
	s_waitcnt vmcnt(5)
	v_fma_f64 v[58:59], v[89:90], v[61:62], v[58:59]
	s_waitcnt vmcnt(4) lgkmcnt(0)
	v_fma_f64 v[58:59], v[69:70], v[63:64], v[58:59]
	s_waitcnt vmcnt(2)
	v_fma_f64 v[58:59], v[71:72], v[65:66], v[58:59]
	s_waitcnt vmcnt(0)
	v_add_f64 v[58:59], v[73:74], -v[58:59]
	buffer_store_dword v59, off, s[0:3], 0 offset:92
	buffer_store_dword v58, off, s[0:3], 0 offset:88
	s_and_saveexec_b64 s[4:5], vcc
	s_cbranch_execz .LBB91_155
; %bb.154:
	buffer_load_dword v58, off, s[0:3], 0 offset:80
	buffer_load_dword v59, off, s[0:3], 0 offset:84
	v_mov_b32_e32 v60, 0
	buffer_store_dword v60, off, s[0:3], 0 offset:80
	buffer_store_dword v60, off, s[0:3], 0 offset:84
	s_waitcnt vmcnt(2)
	ds_write_b64 v57, v[58:59]
.LBB91_155:
	s_or_b64 exec, exec, s[4:5]
	s_waitcnt lgkmcnt(0)
	; wave barrier
	buffer_load_dword v67, off, s[0:3], 0 offset:88
	buffer_load_dword v68, off, s[0:3], 0 offset:92
	;; [unrolled: 1-line block ×22, first 2 shown]
	v_mov_b32_e32 v58, 0
	ds_read2_b64 v[59:62], v58 offset0:39 offset1:40
	ds_read2_b64 v[63:66], v58 offset0:41 offset1:42
	v_cmp_lt_u32_e32 vcc, 9, v0
	s_waitcnt vmcnt(20) lgkmcnt(1)
	v_fma_f64 v[59:60], v[67:68], v[59:60], 0
	s_waitcnt vmcnt(18)
	v_fma_f64 v[59:60], v[69:70], v[61:62], v[59:60]
	buffer_load_dword v68, off, s[0:3], 0 offset:180
	buffer_load_dword v69, off, s[0:3], 0 offset:200
	;; [unrolled: 1-line block ×7, first 2 shown]
	s_waitcnt vmcnt(23) lgkmcnt(0)
	v_fma_f64 v[59:60], v[71:72], v[63:64], v[59:60]
	s_waitcnt vmcnt(21)
	v_fma_f64 v[70:71], v[73:74], v[65:66], v[59:60]
	ds_read2_b64 v[59:62], v58 offset0:43 offset1:44
	ds_read2_b64 v[63:66], v58 offset0:45 offset1:46
	s_waitcnt vmcnt(19) lgkmcnt(1)
	v_fma_f64 v[59:60], v[75:76], v[59:60], v[70:71]
	buffer_load_dword v70, off, s[0:3], 0 offset:204
	buffer_load_dword v72, off, s[0:3], 0 offset:212
	;; [unrolled: 1-line block ×7, first 2 shown]
	s_waitcnt vmcnt(24)
	v_fma_f64 v[59:60], v[77:78], v[61:62], v[59:60]
	s_waitcnt vmcnt(22) lgkmcnt(0)
	v_fma_f64 v[59:60], v[79:80], v[63:64], v[59:60]
	s_waitcnt vmcnt(17)
	v_fma_f64 v[77:78], v[81:82], v[65:66], v[59:60]
	ds_read2_b64 v[59:62], v58 offset0:47 offset1:48
	ds_read2_b64 v[63:66], v58 offset0:49 offset1:50
	s_waitcnt vmcnt(16) lgkmcnt(1)
	v_fma_f64 v[59:60], v[87:88], v[59:60], v[77:78]
	s_waitcnt vmcnt(15)
	v_fma_f64 v[59:60], v[85:86], v[61:62], v[59:60]
	s_waitcnt vmcnt(14) lgkmcnt(0)
	v_fma_f64 v[59:60], v[83:84], v[63:64], v[59:60]
	s_waitcnt vmcnt(9)
	v_fma_f64 v[67:68], v[67:68], v[65:66], v[59:60]
	ds_read2_b64 v[59:62], v58 offset0:51 offset1:52
	ds_read2_b64 v[63:66], v58 offset0:53 offset1:54
	s_waitcnt vmcnt(8) lgkmcnt(1)
	v_fma_f64 v[59:60], v[91:92], v[59:60], v[67:68]
	s_waitcnt vmcnt(7)
	v_fma_f64 v[59:60], v[89:90], v[61:62], v[59:60]
	ds_read_b64 v[61:62], v58 offset:440
	s_waitcnt vmcnt(6) lgkmcnt(1)
	v_fma_f64 v[59:60], v[69:70], v[63:64], v[59:60]
	s_waitcnt vmcnt(3)
	v_fma_f64 v[59:60], v[71:72], v[65:66], v[59:60]
	s_waitcnt vmcnt(2) lgkmcnt(0)
	v_fma_f64 v[59:60], v[73:74], v[61:62], v[59:60]
	s_waitcnt vmcnt(0)
	v_add_f64 v[59:60], v[75:76], -v[59:60]
	buffer_store_dword v60, off, s[0:3], 0 offset:84
	buffer_store_dword v59, off, s[0:3], 0 offset:80
	s_and_saveexec_b64 s[4:5], vcc
	s_cbranch_execz .LBB91_157
; %bb.156:
	buffer_load_dword v59, off, s[0:3], 0 offset:72
	buffer_load_dword v60, off, s[0:3], 0 offset:76
	s_waitcnt vmcnt(0)
	ds_write_b64 v57, v[59:60]
	buffer_store_dword v58, off, s[0:3], 0 offset:72
	buffer_store_dword v58, off, s[0:3], 0 offset:76
.LBB91_157:
	s_or_b64 exec, exec, s[4:5]
	s_waitcnt lgkmcnt(0)
	; wave barrier
	buffer_load_dword v67, off, s[0:3], 0 offset:80
	buffer_load_dword v68, off, s[0:3], 0 offset:84
	;; [unrolled: 1-line block ×22, first 2 shown]
	ds_read_b128 v[59:62], v58 offset:304
	ds_read_b128 v[63:66], v58 offset:320
	v_cmp_lt_u32_e32 vcc, 8, v0
	s_waitcnt vmcnt(20) lgkmcnt(1)
	v_fma_f64 v[59:60], v[67:68], v[59:60], 0
	s_waitcnt vmcnt(18)
	v_fma_f64 v[59:60], v[69:70], v[61:62], v[59:60]
	buffer_load_dword v68, off, s[0:3], 0 offset:172
	buffer_load_dword v69, off, s[0:3], 0 offset:192
	;; [unrolled: 1-line block ×7, first 2 shown]
	s_waitcnt vmcnt(23) lgkmcnt(0)
	v_fma_f64 v[59:60], v[71:72], v[63:64], v[59:60]
	s_waitcnt vmcnt(21)
	v_fma_f64 v[70:71], v[73:74], v[65:66], v[59:60]
	ds_read_b128 v[59:62], v58 offset:336
	ds_read_b128 v[63:66], v58 offset:352
	s_waitcnt vmcnt(19) lgkmcnt(1)
	v_fma_f64 v[59:60], v[75:76], v[59:60], v[70:71]
	buffer_load_dword v70, off, s[0:3], 0 offset:196
	buffer_load_dword v72, off, s[0:3], 0 offset:204
	;; [unrolled: 1-line block ×7, first 2 shown]
	s_waitcnt vmcnt(24)
	v_fma_f64 v[59:60], v[77:78], v[61:62], v[59:60]
	s_waitcnt vmcnt(22) lgkmcnt(0)
	v_fma_f64 v[59:60], v[79:80], v[63:64], v[59:60]
	s_waitcnt vmcnt(17)
	v_fma_f64 v[77:78], v[81:82], v[65:66], v[59:60]
	ds_read_b128 v[59:62], v58 offset:368
	buffer_load_dword v79, off, s[0:3], 0 offset:72
	buffer_load_dword v80, off, s[0:3], 0 offset:76
	ds_read_b128 v[63:66], v58 offset:384
	s_waitcnt vmcnt(18) lgkmcnt(1)
	v_fma_f64 v[59:60], v[87:88], v[59:60], v[77:78]
	s_waitcnt vmcnt(17)
	v_fma_f64 v[59:60], v[85:86], v[61:62], v[59:60]
	s_waitcnt vmcnt(16) lgkmcnt(0)
	v_fma_f64 v[59:60], v[83:84], v[63:64], v[59:60]
	s_waitcnt vmcnt(11)
	v_fma_f64 v[67:68], v[67:68], v[65:66], v[59:60]
	ds_read_b128 v[59:62], v58 offset:400
	ds_read_b128 v[63:66], v58 offset:416
	s_waitcnt vmcnt(10) lgkmcnt(1)
	v_fma_f64 v[59:60], v[91:92], v[59:60], v[67:68]
	s_waitcnt vmcnt(9)
	v_fma_f64 v[59:60], v[89:90], v[61:62], v[59:60]
	s_waitcnt vmcnt(8) lgkmcnt(0)
	v_fma_f64 v[59:60], v[69:70], v[63:64], v[59:60]
	s_waitcnt vmcnt(4)
	v_fma_f64 v[62:63], v[71:72], v[65:66], v[59:60]
	ds_read_b128 v[58:61], v58 offset:432
	s_waitcnt vmcnt(3) lgkmcnt(0)
	v_fma_f64 v[58:59], v[75:76], v[58:59], v[62:63]
	s_waitcnt vmcnt(2)
	v_fma_f64 v[58:59], v[73:74], v[60:61], v[58:59]
	s_waitcnt vmcnt(0)
	v_add_f64 v[58:59], v[79:80], -v[58:59]
	buffer_store_dword v59, off, s[0:3], 0 offset:76
	buffer_store_dword v58, off, s[0:3], 0 offset:72
	s_and_saveexec_b64 s[4:5], vcc
	s_cbranch_execz .LBB91_159
; %bb.158:
	buffer_load_dword v58, off, s[0:3], 0 offset:64
	buffer_load_dword v59, off, s[0:3], 0 offset:68
	v_mov_b32_e32 v60, 0
	buffer_store_dword v60, off, s[0:3], 0 offset:64
	buffer_store_dword v60, off, s[0:3], 0 offset:68
	s_waitcnt vmcnt(2)
	ds_write_b64 v57, v[58:59]
.LBB91_159:
	s_or_b64 exec, exec, s[4:5]
	s_waitcnt lgkmcnt(0)
	; wave barrier
	buffer_load_dword v67, off, s[0:3], 0 offset:72
	buffer_load_dword v68, off, s[0:3], 0 offset:76
	;; [unrolled: 1-line block ×22, first 2 shown]
	v_mov_b32_e32 v58, 0
	ds_read2_b64 v[59:62], v58 offset0:37 offset1:38
	ds_read2_b64 v[63:66], v58 offset0:39 offset1:40
	v_cmp_lt_u32_e32 vcc, 7, v0
	s_waitcnt vmcnt(20) lgkmcnt(1)
	v_fma_f64 v[59:60], v[67:68], v[59:60], 0
	s_waitcnt vmcnt(18)
	v_fma_f64 v[59:60], v[69:70], v[61:62], v[59:60]
	buffer_load_dword v68, off, s[0:3], 0 offset:164
	buffer_load_dword v69, off, s[0:3], 0 offset:184
	;; [unrolled: 1-line block ×7, first 2 shown]
	s_waitcnt vmcnt(23) lgkmcnt(0)
	v_fma_f64 v[59:60], v[71:72], v[63:64], v[59:60]
	s_waitcnt vmcnt(21)
	v_fma_f64 v[70:71], v[73:74], v[65:66], v[59:60]
	ds_read2_b64 v[59:62], v58 offset0:41 offset1:42
	ds_read2_b64 v[63:66], v58 offset0:43 offset1:44
	s_waitcnt vmcnt(19) lgkmcnt(1)
	v_fma_f64 v[59:60], v[75:76], v[59:60], v[70:71]
	buffer_load_dword v70, off, s[0:3], 0 offset:188
	s_waitcnt vmcnt(18)
	v_fma_f64 v[59:60], v[77:78], v[61:62], v[59:60]
	buffer_load_dword v72, off, s[0:3], 0 offset:196
	buffer_load_dword v73, off, s[0:3], 0 offset:216
	;; [unrolled: 1-line block ×8, first 2 shown]
	s_waitcnt vmcnt(24) lgkmcnt(0)
	v_fma_f64 v[59:60], v[79:80], v[63:64], v[59:60]
	s_waitcnt vmcnt(19)
	v_fma_f64 v[79:80], v[81:82], v[65:66], v[59:60]
	ds_read2_b64 v[59:62], v58 offset0:45 offset1:46
	ds_read2_b64 v[63:66], v58 offset0:47 offset1:48
	s_waitcnt vmcnt(18) lgkmcnt(1)
	v_fma_f64 v[59:60], v[87:88], v[59:60], v[79:80]
	buffer_load_dword v79, off, s[0:3], 0 offset:64
	buffer_load_dword v80, off, s[0:3], 0 offset:68
	s_waitcnt vmcnt(19)
	v_fma_f64 v[59:60], v[85:86], v[61:62], v[59:60]
	s_waitcnt vmcnt(18) lgkmcnt(0)
	v_fma_f64 v[59:60], v[83:84], v[63:64], v[59:60]
	s_waitcnt vmcnt(13)
	v_fma_f64 v[67:68], v[67:68], v[65:66], v[59:60]
	ds_read2_b64 v[59:62], v58 offset0:49 offset1:50
	ds_read2_b64 v[63:66], v58 offset0:51 offset1:52
	s_waitcnt vmcnt(12) lgkmcnt(1)
	v_fma_f64 v[59:60], v[91:92], v[59:60], v[67:68]
	s_waitcnt vmcnt(11)
	v_fma_f64 v[59:60], v[89:90], v[61:62], v[59:60]
	s_waitcnt vmcnt(10) lgkmcnt(0)
	v_fma_f64 v[59:60], v[69:70], v[63:64], v[59:60]
	s_waitcnt vmcnt(5)
	v_fma_f64 v[63:64], v[71:72], v[65:66], v[59:60]
	ds_read2_b64 v[59:62], v58 offset0:53 offset1:54
	ds_read_b64 v[65:66], v58 offset:440
	s_waitcnt vmcnt(4) lgkmcnt(1)
	v_fma_f64 v[59:60], v[77:78], v[59:60], v[63:64]
	s_waitcnt vmcnt(3)
	v_fma_f64 v[59:60], v[75:76], v[61:62], v[59:60]
	s_waitcnt vmcnt(2) lgkmcnt(0)
	v_fma_f64 v[59:60], v[73:74], v[65:66], v[59:60]
	s_waitcnt vmcnt(0)
	v_add_f64 v[59:60], v[79:80], -v[59:60]
	buffer_store_dword v60, off, s[0:3], 0 offset:68
	buffer_store_dword v59, off, s[0:3], 0 offset:64
	s_and_saveexec_b64 s[4:5], vcc
	s_cbranch_execz .LBB91_161
; %bb.160:
	buffer_load_dword v59, off, s[0:3], 0 offset:56
	buffer_load_dword v60, off, s[0:3], 0 offset:60
	s_waitcnt vmcnt(0)
	ds_write_b64 v57, v[59:60]
	buffer_store_dword v58, off, s[0:3], 0 offset:56
	buffer_store_dword v58, off, s[0:3], 0 offset:60
.LBB91_161:
	s_or_b64 exec, exec, s[4:5]
	s_waitcnt lgkmcnt(0)
	; wave barrier
	buffer_load_dword v67, off, s[0:3], 0 offset:64
	buffer_load_dword v68, off, s[0:3], 0 offset:68
	;; [unrolled: 1-line block ×22, first 2 shown]
	ds_read_b128 v[59:62], v58 offset:288
	ds_read_b128 v[63:66], v58 offset:304
	v_cmp_lt_u32_e32 vcc, 6, v0
	s_waitcnt vmcnt(20) lgkmcnt(1)
	v_fma_f64 v[59:60], v[67:68], v[59:60], 0
	s_waitcnt vmcnt(18)
	v_fma_f64 v[59:60], v[69:70], v[61:62], v[59:60]
	buffer_load_dword v68, off, s[0:3], 0 offset:156
	buffer_load_dword v69, off, s[0:3], 0 offset:176
	;; [unrolled: 1-line block ×7, first 2 shown]
	s_waitcnt vmcnt(23) lgkmcnt(0)
	v_fma_f64 v[59:60], v[71:72], v[63:64], v[59:60]
	s_waitcnt vmcnt(21)
	v_fma_f64 v[70:71], v[73:74], v[65:66], v[59:60]
	ds_read_b128 v[59:62], v58 offset:320
	ds_read_b128 v[63:66], v58 offset:336
	s_waitcnt vmcnt(19) lgkmcnt(1)
	v_fma_f64 v[59:60], v[75:76], v[59:60], v[70:71]
	buffer_load_dword v70, off, s[0:3], 0 offset:180
	s_waitcnt vmcnt(18)
	v_fma_f64 v[59:60], v[77:78], v[61:62], v[59:60]
	buffer_load_dword v72, off, s[0:3], 0 offset:188
	buffer_load_dword v73, off, s[0:3], 0 offset:208
	;; [unrolled: 1-line block ×8, first 2 shown]
	s_waitcnt vmcnt(24) lgkmcnt(0)
	v_fma_f64 v[59:60], v[79:80], v[63:64], v[59:60]
	s_waitcnt vmcnt(19)
	v_fma_f64 v[79:80], v[81:82], v[65:66], v[59:60]
	ds_read_b128 v[59:62], v58 offset:352
	ds_read_b128 v[63:66], v58 offset:368
	s_waitcnt vmcnt(18) lgkmcnt(1)
	v_fma_f64 v[59:60], v[87:88], v[59:60], v[79:80]
	buffer_load_dword v80, off, s[0:3], 0 offset:220
	buffer_load_dword v79, off, s[0:3], 0 offset:216
	;; [unrolled: 1-line block ×4, first 2 shown]
	s_waitcnt vmcnt(21)
	v_fma_f64 v[59:60], v[85:86], v[61:62], v[59:60]
	s_waitcnt vmcnt(20) lgkmcnt(0)
	v_fma_f64 v[59:60], v[83:84], v[63:64], v[59:60]
	s_waitcnt vmcnt(15)
	v_fma_f64 v[67:68], v[67:68], v[65:66], v[59:60]
	ds_read_b128 v[59:62], v58 offset:384
	ds_read_b128 v[63:66], v58 offset:400
	s_waitcnt vmcnt(14) lgkmcnt(1)
	v_fma_f64 v[59:60], v[91:92], v[59:60], v[67:68]
	s_waitcnt vmcnt(13)
	v_fma_f64 v[59:60], v[89:90], v[61:62], v[59:60]
	s_waitcnt vmcnt(12) lgkmcnt(0)
	v_fma_f64 v[59:60], v[69:70], v[63:64], v[59:60]
	s_waitcnt vmcnt(7)
	v_fma_f64 v[67:68], v[71:72], v[65:66], v[59:60]
	ds_read_b128 v[59:62], v58 offset:416
	ds_read_b128 v[63:66], v58 offset:432
	s_waitcnt vmcnt(6) lgkmcnt(1)
	v_fma_f64 v[58:59], v[77:78], v[59:60], v[67:68]
	s_waitcnt vmcnt(5)
	v_fma_f64 v[58:59], v[75:76], v[61:62], v[58:59]
	s_waitcnt vmcnt(4) lgkmcnt(0)
	v_fma_f64 v[58:59], v[73:74], v[63:64], v[58:59]
	s_waitcnt vmcnt(2)
	v_fma_f64 v[58:59], v[79:80], v[65:66], v[58:59]
	s_waitcnt vmcnt(0)
	v_add_f64 v[58:59], v[81:82], -v[58:59]
	buffer_store_dword v59, off, s[0:3], 0 offset:60
	buffer_store_dword v58, off, s[0:3], 0 offset:56
	s_and_saveexec_b64 s[4:5], vcc
	s_cbranch_execz .LBB91_163
; %bb.162:
	buffer_load_dword v58, off, s[0:3], 0 offset:48
	buffer_load_dword v59, off, s[0:3], 0 offset:52
	v_mov_b32_e32 v60, 0
	buffer_store_dword v60, off, s[0:3], 0 offset:48
	buffer_store_dword v60, off, s[0:3], 0 offset:52
	s_waitcnt vmcnt(2)
	ds_write_b64 v57, v[58:59]
.LBB91_163:
	s_or_b64 exec, exec, s[4:5]
	s_waitcnt lgkmcnt(0)
	; wave barrier
	buffer_load_dword v67, off, s[0:3], 0 offset:56
	buffer_load_dword v68, off, s[0:3], 0 offset:60
	;; [unrolled: 1-line block ×21, first 2 shown]
	v_mov_b32_e32 v58, 0
	ds_read2_b64 v[59:62], v58 offset0:35 offset1:36
	ds_read2_b64 v[63:66], v58 offset0:37 offset1:38
	buffer_load_dword v84, off, s[0:3], 0 offset:140
	v_cmp_lt_u32_e32 vcc, 5, v0
	s_waitcnt vmcnt(20) lgkmcnt(1)
	v_fma_f64 v[59:60], v[67:68], v[59:60], 0
	s_waitcnt vmcnt(18)
	v_fma_f64 v[59:60], v[69:70], v[61:62], v[59:60]
	buffer_load_dword v68, off, s[0:3], 0 offset:148
	buffer_load_dword v69, off, s[0:3], 0 offset:168
	;; [unrolled: 1-line block ×7, first 2 shown]
	s_waitcnt vmcnt(23) lgkmcnt(0)
	v_fma_f64 v[59:60], v[71:72], v[63:64], v[59:60]
	s_waitcnt vmcnt(21)
	v_fma_f64 v[70:71], v[73:74], v[65:66], v[59:60]
	ds_read2_b64 v[59:62], v58 offset0:39 offset1:40
	ds_read2_b64 v[63:66], v58 offset0:41 offset1:42
	s_waitcnt vmcnt(19) lgkmcnt(1)
	v_fma_f64 v[59:60], v[75:76], v[59:60], v[70:71]
	buffer_load_dword v70, off, s[0:3], 0 offset:172
	s_waitcnt vmcnt(18)
	v_fma_f64 v[59:60], v[77:78], v[61:62], v[59:60]
	buffer_load_dword v72, off, s[0:3], 0 offset:180
	buffer_load_dword v73, off, s[0:3], 0 offset:200
	;; [unrolled: 1-line block ×7, first 2 shown]
	s_waitcnt vmcnt(23) lgkmcnt(0)
	v_fma_f64 v[59:60], v[79:80], v[63:64], v[59:60]
	s_waitcnt vmcnt(18)
	v_fma_f64 v[79:80], v[81:82], v[65:66], v[59:60]
	ds_read2_b64 v[59:62], v58 offset0:43 offset1:44
	ds_read2_b64 v[63:66], v58 offset0:45 offset1:46
	buffer_load_dword v74, off, s[0:3], 0 offset:204
	s_waitcnt vmcnt(18) lgkmcnt(1)
	v_fma_f64 v[59:60], v[87:88], v[59:60], v[79:80]
	buffer_load_dword v80, off, s[0:3], 0 offset:212
	buffer_load_dword v81, off, s[0:3], 0 offset:216
	;; [unrolled: 1-line block ×4, first 2 shown]
	s_waitcnt vmcnt(21)
	v_fma_f64 v[59:60], v[85:86], v[61:62], v[59:60]
	s_waitcnt vmcnt(20) lgkmcnt(0)
	v_fma_f64 v[59:60], v[83:84], v[63:64], v[59:60]
	buffer_load_dword v83, off, s[0:3], 0 offset:48
	buffer_load_dword v84, off, s[0:3], 0 offset:52
	s_waitcnt vmcnt(17)
	v_fma_f64 v[67:68], v[67:68], v[65:66], v[59:60]
	ds_read2_b64 v[59:62], v58 offset0:47 offset1:48
	ds_read2_b64 v[63:66], v58 offset0:49 offset1:50
	s_waitcnt vmcnt(16) lgkmcnt(1)
	v_fma_f64 v[59:60], v[91:92], v[59:60], v[67:68]
	s_waitcnt vmcnt(15)
	v_fma_f64 v[59:60], v[89:90], v[61:62], v[59:60]
	s_waitcnt vmcnt(14) lgkmcnt(0)
	v_fma_f64 v[59:60], v[69:70], v[63:64], v[59:60]
	s_waitcnt vmcnt(9)
	v_fma_f64 v[67:68], v[71:72], v[65:66], v[59:60]
	ds_read2_b64 v[59:62], v58 offset0:51 offset1:52
	ds_read2_b64 v[63:66], v58 offset0:53 offset1:54
	s_waitcnt vmcnt(8) lgkmcnt(1)
	v_fma_f64 v[59:60], v[77:78], v[59:60], v[67:68]
	s_waitcnt vmcnt(7)
	v_fma_f64 v[59:60], v[75:76], v[61:62], v[59:60]
	ds_read_b64 v[61:62], v58 offset:440
	s_waitcnt vmcnt(6) lgkmcnt(1)
	v_fma_f64 v[59:60], v[73:74], v[63:64], v[59:60]
	s_waitcnt vmcnt(3)
	v_fma_f64 v[59:60], v[79:80], v[65:66], v[59:60]
	s_waitcnt vmcnt(2) lgkmcnt(0)
	v_fma_f64 v[59:60], v[81:82], v[61:62], v[59:60]
	s_waitcnt vmcnt(0)
	v_add_f64 v[59:60], v[83:84], -v[59:60]
	buffer_store_dword v60, off, s[0:3], 0 offset:52
	buffer_store_dword v59, off, s[0:3], 0 offset:48
	s_and_saveexec_b64 s[4:5], vcc
	s_cbranch_execz .LBB91_165
; %bb.164:
	buffer_load_dword v59, off, s[0:3], 0 offset:40
	buffer_load_dword v60, off, s[0:3], 0 offset:44
	s_waitcnt vmcnt(0)
	ds_write_b64 v57, v[59:60]
	buffer_store_dword v58, off, s[0:3], 0 offset:40
	buffer_store_dword v58, off, s[0:3], 0 offset:44
.LBB91_165:
	s_or_b64 exec, exec, s[4:5]
	s_waitcnt lgkmcnt(0)
	; wave barrier
	buffer_load_dword v67, off, s[0:3], 0 offset:48
	buffer_load_dword v68, off, s[0:3], 0 offset:52
	;; [unrolled: 1-line block ×21, first 2 shown]
	ds_read_b128 v[59:62], v58 offset:272
	ds_read_b128 v[63:66], v58 offset:288
	buffer_load_dword v84, off, s[0:3], 0 offset:132
	v_cmp_lt_u32_e32 vcc, 4, v0
	s_waitcnt vmcnt(20) lgkmcnt(1)
	v_fma_f64 v[59:60], v[67:68], v[59:60], 0
	s_waitcnt vmcnt(18)
	v_fma_f64 v[59:60], v[69:70], v[61:62], v[59:60]
	buffer_load_dword v68, off, s[0:3], 0 offset:140
	buffer_load_dword v69, off, s[0:3], 0 offset:160
	;; [unrolled: 1-line block ×7, first 2 shown]
	s_waitcnt vmcnt(23) lgkmcnt(0)
	v_fma_f64 v[59:60], v[71:72], v[63:64], v[59:60]
	s_waitcnt vmcnt(21)
	v_fma_f64 v[70:71], v[73:74], v[65:66], v[59:60]
	ds_read_b128 v[59:62], v58 offset:304
	ds_read_b128 v[63:66], v58 offset:320
	s_waitcnt vmcnt(19) lgkmcnt(1)
	v_fma_f64 v[59:60], v[75:76], v[59:60], v[70:71]
	buffer_load_dword v70, off, s[0:3], 0 offset:164
	s_waitcnt vmcnt(18)
	v_fma_f64 v[59:60], v[77:78], v[61:62], v[59:60]
	buffer_load_dword v72, off, s[0:3], 0 offset:172
	buffer_load_dword v73, off, s[0:3], 0 offset:192
	;; [unrolled: 1-line block ×8, first 2 shown]
	s_waitcnt vmcnt(24) lgkmcnt(0)
	v_fma_f64 v[59:60], v[79:80], v[63:64], v[59:60]
	s_waitcnt vmcnt(19)
	v_fma_f64 v[79:80], v[81:82], v[65:66], v[59:60]
	ds_read_b128 v[59:62], v58 offset:336
	ds_read_b128 v[63:66], v58 offset:352
	s_waitcnt vmcnt(18) lgkmcnt(1)
	v_fma_f64 v[59:60], v[87:88], v[59:60], v[79:80]
	s_waitcnt vmcnt(17)
	v_fma_f64 v[59:60], v[85:86], v[61:62], v[59:60]
	buffer_load_dword v80, off, s[0:3], 0 offset:204
	buffer_load_dword v81, off, s[0:3], 0 offset:216
	;; [unrolled: 1-line block ×6, first 2 shown]
	s_waitcnt vmcnt(22) lgkmcnt(0)
	v_fma_f64 v[59:60], v[83:84], v[63:64], v[59:60]
	s_waitcnt vmcnt(17)
	v_fma_f64 v[67:68], v[67:68], v[65:66], v[59:60]
	ds_read_b128 v[59:62], v58 offset:368
	buffer_load_dword v83, off, s[0:3], 0 offset:40
	buffer_load_dword v84, off, s[0:3], 0 offset:44
	ds_read_b128 v[63:66], v58 offset:384
	s_waitcnt vmcnt(18) lgkmcnt(1)
	v_fma_f64 v[59:60], v[91:92], v[59:60], v[67:68]
	s_waitcnt vmcnt(17)
	v_fma_f64 v[59:60], v[89:90], v[61:62], v[59:60]
	s_waitcnt vmcnt(16) lgkmcnt(0)
	v_fma_f64 v[59:60], v[69:70], v[63:64], v[59:60]
	s_waitcnt vmcnt(11)
	v_fma_f64 v[67:68], v[71:72], v[65:66], v[59:60]
	ds_read_b128 v[59:62], v58 offset:400
	ds_read_b128 v[63:66], v58 offset:416
	s_waitcnt vmcnt(10) lgkmcnt(1)
	v_fma_f64 v[59:60], v[77:78], v[59:60], v[67:68]
	s_waitcnt vmcnt(9)
	v_fma_f64 v[59:60], v[75:76], v[61:62], v[59:60]
	s_waitcnt vmcnt(8) lgkmcnt(0)
	v_fma_f64 v[59:60], v[73:74], v[63:64], v[59:60]
	s_waitcnt vmcnt(4)
	v_fma_f64 v[62:63], v[79:80], v[65:66], v[59:60]
	ds_read_b128 v[58:61], v58 offset:432
	s_waitcnt vmcnt(3) lgkmcnt(0)
	v_fma_f64 v[58:59], v[85:86], v[58:59], v[62:63]
	s_waitcnt vmcnt(2)
	v_fma_f64 v[58:59], v[81:82], v[60:61], v[58:59]
	s_waitcnt vmcnt(0)
	v_add_f64 v[58:59], v[83:84], -v[58:59]
	buffer_store_dword v59, off, s[0:3], 0 offset:44
	buffer_store_dword v58, off, s[0:3], 0 offset:40
	s_and_saveexec_b64 s[4:5], vcc
	s_cbranch_execz .LBB91_167
; %bb.166:
	buffer_load_dword v58, off, s[0:3], 0 offset:32
	buffer_load_dword v59, off, s[0:3], 0 offset:36
	v_mov_b32_e32 v60, 0
	buffer_store_dword v60, off, s[0:3], 0 offset:32
	buffer_store_dword v60, off, s[0:3], 0 offset:36
	s_waitcnt vmcnt(2)
	ds_write_b64 v57, v[58:59]
.LBB91_167:
	s_or_b64 exec, exec, s[4:5]
	s_waitcnt lgkmcnt(0)
	; wave barrier
	buffer_load_dword v67, off, s[0:3], 0 offset:40
	buffer_load_dword v68, off, s[0:3], 0 offset:44
	;; [unrolled: 1-line block ×21, first 2 shown]
	v_mov_b32_e32 v58, 0
	ds_read2_b64 v[59:62], v58 offset0:33 offset1:34
	ds_read2_b64 v[63:66], v58 offset0:35 offset1:36
	buffer_load_dword v84, off, s[0:3], 0 offset:124
	v_cmp_lt_u32_e32 vcc, 3, v0
	s_waitcnt vmcnt(20) lgkmcnt(1)
	v_fma_f64 v[59:60], v[67:68], v[59:60], 0
	s_waitcnt vmcnt(18)
	v_fma_f64 v[59:60], v[69:70], v[61:62], v[59:60]
	buffer_load_dword v68, off, s[0:3], 0 offset:132
	buffer_load_dword v69, off, s[0:3], 0 offset:152
	;; [unrolled: 1-line block ×7, first 2 shown]
	s_waitcnt vmcnt(23) lgkmcnt(0)
	v_fma_f64 v[59:60], v[71:72], v[63:64], v[59:60]
	s_waitcnt vmcnt(21)
	v_fma_f64 v[70:71], v[73:74], v[65:66], v[59:60]
	ds_read2_b64 v[59:62], v58 offset0:37 offset1:38
	ds_read2_b64 v[63:66], v58 offset0:39 offset1:40
	s_waitcnt vmcnt(19) lgkmcnt(1)
	v_fma_f64 v[59:60], v[75:76], v[59:60], v[70:71]
	buffer_load_dword v70, off, s[0:3], 0 offset:156
	s_waitcnt vmcnt(18)
	v_fma_f64 v[59:60], v[77:78], v[61:62], v[59:60]
	buffer_load_dword v72, off, s[0:3], 0 offset:164
	buffer_load_dword v73, off, s[0:3], 0 offset:184
	;; [unrolled: 1-line block ×8, first 2 shown]
	s_waitcnt vmcnt(24) lgkmcnt(0)
	v_fma_f64 v[59:60], v[79:80], v[63:64], v[59:60]
	s_waitcnt vmcnt(19)
	v_fma_f64 v[79:80], v[81:82], v[65:66], v[59:60]
	ds_read2_b64 v[59:62], v58 offset0:41 offset1:42
	ds_read2_b64 v[63:66], v58 offset0:43 offset1:44
	s_waitcnt vmcnt(18) lgkmcnt(1)
	v_fma_f64 v[59:60], v[87:88], v[59:60], v[79:80]
	s_waitcnt vmcnt(17)
	v_fma_f64 v[59:60], v[85:86], v[61:62], v[59:60]
	buffer_load_dword v80, off, s[0:3], 0 offset:196
	buffer_load_dword v81, off, s[0:3], 0 offset:216
	;; [unrolled: 1-line block ×8, first 2 shown]
	s_waitcnt vmcnt(24) lgkmcnt(0)
	v_fma_f64 v[59:60], v[83:84], v[63:64], v[59:60]
	s_waitcnt vmcnt(19)
	v_fma_f64 v[67:68], v[67:68], v[65:66], v[59:60]
	ds_read2_b64 v[59:62], v58 offset0:45 offset1:46
	ds_read2_b64 v[63:66], v58 offset0:47 offset1:48
	s_waitcnt vmcnt(18) lgkmcnt(1)
	v_fma_f64 v[59:60], v[91:92], v[59:60], v[67:68]
	buffer_load_dword v67, off, s[0:3], 0 offset:32
	buffer_load_dword v68, off, s[0:3], 0 offset:36
	s_waitcnt vmcnt(19)
	v_fma_f64 v[59:60], v[89:90], v[61:62], v[59:60]
	s_waitcnt vmcnt(18) lgkmcnt(0)
	v_fma_f64 v[59:60], v[69:70], v[63:64], v[59:60]
	s_waitcnt vmcnt(13)
	v_fma_f64 v[69:70], v[71:72], v[65:66], v[59:60]
	ds_read2_b64 v[59:62], v58 offset0:49 offset1:50
	ds_read2_b64 v[63:66], v58 offset0:51 offset1:52
	s_waitcnt vmcnt(12) lgkmcnt(1)
	v_fma_f64 v[59:60], v[77:78], v[59:60], v[69:70]
	s_waitcnt vmcnt(11)
	v_fma_f64 v[59:60], v[75:76], v[61:62], v[59:60]
	s_waitcnt vmcnt(10) lgkmcnt(0)
	v_fma_f64 v[59:60], v[73:74], v[63:64], v[59:60]
	s_waitcnt vmcnt(5)
	v_fma_f64 v[63:64], v[79:80], v[65:66], v[59:60]
	ds_read2_b64 v[59:62], v58 offset0:53 offset1:54
	ds_read_b64 v[65:66], v58 offset:440
	s_waitcnt vmcnt(4) lgkmcnt(1)
	v_fma_f64 v[59:60], v[87:88], v[59:60], v[63:64]
	s_waitcnt vmcnt(3)
	v_fma_f64 v[59:60], v[85:86], v[61:62], v[59:60]
	s_waitcnt vmcnt(2) lgkmcnt(0)
	v_fma_f64 v[59:60], v[81:82], v[65:66], v[59:60]
	s_waitcnt vmcnt(0)
	v_add_f64 v[59:60], v[67:68], -v[59:60]
	buffer_store_dword v60, off, s[0:3], 0 offset:36
	buffer_store_dword v59, off, s[0:3], 0 offset:32
	s_and_saveexec_b64 s[4:5], vcc
	s_cbranch_execz .LBB91_169
; %bb.168:
	buffer_load_dword v59, off, s[0:3], 0 offset:24
	buffer_load_dword v60, off, s[0:3], 0 offset:28
	s_waitcnt vmcnt(0)
	ds_write_b64 v57, v[59:60]
	buffer_store_dword v58, off, s[0:3], 0 offset:24
	buffer_store_dword v58, off, s[0:3], 0 offset:28
.LBB91_169:
	s_or_b64 exec, exec, s[4:5]
	s_waitcnt lgkmcnt(0)
	; wave barrier
	buffer_load_dword v67, off, s[0:3], 0 offset:32
	buffer_load_dword v68, off, s[0:3], 0 offset:36
	;; [unrolled: 1-line block ×21, first 2 shown]
	ds_read_b128 v[59:62], v58 offset:256
	ds_read_b128 v[63:66], v58 offset:272
	buffer_load_dword v84, off, s[0:3], 0 offset:116
	v_cmp_lt_u32_e32 vcc, 2, v0
	s_waitcnt vmcnt(20) lgkmcnt(1)
	v_fma_f64 v[59:60], v[67:68], v[59:60], 0
	s_waitcnt vmcnt(18)
	v_fma_f64 v[59:60], v[69:70], v[61:62], v[59:60]
	buffer_load_dword v68, off, s[0:3], 0 offset:124
	buffer_load_dword v69, off, s[0:3], 0 offset:144
	;; [unrolled: 1-line block ×7, first 2 shown]
	s_waitcnt vmcnt(23) lgkmcnt(0)
	v_fma_f64 v[59:60], v[71:72], v[63:64], v[59:60]
	s_waitcnt vmcnt(21)
	v_fma_f64 v[70:71], v[73:74], v[65:66], v[59:60]
	ds_read_b128 v[59:62], v58 offset:288
	ds_read_b128 v[63:66], v58 offset:304
	s_waitcnt vmcnt(19) lgkmcnt(1)
	v_fma_f64 v[59:60], v[75:76], v[59:60], v[70:71]
	buffer_load_dword v70, off, s[0:3], 0 offset:148
	s_waitcnt vmcnt(18)
	v_fma_f64 v[59:60], v[77:78], v[61:62], v[59:60]
	buffer_load_dword v72, off, s[0:3], 0 offset:156
	buffer_load_dword v73, off, s[0:3], 0 offset:176
	;; [unrolled: 1-line block ×8, first 2 shown]
	s_waitcnt vmcnt(24) lgkmcnt(0)
	v_fma_f64 v[59:60], v[79:80], v[63:64], v[59:60]
	s_waitcnt vmcnt(19)
	v_fma_f64 v[79:80], v[81:82], v[65:66], v[59:60]
	ds_read_b128 v[59:62], v58 offset:320
	ds_read_b128 v[63:66], v58 offset:336
	s_waitcnt vmcnt(18) lgkmcnt(1)
	v_fma_f64 v[59:60], v[87:88], v[59:60], v[79:80]
	s_waitcnt vmcnt(17)
	v_fma_f64 v[59:60], v[85:86], v[61:62], v[59:60]
	buffer_load_dword v80, off, s[0:3], 0 offset:188
	buffer_load_dword v81, off, s[0:3], 0 offset:208
	;; [unrolled: 1-line block ×8, first 2 shown]
	s_waitcnt vmcnt(24) lgkmcnt(0)
	v_fma_f64 v[59:60], v[83:84], v[63:64], v[59:60]
	s_waitcnt vmcnt(19)
	v_fma_f64 v[67:68], v[67:68], v[65:66], v[59:60]
	ds_read_b128 v[59:62], v58 offset:352
	ds_read_b128 v[63:66], v58 offset:368
	s_waitcnt vmcnt(18) lgkmcnt(1)
	v_fma_f64 v[59:60], v[91:92], v[59:60], v[67:68]
	buffer_load_dword v68, off, s[0:3], 0 offset:220
	buffer_load_dword v67, off, s[0:3], 0 offset:216
	;; [unrolled: 1-line block ×4, first 2 shown]
	s_waitcnt vmcnt(21)
	v_fma_f64 v[59:60], v[89:90], v[61:62], v[59:60]
	s_waitcnt vmcnt(20) lgkmcnt(0)
	v_fma_f64 v[59:60], v[69:70], v[63:64], v[59:60]
	s_waitcnt vmcnt(15)
	v_fma_f64 v[69:70], v[71:72], v[65:66], v[59:60]
	ds_read_b128 v[59:62], v58 offset:384
	ds_read_b128 v[63:66], v58 offset:400
	s_waitcnt vmcnt(14) lgkmcnt(1)
	v_fma_f64 v[59:60], v[77:78], v[59:60], v[69:70]
	s_waitcnt vmcnt(13)
	v_fma_f64 v[59:60], v[75:76], v[61:62], v[59:60]
	s_waitcnt vmcnt(12) lgkmcnt(0)
	v_fma_f64 v[59:60], v[73:74], v[63:64], v[59:60]
	s_waitcnt vmcnt(7)
	v_fma_f64 v[69:70], v[79:80], v[65:66], v[59:60]
	ds_read_b128 v[59:62], v58 offset:416
	ds_read_b128 v[63:66], v58 offset:432
	s_waitcnt vmcnt(6) lgkmcnt(1)
	v_fma_f64 v[58:59], v[87:88], v[59:60], v[69:70]
	s_waitcnt vmcnt(5)
	v_fma_f64 v[58:59], v[85:86], v[61:62], v[58:59]
	s_waitcnt vmcnt(4) lgkmcnt(0)
	v_fma_f64 v[58:59], v[81:82], v[63:64], v[58:59]
	s_waitcnt vmcnt(2)
	v_fma_f64 v[58:59], v[67:68], v[65:66], v[58:59]
	s_waitcnt vmcnt(0)
	v_add_f64 v[58:59], v[83:84], -v[58:59]
	buffer_store_dword v59, off, s[0:3], 0 offset:28
	buffer_store_dword v58, off, s[0:3], 0 offset:24
	s_and_saveexec_b64 s[4:5], vcc
	s_cbranch_execz .LBB91_171
; %bb.170:
	buffer_load_dword v58, off, s[0:3], 0 offset:16
	buffer_load_dword v59, off, s[0:3], 0 offset:20
	v_mov_b32_e32 v60, 0
	buffer_store_dword v60, off, s[0:3], 0 offset:16
	buffer_store_dword v60, off, s[0:3], 0 offset:20
	s_waitcnt vmcnt(2)
	ds_write_b64 v57, v[58:59]
.LBB91_171:
	s_or_b64 exec, exec, s[4:5]
	s_waitcnt lgkmcnt(0)
	; wave barrier
	buffer_load_dword v67, off, s[0:3], 0 offset:24
	buffer_load_dword v68, off, s[0:3], 0 offset:28
	buffer_load_dword v69, off, s[0:3], 0 offset:32
	buffer_load_dword v70, off, s[0:3], 0 offset:36
	buffer_load_dword v71, off, s[0:3], 0 offset:40
	buffer_load_dword v72, off, s[0:3], 0 offset:44
	buffer_load_dword v73, off, s[0:3], 0 offset:48
	buffer_load_dword v74, off, s[0:3], 0 offset:52
	buffer_load_dword v75, off, s[0:3], 0 offset:56
	buffer_load_dword v76, off, s[0:3], 0 offset:60
	buffer_load_dword v77, off, s[0:3], 0 offset:64
	buffer_load_dword v78, off, s[0:3], 0 offset:68
	buffer_load_dword v79, off, s[0:3], 0 offset:72
	buffer_load_dword v80, off, s[0:3], 0 offset:76
	buffer_load_dword v82, off, s[0:3], 0 offset:84
	buffer_load_dword v83, off, s[0:3], 0 offset:104
	buffer_load_dword v85, off, s[0:3], 0 offset:96
	buffer_load_dword v87, off, s[0:3], 0 offset:88
	buffer_load_dword v81, off, s[0:3], 0 offset:80
	buffer_load_dword v88, off, s[0:3], 0 offset:92
	buffer_load_dword v86, off, s[0:3], 0 offset:100
	v_mov_b32_e32 v58, 0
	ds_read2_b64 v[59:62], v58 offset0:31 offset1:32
	ds_read2_b64 v[63:66], v58 offset0:33 offset1:34
	buffer_load_dword v84, off, s[0:3], 0 offset:108
	v_cmp_lt_u32_e32 vcc, 1, v0
	s_waitcnt vmcnt(20) lgkmcnt(1)
	v_fma_f64 v[59:60], v[67:68], v[59:60], 0
	s_waitcnt vmcnt(18)
	v_fma_f64 v[59:60], v[69:70], v[61:62], v[59:60]
	buffer_load_dword v68, off, s[0:3], 0 offset:116
	buffer_load_dword v69, off, s[0:3], 0 offset:136
	;; [unrolled: 1-line block ×7, first 2 shown]
	s_waitcnt vmcnt(23) lgkmcnt(0)
	v_fma_f64 v[59:60], v[71:72], v[63:64], v[59:60]
	s_waitcnt vmcnt(21)
	v_fma_f64 v[70:71], v[73:74], v[65:66], v[59:60]
	ds_read2_b64 v[59:62], v58 offset0:35 offset1:36
	ds_read2_b64 v[63:66], v58 offset0:37 offset1:38
	s_waitcnt vmcnt(19) lgkmcnt(1)
	v_fma_f64 v[59:60], v[75:76], v[59:60], v[70:71]
	buffer_load_dword v70, off, s[0:3], 0 offset:140
	s_waitcnt vmcnt(18)
	v_fma_f64 v[59:60], v[77:78], v[61:62], v[59:60]
	buffer_load_dword v72, off, s[0:3], 0 offset:148
	buffer_load_dword v73, off, s[0:3], 0 offset:168
	;; [unrolled: 1-line block ×8, first 2 shown]
	s_waitcnt vmcnt(24) lgkmcnt(0)
	v_fma_f64 v[59:60], v[79:80], v[63:64], v[59:60]
	s_waitcnt vmcnt(19)
	v_fma_f64 v[79:80], v[81:82], v[65:66], v[59:60]
	ds_read2_b64 v[59:62], v58 offset0:39 offset1:40
	ds_read2_b64 v[63:66], v58 offset0:41 offset1:42
	s_waitcnt vmcnt(18) lgkmcnt(1)
	v_fma_f64 v[59:60], v[87:88], v[59:60], v[79:80]
	s_waitcnt vmcnt(17)
	v_fma_f64 v[59:60], v[85:86], v[61:62], v[59:60]
	buffer_load_dword v80, off, s[0:3], 0 offset:180
	buffer_load_dword v81, off, s[0:3], 0 offset:200
	;; [unrolled: 1-line block ×7, first 2 shown]
	s_waitcnt vmcnt(23) lgkmcnt(0)
	v_fma_f64 v[59:60], v[83:84], v[63:64], v[59:60]
	s_waitcnt vmcnt(18)
	v_fma_f64 v[67:68], v[67:68], v[65:66], v[59:60]
	ds_read2_b64 v[59:62], v58 offset0:43 offset1:44
	ds_read2_b64 v[63:66], v58 offset0:45 offset1:46
	buffer_load_dword v82, off, s[0:3], 0 offset:204
	s_waitcnt vmcnt(18) lgkmcnt(1)
	v_fma_f64 v[59:60], v[91:92], v[59:60], v[67:68]
	buffer_load_dword v68, off, s[0:3], 0 offset:212
	buffer_load_dword v83, off, s[0:3], 0 offset:216
	;; [unrolled: 1-line block ×4, first 2 shown]
	s_waitcnt vmcnt(21)
	v_fma_f64 v[59:60], v[89:90], v[61:62], v[59:60]
	s_waitcnt vmcnt(20) lgkmcnt(0)
	v_fma_f64 v[59:60], v[69:70], v[63:64], v[59:60]
	buffer_load_dword v69, off, s[0:3], 0 offset:16
	buffer_load_dword v70, off, s[0:3], 0 offset:20
	s_waitcnt vmcnt(17)
	v_fma_f64 v[71:72], v[71:72], v[65:66], v[59:60]
	ds_read2_b64 v[59:62], v58 offset0:47 offset1:48
	ds_read2_b64 v[63:66], v58 offset0:49 offset1:50
	s_waitcnt vmcnt(16) lgkmcnt(1)
	v_fma_f64 v[59:60], v[77:78], v[59:60], v[71:72]
	s_waitcnt vmcnt(15)
	v_fma_f64 v[59:60], v[75:76], v[61:62], v[59:60]
	s_waitcnt vmcnt(14) lgkmcnt(0)
	v_fma_f64 v[59:60], v[73:74], v[63:64], v[59:60]
	s_waitcnt vmcnt(9)
	v_fma_f64 v[71:72], v[79:80], v[65:66], v[59:60]
	ds_read2_b64 v[59:62], v58 offset0:51 offset1:52
	ds_read2_b64 v[63:66], v58 offset0:53 offset1:54
	s_waitcnt vmcnt(8) lgkmcnt(1)
	v_fma_f64 v[59:60], v[87:88], v[59:60], v[71:72]
	s_waitcnt vmcnt(7)
	v_fma_f64 v[59:60], v[85:86], v[61:62], v[59:60]
	ds_read_b64 v[61:62], v58 offset:440
	s_waitcnt vmcnt(6) lgkmcnt(1)
	v_fma_f64 v[59:60], v[81:82], v[63:64], v[59:60]
	s_waitcnt vmcnt(3)
	v_fma_f64 v[59:60], v[67:68], v[65:66], v[59:60]
	s_waitcnt vmcnt(2) lgkmcnt(0)
	v_fma_f64 v[59:60], v[83:84], v[61:62], v[59:60]
	s_waitcnt vmcnt(0)
	v_add_f64 v[59:60], v[69:70], -v[59:60]
	buffer_store_dword v60, off, s[0:3], 0 offset:20
	buffer_store_dword v59, off, s[0:3], 0 offset:16
	s_and_saveexec_b64 s[4:5], vcc
	s_cbranch_execz .LBB91_173
; %bb.172:
	buffer_load_dword v59, off, s[0:3], 0 offset:8
	buffer_load_dword v60, off, s[0:3], 0 offset:12
	s_waitcnt vmcnt(0)
	ds_write_b64 v57, v[59:60]
	buffer_store_dword v58, off, s[0:3], 0 offset:8
	buffer_store_dword v58, off, s[0:3], 0 offset:12
.LBB91_173:
	s_or_b64 exec, exec, s[4:5]
	s_waitcnt lgkmcnt(0)
	; wave barrier
	buffer_load_dword v67, off, s[0:3], 0 offset:16
	buffer_load_dword v68, off, s[0:3], 0 offset:20
	;; [unrolled: 1-line block ×22, first 2 shown]
	ds_read_b128 v[59:62], v58 offset:240
	ds_read_b128 v[63:66], v58 offset:256
	v_cmp_ne_u32_e32 vcc, 0, v0
	s_waitcnt vmcnt(20) lgkmcnt(1)
	v_fma_f64 v[59:60], v[67:68], v[59:60], 0
	s_waitcnt vmcnt(18)
	v_fma_f64 v[59:60], v[69:70], v[61:62], v[59:60]
	buffer_load_dword v68, off, s[0:3], 0 offset:108
	buffer_load_dword v69, off, s[0:3], 0 offset:128
	;; [unrolled: 1-line block ×7, first 2 shown]
	s_waitcnt vmcnt(23) lgkmcnt(0)
	v_fma_f64 v[59:60], v[71:72], v[63:64], v[59:60]
	s_waitcnt vmcnt(21)
	v_fma_f64 v[70:71], v[73:74], v[65:66], v[59:60]
	ds_read_b128 v[59:62], v58 offset:272
	ds_read_b128 v[63:66], v58 offset:288
	s_waitcnt vmcnt(19) lgkmcnt(1)
	v_fma_f64 v[59:60], v[75:76], v[59:60], v[70:71]
	buffer_load_dword v70, off, s[0:3], 0 offset:132
	s_waitcnt vmcnt(18)
	v_fma_f64 v[59:60], v[77:78], v[61:62], v[59:60]
	buffer_load_dword v72, off, s[0:3], 0 offset:140
	buffer_load_dword v73, off, s[0:3], 0 offset:160
	;; [unrolled: 1-line block ×8, first 2 shown]
	s_waitcnt vmcnt(24) lgkmcnt(0)
	v_fma_f64 v[59:60], v[79:80], v[63:64], v[59:60]
	s_waitcnt vmcnt(19)
	v_fma_f64 v[79:80], v[81:82], v[65:66], v[59:60]
	ds_read_b128 v[59:62], v58 offset:304
	ds_read_b128 v[63:66], v58 offset:320
	s_waitcnt vmcnt(18) lgkmcnt(1)
	v_fma_f64 v[59:60], v[87:88], v[59:60], v[79:80]
	s_waitcnt vmcnt(17)
	v_fma_f64 v[59:60], v[85:86], v[61:62], v[59:60]
	buffer_load_dword v80, off, s[0:3], 0 offset:172
	buffer_load_dword v81, off, s[0:3], 0 offset:192
	;; [unrolled: 1-line block ×8, first 2 shown]
	s_waitcnt vmcnt(24) lgkmcnt(0)
	v_fma_f64 v[59:60], v[83:84], v[63:64], v[59:60]
	s_waitcnt vmcnt(19)
	v_fma_f64 v[67:68], v[67:68], v[65:66], v[59:60]
	ds_read_b128 v[59:62], v58 offset:336
	ds_read_b128 v[63:66], v58 offset:352
	s_waitcnt vmcnt(18) lgkmcnt(1)
	v_fma_f64 v[59:60], v[91:92], v[59:60], v[67:68]
	s_waitcnt vmcnt(17)
	v_fma_f64 v[59:60], v[89:90], v[61:62], v[59:60]
	buffer_load_dword v68, off, s[0:3], 0 offset:204
	buffer_load_dword v83, off, s[0:3], 0 offset:216
	buffer_load_dword v89, off, s[0:3], 0 offset:208
	buffer_load_dword v67, off, s[0:3], 0 offset:200
	buffer_load_dword v90, off, s[0:3], 0 offset:212
	buffer_load_dword v84, off, s[0:3], 0 offset:220
	s_waitcnt vmcnt(22) lgkmcnt(0)
	v_fma_f64 v[59:60], v[69:70], v[63:64], v[59:60]
	s_waitcnt vmcnt(17)
	v_fma_f64 v[69:70], v[71:72], v[65:66], v[59:60]
	ds_read_b128 v[59:62], v58 offset:368
	buffer_load_dword v71, off, s[0:3], 0 offset:8
	buffer_load_dword v72, off, s[0:3], 0 offset:12
	ds_read_b128 v[63:66], v58 offset:384
	s_waitcnt vmcnt(18) lgkmcnt(1)
	v_fma_f64 v[59:60], v[77:78], v[59:60], v[69:70]
	s_waitcnt vmcnt(17)
	v_fma_f64 v[59:60], v[75:76], v[61:62], v[59:60]
	s_waitcnt vmcnt(16) lgkmcnt(0)
	v_fma_f64 v[59:60], v[73:74], v[63:64], v[59:60]
	s_waitcnt vmcnt(11)
	v_fma_f64 v[69:70], v[79:80], v[65:66], v[59:60]
	ds_read_b128 v[59:62], v58 offset:400
	ds_read_b128 v[63:66], v58 offset:416
	s_waitcnt vmcnt(10) lgkmcnt(1)
	v_fma_f64 v[59:60], v[87:88], v[59:60], v[69:70]
	s_waitcnt vmcnt(9)
	v_fma_f64 v[59:60], v[85:86], v[61:62], v[59:60]
	s_waitcnt vmcnt(8) lgkmcnt(0)
	v_fma_f64 v[59:60], v[81:82], v[63:64], v[59:60]
	s_waitcnt vmcnt(4)
	v_fma_f64 v[62:63], v[67:68], v[65:66], v[59:60]
	ds_read_b128 v[58:61], v58 offset:432
	s_waitcnt vmcnt(3) lgkmcnt(0)
	v_fma_f64 v[58:59], v[89:90], v[58:59], v[62:63]
	s_waitcnt vmcnt(2)
	v_fma_f64 v[58:59], v[83:84], v[60:61], v[58:59]
	s_waitcnt vmcnt(0)
	v_add_f64 v[58:59], v[71:72], -v[58:59]
	buffer_store_dword v59, off, s[0:3], 0 offset:12
	buffer_store_dword v58, off, s[0:3], 0 offset:8
	s_and_saveexec_b64 s[4:5], vcc
	s_cbranch_execz .LBB91_175
; %bb.174:
	buffer_load_dword v58, off, s[0:3], 0
	buffer_load_dword v59, off, s[0:3], 0 offset:4
	v_mov_b32_e32 v0, 0
	buffer_store_dword v0, off, s[0:3], 0
	buffer_store_dword v0, off, s[0:3], 0 offset:4
	s_waitcnt vmcnt(2)
	ds_write_b64 v57, v[58:59]
.LBB91_175:
	s_or_b64 exec, exec, s[4:5]
	s_waitcnt lgkmcnt(0)
	; wave barrier
	buffer_load_dword v65, off, s[0:3], 0 offset:8
	buffer_load_dword v66, off, s[0:3], 0 offset:12
	;; [unrolled: 1-line block ×22, first 2 shown]
	v_mov_b32_e32 v0, 0
	ds_read2_b64 v[57:60], v0 offset0:29 offset1:30
	ds_read2_b64 v[61:64], v0 offset0:31 offset1:32
	s_and_b64 vcc, exec, s[14:15]
	s_waitcnt vmcnt(20) lgkmcnt(1)
	v_fma_f64 v[57:58], v[65:66], v[57:58], 0
	s_waitcnt vmcnt(18)
	v_fma_f64 v[57:58], v[67:68], v[59:60], v[57:58]
	buffer_load_dword v66, off, s[0:3], 0 offset:100
	buffer_load_dword v67, off, s[0:3], 0 offset:120
	;; [unrolled: 1-line block ×7, first 2 shown]
	s_waitcnt vmcnt(23) lgkmcnt(0)
	v_fma_f64 v[57:58], v[69:70], v[61:62], v[57:58]
	s_waitcnt vmcnt(21)
	v_fma_f64 v[68:69], v[71:72], v[63:64], v[57:58]
	ds_read2_b64 v[57:60], v0 offset0:33 offset1:34
	ds_read2_b64 v[61:64], v0 offset0:35 offset1:36
	s_waitcnt vmcnt(19) lgkmcnt(1)
	v_fma_f64 v[57:58], v[73:74], v[57:58], v[68:69]
	buffer_load_dword v68, off, s[0:3], 0 offset:124
	s_waitcnt vmcnt(18)
	v_fma_f64 v[57:58], v[75:76], v[59:60], v[57:58]
	buffer_load_dword v70, off, s[0:3], 0 offset:132
	buffer_load_dword v71, off, s[0:3], 0 offset:152
	;; [unrolled: 1-line block ×8, first 2 shown]
	s_waitcnt vmcnt(24) lgkmcnt(0)
	v_fma_f64 v[57:58], v[77:78], v[61:62], v[57:58]
	s_waitcnt vmcnt(19)
	v_fma_f64 v[77:78], v[79:80], v[63:64], v[57:58]
	ds_read2_b64 v[57:60], v0 offset0:37 offset1:38
	ds_read2_b64 v[61:64], v0 offset0:39 offset1:40
	s_waitcnt vmcnt(18) lgkmcnt(1)
	v_fma_f64 v[57:58], v[85:86], v[57:58], v[77:78]
	s_waitcnt vmcnt(17)
	v_fma_f64 v[57:58], v[83:84], v[59:60], v[57:58]
	buffer_load_dword v78, off, s[0:3], 0 offset:164
	buffer_load_dword v79, off, s[0:3], 0 offset:184
	;; [unrolled: 1-line block ×8, first 2 shown]
	s_waitcnt vmcnt(24) lgkmcnt(0)
	v_fma_f64 v[57:58], v[81:82], v[61:62], v[57:58]
	s_waitcnt vmcnt(19)
	v_fma_f64 v[65:66], v[65:66], v[63:64], v[57:58]
	ds_read2_b64 v[57:60], v0 offset0:41 offset1:42
	ds_read2_b64 v[61:64], v0 offset0:43 offset1:44
	s_waitcnt vmcnt(18) lgkmcnt(1)
	v_fma_f64 v[57:58], v[89:90], v[57:58], v[65:66]
	s_waitcnt vmcnt(17)
	v_fma_f64 v[58:59], v[87:88], v[59:60], v[57:58]
	buffer_load_dword v82, off, s[0:3], 0 offset:196
	buffer_load_dword v87, off, s[0:3], 0 offset:216
	;; [unrolled: 1-line block ×5, first 2 shown]
	s_waitcnt vmcnt(21) lgkmcnt(0)
	v_fma_f64 v[59:60], v[67:68], v[61:62], v[58:59]
	buffer_load_dword v90, off, s[0:3], 0 offset:204
	buffer_load_dword v58, off, s[0:3], 0 offset:212
	buffer_load_dword v88, off, s[0:3], 0 offset:220
	s_waitcnt vmcnt(19)
	v_fma_f64 v[67:68], v[69:70], v[63:64], v[59:60]
	ds_read2_b64 v[59:62], v0 offset0:45 offset1:46
	ds_read2_b64 v[63:66], v0 offset0:47 offset1:48
	s_waitcnt vmcnt(18) lgkmcnt(1)
	v_fma_f64 v[59:60], v[75:76], v[59:60], v[67:68]
	buffer_load_dword v67, off, s[0:3], 0
	buffer_load_dword v68, off, s[0:3], 0 offset:4
	s_waitcnt vmcnt(19)
	v_fma_f64 v[59:60], v[73:74], v[61:62], v[59:60]
	s_waitcnt vmcnt(18) lgkmcnt(0)
	v_fma_f64 v[59:60], v[71:72], v[63:64], v[59:60]
	s_waitcnt vmcnt(13)
	v_fma_f64 v[69:70], v[77:78], v[65:66], v[59:60]
	ds_read2_b64 v[59:62], v0 offset0:49 offset1:50
	ds_read2_b64 v[63:66], v0 offset0:51 offset1:52
	s_waitcnt vmcnt(12) lgkmcnt(1)
	v_fma_f64 v[59:60], v[85:86], v[59:60], v[69:70]
	s_waitcnt vmcnt(11)
	v_fma_f64 v[59:60], v[83:84], v[61:62], v[59:60]
	s_waitcnt vmcnt(10) lgkmcnt(0)
	v_fma_f64 v[59:60], v[79:80], v[63:64], v[59:60]
	s_waitcnt vmcnt(5)
	v_fma_f64 v[63:64], v[81:82], v[65:66], v[59:60]
	ds_read2_b64 v[59:62], v0 offset0:53 offset1:54
	ds_read_b64 v[65:66], v0 offset:440
	s_waitcnt vmcnt(4) lgkmcnt(1)
	v_fma_f64 v[59:60], v[89:90], v[59:60], v[63:64]
	s_waitcnt vmcnt(3)
	v_fma_f64 v[59:60], v[57:58], v[61:62], v[59:60]
	s_waitcnt vmcnt(2) lgkmcnt(0)
	v_fma_f64 v[59:60], v[87:88], v[65:66], v[59:60]
	s_waitcnt vmcnt(0)
	v_add_f64 v[59:60], v[67:68], -v[59:60]
	buffer_store_dword v60, off, s[0:3], 0 offset:4
	buffer_store_dword v59, off, s[0:3], 0
	s_cbranch_vccz .LBB91_230
; %bb.176:
	global_load_dword v0, v0, s[12:13] offset:104
	s_waitcnt vmcnt(0)
	v_add_u32_e32 v0, -1, v0
	v_cmp_ne_u32_e32 vcc, 26, v0
	s_cbranch_vccz .LBB91_178
; %bb.177:
	v_lshlrev_b32_e32 v0, 3, v0
	buffer_load_dword v59, v0, s[0:3], 0 offen offset:4
	buffer_load_dword v60, v0, s[0:3], 0 offen
	s_waitcnt vmcnt(1)
	buffer_store_dword v59, off, s[0:3], 0 offset:212
	s_waitcnt vmcnt(1)
	buffer_store_dword v60, off, s[0:3], 0 offset:208
	buffer_store_dword v58, v0, s[0:3], 0 offen offset:4
	buffer_store_dword v57, v0, s[0:3], 0 offen
.LBB91_178:
	v_mov_b32_e32 v0, 0
	global_load_dword v57, v0, s[12:13] offset:100
	s_waitcnt vmcnt(0)
	v_add_u32_e32 v57, -1, v57
	v_cmp_eq_u32_e32 vcc, 25, v57
	s_cbranch_vccnz .LBB91_180
; %bb.179:
	v_lshlrev_b32_e32 v57, 3, v57
	buffer_load_dword v58, v57, s[0:3], 0 offen
	buffer_load_dword v59, v57, s[0:3], 0 offen offset:4
	buffer_load_dword v60, off, s[0:3], 0 offset:200
	buffer_load_dword v61, off, s[0:3], 0 offset:204
	s_waitcnt vmcnt(3)
	buffer_store_dword v58, off, s[0:3], 0 offset:200
	s_waitcnt vmcnt(3)
	buffer_store_dword v59, off, s[0:3], 0 offset:204
	s_waitcnt vmcnt(3)
	buffer_store_dword v60, v57, s[0:3], 0 offen
	s_waitcnt vmcnt(3)
	buffer_store_dword v61, v57, s[0:3], 0 offen offset:4
.LBB91_180:
	global_load_dword v0, v0, s[12:13] offset:96
	s_waitcnt vmcnt(0)
	v_add_u32_e32 v0, -1, v0
	v_cmp_eq_u32_e32 vcc, 24, v0
	s_cbranch_vccnz .LBB91_182
; %bb.181:
	v_lshlrev_b32_e32 v0, 3, v0
	buffer_load_dword v57, v0, s[0:3], 0 offen
	buffer_load_dword v58, v0, s[0:3], 0 offen offset:4
	buffer_load_dword v59, off, s[0:3], 0 offset:196
	buffer_load_dword v60, off, s[0:3], 0 offset:192
	s_waitcnt vmcnt(3)
	buffer_store_dword v57, off, s[0:3], 0 offset:192
	s_waitcnt vmcnt(3)
	buffer_store_dword v58, off, s[0:3], 0 offset:196
	s_waitcnt vmcnt(3)
	buffer_store_dword v59, v0, s[0:3], 0 offen offset:4
	s_waitcnt vmcnt(3)
	buffer_store_dword v60, v0, s[0:3], 0 offen
.LBB91_182:
	v_mov_b32_e32 v0, 0
	global_load_dword v57, v0, s[12:13] offset:92
	s_waitcnt vmcnt(0)
	v_add_u32_e32 v57, -1, v57
	v_cmp_eq_u32_e32 vcc, 23, v57
	s_cbranch_vccnz .LBB91_184
; %bb.183:
	v_lshlrev_b32_e32 v57, 3, v57
	buffer_load_dword v58, v57, s[0:3], 0 offen
	buffer_load_dword v59, v57, s[0:3], 0 offen offset:4
	buffer_load_dword v60, off, s[0:3], 0 offset:184
	buffer_load_dword v61, off, s[0:3], 0 offset:188
	s_waitcnt vmcnt(3)
	buffer_store_dword v58, off, s[0:3], 0 offset:184
	s_waitcnt vmcnt(3)
	buffer_store_dword v59, off, s[0:3], 0 offset:188
	s_waitcnt vmcnt(3)
	buffer_store_dword v60, v57, s[0:3], 0 offen
	s_waitcnt vmcnt(3)
	buffer_store_dword v61, v57, s[0:3], 0 offen offset:4
.LBB91_184:
	global_load_dword v0, v0, s[12:13] offset:88
	s_waitcnt vmcnt(0)
	v_add_u32_e32 v0, -1, v0
	v_cmp_eq_u32_e32 vcc, 22, v0
	s_cbranch_vccnz .LBB91_186
; %bb.185:
	v_lshlrev_b32_e32 v0, 3, v0
	buffer_load_dword v57, v0, s[0:3], 0 offen
	buffer_load_dword v58, v0, s[0:3], 0 offen offset:4
	buffer_load_dword v59, off, s[0:3], 0 offset:180
	buffer_load_dword v60, off, s[0:3], 0 offset:176
	s_waitcnt vmcnt(3)
	buffer_store_dword v57, off, s[0:3], 0 offset:176
	s_waitcnt vmcnt(3)
	buffer_store_dword v58, off, s[0:3], 0 offset:180
	s_waitcnt vmcnt(3)
	buffer_store_dword v59, v0, s[0:3], 0 offen offset:4
	s_waitcnt vmcnt(3)
	buffer_store_dword v60, v0, s[0:3], 0 offen
.LBB91_186:
	;; [unrolled: 41-line block ×12, first 2 shown]
	v_mov_b32_e32 v0, 0
	global_load_dword v57, v0, s[12:13] offset:4
	s_waitcnt vmcnt(0)
	v_add_u32_e32 v57, -1, v57
	v_cmp_eq_u32_e32 vcc, 1, v57
	s_cbranch_vccnz .LBB91_228
; %bb.227:
	v_lshlrev_b32_e32 v57, 3, v57
	buffer_load_dword v58, v57, s[0:3], 0 offen
	buffer_load_dword v59, v57, s[0:3], 0 offen offset:4
	buffer_load_dword v60, off, s[0:3], 0 offset:8
	buffer_load_dword v61, off, s[0:3], 0 offset:12
	s_waitcnt vmcnt(3)
	buffer_store_dword v58, off, s[0:3], 0 offset:8
	s_waitcnt vmcnt(3)
	buffer_store_dword v59, off, s[0:3], 0 offset:12
	s_waitcnt vmcnt(3)
	buffer_store_dword v60, v57, s[0:3], 0 offen
	s_waitcnt vmcnt(3)
	buffer_store_dword v61, v57, s[0:3], 0 offen offset:4
.LBB91_228:
	global_load_dword v0, v0, s[12:13]
	s_nop 0
	buffer_load_dword v59, off, s[0:3], 0
	buffer_load_dword v60, off, s[0:3], 0 offset:4
	s_waitcnt vmcnt(2)
	v_add_u32_e32 v0, -1, v0
	v_cmp_eq_u32_e32 vcc, 0, v0
	s_cbranch_vccnz .LBB91_230
; %bb.229:
	v_lshlrev_b32_e32 v0, 3, v0
	buffer_load_dword v57, v0, s[0:3], 0 offen offset:4
	buffer_load_dword v58, v0, s[0:3], 0 offen
	s_waitcnt vmcnt(1)
	buffer_store_dword v57, off, s[0:3], 0 offset:4
	s_waitcnt vmcnt(1)
	buffer_store_dword v58, off, s[0:3], 0
	buffer_store_dword v60, v0, s[0:3], 0 offen offset:4
	buffer_store_dword v59, v0, s[0:3], 0 offen
	buffer_load_dword v59, off, s[0:3], 0
	s_nop 0
	buffer_load_dword v60, off, s[0:3], 0 offset:4
.LBB91_230:
	s_waitcnt vmcnt(0)
	flat_store_dwordx2 v[1:2], v[59:60]
	buffer_load_dword v0, off, s[0:3], 0 offset:8
	s_nop 0
	buffer_load_dword v1, off, s[0:3], 0 offset:12
	s_waitcnt vmcnt(0)
	flat_store_dwordx2 v[3:4], v[0:1]
	buffer_load_dword v0, off, s[0:3], 0 offset:16
	s_nop 0
	buffer_load_dword v1, off, s[0:3], 0 offset:20
	;; [unrolled: 5-line block ×27, first 2 shown]
	s_waitcnt vmcnt(0)
	flat_store_dwordx2 v[55:56], v[0:1]
	s_endpgm
	.section	.rodata,"a",@progbits
	.p2align	6, 0x0
	.amdhsa_kernel _ZN9rocsolver6v33100L18getri_kernel_smallILi28EdPKPdEEvT1_iilPiilS6_bb
		.amdhsa_group_segment_fixed_size 456
		.amdhsa_private_segment_fixed_size 240
		.amdhsa_kernarg_size 60
		.amdhsa_user_sgpr_count 6
		.amdhsa_user_sgpr_private_segment_buffer 1
		.amdhsa_user_sgpr_dispatch_ptr 0
		.amdhsa_user_sgpr_queue_ptr 0
		.amdhsa_user_sgpr_kernarg_segment_ptr 1
		.amdhsa_user_sgpr_dispatch_id 0
		.amdhsa_user_sgpr_flat_scratch_init 0
		.amdhsa_user_sgpr_private_segment_size 0
		.amdhsa_uses_dynamic_stack 0
		.amdhsa_system_sgpr_private_segment_wavefront_offset 1
		.amdhsa_system_sgpr_workgroup_id_x 1
		.amdhsa_system_sgpr_workgroup_id_y 0
		.amdhsa_system_sgpr_workgroup_id_z 0
		.amdhsa_system_sgpr_workgroup_info 0
		.amdhsa_system_vgpr_workitem_id 0
		.amdhsa_next_free_vgpr 93
		.amdhsa_next_free_sgpr 21
		.amdhsa_reserve_vcc 1
		.amdhsa_reserve_flat_scratch 0
		.amdhsa_float_round_mode_32 0
		.amdhsa_float_round_mode_16_64 0
		.amdhsa_float_denorm_mode_32 3
		.amdhsa_float_denorm_mode_16_64 3
		.amdhsa_dx10_clamp 1
		.amdhsa_ieee_mode 1
		.amdhsa_fp16_overflow 0
		.amdhsa_exception_fp_ieee_invalid_op 0
		.amdhsa_exception_fp_denorm_src 0
		.amdhsa_exception_fp_ieee_div_zero 0
		.amdhsa_exception_fp_ieee_overflow 0
		.amdhsa_exception_fp_ieee_underflow 0
		.amdhsa_exception_fp_ieee_inexact 0
		.amdhsa_exception_int_div_zero 0
	.end_amdhsa_kernel
	.section	.text._ZN9rocsolver6v33100L18getri_kernel_smallILi28EdPKPdEEvT1_iilPiilS6_bb,"axG",@progbits,_ZN9rocsolver6v33100L18getri_kernel_smallILi28EdPKPdEEvT1_iilPiilS6_bb,comdat
.Lfunc_end91:
	.size	_ZN9rocsolver6v33100L18getri_kernel_smallILi28EdPKPdEEvT1_iilPiilS6_bb, .Lfunc_end91-_ZN9rocsolver6v33100L18getri_kernel_smallILi28EdPKPdEEvT1_iilPiilS6_bb
                                        ; -- End function
	.set _ZN9rocsolver6v33100L18getri_kernel_smallILi28EdPKPdEEvT1_iilPiilS6_bb.num_vgpr, 93
	.set _ZN9rocsolver6v33100L18getri_kernel_smallILi28EdPKPdEEvT1_iilPiilS6_bb.num_agpr, 0
	.set _ZN9rocsolver6v33100L18getri_kernel_smallILi28EdPKPdEEvT1_iilPiilS6_bb.numbered_sgpr, 21
	.set _ZN9rocsolver6v33100L18getri_kernel_smallILi28EdPKPdEEvT1_iilPiilS6_bb.num_named_barrier, 0
	.set _ZN9rocsolver6v33100L18getri_kernel_smallILi28EdPKPdEEvT1_iilPiilS6_bb.private_seg_size, 240
	.set _ZN9rocsolver6v33100L18getri_kernel_smallILi28EdPKPdEEvT1_iilPiilS6_bb.uses_vcc, 1
	.set _ZN9rocsolver6v33100L18getri_kernel_smallILi28EdPKPdEEvT1_iilPiilS6_bb.uses_flat_scratch, 0
	.set _ZN9rocsolver6v33100L18getri_kernel_smallILi28EdPKPdEEvT1_iilPiilS6_bb.has_dyn_sized_stack, 0
	.set _ZN9rocsolver6v33100L18getri_kernel_smallILi28EdPKPdEEvT1_iilPiilS6_bb.has_recursion, 0
	.set _ZN9rocsolver6v33100L18getri_kernel_smallILi28EdPKPdEEvT1_iilPiilS6_bb.has_indirect_call, 0
	.section	.AMDGPU.csdata,"",@progbits
; Kernel info:
; codeLenInByte = 26132
; TotalNumSgprs: 25
; NumVgprs: 93
; ScratchSize: 240
; MemoryBound: 0
; FloatMode: 240
; IeeeMode: 1
; LDSByteSize: 456 bytes/workgroup (compile time only)
; SGPRBlocks: 3
; VGPRBlocks: 23
; NumSGPRsForWavesPerEU: 25
; NumVGPRsForWavesPerEU: 93
; Occupancy: 2
; WaveLimiterHint : 1
; COMPUTE_PGM_RSRC2:SCRATCH_EN: 1
; COMPUTE_PGM_RSRC2:USER_SGPR: 6
; COMPUTE_PGM_RSRC2:TRAP_HANDLER: 0
; COMPUTE_PGM_RSRC2:TGID_X_EN: 1
; COMPUTE_PGM_RSRC2:TGID_Y_EN: 0
; COMPUTE_PGM_RSRC2:TGID_Z_EN: 0
; COMPUTE_PGM_RSRC2:TIDIG_COMP_CNT: 0
	.section	.text._ZN9rocsolver6v33100L18getri_kernel_smallILi29EdPKPdEEvT1_iilPiilS6_bb,"axG",@progbits,_ZN9rocsolver6v33100L18getri_kernel_smallILi29EdPKPdEEvT1_iilPiilS6_bb,comdat
	.globl	_ZN9rocsolver6v33100L18getri_kernel_smallILi29EdPKPdEEvT1_iilPiilS6_bb ; -- Begin function _ZN9rocsolver6v33100L18getri_kernel_smallILi29EdPKPdEEvT1_iilPiilS6_bb
	.p2align	8
	.type	_ZN9rocsolver6v33100L18getri_kernel_smallILi29EdPKPdEEvT1_iilPiilS6_bb,@function
_ZN9rocsolver6v33100L18getri_kernel_smallILi29EdPKPdEEvT1_iilPiilS6_bb: ; @_ZN9rocsolver6v33100L18getri_kernel_smallILi29EdPKPdEEvT1_iilPiilS6_bb
; %bb.0:
	s_add_u32 s0, s0, s7
	s_addc_u32 s1, s1, 0
	v_cmp_gt_u32_e32 vcc, 29, v0
	s_and_saveexec_b64 s[8:9], vcc
	s_cbranch_execz .LBB92_124
; %bb.1:
	s_load_dword s18, s[4:5], 0x38
	s_load_dwordx2 s[12:13], s[4:5], 0x0
	s_load_dwordx4 s[8:11], s[4:5], 0x28
	s_waitcnt lgkmcnt(0)
	s_bitcmp1_b32 s18, 8
	s_cselect_b64 s[14:15], -1, 0
	s_ashr_i32 s7, s6, 31
	s_lshl_b64 s[16:17], s[6:7], 3
	s_add_u32 s12, s12, s16
	s_addc_u32 s13, s13, s17
	s_load_dwordx2 s[16:17], s[12:13], 0x0
	s_bfe_u32 s12, s18, 0x10008
	s_cmp_eq_u32 s12, 0
                                        ; implicit-def: $sgpr12_sgpr13
	s_cbranch_scc1 .LBB92_3
; %bb.2:
	s_load_dword s12, s[4:5], 0x20
	s_load_dwordx2 s[18:19], s[4:5], 0x18
	s_mul_i32 s13, s8, s7
	s_mul_hi_u32 s20, s8, s6
	s_add_i32 s20, s20, s13
	s_mul_i32 s9, s9, s6
	s_add_i32 s9, s20, s9
	s_mul_i32 s8, s8, s6
	s_waitcnt lgkmcnt(0)
	s_ashr_i32 s13, s12, 31
	s_lshl_b64 s[8:9], s[8:9], 2
	s_add_u32 s18, s18, s8
	s_addc_u32 s19, s19, s9
	s_lshl_b64 s[8:9], s[12:13], 2
	s_add_u32 s12, s18, s8
	s_addc_u32 s13, s19, s9
.LBB92_3:
	s_load_dwordx2 s[8:9], s[4:5], 0x8
	s_load_dword s18, s[4:5], 0x38
	v_lshlrev_b32_e32 v61, 3, v0
	s_waitcnt lgkmcnt(0)
	s_ashr_i32 s5, s8, 31
	s_mov_b32 s4, s8
	s_lshl_b64 s[4:5], s[4:5], 3
	s_add_u32 s4, s16, s4
	s_addc_u32 s5, s17, s5
	v_mov_b32_e32 v2, s5
	v_add_co_u32_e32 v1, vcc, s4, v61
	v_addc_co_u32_e32 v2, vcc, 0, v2, vcc
	flat_load_dwordx2 v[5:6], v[1:2]
	s_mov_b32 s16, s9
	s_ashr_i32 s17, s9, 31
	s_lshl_b64 s[16:17], s[16:17], 3
	v_mov_b32_e32 v4, s17
	v_add_co_u32_e32 v3, vcc, s16, v1
	v_addc_co_u32_e32 v4, vcc, v2, v4, vcc
	s_add_i32 s8, s9, s9
	v_add_u32_e32 v9, s8, v0
	v_ashrrev_i32_e32 v10, 31, v9
	v_mov_b32_e32 v11, s5
	v_add_u32_e32 v12, s9, v9
	v_ashrrev_i32_e32 v13, 31, v12
	v_mov_b32_e32 v14, s5
	v_mov_b32_e32 v15, s5
	;; [unrolled: 1-line block ×25, first 2 shown]
	s_bitcmp0_b32 s18, 0
	s_waitcnt vmcnt(0) lgkmcnt(0)
	buffer_store_dword v6, off, s[0:3], 0 offset:4
	buffer_store_dword v5, off, s[0:3], 0
	flat_load_dwordx2 v[7:8], v[3:4]
	v_lshlrev_b64 v[5:6], 3, v[9:10]
	s_waitcnt vmcnt(0) lgkmcnt(0)
	buffer_store_dword v8, off, s[0:3], 0 offset:12
	buffer_store_dword v7, off, s[0:3], 0 offset:8
	v_add_co_u32_e32 v5, vcc, s4, v5
	v_addc_co_u32_e32 v6, vcc, v11, v6, vcc
	flat_load_dwordx2 v[10:11], v[5:6]
	v_lshlrev_b64 v[7:8], 3, v[12:13]
	s_waitcnt vmcnt(0) lgkmcnt(0)
	buffer_store_dword v11, off, s[0:3], 0 offset:20
	buffer_store_dword v10, off, s[0:3], 0 offset:16
	v_add_co_u32_e32 v7, vcc, s4, v7
	v_addc_co_u32_e32 v8, vcc, v14, v8, vcc
	flat_load_dwordx2 v[13:14], v[7:8]
	v_add_u32_e32 v11, s9, v12
	v_ashrrev_i32_e32 v12, 31, v11
	v_lshlrev_b64 v[9:10], 3, v[11:12]
	s_waitcnt vmcnt(0) lgkmcnt(0)
	buffer_store_dword v14, off, s[0:3], 0 offset:28
	buffer_store_dword v13, off, s[0:3], 0 offset:24
	v_add_co_u32_e32 v9, vcc, s4, v9
	v_addc_co_u32_e32 v10, vcc, v15, v10, vcc
	flat_load_dwordx2 v[13:14], v[9:10]
	v_add_u32_e32 v15, s9, v11
	v_ashrrev_i32_e32 v16, 31, v15
	v_lshlrev_b64 v[11:12], 3, v[15:16]
	v_add_u32_e32 v18, s9, v15
	v_add_co_u32_e32 v11, vcc, s4, v11
	v_addc_co_u32_e32 v12, vcc, v17, v12, vcc
	v_ashrrev_i32_e32 v19, 31, v18
	s_waitcnt vmcnt(0) lgkmcnt(0)
	buffer_store_dword v14, off, s[0:3], 0 offset:36
	buffer_store_dword v13, off, s[0:3], 0 offset:32
	flat_load_dwordx2 v[16:17], v[11:12]
	v_lshlrev_b64 v[13:14], 3, v[18:19]
	s_waitcnt vmcnt(0) lgkmcnt(0)
	buffer_store_dword v17, off, s[0:3], 0 offset:44
	buffer_store_dword v16, off, s[0:3], 0 offset:40
	v_add_co_u32_e32 v13, vcc, s4, v13
	v_addc_co_u32_e32 v14, vcc, v20, v14, vcc
	flat_load_dwordx2 v[19:20], v[13:14]
	v_add_u32_e32 v17, s9, v18
	v_ashrrev_i32_e32 v18, 31, v17
	v_lshlrev_b64 v[15:16], 3, v[17:18]
	s_waitcnt vmcnt(0) lgkmcnt(0)
	buffer_store_dword v20, off, s[0:3], 0 offset:52
	buffer_store_dword v19, off, s[0:3], 0 offset:48
	v_add_co_u32_e32 v15, vcc, s4, v15
	v_addc_co_u32_e32 v16, vcc, v21, v16, vcc
	flat_load_dwordx2 v[19:20], v[15:16]
	v_add_u32_e32 v21, s9, v17
	v_ashrrev_i32_e32 v22, 31, v21
	v_lshlrev_b64 v[17:18], 3, v[21:22]
	v_add_u32_e32 v24, s9, v21
	v_add_co_u32_e32 v17, vcc, s4, v17
	v_addc_co_u32_e32 v18, vcc, v23, v18, vcc
	v_ashrrev_i32_e32 v25, 31, v24
	s_waitcnt vmcnt(0) lgkmcnt(0)
	buffer_store_dword v20, off, s[0:3], 0 offset:60
	buffer_store_dword v19, off, s[0:3], 0 offset:56
	;; [unrolled: 27-line block ×7, first 2 shown]
	flat_load_dwordx2 v[52:53], v[47:48]
	v_lshlrev_b64 v[49:50], 3, v[54:55]
	s_waitcnt vmcnt(0) lgkmcnt(0)
	buffer_store_dword v53, off, s[0:3], 0 offset:188
	buffer_store_dword v52, off, s[0:3], 0 offset:184
	v_add_co_u32_e32 v49, vcc, s4, v49
	v_addc_co_u32_e32 v50, vcc, v56, v50, vcc
	flat_load_dwordx2 v[55:56], v[49:50]
	v_add_u32_e32 v53, s9, v54
	v_ashrrev_i32_e32 v54, 31, v53
	v_lshlrev_b64 v[51:52], 3, v[53:54]
	s_waitcnt vmcnt(0) lgkmcnt(0)
	buffer_store_dword v56, off, s[0:3], 0 offset:196
	buffer_store_dword v55, off, s[0:3], 0 offset:192
	v_add_co_u32_e32 v51, vcc, s4, v51
	v_addc_co_u32_e32 v52, vcc, v57, v52, vcc
	flat_load_dwordx2 v[55:56], v[51:52]
	v_add_u32_e32 v57, s9, v53
	v_ashrrev_i32_e32 v58, 31, v57
	v_lshlrev_b64 v[53:54], 3, v[57:58]
	v_add_u32_e32 v62, s9, v57
	v_add_co_u32_e32 v53, vcc, s4, v53
	v_addc_co_u32_e32 v54, vcc, v59, v54, vcc
	s_waitcnt vmcnt(0) lgkmcnt(0)
	buffer_store_dword v56, off, s[0:3], 0 offset:204
	buffer_store_dword v55, off, s[0:3], 0 offset:200
	flat_load_dwordx2 v[58:59], v[53:54]
	v_ashrrev_i32_e32 v63, 31, v62
	v_lshlrev_b64 v[55:56], 3, v[62:63]
	v_add_u32_e32 v57, s9, v62
	v_add_co_u32_e32 v55, vcc, s4, v55
	v_addc_co_u32_e32 v56, vcc, v60, v56, vcc
	s_waitcnt vmcnt(0) lgkmcnt(0)
	buffer_store_dword v59, off, s[0:3], 0 offset:212
	buffer_store_dword v58, off, s[0:3], 0 offset:208
	flat_load_dwordx2 v[59:60], v[55:56]
	v_ashrrev_i32_e32 v58, 31, v57
	v_lshlrev_b64 v[57:58], 3, v[57:58]
	v_mov_b32_e32 v63, s5
	v_add_co_u32_e32 v57, vcc, s4, v57
	v_addc_co_u32_e32 v58, vcc, v63, v58, vcc
	s_waitcnt vmcnt(0) lgkmcnt(0)
	buffer_store_dword v60, off, s[0:3], 0 offset:220
	buffer_store_dword v59, off, s[0:3], 0 offset:216
	flat_load_dwordx2 v[59:60], v[57:58]
	s_mov_b64 s[8:9], -1
	s_waitcnt vmcnt(0) lgkmcnt(0)
	buffer_store_dword v60, off, s[0:3], 0 offset:228
	buffer_store_dword v59, off, s[0:3], 0 offset:224
	s_cbranch_scc1 .LBB92_122
; %bb.4:
	v_cmp_eq_u32_e64 s[4:5], 0, v0
	s_and_saveexec_b64 s[8:9], s[4:5]
; %bb.5:
	v_mov_b32_e32 v59, 0
	ds_write_b32 v59, v59 offset:232
; %bb.6:
	s_or_b64 exec, exec, s[8:9]
	v_mov_b32_e32 v59, 0
	v_lshl_add_u32 v59, v0, 3, v59
	s_waitcnt lgkmcnt(0)
	; wave barrier
	buffer_load_dword v62, v59, s[0:3], 0 offen
	buffer_load_dword v63, v59, s[0:3], 0 offen offset:4
	s_waitcnt vmcnt(0)
	v_cmp_eq_f64_e32 vcc, 0, v[62:63]
	s_and_saveexec_b64 s[16:17], vcc
	s_cbranch_execz .LBB92_10
; %bb.7:
	v_mov_b32_e32 v60, 0
	ds_read_b32 v63, v60 offset:232
	v_add_u32_e32 v62, 1, v0
	s_waitcnt lgkmcnt(0)
	v_readfirstlane_b32 s8, v63
	s_cmp_eq_u32 s8, 0
	s_cselect_b64 s[18:19], -1, 0
	v_cmp_gt_i32_e32 vcc, s8, v62
	s_or_b64 s[18:19], s[18:19], vcc
	s_and_b64 exec, exec, s[18:19]
	s_cbranch_execz .LBB92_10
; %bb.8:
	s_mov_b64 s[18:19], 0
	v_mov_b32_e32 v63, s8
.LBB92_9:                               ; =>This Inner Loop Header: Depth=1
	ds_cmpst_rtn_b32 v63, v60, v63, v62 offset:232
	s_waitcnt lgkmcnt(0)
	v_cmp_ne_u32_e32 vcc, 0, v63
	v_cmp_le_i32_e64 s[8:9], v63, v62
	s_and_b64 s[8:9], vcc, s[8:9]
	s_and_b64 s[8:9], exec, s[8:9]
	s_or_b64 s[18:19], s[8:9], s[18:19]
	s_andn2_b64 exec, exec, s[18:19]
	s_cbranch_execnz .LBB92_9
.LBB92_10:
	s_or_b64 exec, exec, s[16:17]
	v_mov_b32_e32 v62, 0
	; wave barrier
	ds_read_b32 v60, v62 offset:232
	s_and_saveexec_b64 s[8:9], s[4:5]
	s_cbranch_execz .LBB92_12
; %bb.11:
	s_lshl_b64 s[16:17], s[6:7], 2
	s_add_u32 s16, s10, s16
	s_addc_u32 s17, s11, s17
	s_waitcnt lgkmcnt(0)
	global_store_dword v62, v60, s[16:17]
.LBB92_12:
	s_or_b64 exec, exec, s[8:9]
	s_waitcnt lgkmcnt(0)
	v_cmp_ne_u32_e32 vcc, 0, v60
	s_mov_b64 s[8:9], 0
	s_cbranch_vccnz .LBB92_122
; %bb.13:
	buffer_load_dword v62, v59, s[0:3], 0 offen
	buffer_load_dword v63, v59, s[0:3], 0 offen offset:4
	s_waitcnt vmcnt(0)
	v_div_scale_f64 v[64:65], s[8:9], v[62:63], v[62:63], 1.0
	v_rcp_f64_e32 v[66:67], v[64:65]
	v_fma_f64 v[68:69], -v[64:65], v[66:67], 1.0
	v_fma_f64 v[66:67], v[66:67], v[68:69], v[66:67]
	v_div_scale_f64 v[68:69], vcc, 1.0, v[62:63], 1.0
	v_fma_f64 v[70:71], -v[64:65], v[66:67], 1.0
	v_fma_f64 v[66:67], v[66:67], v[70:71], v[66:67]
	v_mul_f64 v[70:71], v[68:69], v[66:67]
	v_fma_f64 v[64:65], -v[64:65], v[70:71], v[68:69]
	v_div_fmas_f64 v[64:65], v[64:65], v[66:67], v[70:71]
	v_div_fixup_f64 v[63:64], v[64:65], v[62:63], 1.0
	v_add_u32_e32 v62, 0xf0, v61
	buffer_store_dword v64, v59, s[0:3], 0 offen offset:4
	buffer_store_dword v63, v59, s[0:3], 0 offen
	buffer_load_dword v66, off, s[0:3], 0 offset:12
	buffer_load_dword v65, off, s[0:3], 0 offset:8
	v_xor_b32_e32 v64, 0x80000000, v64
	s_waitcnt vmcnt(0)
	ds_write2_b64 v61, v[63:64], v[65:66] offset1:30
	s_waitcnt lgkmcnt(0)
	; wave barrier
	s_and_saveexec_b64 s[8:9], s[4:5]
	s_cbranch_execz .LBB92_15
; %bb.14:
	buffer_load_dword v63, v59, s[0:3], 0 offen
	buffer_load_dword v64, v59, s[0:3], 0 offen offset:4
	ds_read_b64 v[65:66], v62
	v_mov_b32_e32 v60, 0
	ds_read_b64 v[67:68], v60 offset:8
	s_waitcnt vmcnt(0) lgkmcnt(1)
	v_fma_f64 v[63:64], v[63:64], v[65:66], 0
	s_waitcnt lgkmcnt(0)
	v_mul_f64 v[63:64], v[63:64], v[67:68]
	buffer_store_dword v63, off, s[0:3], 0 offset:8
	buffer_store_dword v64, off, s[0:3], 0 offset:12
.LBB92_15:
	s_or_b64 exec, exec, s[8:9]
	; wave barrier
	buffer_load_dword v63, off, s[0:3], 0 offset:16
	buffer_load_dword v64, off, s[0:3], 0 offset:20
	v_cmp_gt_u32_e32 vcc, 2, v0
	s_waitcnt vmcnt(0)
	ds_write_b64 v62, v[63:64]
	s_waitcnt lgkmcnt(0)
	; wave barrier
	s_and_saveexec_b64 s[8:9], vcc
	s_cbranch_execz .LBB92_17
; %bb.16:
	buffer_load_dword v63, v59, s[0:3], 0 offen
	buffer_load_dword v64, v59, s[0:3], 0 offen offset:4
                                        ; kill: killed $vgpr59
	s_nop 0
	buffer_load_dword v59, off, s[0:3], 0 offset:8
	buffer_load_dword v60, off, s[0:3], 0 offset:12
	ds_read_b64 v[65:66], v62
	s_waitcnt vmcnt(2) lgkmcnt(0)
	v_fma_f64 v[67:68], v[63:64], v[65:66], 0
	v_mov_b32_e32 v63, 0
	ds_read2_b64 v[63:66], v63 offset0:2 offset1:31
	s_waitcnt vmcnt(0) lgkmcnt(0)
	v_fma_f64 v[59:60], v[59:60], v[65:66], v[67:68]
	v_cndmask_b32_e64 v60, v68, v60, s[4:5]
	v_cndmask_b32_e64 v59, v67, v59, s[4:5]
	v_mul_f64 v[59:60], v[59:60], v[63:64]
	buffer_store_dword v60, off, s[0:3], 0 offset:20
	buffer_store_dword v59, off, s[0:3], 0 offset:16
.LBB92_17:
	s_or_b64 exec, exec, s[8:9]
	; wave barrier
	buffer_load_dword v59, off, s[0:3], 0 offset:24
	buffer_load_dword v60, off, s[0:3], 0 offset:28
	v_cmp_gt_u32_e32 vcc, 3, v0
	v_add_u32_e32 v63, -1, v0
	s_waitcnt vmcnt(0)
	ds_write_b64 v62, v[59:60]
	s_waitcnt lgkmcnt(0)
	; wave barrier
	s_and_saveexec_b64 s[4:5], vcc
	s_cbranch_execz .LBB92_21
; %bb.18:
	v_mov_b32_e32 v59, 0
	v_add_u32_e32 v64, -1, v0
	v_add_u32_e32 v65, 0xf0, v61
	v_mov_b32_e32 v66, v61
	v_mov_b32_e32 v60, 0
	s_mov_b64 s[8:9], 0
.LBB92_19:                              ; =>This Inner Loop Header: Depth=1
	buffer_load_dword v67, v66, s[0:3], 0 offen
	buffer_load_dword v68, v66, s[0:3], 0 offen offset:4
	ds_read_b64 v[69:70], v65
	v_add_u32_e32 v64, 1, v64
	v_cmp_lt_u32_e32 vcc, 1, v64
	v_add_u32_e32 v65, 8, v65
	s_or_b64 s[8:9], vcc, s[8:9]
	v_add_u32_e32 v66, 8, v66
	s_waitcnt vmcnt(0) lgkmcnt(0)
	v_fma_f64 v[59:60], v[67:68], v[69:70], v[59:60]
	s_andn2_b64 exec, exec, s[8:9]
	s_cbranch_execnz .LBB92_19
; %bb.20:
	s_or_b64 exec, exec, s[8:9]
	v_mov_b32_e32 v64, 0
	ds_read_b64 v[64:65], v64 offset:24
	s_waitcnt lgkmcnt(0)
	v_mul_f64 v[59:60], v[59:60], v[64:65]
	buffer_store_dword v60, off, s[0:3], 0 offset:28
	buffer_store_dword v59, off, s[0:3], 0 offset:24
.LBB92_21:
	s_or_b64 exec, exec, s[4:5]
	; wave barrier
	buffer_load_dword v59, off, s[0:3], 0 offset:32
	buffer_load_dword v60, off, s[0:3], 0 offset:36
	v_cmp_gt_u32_e32 vcc, 4, v0
	s_waitcnt vmcnt(0)
	ds_write_b64 v62, v[59:60]
	s_waitcnt lgkmcnt(0)
	; wave barrier
	s_and_saveexec_b64 s[4:5], vcc
	s_cbranch_execz .LBB92_25
; %bb.22:
	v_mov_b32_e32 v59, 0
	v_add_u32_e32 v64, -1, v0
	v_add_u32_e32 v65, 0xf0, v61
	v_mov_b32_e32 v66, v61
	v_mov_b32_e32 v60, 0
	s_mov_b64 s[8:9], 0
.LBB92_23:                              ; =>This Inner Loop Header: Depth=1
	buffer_load_dword v67, v66, s[0:3], 0 offen
	buffer_load_dword v68, v66, s[0:3], 0 offen offset:4
	ds_read_b64 v[69:70], v65
	v_add_u32_e32 v64, 1, v64
	v_cmp_lt_u32_e32 vcc, 2, v64
	v_add_u32_e32 v65, 8, v65
	s_or_b64 s[8:9], vcc, s[8:9]
	v_add_u32_e32 v66, 8, v66
	s_waitcnt vmcnt(0) lgkmcnt(0)
	v_fma_f64 v[59:60], v[67:68], v[69:70], v[59:60]
	s_andn2_b64 exec, exec, s[8:9]
	s_cbranch_execnz .LBB92_23
; %bb.24:
	s_or_b64 exec, exec, s[8:9]
	v_mov_b32_e32 v64, 0
	ds_read_b64 v[64:65], v64 offset:32
	s_waitcnt lgkmcnt(0)
	v_mul_f64 v[59:60], v[59:60], v[64:65]
	buffer_store_dword v60, off, s[0:3], 0 offset:36
	buffer_store_dword v59, off, s[0:3], 0 offset:32
.LBB92_25:
	s_or_b64 exec, exec, s[4:5]
	; wave barrier
	buffer_load_dword v59, off, s[0:3], 0 offset:40
	buffer_load_dword v60, off, s[0:3], 0 offset:44
	v_cmp_gt_u32_e32 vcc, 5, v0
	s_waitcnt vmcnt(0)
	ds_write_b64 v62, v[59:60]
	s_waitcnt lgkmcnt(0)
	; wave barrier
	s_and_saveexec_b64 s[4:5], vcc
	s_cbranch_execz .LBB92_29
; %bb.26:
	v_mov_b32_e32 v59, 0
	v_add_u32_e32 v64, -1, v0
	v_add_u32_e32 v65, 0xf0, v61
	v_mov_b32_e32 v66, v61
	v_mov_b32_e32 v60, 0
	s_mov_b64 s[8:9], 0
.LBB92_27:                              ; =>This Inner Loop Header: Depth=1
	buffer_load_dword v67, v66, s[0:3], 0 offen
	buffer_load_dword v68, v66, s[0:3], 0 offen offset:4
	ds_read_b64 v[69:70], v65
	v_add_u32_e32 v64, 1, v64
	v_cmp_lt_u32_e32 vcc, 3, v64
	v_add_u32_e32 v65, 8, v65
	s_or_b64 s[8:9], vcc, s[8:9]
	v_add_u32_e32 v66, 8, v66
	s_waitcnt vmcnt(0) lgkmcnt(0)
	v_fma_f64 v[59:60], v[67:68], v[69:70], v[59:60]
	s_andn2_b64 exec, exec, s[8:9]
	s_cbranch_execnz .LBB92_27
; %bb.28:
	s_or_b64 exec, exec, s[8:9]
	v_mov_b32_e32 v64, 0
	ds_read_b64 v[64:65], v64 offset:40
	s_waitcnt lgkmcnt(0)
	v_mul_f64 v[59:60], v[59:60], v[64:65]
	buffer_store_dword v60, off, s[0:3], 0 offset:44
	buffer_store_dword v59, off, s[0:3], 0 offset:40
.LBB92_29:
	s_or_b64 exec, exec, s[4:5]
	; wave barrier
	buffer_load_dword v59, off, s[0:3], 0 offset:48
	buffer_load_dword v60, off, s[0:3], 0 offset:52
	v_cmp_gt_u32_e32 vcc, 6, v0
	s_waitcnt vmcnt(0)
	ds_write_b64 v62, v[59:60]
	s_waitcnt lgkmcnt(0)
	; wave barrier
	s_and_saveexec_b64 s[4:5], vcc
	s_cbranch_execz .LBB92_33
; %bb.30:
	v_mov_b32_e32 v59, 0
	v_add_u32_e32 v64, -1, v0
	v_add_u32_e32 v65, 0xf0, v61
	v_mov_b32_e32 v66, v61
	v_mov_b32_e32 v60, 0
	s_mov_b64 s[8:9], 0
.LBB92_31:                              ; =>This Inner Loop Header: Depth=1
	buffer_load_dword v67, v66, s[0:3], 0 offen
	buffer_load_dword v68, v66, s[0:3], 0 offen offset:4
	ds_read_b64 v[69:70], v65
	v_add_u32_e32 v64, 1, v64
	v_cmp_lt_u32_e32 vcc, 4, v64
	v_add_u32_e32 v65, 8, v65
	s_or_b64 s[8:9], vcc, s[8:9]
	v_add_u32_e32 v66, 8, v66
	s_waitcnt vmcnt(0) lgkmcnt(0)
	v_fma_f64 v[59:60], v[67:68], v[69:70], v[59:60]
	s_andn2_b64 exec, exec, s[8:9]
	s_cbranch_execnz .LBB92_31
; %bb.32:
	s_or_b64 exec, exec, s[8:9]
	v_mov_b32_e32 v64, 0
	ds_read_b64 v[64:65], v64 offset:48
	s_waitcnt lgkmcnt(0)
	v_mul_f64 v[59:60], v[59:60], v[64:65]
	buffer_store_dword v60, off, s[0:3], 0 offset:52
	buffer_store_dword v59, off, s[0:3], 0 offset:48
.LBB92_33:
	s_or_b64 exec, exec, s[4:5]
	; wave barrier
	buffer_load_dword v59, off, s[0:3], 0 offset:56
	buffer_load_dword v60, off, s[0:3], 0 offset:60
	v_cmp_gt_u32_e32 vcc, 7, v0
	s_waitcnt vmcnt(0)
	ds_write_b64 v62, v[59:60]
	s_waitcnt lgkmcnt(0)
	; wave barrier
	s_and_saveexec_b64 s[4:5], vcc
	s_cbranch_execz .LBB92_37
; %bb.34:
	v_mov_b32_e32 v59, 0
	v_add_u32_e32 v64, -1, v0
	v_add_u32_e32 v65, 0xf0, v61
	v_mov_b32_e32 v66, v61
	v_mov_b32_e32 v60, 0
	s_mov_b64 s[8:9], 0
.LBB92_35:                              ; =>This Inner Loop Header: Depth=1
	buffer_load_dword v67, v66, s[0:3], 0 offen
	buffer_load_dword v68, v66, s[0:3], 0 offen offset:4
	ds_read_b64 v[69:70], v65
	v_add_u32_e32 v64, 1, v64
	v_cmp_lt_u32_e32 vcc, 5, v64
	v_add_u32_e32 v65, 8, v65
	s_or_b64 s[8:9], vcc, s[8:9]
	v_add_u32_e32 v66, 8, v66
	s_waitcnt vmcnt(0) lgkmcnt(0)
	v_fma_f64 v[59:60], v[67:68], v[69:70], v[59:60]
	s_andn2_b64 exec, exec, s[8:9]
	s_cbranch_execnz .LBB92_35
; %bb.36:
	s_or_b64 exec, exec, s[8:9]
	v_mov_b32_e32 v64, 0
	ds_read_b64 v[64:65], v64 offset:56
	s_waitcnt lgkmcnt(0)
	v_mul_f64 v[59:60], v[59:60], v[64:65]
	buffer_store_dword v60, off, s[0:3], 0 offset:60
	buffer_store_dword v59, off, s[0:3], 0 offset:56
.LBB92_37:
	s_or_b64 exec, exec, s[4:5]
	; wave barrier
	buffer_load_dword v59, off, s[0:3], 0 offset:64
	buffer_load_dword v60, off, s[0:3], 0 offset:68
	v_cmp_gt_u32_e32 vcc, 8, v0
	s_waitcnt vmcnt(0)
	ds_write_b64 v62, v[59:60]
	s_waitcnt lgkmcnt(0)
	; wave barrier
	s_and_saveexec_b64 s[4:5], vcc
	s_cbranch_execz .LBB92_41
; %bb.38:
	v_mov_b32_e32 v59, 0
	v_add_u32_e32 v64, -1, v0
	v_add_u32_e32 v65, 0xf0, v61
	v_mov_b32_e32 v66, v61
	v_mov_b32_e32 v60, 0
	s_mov_b64 s[8:9], 0
.LBB92_39:                              ; =>This Inner Loop Header: Depth=1
	buffer_load_dword v67, v66, s[0:3], 0 offen
	buffer_load_dword v68, v66, s[0:3], 0 offen offset:4
	ds_read_b64 v[69:70], v65
	v_add_u32_e32 v64, 1, v64
	v_cmp_lt_u32_e32 vcc, 6, v64
	v_add_u32_e32 v65, 8, v65
	s_or_b64 s[8:9], vcc, s[8:9]
	v_add_u32_e32 v66, 8, v66
	s_waitcnt vmcnt(0) lgkmcnt(0)
	v_fma_f64 v[59:60], v[67:68], v[69:70], v[59:60]
	s_andn2_b64 exec, exec, s[8:9]
	s_cbranch_execnz .LBB92_39
; %bb.40:
	s_or_b64 exec, exec, s[8:9]
	v_mov_b32_e32 v64, 0
	ds_read_b64 v[64:65], v64 offset:64
	s_waitcnt lgkmcnt(0)
	v_mul_f64 v[59:60], v[59:60], v[64:65]
	buffer_store_dword v60, off, s[0:3], 0 offset:68
	buffer_store_dword v59, off, s[0:3], 0 offset:64
.LBB92_41:
	s_or_b64 exec, exec, s[4:5]
	; wave barrier
	buffer_load_dword v59, off, s[0:3], 0 offset:72
	buffer_load_dword v60, off, s[0:3], 0 offset:76
	v_cmp_gt_u32_e32 vcc, 9, v0
	s_waitcnt vmcnt(0)
	ds_write_b64 v62, v[59:60]
	s_waitcnt lgkmcnt(0)
	; wave barrier
	s_and_saveexec_b64 s[4:5], vcc
	s_cbranch_execz .LBB92_45
; %bb.42:
	v_mov_b32_e32 v59, 0
	v_add_u32_e32 v64, -1, v0
	v_add_u32_e32 v65, 0xf0, v61
	v_mov_b32_e32 v66, v61
	v_mov_b32_e32 v60, 0
	s_mov_b64 s[8:9], 0
.LBB92_43:                              ; =>This Inner Loop Header: Depth=1
	buffer_load_dword v67, v66, s[0:3], 0 offen
	buffer_load_dword v68, v66, s[0:3], 0 offen offset:4
	ds_read_b64 v[69:70], v65
	v_add_u32_e32 v64, 1, v64
	v_cmp_lt_u32_e32 vcc, 7, v64
	v_add_u32_e32 v65, 8, v65
	s_or_b64 s[8:9], vcc, s[8:9]
	v_add_u32_e32 v66, 8, v66
	s_waitcnt vmcnt(0) lgkmcnt(0)
	v_fma_f64 v[59:60], v[67:68], v[69:70], v[59:60]
	s_andn2_b64 exec, exec, s[8:9]
	s_cbranch_execnz .LBB92_43
; %bb.44:
	s_or_b64 exec, exec, s[8:9]
	v_mov_b32_e32 v64, 0
	ds_read_b64 v[64:65], v64 offset:72
	s_waitcnt lgkmcnt(0)
	v_mul_f64 v[59:60], v[59:60], v[64:65]
	buffer_store_dword v60, off, s[0:3], 0 offset:76
	buffer_store_dword v59, off, s[0:3], 0 offset:72
.LBB92_45:
	s_or_b64 exec, exec, s[4:5]
	; wave barrier
	buffer_load_dword v59, off, s[0:3], 0 offset:80
	buffer_load_dword v60, off, s[0:3], 0 offset:84
	v_cmp_gt_u32_e32 vcc, 10, v0
	s_waitcnt vmcnt(0)
	ds_write_b64 v62, v[59:60]
	s_waitcnt lgkmcnt(0)
	; wave barrier
	s_and_saveexec_b64 s[4:5], vcc
	s_cbranch_execz .LBB92_49
; %bb.46:
	v_mov_b32_e32 v59, 0
	v_add_u32_e32 v64, -1, v0
	v_add_u32_e32 v65, 0xf0, v61
	v_mov_b32_e32 v66, v61
	v_mov_b32_e32 v60, 0
	s_mov_b64 s[8:9], 0
.LBB92_47:                              ; =>This Inner Loop Header: Depth=1
	buffer_load_dword v67, v66, s[0:3], 0 offen
	buffer_load_dword v68, v66, s[0:3], 0 offen offset:4
	ds_read_b64 v[69:70], v65
	v_add_u32_e32 v64, 1, v64
	v_cmp_lt_u32_e32 vcc, 8, v64
	v_add_u32_e32 v65, 8, v65
	s_or_b64 s[8:9], vcc, s[8:9]
	v_add_u32_e32 v66, 8, v66
	s_waitcnt vmcnt(0) lgkmcnt(0)
	v_fma_f64 v[59:60], v[67:68], v[69:70], v[59:60]
	s_andn2_b64 exec, exec, s[8:9]
	s_cbranch_execnz .LBB92_47
; %bb.48:
	s_or_b64 exec, exec, s[8:9]
	v_mov_b32_e32 v64, 0
	ds_read_b64 v[64:65], v64 offset:80
	s_waitcnt lgkmcnt(0)
	v_mul_f64 v[59:60], v[59:60], v[64:65]
	buffer_store_dword v60, off, s[0:3], 0 offset:84
	buffer_store_dword v59, off, s[0:3], 0 offset:80
.LBB92_49:
	s_or_b64 exec, exec, s[4:5]
	; wave barrier
	buffer_load_dword v59, off, s[0:3], 0 offset:88
	buffer_load_dword v60, off, s[0:3], 0 offset:92
	v_cmp_gt_u32_e32 vcc, 11, v0
	s_waitcnt vmcnt(0)
	ds_write_b64 v62, v[59:60]
	s_waitcnt lgkmcnt(0)
	; wave barrier
	s_and_saveexec_b64 s[4:5], vcc
	s_cbranch_execz .LBB92_53
; %bb.50:
	v_mov_b32_e32 v59, 0
	v_add_u32_e32 v64, -1, v0
	v_add_u32_e32 v65, 0xf0, v61
	v_mov_b32_e32 v66, v61
	v_mov_b32_e32 v60, 0
	s_mov_b64 s[8:9], 0
.LBB92_51:                              ; =>This Inner Loop Header: Depth=1
	buffer_load_dword v67, v66, s[0:3], 0 offen
	buffer_load_dword v68, v66, s[0:3], 0 offen offset:4
	ds_read_b64 v[69:70], v65
	v_add_u32_e32 v64, 1, v64
	v_cmp_lt_u32_e32 vcc, 9, v64
	v_add_u32_e32 v65, 8, v65
	s_or_b64 s[8:9], vcc, s[8:9]
	v_add_u32_e32 v66, 8, v66
	s_waitcnt vmcnt(0) lgkmcnt(0)
	v_fma_f64 v[59:60], v[67:68], v[69:70], v[59:60]
	s_andn2_b64 exec, exec, s[8:9]
	s_cbranch_execnz .LBB92_51
; %bb.52:
	s_or_b64 exec, exec, s[8:9]
	v_mov_b32_e32 v64, 0
	ds_read_b64 v[64:65], v64 offset:88
	s_waitcnt lgkmcnt(0)
	v_mul_f64 v[59:60], v[59:60], v[64:65]
	buffer_store_dword v60, off, s[0:3], 0 offset:92
	buffer_store_dword v59, off, s[0:3], 0 offset:88
.LBB92_53:
	s_or_b64 exec, exec, s[4:5]
	; wave barrier
	buffer_load_dword v59, off, s[0:3], 0 offset:96
	buffer_load_dword v60, off, s[0:3], 0 offset:100
	v_cmp_gt_u32_e32 vcc, 12, v0
	s_waitcnt vmcnt(0)
	ds_write_b64 v62, v[59:60]
	s_waitcnt lgkmcnt(0)
	; wave barrier
	s_and_saveexec_b64 s[4:5], vcc
	s_cbranch_execz .LBB92_57
; %bb.54:
	v_mov_b32_e32 v59, 0
	v_add_u32_e32 v64, -1, v0
	v_add_u32_e32 v65, 0xf0, v61
	v_mov_b32_e32 v66, v61
	v_mov_b32_e32 v60, 0
	s_mov_b64 s[8:9], 0
.LBB92_55:                              ; =>This Inner Loop Header: Depth=1
	buffer_load_dword v67, v66, s[0:3], 0 offen
	buffer_load_dword v68, v66, s[0:3], 0 offen offset:4
	ds_read_b64 v[69:70], v65
	v_add_u32_e32 v64, 1, v64
	v_cmp_lt_u32_e32 vcc, 10, v64
	v_add_u32_e32 v65, 8, v65
	s_or_b64 s[8:9], vcc, s[8:9]
	v_add_u32_e32 v66, 8, v66
	s_waitcnt vmcnt(0) lgkmcnt(0)
	v_fma_f64 v[59:60], v[67:68], v[69:70], v[59:60]
	s_andn2_b64 exec, exec, s[8:9]
	s_cbranch_execnz .LBB92_55
; %bb.56:
	s_or_b64 exec, exec, s[8:9]
	v_mov_b32_e32 v64, 0
	ds_read_b64 v[64:65], v64 offset:96
	s_waitcnt lgkmcnt(0)
	v_mul_f64 v[59:60], v[59:60], v[64:65]
	buffer_store_dword v60, off, s[0:3], 0 offset:100
	buffer_store_dword v59, off, s[0:3], 0 offset:96
.LBB92_57:
	s_or_b64 exec, exec, s[4:5]
	; wave barrier
	buffer_load_dword v59, off, s[0:3], 0 offset:104
	buffer_load_dword v60, off, s[0:3], 0 offset:108
	v_cmp_gt_u32_e32 vcc, 13, v0
	s_waitcnt vmcnt(0)
	ds_write_b64 v62, v[59:60]
	s_waitcnt lgkmcnt(0)
	; wave barrier
	s_and_saveexec_b64 s[4:5], vcc
	s_cbranch_execz .LBB92_61
; %bb.58:
	v_mov_b32_e32 v59, 0
	v_add_u32_e32 v64, -1, v0
	v_add_u32_e32 v65, 0xf0, v61
	v_mov_b32_e32 v66, v61
	v_mov_b32_e32 v60, 0
	s_mov_b64 s[8:9], 0
.LBB92_59:                              ; =>This Inner Loop Header: Depth=1
	buffer_load_dword v67, v66, s[0:3], 0 offen
	buffer_load_dword v68, v66, s[0:3], 0 offen offset:4
	ds_read_b64 v[69:70], v65
	v_add_u32_e32 v64, 1, v64
	v_cmp_lt_u32_e32 vcc, 11, v64
	v_add_u32_e32 v65, 8, v65
	s_or_b64 s[8:9], vcc, s[8:9]
	v_add_u32_e32 v66, 8, v66
	s_waitcnt vmcnt(0) lgkmcnt(0)
	v_fma_f64 v[59:60], v[67:68], v[69:70], v[59:60]
	s_andn2_b64 exec, exec, s[8:9]
	s_cbranch_execnz .LBB92_59
; %bb.60:
	s_or_b64 exec, exec, s[8:9]
	v_mov_b32_e32 v64, 0
	ds_read_b64 v[64:65], v64 offset:104
	s_waitcnt lgkmcnt(0)
	v_mul_f64 v[59:60], v[59:60], v[64:65]
	buffer_store_dword v60, off, s[0:3], 0 offset:108
	buffer_store_dword v59, off, s[0:3], 0 offset:104
.LBB92_61:
	s_or_b64 exec, exec, s[4:5]
	; wave barrier
	buffer_load_dword v59, off, s[0:3], 0 offset:112
	buffer_load_dword v60, off, s[0:3], 0 offset:116
	v_cmp_gt_u32_e32 vcc, 14, v0
	s_waitcnt vmcnt(0)
	ds_write_b64 v62, v[59:60]
	s_waitcnt lgkmcnt(0)
	; wave barrier
	s_and_saveexec_b64 s[4:5], vcc
	s_cbranch_execz .LBB92_65
; %bb.62:
	v_mov_b32_e32 v59, 0
	v_add_u32_e32 v64, -1, v0
	v_add_u32_e32 v65, 0xf0, v61
	v_mov_b32_e32 v66, v61
	v_mov_b32_e32 v60, 0
	s_mov_b64 s[8:9], 0
.LBB92_63:                              ; =>This Inner Loop Header: Depth=1
	buffer_load_dword v67, v66, s[0:3], 0 offen
	buffer_load_dword v68, v66, s[0:3], 0 offen offset:4
	ds_read_b64 v[69:70], v65
	v_add_u32_e32 v64, 1, v64
	v_cmp_lt_u32_e32 vcc, 12, v64
	v_add_u32_e32 v65, 8, v65
	s_or_b64 s[8:9], vcc, s[8:9]
	v_add_u32_e32 v66, 8, v66
	s_waitcnt vmcnt(0) lgkmcnt(0)
	v_fma_f64 v[59:60], v[67:68], v[69:70], v[59:60]
	s_andn2_b64 exec, exec, s[8:9]
	s_cbranch_execnz .LBB92_63
; %bb.64:
	s_or_b64 exec, exec, s[8:9]
	v_mov_b32_e32 v64, 0
	ds_read_b64 v[64:65], v64 offset:112
	s_waitcnt lgkmcnt(0)
	v_mul_f64 v[59:60], v[59:60], v[64:65]
	buffer_store_dword v60, off, s[0:3], 0 offset:116
	buffer_store_dword v59, off, s[0:3], 0 offset:112
.LBB92_65:
	s_or_b64 exec, exec, s[4:5]
	; wave barrier
	buffer_load_dword v59, off, s[0:3], 0 offset:120
	buffer_load_dword v60, off, s[0:3], 0 offset:124
	v_cmp_gt_u32_e32 vcc, 15, v0
	s_waitcnt vmcnt(0)
	ds_write_b64 v62, v[59:60]
	s_waitcnt lgkmcnt(0)
	; wave barrier
	s_and_saveexec_b64 s[4:5], vcc
	s_cbranch_execz .LBB92_69
; %bb.66:
	v_mov_b32_e32 v59, 0
	v_add_u32_e32 v64, -1, v0
	v_add_u32_e32 v65, 0xf0, v61
	v_mov_b32_e32 v66, v61
	v_mov_b32_e32 v60, 0
	s_mov_b64 s[8:9], 0
.LBB92_67:                              ; =>This Inner Loop Header: Depth=1
	buffer_load_dword v67, v66, s[0:3], 0 offen
	buffer_load_dword v68, v66, s[0:3], 0 offen offset:4
	ds_read_b64 v[69:70], v65
	v_add_u32_e32 v64, 1, v64
	v_cmp_lt_u32_e32 vcc, 13, v64
	v_add_u32_e32 v65, 8, v65
	s_or_b64 s[8:9], vcc, s[8:9]
	v_add_u32_e32 v66, 8, v66
	s_waitcnt vmcnt(0) lgkmcnt(0)
	v_fma_f64 v[59:60], v[67:68], v[69:70], v[59:60]
	s_andn2_b64 exec, exec, s[8:9]
	s_cbranch_execnz .LBB92_67
; %bb.68:
	s_or_b64 exec, exec, s[8:9]
	v_mov_b32_e32 v64, 0
	ds_read_b64 v[64:65], v64 offset:120
	s_waitcnt lgkmcnt(0)
	v_mul_f64 v[59:60], v[59:60], v[64:65]
	buffer_store_dword v60, off, s[0:3], 0 offset:124
	buffer_store_dword v59, off, s[0:3], 0 offset:120
.LBB92_69:
	s_or_b64 exec, exec, s[4:5]
	; wave barrier
	buffer_load_dword v59, off, s[0:3], 0 offset:128
	buffer_load_dword v60, off, s[0:3], 0 offset:132
	v_cmp_gt_u32_e32 vcc, 16, v0
	s_waitcnt vmcnt(0)
	ds_write_b64 v62, v[59:60]
	s_waitcnt lgkmcnt(0)
	; wave barrier
	s_and_saveexec_b64 s[4:5], vcc
	s_cbranch_execz .LBB92_73
; %bb.70:
	v_mov_b32_e32 v59, 0
	v_add_u32_e32 v64, -1, v0
	v_add_u32_e32 v65, 0xf0, v61
	v_mov_b32_e32 v66, v61
	v_mov_b32_e32 v60, 0
	s_mov_b64 s[8:9], 0
.LBB92_71:                              ; =>This Inner Loop Header: Depth=1
	buffer_load_dword v67, v66, s[0:3], 0 offen
	buffer_load_dword v68, v66, s[0:3], 0 offen offset:4
	ds_read_b64 v[69:70], v65
	v_add_u32_e32 v64, 1, v64
	v_cmp_lt_u32_e32 vcc, 14, v64
	v_add_u32_e32 v65, 8, v65
	s_or_b64 s[8:9], vcc, s[8:9]
	v_add_u32_e32 v66, 8, v66
	s_waitcnt vmcnt(0) lgkmcnt(0)
	v_fma_f64 v[59:60], v[67:68], v[69:70], v[59:60]
	s_andn2_b64 exec, exec, s[8:9]
	s_cbranch_execnz .LBB92_71
; %bb.72:
	s_or_b64 exec, exec, s[8:9]
	v_mov_b32_e32 v64, 0
	ds_read_b64 v[64:65], v64 offset:128
	s_waitcnt lgkmcnt(0)
	v_mul_f64 v[59:60], v[59:60], v[64:65]
	buffer_store_dword v60, off, s[0:3], 0 offset:132
	buffer_store_dword v59, off, s[0:3], 0 offset:128
.LBB92_73:
	s_or_b64 exec, exec, s[4:5]
	; wave barrier
	buffer_load_dword v59, off, s[0:3], 0 offset:136
	buffer_load_dword v60, off, s[0:3], 0 offset:140
	v_cmp_gt_u32_e32 vcc, 17, v0
	s_waitcnt vmcnt(0)
	ds_write_b64 v62, v[59:60]
	s_waitcnt lgkmcnt(0)
	; wave barrier
	s_and_saveexec_b64 s[4:5], vcc
	s_cbranch_execz .LBB92_77
; %bb.74:
	v_mov_b32_e32 v59, 0
	v_add_u32_e32 v64, -1, v0
	v_add_u32_e32 v65, 0xf0, v61
	v_mov_b32_e32 v66, v61
	v_mov_b32_e32 v60, 0
	s_mov_b64 s[8:9], 0
.LBB92_75:                              ; =>This Inner Loop Header: Depth=1
	buffer_load_dword v67, v66, s[0:3], 0 offen
	buffer_load_dword v68, v66, s[0:3], 0 offen offset:4
	ds_read_b64 v[69:70], v65
	v_add_u32_e32 v64, 1, v64
	v_cmp_lt_u32_e32 vcc, 15, v64
	v_add_u32_e32 v65, 8, v65
	s_or_b64 s[8:9], vcc, s[8:9]
	v_add_u32_e32 v66, 8, v66
	s_waitcnt vmcnt(0) lgkmcnt(0)
	v_fma_f64 v[59:60], v[67:68], v[69:70], v[59:60]
	s_andn2_b64 exec, exec, s[8:9]
	s_cbranch_execnz .LBB92_75
; %bb.76:
	s_or_b64 exec, exec, s[8:9]
	v_mov_b32_e32 v64, 0
	ds_read_b64 v[64:65], v64 offset:136
	s_waitcnt lgkmcnt(0)
	v_mul_f64 v[59:60], v[59:60], v[64:65]
	buffer_store_dword v60, off, s[0:3], 0 offset:140
	buffer_store_dword v59, off, s[0:3], 0 offset:136
.LBB92_77:
	s_or_b64 exec, exec, s[4:5]
	; wave barrier
	buffer_load_dword v59, off, s[0:3], 0 offset:144
	buffer_load_dword v60, off, s[0:3], 0 offset:148
	v_cmp_gt_u32_e32 vcc, 18, v0
	s_waitcnt vmcnt(0)
	ds_write_b64 v62, v[59:60]
	s_waitcnt lgkmcnt(0)
	; wave barrier
	s_and_saveexec_b64 s[4:5], vcc
	s_cbranch_execz .LBB92_81
; %bb.78:
	v_mov_b32_e32 v59, 0
	v_add_u32_e32 v64, -1, v0
	v_add_u32_e32 v65, 0xf0, v61
	v_mov_b32_e32 v66, v61
	v_mov_b32_e32 v60, 0
	s_mov_b64 s[8:9], 0
.LBB92_79:                              ; =>This Inner Loop Header: Depth=1
	buffer_load_dword v67, v66, s[0:3], 0 offen
	buffer_load_dword v68, v66, s[0:3], 0 offen offset:4
	ds_read_b64 v[69:70], v65
	v_add_u32_e32 v64, 1, v64
	v_cmp_lt_u32_e32 vcc, 16, v64
	v_add_u32_e32 v65, 8, v65
	s_or_b64 s[8:9], vcc, s[8:9]
	v_add_u32_e32 v66, 8, v66
	s_waitcnt vmcnt(0) lgkmcnt(0)
	v_fma_f64 v[59:60], v[67:68], v[69:70], v[59:60]
	s_andn2_b64 exec, exec, s[8:9]
	s_cbranch_execnz .LBB92_79
; %bb.80:
	s_or_b64 exec, exec, s[8:9]
	v_mov_b32_e32 v64, 0
	ds_read_b64 v[64:65], v64 offset:144
	s_waitcnt lgkmcnt(0)
	v_mul_f64 v[59:60], v[59:60], v[64:65]
	buffer_store_dword v60, off, s[0:3], 0 offset:148
	buffer_store_dword v59, off, s[0:3], 0 offset:144
.LBB92_81:
	s_or_b64 exec, exec, s[4:5]
	; wave barrier
	buffer_load_dword v59, off, s[0:3], 0 offset:152
	buffer_load_dword v60, off, s[0:3], 0 offset:156
	v_cmp_gt_u32_e32 vcc, 19, v0
	s_waitcnt vmcnt(0)
	ds_write_b64 v62, v[59:60]
	s_waitcnt lgkmcnt(0)
	; wave barrier
	s_and_saveexec_b64 s[4:5], vcc
	s_cbranch_execz .LBB92_85
; %bb.82:
	v_mov_b32_e32 v59, 0
	v_add_u32_e32 v64, -1, v0
	v_add_u32_e32 v65, 0xf0, v61
	v_mov_b32_e32 v66, v61
	v_mov_b32_e32 v60, 0
	s_mov_b64 s[8:9], 0
.LBB92_83:                              ; =>This Inner Loop Header: Depth=1
	buffer_load_dword v67, v66, s[0:3], 0 offen
	buffer_load_dword v68, v66, s[0:3], 0 offen offset:4
	ds_read_b64 v[69:70], v65
	v_add_u32_e32 v64, 1, v64
	v_cmp_lt_u32_e32 vcc, 17, v64
	v_add_u32_e32 v65, 8, v65
	s_or_b64 s[8:9], vcc, s[8:9]
	v_add_u32_e32 v66, 8, v66
	s_waitcnt vmcnt(0) lgkmcnt(0)
	v_fma_f64 v[59:60], v[67:68], v[69:70], v[59:60]
	s_andn2_b64 exec, exec, s[8:9]
	s_cbranch_execnz .LBB92_83
; %bb.84:
	s_or_b64 exec, exec, s[8:9]
	v_mov_b32_e32 v64, 0
	ds_read_b64 v[64:65], v64 offset:152
	s_waitcnt lgkmcnt(0)
	v_mul_f64 v[59:60], v[59:60], v[64:65]
	buffer_store_dword v60, off, s[0:3], 0 offset:156
	buffer_store_dword v59, off, s[0:3], 0 offset:152
.LBB92_85:
	s_or_b64 exec, exec, s[4:5]
	; wave barrier
	buffer_load_dword v59, off, s[0:3], 0 offset:160
	buffer_load_dword v60, off, s[0:3], 0 offset:164
	v_cmp_gt_u32_e32 vcc, 20, v0
	s_waitcnt vmcnt(0)
	ds_write_b64 v62, v[59:60]
	s_waitcnt lgkmcnt(0)
	; wave barrier
	s_and_saveexec_b64 s[4:5], vcc
	s_cbranch_execz .LBB92_89
; %bb.86:
	v_mov_b32_e32 v59, 0
	v_add_u32_e32 v64, -1, v0
	v_add_u32_e32 v65, 0xf0, v61
	v_mov_b32_e32 v66, v61
	v_mov_b32_e32 v60, 0
	s_mov_b64 s[8:9], 0
.LBB92_87:                              ; =>This Inner Loop Header: Depth=1
	buffer_load_dword v67, v66, s[0:3], 0 offen
	buffer_load_dword v68, v66, s[0:3], 0 offen offset:4
	ds_read_b64 v[69:70], v65
	v_add_u32_e32 v64, 1, v64
	v_cmp_lt_u32_e32 vcc, 18, v64
	v_add_u32_e32 v65, 8, v65
	s_or_b64 s[8:9], vcc, s[8:9]
	v_add_u32_e32 v66, 8, v66
	s_waitcnt vmcnt(0) lgkmcnt(0)
	v_fma_f64 v[59:60], v[67:68], v[69:70], v[59:60]
	s_andn2_b64 exec, exec, s[8:9]
	s_cbranch_execnz .LBB92_87
; %bb.88:
	s_or_b64 exec, exec, s[8:9]
	v_mov_b32_e32 v64, 0
	ds_read_b64 v[64:65], v64 offset:160
	s_waitcnt lgkmcnt(0)
	v_mul_f64 v[59:60], v[59:60], v[64:65]
	buffer_store_dword v60, off, s[0:3], 0 offset:164
	buffer_store_dword v59, off, s[0:3], 0 offset:160
.LBB92_89:
	s_or_b64 exec, exec, s[4:5]
	; wave barrier
	buffer_load_dword v59, off, s[0:3], 0 offset:168
	buffer_load_dword v60, off, s[0:3], 0 offset:172
	v_cmp_gt_u32_e32 vcc, 21, v0
	s_waitcnt vmcnt(0)
	ds_write_b64 v62, v[59:60]
	s_waitcnt lgkmcnt(0)
	; wave barrier
	s_and_saveexec_b64 s[4:5], vcc
	s_cbranch_execz .LBB92_93
; %bb.90:
	v_mov_b32_e32 v59, 0
	v_add_u32_e32 v64, -1, v0
	v_add_u32_e32 v65, 0xf0, v61
	v_mov_b32_e32 v66, v61
	v_mov_b32_e32 v60, 0
	s_mov_b64 s[8:9], 0
.LBB92_91:                              ; =>This Inner Loop Header: Depth=1
	buffer_load_dword v67, v66, s[0:3], 0 offen
	buffer_load_dword v68, v66, s[0:3], 0 offen offset:4
	ds_read_b64 v[69:70], v65
	v_add_u32_e32 v64, 1, v64
	v_cmp_lt_u32_e32 vcc, 19, v64
	v_add_u32_e32 v65, 8, v65
	s_or_b64 s[8:9], vcc, s[8:9]
	v_add_u32_e32 v66, 8, v66
	s_waitcnt vmcnt(0) lgkmcnt(0)
	v_fma_f64 v[59:60], v[67:68], v[69:70], v[59:60]
	s_andn2_b64 exec, exec, s[8:9]
	s_cbranch_execnz .LBB92_91
; %bb.92:
	s_or_b64 exec, exec, s[8:9]
	v_mov_b32_e32 v64, 0
	ds_read_b64 v[64:65], v64 offset:168
	s_waitcnt lgkmcnt(0)
	v_mul_f64 v[59:60], v[59:60], v[64:65]
	buffer_store_dword v60, off, s[0:3], 0 offset:172
	buffer_store_dword v59, off, s[0:3], 0 offset:168
.LBB92_93:
	s_or_b64 exec, exec, s[4:5]
	; wave barrier
	buffer_load_dword v59, off, s[0:3], 0 offset:176
	buffer_load_dword v60, off, s[0:3], 0 offset:180
	v_cmp_gt_u32_e32 vcc, 22, v0
	s_waitcnt vmcnt(0)
	ds_write_b64 v62, v[59:60]
	s_waitcnt lgkmcnt(0)
	; wave barrier
	s_and_saveexec_b64 s[4:5], vcc
	s_cbranch_execz .LBB92_97
; %bb.94:
	v_mov_b32_e32 v59, 0
	v_add_u32_e32 v64, -1, v0
	v_add_u32_e32 v65, 0xf0, v61
	v_mov_b32_e32 v66, v61
	v_mov_b32_e32 v60, 0
	s_mov_b64 s[8:9], 0
.LBB92_95:                              ; =>This Inner Loop Header: Depth=1
	buffer_load_dword v67, v66, s[0:3], 0 offen
	buffer_load_dword v68, v66, s[0:3], 0 offen offset:4
	ds_read_b64 v[69:70], v65
	v_add_u32_e32 v64, 1, v64
	v_cmp_lt_u32_e32 vcc, 20, v64
	v_add_u32_e32 v65, 8, v65
	s_or_b64 s[8:9], vcc, s[8:9]
	v_add_u32_e32 v66, 8, v66
	s_waitcnt vmcnt(0) lgkmcnt(0)
	v_fma_f64 v[59:60], v[67:68], v[69:70], v[59:60]
	s_andn2_b64 exec, exec, s[8:9]
	s_cbranch_execnz .LBB92_95
; %bb.96:
	s_or_b64 exec, exec, s[8:9]
	v_mov_b32_e32 v64, 0
	ds_read_b64 v[64:65], v64 offset:176
	s_waitcnt lgkmcnt(0)
	v_mul_f64 v[59:60], v[59:60], v[64:65]
	buffer_store_dword v60, off, s[0:3], 0 offset:180
	buffer_store_dword v59, off, s[0:3], 0 offset:176
.LBB92_97:
	s_or_b64 exec, exec, s[4:5]
	; wave barrier
	buffer_load_dword v59, off, s[0:3], 0 offset:184
	buffer_load_dword v60, off, s[0:3], 0 offset:188
	v_cmp_gt_u32_e32 vcc, 23, v0
	s_waitcnt vmcnt(0)
	ds_write_b64 v62, v[59:60]
	s_waitcnt lgkmcnt(0)
	; wave barrier
	s_and_saveexec_b64 s[4:5], vcc
	s_cbranch_execz .LBB92_101
; %bb.98:
	v_mov_b32_e32 v59, 0
	v_add_u32_e32 v64, -1, v0
	v_add_u32_e32 v65, 0xf0, v61
	v_mov_b32_e32 v66, v61
	v_mov_b32_e32 v60, 0
	s_mov_b64 s[8:9], 0
.LBB92_99:                              ; =>This Inner Loop Header: Depth=1
	buffer_load_dword v67, v66, s[0:3], 0 offen
	buffer_load_dword v68, v66, s[0:3], 0 offen offset:4
	ds_read_b64 v[69:70], v65
	v_add_u32_e32 v64, 1, v64
	v_cmp_lt_u32_e32 vcc, 21, v64
	v_add_u32_e32 v65, 8, v65
	s_or_b64 s[8:9], vcc, s[8:9]
	v_add_u32_e32 v66, 8, v66
	s_waitcnt vmcnt(0) lgkmcnt(0)
	v_fma_f64 v[59:60], v[67:68], v[69:70], v[59:60]
	s_andn2_b64 exec, exec, s[8:9]
	s_cbranch_execnz .LBB92_99
; %bb.100:
	s_or_b64 exec, exec, s[8:9]
	v_mov_b32_e32 v64, 0
	ds_read_b64 v[64:65], v64 offset:184
	s_waitcnt lgkmcnt(0)
	v_mul_f64 v[59:60], v[59:60], v[64:65]
	buffer_store_dword v60, off, s[0:3], 0 offset:188
	buffer_store_dword v59, off, s[0:3], 0 offset:184
.LBB92_101:
	s_or_b64 exec, exec, s[4:5]
	; wave barrier
	buffer_load_dword v59, off, s[0:3], 0 offset:192
	buffer_load_dword v60, off, s[0:3], 0 offset:196
	v_cmp_gt_u32_e32 vcc, 24, v0
	s_waitcnt vmcnt(0)
	ds_write_b64 v62, v[59:60]
	s_waitcnt lgkmcnt(0)
	; wave barrier
	s_and_saveexec_b64 s[4:5], vcc
	s_cbranch_execz .LBB92_105
; %bb.102:
	v_mov_b32_e32 v59, 0
	v_add_u32_e32 v64, -1, v0
	v_add_u32_e32 v65, 0xf0, v61
	v_mov_b32_e32 v66, v61
	v_mov_b32_e32 v60, 0
	s_mov_b64 s[8:9], 0
.LBB92_103:                             ; =>This Inner Loop Header: Depth=1
	buffer_load_dword v67, v66, s[0:3], 0 offen
	buffer_load_dword v68, v66, s[0:3], 0 offen offset:4
	ds_read_b64 v[69:70], v65
	v_add_u32_e32 v64, 1, v64
	v_cmp_lt_u32_e32 vcc, 22, v64
	v_add_u32_e32 v65, 8, v65
	s_or_b64 s[8:9], vcc, s[8:9]
	v_add_u32_e32 v66, 8, v66
	s_waitcnt vmcnt(0) lgkmcnt(0)
	v_fma_f64 v[59:60], v[67:68], v[69:70], v[59:60]
	s_andn2_b64 exec, exec, s[8:9]
	s_cbranch_execnz .LBB92_103
; %bb.104:
	s_or_b64 exec, exec, s[8:9]
	v_mov_b32_e32 v64, 0
	ds_read_b64 v[64:65], v64 offset:192
	s_waitcnt lgkmcnt(0)
	v_mul_f64 v[59:60], v[59:60], v[64:65]
	buffer_store_dword v60, off, s[0:3], 0 offset:196
	buffer_store_dword v59, off, s[0:3], 0 offset:192
.LBB92_105:
	s_or_b64 exec, exec, s[4:5]
	; wave barrier
	buffer_load_dword v59, off, s[0:3], 0 offset:200
	buffer_load_dword v60, off, s[0:3], 0 offset:204
	v_cmp_gt_u32_e32 vcc, 25, v0
	s_waitcnt vmcnt(0)
	ds_write_b64 v62, v[59:60]
	s_waitcnt lgkmcnt(0)
	; wave barrier
	s_and_saveexec_b64 s[4:5], vcc
	s_cbranch_execz .LBB92_109
; %bb.106:
	v_mov_b32_e32 v59, 0
	v_add_u32_e32 v64, -1, v0
	v_add_u32_e32 v65, 0xf0, v61
	v_mov_b32_e32 v66, v61
	v_mov_b32_e32 v60, 0
	s_mov_b64 s[8:9], 0
.LBB92_107:                             ; =>This Inner Loop Header: Depth=1
	buffer_load_dword v67, v66, s[0:3], 0 offen
	buffer_load_dword v68, v66, s[0:3], 0 offen offset:4
	ds_read_b64 v[69:70], v65
	v_add_u32_e32 v64, 1, v64
	v_cmp_lt_u32_e32 vcc, 23, v64
	v_add_u32_e32 v65, 8, v65
	s_or_b64 s[8:9], vcc, s[8:9]
	v_add_u32_e32 v66, 8, v66
	s_waitcnt vmcnt(0) lgkmcnt(0)
	v_fma_f64 v[59:60], v[67:68], v[69:70], v[59:60]
	s_andn2_b64 exec, exec, s[8:9]
	s_cbranch_execnz .LBB92_107
; %bb.108:
	s_or_b64 exec, exec, s[8:9]
	v_mov_b32_e32 v64, 0
	ds_read_b64 v[64:65], v64 offset:200
	s_waitcnt lgkmcnt(0)
	v_mul_f64 v[59:60], v[59:60], v[64:65]
	buffer_store_dword v60, off, s[0:3], 0 offset:204
	buffer_store_dword v59, off, s[0:3], 0 offset:200
.LBB92_109:
	s_or_b64 exec, exec, s[4:5]
	; wave barrier
	buffer_load_dword v59, off, s[0:3], 0 offset:208
	buffer_load_dword v60, off, s[0:3], 0 offset:212
	v_cmp_gt_u32_e32 vcc, 26, v0
	;; [unrolled: 40-line block ×3, first 2 shown]
	s_waitcnt vmcnt(0)
	ds_write_b64 v62, v[59:60]
	s_waitcnt lgkmcnt(0)
	; wave barrier
	s_and_saveexec_b64 s[4:5], vcc
	s_cbranch_execz .LBB92_117
; %bb.114:
	v_mov_b32_e32 v59, 0
	v_add_u32_e32 v64, -1, v0
	v_add_u32_e32 v65, 0xf0, v61
	v_mov_b32_e32 v66, v61
	v_mov_b32_e32 v60, 0
	s_mov_b64 s[8:9], 0
.LBB92_115:                             ; =>This Inner Loop Header: Depth=1
	buffer_load_dword v67, v66, s[0:3], 0 offen
	buffer_load_dword v68, v66, s[0:3], 0 offen offset:4
	ds_read_b64 v[69:70], v65
	v_add_u32_e32 v64, 1, v64
	v_cmp_lt_u32_e32 vcc, 25, v64
	v_add_u32_e32 v65, 8, v65
	s_or_b64 s[8:9], vcc, s[8:9]
	v_add_u32_e32 v66, 8, v66
	s_waitcnt vmcnt(0) lgkmcnt(0)
	v_fma_f64 v[59:60], v[67:68], v[69:70], v[59:60]
	s_andn2_b64 exec, exec, s[8:9]
	s_cbranch_execnz .LBB92_115
; %bb.116:
	s_or_b64 exec, exec, s[8:9]
	v_mov_b32_e32 v64, 0
	ds_read_b64 v[64:65], v64 offset:216
	s_waitcnt lgkmcnt(0)
	v_mul_f64 v[59:60], v[59:60], v[64:65]
	buffer_store_dword v60, off, s[0:3], 0 offset:220
	buffer_store_dword v59, off, s[0:3], 0 offset:216
.LBB92_117:
	s_or_b64 exec, exec, s[4:5]
	; wave barrier
	buffer_load_dword v59, off, s[0:3], 0 offset:224
	buffer_load_dword v60, off, s[0:3], 0 offset:228
	v_cmp_ne_u32_e32 vcc, 28, v0
	s_waitcnt vmcnt(0)
	ds_write_b64 v62, v[59:60]
	s_waitcnt lgkmcnt(0)
	; wave barrier
	s_and_saveexec_b64 s[4:5], vcc
	s_cbranch_execz .LBB92_121
; %bb.118:
	v_mov_b32_e32 v59, 0
	v_add_u32_e32 v62, 0xf0, v61
	v_mov_b32_e32 v60, 0
	s_mov_b64 s[8:9], 0
.LBB92_119:                             ; =>This Inner Loop Header: Depth=1
	buffer_load_dword v64, v61, s[0:3], 0 offen
	buffer_load_dword v65, v61, s[0:3], 0 offen offset:4
	ds_read_b64 v[66:67], v62
	v_add_u32_e32 v63, 1, v63
	v_cmp_lt_u32_e32 vcc, 26, v63
	v_add_u32_e32 v62, 8, v62
	s_or_b64 s[8:9], vcc, s[8:9]
	v_add_u32_e32 v61, 8, v61
	s_waitcnt vmcnt(0) lgkmcnt(0)
	v_fma_f64 v[59:60], v[64:65], v[66:67], v[59:60]
	s_andn2_b64 exec, exec, s[8:9]
	s_cbranch_execnz .LBB92_119
; %bb.120:
	s_or_b64 exec, exec, s[8:9]
	v_mov_b32_e32 v61, 0
	ds_read_b64 v[61:62], v61 offset:224
	s_waitcnt lgkmcnt(0)
	v_mul_f64 v[59:60], v[59:60], v[61:62]
	buffer_store_dword v60, off, s[0:3], 0 offset:228
	buffer_store_dword v59, off, s[0:3], 0 offset:224
.LBB92_121:
	s_or_b64 exec, exec, s[4:5]
	s_mov_b64 s[8:9], -1
	; wave barrier
.LBB92_122:
	s_and_b64 vcc, exec, s[8:9]
	s_cbranch_vccz .LBB92_124
; %bb.123:
	s_lshl_b64 s[4:5], s[6:7], 2
	s_add_u32 s4, s10, s4
	s_addc_u32 s5, s11, s5
	v_mov_b32_e32 v59, 0
	global_load_dword v59, v59, s[4:5]
	s_waitcnt vmcnt(0)
	v_cmp_ne_u32_e32 vcc, 0, v59
	s_cbranch_vccz .LBB92_125
.LBB92_124:
	s_endpgm
.LBB92_125:
	v_mov_b32_e32 v59, 0xf0
	v_lshl_add_u32 v59, v0, 3, v59
	v_cmp_eq_u32_e32 vcc, 28, v0
	s_and_saveexec_b64 s[4:5], vcc
	s_cbranch_execz .LBB92_127
; %bb.126:
	buffer_load_dword v60, off, s[0:3], 0 offset:216
	buffer_load_dword v61, off, s[0:3], 0 offset:220
	v_mov_b32_e32 v62, 0
	buffer_store_dword v62, off, s[0:3], 0 offset:216
	buffer_store_dword v62, off, s[0:3], 0 offset:220
	s_waitcnt vmcnt(2)
	ds_write_b64 v59, v[60:61]
.LBB92_127:
	s_or_b64 exec, exec, s[4:5]
	s_waitcnt lgkmcnt(0)
	; wave barrier
	buffer_load_dword v61, off, s[0:3], 0 offset:224
	buffer_load_dword v62, off, s[0:3], 0 offset:228
	;; [unrolled: 1-line block ×4, first 2 shown]
	v_mov_b32_e32 v60, 0
	ds_read_b64 v[65:66], v60 offset:464
	v_cmp_lt_u32_e32 vcc, 26, v0
	s_waitcnt vmcnt(2) lgkmcnt(0)
	v_fma_f64 v[61:62], v[61:62], v[65:66], 0
	s_waitcnt vmcnt(0)
	v_add_f64 v[61:62], v[63:64], -v[61:62]
	buffer_store_dword v61, off, s[0:3], 0 offset:216
	buffer_store_dword v62, off, s[0:3], 0 offset:220
	s_and_saveexec_b64 s[4:5], vcc
	s_cbranch_execz .LBB92_129
; %bb.128:
	buffer_load_dword v61, off, s[0:3], 0 offset:208
	buffer_load_dword v62, off, s[0:3], 0 offset:212
	s_waitcnt vmcnt(0)
	ds_write_b64 v59, v[61:62]
	buffer_store_dword v60, off, s[0:3], 0 offset:208
	buffer_store_dword v60, off, s[0:3], 0 offset:212
.LBB92_129:
	s_or_b64 exec, exec, s[4:5]
	s_waitcnt lgkmcnt(0)
	; wave barrier
	buffer_load_dword v64, off, s[0:3], 0 offset:216
	buffer_load_dword v65, off, s[0:3], 0 offset:220
	;; [unrolled: 1-line block ×6, first 2 shown]
	ds_read2_b64 v[60:63], v60 offset0:57 offset1:58
	v_cmp_lt_u32_e32 vcc, 25, v0
	s_waitcnt vmcnt(4) lgkmcnt(0)
	v_fma_f64 v[60:61], v[64:65], v[60:61], 0
	s_waitcnt vmcnt(2)
	v_fma_f64 v[60:61], v[66:67], v[62:63], v[60:61]
	s_waitcnt vmcnt(0)
	v_add_f64 v[60:61], v[68:69], -v[60:61]
	buffer_store_dword v60, off, s[0:3], 0 offset:208
	buffer_store_dword v61, off, s[0:3], 0 offset:212
	s_and_saveexec_b64 s[4:5], vcc
	s_cbranch_execz .LBB92_131
; %bb.130:
	buffer_load_dword v60, off, s[0:3], 0 offset:200
	buffer_load_dword v61, off, s[0:3], 0 offset:204
	v_mov_b32_e32 v62, 0
	buffer_store_dword v62, off, s[0:3], 0 offset:200
	buffer_store_dword v62, off, s[0:3], 0 offset:204
	s_waitcnt vmcnt(2)
	ds_write_b64 v59, v[60:61]
.LBB92_131:
	s_or_b64 exec, exec, s[4:5]
	s_waitcnt lgkmcnt(0)
	; wave barrier
	buffer_load_dword v65, off, s[0:3], 0 offset:208
	buffer_load_dword v66, off, s[0:3], 0 offset:212
	;; [unrolled: 1-line block ×8, first 2 shown]
	v_mov_b32_e32 v60, 0
	ds_read_b128 v[61:64], v60 offset:448
	ds_read_b64 v[73:74], v60 offset:464
	v_cmp_lt_u32_e32 vcc, 24, v0
	s_waitcnt vmcnt(6) lgkmcnt(1)
	v_fma_f64 v[61:62], v[65:66], v[61:62], 0
	s_waitcnt vmcnt(4)
	v_fma_f64 v[61:62], v[67:68], v[63:64], v[61:62]
	s_waitcnt vmcnt(2) lgkmcnt(0)
	v_fma_f64 v[61:62], v[69:70], v[73:74], v[61:62]
	s_waitcnt vmcnt(0)
	v_add_f64 v[61:62], v[71:72], -v[61:62]
	buffer_store_dword v61, off, s[0:3], 0 offset:200
	buffer_store_dword v62, off, s[0:3], 0 offset:204
	s_and_saveexec_b64 s[4:5], vcc
	s_cbranch_execz .LBB92_133
; %bb.132:
	buffer_load_dword v61, off, s[0:3], 0 offset:192
	buffer_load_dword v62, off, s[0:3], 0 offset:196
	s_waitcnt vmcnt(0)
	ds_write_b64 v59, v[61:62]
	buffer_store_dword v60, off, s[0:3], 0 offset:192
	buffer_store_dword v60, off, s[0:3], 0 offset:196
.LBB92_133:
	s_or_b64 exec, exec, s[4:5]
	s_waitcnt lgkmcnt(0)
	; wave barrier
	buffer_load_dword v69, off, s[0:3], 0 offset:200
	buffer_load_dword v70, off, s[0:3], 0 offset:204
	;; [unrolled: 1-line block ×10, first 2 shown]
	ds_read2_b64 v[61:64], v60 offset0:55 offset1:56
	ds_read2_b64 v[65:68], v60 offset0:57 offset1:58
	v_cmp_lt_u32_e32 vcc, 23, v0
	s_waitcnt vmcnt(8) lgkmcnt(1)
	v_fma_f64 v[60:61], v[69:70], v[61:62], 0
	s_waitcnt vmcnt(6)
	v_fma_f64 v[60:61], v[71:72], v[63:64], v[60:61]
	s_waitcnt vmcnt(4) lgkmcnt(0)
	v_fma_f64 v[60:61], v[73:74], v[65:66], v[60:61]
	s_waitcnt vmcnt(2)
	v_fma_f64 v[60:61], v[75:76], v[67:68], v[60:61]
	s_waitcnt vmcnt(0)
	v_add_f64 v[60:61], v[77:78], -v[60:61]
	buffer_store_dword v60, off, s[0:3], 0 offset:192
	buffer_store_dword v61, off, s[0:3], 0 offset:196
	s_and_saveexec_b64 s[4:5], vcc
	s_cbranch_execz .LBB92_135
; %bb.134:
	buffer_load_dword v60, off, s[0:3], 0 offset:184
	buffer_load_dword v61, off, s[0:3], 0 offset:188
	v_mov_b32_e32 v62, 0
	buffer_store_dword v62, off, s[0:3], 0 offset:184
	buffer_store_dword v62, off, s[0:3], 0 offset:188
	s_waitcnt vmcnt(2)
	ds_write_b64 v59, v[60:61]
.LBB92_135:
	s_or_b64 exec, exec, s[4:5]
	s_waitcnt lgkmcnt(0)
	; wave barrier
	buffer_load_dword v69, off, s[0:3], 0 offset:192
	buffer_load_dword v70, off, s[0:3], 0 offset:196
	;; [unrolled: 1-line block ×12, first 2 shown]
	v_mov_b32_e32 v60, 0
	ds_read_b128 v[61:64], v60 offset:432
	ds_read_b128 v[65:68], v60 offset:448
	v_cmp_lt_u32_e32 vcc, 22, v0
	s_waitcnt vmcnt(10) lgkmcnt(1)
	v_fma_f64 v[61:62], v[69:70], v[61:62], 0
	s_waitcnt vmcnt(8)
	v_fma_f64 v[61:62], v[71:72], v[63:64], v[61:62]
	ds_read_b64 v[63:64], v60 offset:464
	s_waitcnt vmcnt(6) lgkmcnt(1)
	v_fma_f64 v[61:62], v[73:74], v[65:66], v[61:62]
	s_waitcnt vmcnt(4)
	v_fma_f64 v[61:62], v[75:76], v[67:68], v[61:62]
	s_waitcnt vmcnt(2) lgkmcnt(0)
	v_fma_f64 v[61:62], v[77:78], v[63:64], v[61:62]
	s_waitcnt vmcnt(0)
	v_add_f64 v[61:62], v[79:80], -v[61:62]
	buffer_store_dword v61, off, s[0:3], 0 offset:184
	buffer_store_dword v62, off, s[0:3], 0 offset:188
	s_and_saveexec_b64 s[4:5], vcc
	s_cbranch_execz .LBB92_137
; %bb.136:
	buffer_load_dword v61, off, s[0:3], 0 offset:176
	buffer_load_dword v62, off, s[0:3], 0 offset:180
	s_waitcnt vmcnt(0)
	ds_write_b64 v59, v[61:62]
	buffer_store_dword v60, off, s[0:3], 0 offset:176
	buffer_store_dword v60, off, s[0:3], 0 offset:180
.LBB92_137:
	s_or_b64 exec, exec, s[4:5]
	s_waitcnt lgkmcnt(0)
	; wave barrier
	buffer_load_dword v65, off, s[0:3], 0 offset:176
	buffer_load_dword v66, off, s[0:3], 0 offset:180
	;; [unrolled: 1-line block ×14, first 2 shown]
	ds_read2_b64 v[61:64], v60 offset0:53 offset1:54
	v_cmp_lt_u32_e32 vcc, 21, v0
	s_waitcnt vmcnt(10) lgkmcnt(0)
	v_fma_f64 v[61:62], v[67:68], v[61:62], 0
	s_waitcnt vmcnt(8)
	v_fma_f64 v[67:68], v[69:70], v[63:64], v[61:62]
	ds_read2_b64 v[61:64], v60 offset0:55 offset1:56
	s_waitcnt vmcnt(6) lgkmcnt(0)
	v_fma_f64 v[61:62], v[71:72], v[61:62], v[67:68]
	s_waitcnt vmcnt(4)
	v_fma_f64 v[67:68], v[73:74], v[63:64], v[61:62]
	ds_read2_b64 v[60:63], v60 offset0:57 offset1:58
	s_waitcnt vmcnt(2) lgkmcnt(0)
	v_fma_f64 v[60:61], v[75:76], v[60:61], v[67:68]
	s_waitcnt vmcnt(0)
	v_fma_f64 v[60:61], v[77:78], v[62:63], v[60:61]
	v_add_f64 v[60:61], v[65:66], -v[60:61]
	buffer_store_dword v60, off, s[0:3], 0 offset:176
	buffer_store_dword v61, off, s[0:3], 0 offset:180
	s_and_saveexec_b64 s[4:5], vcc
	s_cbranch_execz .LBB92_139
; %bb.138:
	buffer_load_dword v60, off, s[0:3], 0 offset:168
	buffer_load_dword v61, off, s[0:3], 0 offset:172
	v_mov_b32_e32 v62, 0
	buffer_store_dword v62, off, s[0:3], 0 offset:168
	buffer_store_dword v62, off, s[0:3], 0 offset:172
	s_waitcnt vmcnt(2)
	ds_write_b64 v59, v[60:61]
.LBB92_139:
	s_or_b64 exec, exec, s[4:5]
	s_waitcnt lgkmcnt(0)
	; wave barrier
	buffer_load_dword v65, off, s[0:3], 0 offset:176
	buffer_load_dword v66, off, s[0:3], 0 offset:180
	;; [unrolled: 1-line block ×16, first 2 shown]
	v_mov_b32_e32 v60, 0
	ds_read_b128 v[61:64], v60 offset:416
	v_cmp_lt_u32_e32 vcc, 20, v0
	s_waitcnt vmcnt(14) lgkmcnt(0)
	v_fma_f64 v[61:62], v[65:66], v[61:62], 0
	s_waitcnt vmcnt(12)
	v_fma_f64 v[65:66], v[67:68], v[63:64], v[61:62]
	ds_read_b128 v[61:64], v60 offset:432
	s_waitcnt vmcnt(10) lgkmcnt(0)
	v_fma_f64 v[61:62], v[69:70], v[61:62], v[65:66]
	s_waitcnt vmcnt(8)
	v_fma_f64 v[65:66], v[71:72], v[63:64], v[61:62]
	ds_read_b128 v[61:64], v60 offset:448
	s_waitcnt vmcnt(6) lgkmcnt(0)
	v_fma_f64 v[61:62], v[73:74], v[61:62], v[65:66]
	s_waitcnt vmcnt(4)
	v_fma_f64 v[61:62], v[75:76], v[63:64], v[61:62]
	ds_read_b64 v[63:64], v60 offset:464
	s_waitcnt vmcnt(2) lgkmcnt(0)
	v_fma_f64 v[61:62], v[77:78], v[63:64], v[61:62]
	s_waitcnt vmcnt(0)
	v_add_f64 v[61:62], v[79:80], -v[61:62]
	buffer_store_dword v61, off, s[0:3], 0 offset:168
	buffer_store_dword v62, off, s[0:3], 0 offset:172
	s_and_saveexec_b64 s[4:5], vcc
	s_cbranch_execz .LBB92_141
; %bb.140:
	buffer_load_dword v61, off, s[0:3], 0 offset:160
	buffer_load_dword v62, off, s[0:3], 0 offset:164
	s_waitcnt vmcnt(0)
	ds_write_b64 v59, v[61:62]
	buffer_store_dword v60, off, s[0:3], 0 offset:160
	buffer_store_dword v60, off, s[0:3], 0 offset:164
.LBB92_141:
	s_or_b64 exec, exec, s[4:5]
	s_waitcnt lgkmcnt(0)
	; wave barrier
	buffer_load_dword v65, off, s[0:3], 0 offset:168
	buffer_load_dword v66, off, s[0:3], 0 offset:172
	;; [unrolled: 1-line block ×18, first 2 shown]
	ds_read2_b64 v[61:64], v60 offset0:51 offset1:52
	v_cmp_lt_u32_e32 vcc, 19, v0
	s_waitcnt vmcnt(16) lgkmcnt(0)
	v_fma_f64 v[61:62], v[65:66], v[61:62], 0
	s_waitcnt vmcnt(14)
	v_fma_f64 v[65:66], v[67:68], v[63:64], v[61:62]
	ds_read2_b64 v[61:64], v60 offset0:53 offset1:54
	s_waitcnt vmcnt(12) lgkmcnt(0)
	v_fma_f64 v[61:62], v[69:70], v[61:62], v[65:66]
	s_waitcnt vmcnt(10)
	v_fma_f64 v[65:66], v[71:72], v[63:64], v[61:62]
	ds_read2_b64 v[61:64], v60 offset0:55 offset1:56
	;; [unrolled: 5-line block ×3, first 2 shown]
	s_waitcnt vmcnt(4) lgkmcnt(0)
	v_fma_f64 v[60:61], v[77:78], v[60:61], v[64:65]
	s_waitcnt vmcnt(2)
	v_fma_f64 v[60:61], v[79:80], v[62:63], v[60:61]
	s_waitcnt vmcnt(0)
	v_add_f64 v[60:61], v[81:82], -v[60:61]
	buffer_store_dword v60, off, s[0:3], 0 offset:160
	buffer_store_dword v61, off, s[0:3], 0 offset:164
	s_and_saveexec_b64 s[4:5], vcc
	s_cbranch_execz .LBB92_143
; %bb.142:
	buffer_load_dword v60, off, s[0:3], 0 offset:152
	buffer_load_dword v61, off, s[0:3], 0 offset:156
	v_mov_b32_e32 v62, 0
	buffer_store_dword v62, off, s[0:3], 0 offset:152
	buffer_store_dword v62, off, s[0:3], 0 offset:156
	s_waitcnt vmcnt(2)
	ds_write_b64 v59, v[60:61]
.LBB92_143:
	s_or_b64 exec, exec, s[4:5]
	s_waitcnt lgkmcnt(0)
	; wave barrier
	buffer_load_dword v69, off, s[0:3], 0 offset:160
	buffer_load_dword v70, off, s[0:3], 0 offset:164
	;; [unrolled: 1-line block ×20, first 2 shown]
	v_mov_b32_e32 v60, 0
	ds_read_b128 v[61:64], v60 offset:400
	ds_read_b128 v[65:68], v60 offset:416
	v_cmp_lt_u32_e32 vcc, 18, v0
	s_waitcnt vmcnt(18) lgkmcnt(1)
	v_fma_f64 v[61:62], v[69:70], v[61:62], 0
	s_waitcnt vmcnt(16)
	v_fma_f64 v[61:62], v[71:72], v[63:64], v[61:62]
	s_waitcnt vmcnt(14) lgkmcnt(0)
	v_fma_f64 v[61:62], v[73:74], v[65:66], v[61:62]
	s_waitcnt vmcnt(12)
	v_fma_f64 v[69:70], v[75:76], v[67:68], v[61:62]
	ds_read_b128 v[61:64], v60 offset:432
	ds_read_b128 v[65:68], v60 offset:448
	s_waitcnt vmcnt(10) lgkmcnt(1)
	v_fma_f64 v[61:62], v[77:78], v[61:62], v[69:70]
	s_waitcnt vmcnt(8)
	v_fma_f64 v[61:62], v[79:80], v[63:64], v[61:62]
	ds_read_b64 v[63:64], v60 offset:464
	s_waitcnt vmcnt(6) lgkmcnt(1)
	v_fma_f64 v[61:62], v[81:82], v[65:66], v[61:62]
	s_waitcnt vmcnt(3)
	v_fma_f64 v[61:62], v[83:84], v[67:68], v[61:62]
	s_waitcnt vmcnt(2) lgkmcnt(0)
	v_fma_f64 v[61:62], v[85:86], v[63:64], v[61:62]
	s_waitcnt vmcnt(0)
	v_add_f64 v[61:62], v[87:88], -v[61:62]
	buffer_store_dword v61, off, s[0:3], 0 offset:152
	buffer_store_dword v62, off, s[0:3], 0 offset:156
	s_and_saveexec_b64 s[4:5], vcc
	s_cbranch_execz .LBB92_145
; %bb.144:
	buffer_load_dword v61, off, s[0:3], 0 offset:144
	buffer_load_dword v62, off, s[0:3], 0 offset:148
	s_waitcnt vmcnt(0)
	ds_write_b64 v59, v[61:62]
	buffer_store_dword v60, off, s[0:3], 0 offset:144
	buffer_store_dword v60, off, s[0:3], 0 offset:148
.LBB92_145:
	s_or_b64 exec, exec, s[4:5]
	s_waitcnt lgkmcnt(0)
	; wave barrier
	buffer_load_dword v69, off, s[0:3], 0 offset:152
	buffer_load_dword v70, off, s[0:3], 0 offset:156
	;; [unrolled: 1-line block ×20, first 2 shown]
	ds_read2_b64 v[61:64], v60 offset0:49 offset1:50
	buffer_load_dword v89, off, s[0:3], 0 offset:144
	buffer_load_dword v90, off, s[0:3], 0 offset:148
	ds_read2_b64 v[65:68], v60 offset0:51 offset1:52
	v_cmp_lt_u32_e32 vcc, 17, v0
	s_waitcnt vmcnt(20) lgkmcnt(1)
	v_fma_f64 v[61:62], v[69:70], v[61:62], 0
	s_waitcnt vmcnt(18)
	v_fma_f64 v[61:62], v[71:72], v[63:64], v[61:62]
	s_waitcnt vmcnt(16) lgkmcnt(0)
	v_fma_f64 v[61:62], v[73:74], v[65:66], v[61:62]
	s_waitcnt vmcnt(14)
	v_fma_f64 v[69:70], v[75:76], v[67:68], v[61:62]
	ds_read2_b64 v[61:64], v60 offset0:53 offset1:54
	ds_read2_b64 v[65:68], v60 offset0:55 offset1:56
	s_waitcnt vmcnt(12) lgkmcnt(1)
	v_fma_f64 v[61:62], v[77:78], v[61:62], v[69:70]
	s_waitcnt vmcnt(10)
	v_fma_f64 v[61:62], v[79:80], v[63:64], v[61:62]
	s_waitcnt vmcnt(8) lgkmcnt(0)
	v_fma_f64 v[61:62], v[81:82], v[65:66], v[61:62]
	s_waitcnt vmcnt(4)
	v_fma_f64 v[64:65], v[83:84], v[67:68], v[61:62]
	ds_read2_b64 v[60:63], v60 offset0:57 offset1:58
	s_waitcnt vmcnt(3) lgkmcnt(0)
	v_fma_f64 v[60:61], v[87:88], v[60:61], v[64:65]
	s_waitcnt vmcnt(2)
	v_fma_f64 v[60:61], v[85:86], v[62:63], v[60:61]
	s_waitcnt vmcnt(0)
	v_add_f64 v[60:61], v[89:90], -v[60:61]
	buffer_store_dword v60, off, s[0:3], 0 offset:144
	buffer_store_dword v61, off, s[0:3], 0 offset:148
	s_and_saveexec_b64 s[4:5], vcc
	s_cbranch_execz .LBB92_147
; %bb.146:
	buffer_load_dword v60, off, s[0:3], 0 offset:136
	buffer_load_dword v61, off, s[0:3], 0 offset:140
	v_mov_b32_e32 v62, 0
	buffer_store_dword v62, off, s[0:3], 0 offset:136
	buffer_store_dword v62, off, s[0:3], 0 offset:140
	s_waitcnt vmcnt(2)
	ds_write_b64 v59, v[60:61]
.LBB92_147:
	s_or_b64 exec, exec, s[4:5]
	s_waitcnt lgkmcnt(0)
	; wave barrier
	buffer_load_dword v69, off, s[0:3], 0 offset:144
	buffer_load_dword v70, off, s[0:3], 0 offset:148
	;; [unrolled: 1-line block ×21, first 2 shown]
	v_mov_b32_e32 v60, 0
	ds_read_b128 v[61:64], v60 offset:384
	ds_read_b128 v[65:68], v60 offset:400
	buffer_load_dword v86, off, s[0:3], 0 offset:228
	v_cmp_lt_u32_e32 vcc, 16, v0
	s_waitcnt vmcnt(20) lgkmcnt(1)
	v_fma_f64 v[61:62], v[69:70], v[61:62], 0
	buffer_load_dword v69, off, s[0:3], 0 offset:136
	buffer_load_dword v70, off, s[0:3], 0 offset:140
	s_waitcnt vmcnt(20)
	v_fma_f64 v[61:62], v[71:72], v[63:64], v[61:62]
	s_waitcnt vmcnt(18) lgkmcnt(0)
	v_fma_f64 v[61:62], v[73:74], v[65:66], v[61:62]
	s_waitcnt vmcnt(16)
	v_fma_f64 v[71:72], v[75:76], v[67:68], v[61:62]
	ds_read_b128 v[61:64], v60 offset:416
	ds_read_b128 v[65:68], v60 offset:432
	s_waitcnt vmcnt(14) lgkmcnt(1)
	v_fma_f64 v[61:62], v[77:78], v[61:62], v[71:72]
	s_waitcnt vmcnt(12)
	v_fma_f64 v[61:62], v[79:80], v[63:64], v[61:62]
	s_waitcnt vmcnt(10) lgkmcnt(0)
	v_fma_f64 v[61:62], v[81:82], v[65:66], v[61:62]
	s_waitcnt vmcnt(5)
	v_fma_f64 v[65:66], v[83:84], v[67:68], v[61:62]
	ds_read_b128 v[61:64], v60 offset:448
	ds_read_b64 v[67:68], v60 offset:464
	s_waitcnt vmcnt(4) lgkmcnt(1)
	v_fma_f64 v[61:62], v[89:90], v[61:62], v[65:66]
	s_waitcnt vmcnt(3)
	v_fma_f64 v[61:62], v[87:88], v[63:64], v[61:62]
	s_waitcnt vmcnt(2) lgkmcnt(0)
	v_fma_f64 v[61:62], v[85:86], v[67:68], v[61:62]
	s_waitcnt vmcnt(0)
	v_add_f64 v[61:62], v[69:70], -v[61:62]
	buffer_store_dword v62, off, s[0:3], 0 offset:140
	buffer_store_dword v61, off, s[0:3], 0 offset:136
	s_and_saveexec_b64 s[4:5], vcc
	s_cbranch_execz .LBB92_149
; %bb.148:
	buffer_load_dword v61, off, s[0:3], 0 offset:128
	buffer_load_dword v62, off, s[0:3], 0 offset:132
	s_waitcnt vmcnt(0)
	ds_write_b64 v59, v[61:62]
	buffer_store_dword v60, off, s[0:3], 0 offset:128
	buffer_store_dword v60, off, s[0:3], 0 offset:132
.LBB92_149:
	s_or_b64 exec, exec, s[4:5]
	s_waitcnt lgkmcnt(0)
	; wave barrier
	buffer_load_dword v69, off, s[0:3], 0 offset:136
	buffer_load_dword v70, off, s[0:3], 0 offset:140
	;; [unrolled: 1-line block ×21, first 2 shown]
	ds_read2_b64 v[61:64], v60 offset0:47 offset1:48
	ds_read2_b64 v[65:68], v60 offset0:49 offset1:50
	buffer_load_dword v86, off, s[0:3], 0 offset:220
	v_cmp_lt_u32_e32 vcc, 15, v0
	s_waitcnt vmcnt(20) lgkmcnt(1)
	v_fma_f64 v[61:62], v[69:70], v[61:62], 0
	buffer_load_dword v70, off, s[0:3], 0 offset:228
	buffer_load_dword v69, off, s[0:3], 0 offset:224
	s_waitcnt vmcnt(20)
	v_fma_f64 v[61:62], v[71:72], v[63:64], v[61:62]
	buffer_load_dword v71, off, s[0:3], 0 offset:128
	buffer_load_dword v72, off, s[0:3], 0 offset:132
	s_waitcnt vmcnt(20) lgkmcnt(0)
	v_fma_f64 v[61:62], v[73:74], v[65:66], v[61:62]
	s_waitcnt vmcnt(18)
	v_fma_f64 v[73:74], v[75:76], v[67:68], v[61:62]
	ds_read2_b64 v[61:64], v60 offset0:51 offset1:52
	ds_read2_b64 v[65:68], v60 offset0:53 offset1:54
	s_waitcnt vmcnt(16) lgkmcnt(1)
	v_fma_f64 v[61:62], v[77:78], v[61:62], v[73:74]
	s_waitcnt vmcnt(14)
	v_fma_f64 v[61:62], v[79:80], v[63:64], v[61:62]
	s_waitcnt vmcnt(12) lgkmcnt(0)
	v_fma_f64 v[61:62], v[81:82], v[65:66], v[61:62]
	s_waitcnt vmcnt(7)
	v_fma_f64 v[73:74], v[83:84], v[67:68], v[61:62]
	ds_read2_b64 v[61:64], v60 offset0:55 offset1:56
	ds_read2_b64 v[65:68], v60 offset0:57 offset1:58
	s_waitcnt vmcnt(6) lgkmcnt(1)
	v_fma_f64 v[60:61], v[89:90], v[61:62], v[73:74]
	s_waitcnt vmcnt(5)
	v_fma_f64 v[60:61], v[87:88], v[63:64], v[60:61]
	s_waitcnt vmcnt(4) lgkmcnt(0)
	v_fma_f64 v[60:61], v[85:86], v[65:66], v[60:61]
	s_waitcnt vmcnt(2)
	v_fma_f64 v[60:61], v[69:70], v[67:68], v[60:61]
	s_waitcnt vmcnt(0)
	v_add_f64 v[60:61], v[71:72], -v[60:61]
	buffer_store_dword v61, off, s[0:3], 0 offset:132
	buffer_store_dword v60, off, s[0:3], 0 offset:128
	s_and_saveexec_b64 s[4:5], vcc
	s_cbranch_execz .LBB92_151
; %bb.150:
	buffer_load_dword v60, off, s[0:3], 0 offset:120
	buffer_load_dword v61, off, s[0:3], 0 offset:124
	v_mov_b32_e32 v62, 0
	buffer_store_dword v62, off, s[0:3], 0 offset:120
	buffer_store_dword v62, off, s[0:3], 0 offset:124
	s_waitcnt vmcnt(2)
	ds_write_b64 v59, v[60:61]
.LBB92_151:
	s_or_b64 exec, exec, s[4:5]
	s_waitcnt lgkmcnt(0)
	; wave barrier
	buffer_load_dword v69, off, s[0:3], 0 offset:128
	buffer_load_dword v70, off, s[0:3], 0 offset:132
	;; [unrolled: 1-line block ×21, first 2 shown]
	v_mov_b32_e32 v60, 0
	ds_read_b128 v[61:64], v60 offset:368
	ds_read_b128 v[65:68], v60 offset:384
	buffer_load_dword v86, off, s[0:3], 0 offset:212
	v_cmp_lt_u32_e32 vcc, 14, v0
	s_waitcnt vmcnt(20) lgkmcnt(1)
	v_fma_f64 v[61:62], v[69:70], v[61:62], 0
	s_waitcnt vmcnt(18)
	v_fma_f64 v[61:62], v[71:72], v[63:64], v[61:62]
	buffer_load_dword v70, off, s[0:3], 0 offset:220
	buffer_load_dword v71, off, s[0:3], 0 offset:224
	;; [unrolled: 1-line block ×4, first 2 shown]
	s_waitcnt vmcnt(20) lgkmcnt(0)
	v_fma_f64 v[61:62], v[73:74], v[65:66], v[61:62]
	buffer_load_dword v73, off, s[0:3], 0 offset:120
	buffer_load_dword v74, off, s[0:3], 0 offset:124
	s_waitcnt vmcnt(20)
	v_fma_f64 v[75:76], v[75:76], v[67:68], v[61:62]
	ds_read_b128 v[61:64], v60 offset:400
	ds_read_b128 v[65:68], v60 offset:416
	s_waitcnt vmcnt(18) lgkmcnt(1)
	v_fma_f64 v[61:62], v[77:78], v[61:62], v[75:76]
	s_waitcnt vmcnt(16)
	v_fma_f64 v[61:62], v[79:80], v[63:64], v[61:62]
	s_waitcnt vmcnt(14) lgkmcnt(0)
	v_fma_f64 v[61:62], v[81:82], v[65:66], v[61:62]
	s_waitcnt vmcnt(9)
	v_fma_f64 v[75:76], v[83:84], v[67:68], v[61:62]
	ds_read_b128 v[61:64], v60 offset:432
	ds_read_b128 v[65:68], v60 offset:448
	s_waitcnt vmcnt(8) lgkmcnt(1)
	v_fma_f64 v[61:62], v[89:90], v[61:62], v[75:76]
	s_waitcnt vmcnt(7)
	v_fma_f64 v[61:62], v[87:88], v[63:64], v[61:62]
	ds_read_b64 v[63:64], v60 offset:464
	s_waitcnt vmcnt(6) lgkmcnt(1)
	v_fma_f64 v[61:62], v[85:86], v[65:66], v[61:62]
	s_waitcnt vmcnt(3)
	v_fma_f64 v[61:62], v[69:70], v[67:68], v[61:62]
	s_waitcnt vmcnt(2) lgkmcnt(0)
	v_fma_f64 v[61:62], v[71:72], v[63:64], v[61:62]
	s_waitcnt vmcnt(0)
	v_add_f64 v[61:62], v[73:74], -v[61:62]
	buffer_store_dword v62, off, s[0:3], 0 offset:124
	buffer_store_dword v61, off, s[0:3], 0 offset:120
	s_and_saveexec_b64 s[4:5], vcc
	s_cbranch_execz .LBB92_153
; %bb.152:
	buffer_load_dword v61, off, s[0:3], 0 offset:112
	buffer_load_dword v62, off, s[0:3], 0 offset:116
	s_waitcnt vmcnt(0)
	ds_write_b64 v59, v[61:62]
	buffer_store_dword v60, off, s[0:3], 0 offset:112
	buffer_store_dword v60, off, s[0:3], 0 offset:116
.LBB92_153:
	s_or_b64 exec, exec, s[4:5]
	s_waitcnt lgkmcnt(0)
	; wave barrier
	buffer_load_dword v69, off, s[0:3], 0 offset:120
	buffer_load_dword v70, off, s[0:3], 0 offset:124
	;; [unrolled: 1-line block ×22, first 2 shown]
	ds_read2_b64 v[61:64], v60 offset0:45 offset1:46
	ds_read2_b64 v[65:68], v60 offset0:47 offset1:48
	v_cmp_lt_u32_e32 vcc, 13, v0
	s_waitcnt vmcnt(20) lgkmcnt(1)
	v_fma_f64 v[61:62], v[69:70], v[61:62], 0
	s_waitcnt vmcnt(18)
	v_fma_f64 v[61:62], v[71:72], v[63:64], v[61:62]
	buffer_load_dword v70, off, s[0:3], 0 offset:212
	buffer_load_dword v71, off, s[0:3], 0 offset:224
	;; [unrolled: 1-line block ×6, first 2 shown]
	s_waitcnt vmcnt(22) lgkmcnt(0)
	v_fma_f64 v[61:62], v[73:74], v[65:66], v[61:62]
	s_waitcnt vmcnt(20)
	v_fma_f64 v[73:74], v[75:76], v[67:68], v[61:62]
	ds_read2_b64 v[61:64], v60 offset0:49 offset1:50
	buffer_load_dword v75, off, s[0:3], 0 offset:112
	buffer_load_dword v76, off, s[0:3], 0 offset:116
	ds_read2_b64 v[65:68], v60 offset0:51 offset1:52
	s_waitcnt vmcnt(20) lgkmcnt(1)
	v_fma_f64 v[61:62], v[77:78], v[61:62], v[73:74]
	s_waitcnt vmcnt(18)
	v_fma_f64 v[61:62], v[79:80], v[63:64], v[61:62]
	s_waitcnt vmcnt(16) lgkmcnt(0)
	v_fma_f64 v[61:62], v[81:82], v[65:66], v[61:62]
	s_waitcnt vmcnt(11)
	v_fma_f64 v[73:74], v[83:84], v[67:68], v[61:62]
	ds_read2_b64 v[61:64], v60 offset0:53 offset1:54
	ds_read2_b64 v[65:68], v60 offset0:55 offset1:56
	s_waitcnt vmcnt(10) lgkmcnt(1)
	v_fma_f64 v[61:62], v[89:90], v[61:62], v[73:74]
	s_waitcnt vmcnt(9)
	v_fma_f64 v[61:62], v[87:88], v[63:64], v[61:62]
	s_waitcnt vmcnt(8) lgkmcnt(0)
	v_fma_f64 v[61:62], v[85:86], v[65:66], v[61:62]
	s_waitcnt vmcnt(4)
	v_fma_f64 v[64:65], v[69:70], v[67:68], v[61:62]
	ds_read2_b64 v[60:63], v60 offset0:57 offset1:58
	s_waitcnt vmcnt(3) lgkmcnt(0)
	v_fma_f64 v[60:61], v[91:92], v[60:61], v[64:65]
	s_waitcnt vmcnt(2)
	v_fma_f64 v[60:61], v[71:72], v[62:63], v[60:61]
	s_waitcnt vmcnt(0)
	v_add_f64 v[60:61], v[75:76], -v[60:61]
	buffer_store_dword v61, off, s[0:3], 0 offset:116
	buffer_store_dword v60, off, s[0:3], 0 offset:112
	s_and_saveexec_b64 s[4:5], vcc
	s_cbranch_execz .LBB92_155
; %bb.154:
	buffer_load_dword v60, off, s[0:3], 0 offset:104
	buffer_load_dword v61, off, s[0:3], 0 offset:108
	v_mov_b32_e32 v62, 0
	buffer_store_dword v62, off, s[0:3], 0 offset:104
	buffer_store_dword v62, off, s[0:3], 0 offset:108
	s_waitcnt vmcnt(2)
	ds_write_b64 v59, v[60:61]
.LBB92_155:
	s_or_b64 exec, exec, s[4:5]
	s_waitcnt lgkmcnt(0)
	; wave barrier
	buffer_load_dword v69, off, s[0:3], 0 offset:112
	buffer_load_dword v70, off, s[0:3], 0 offset:116
	;; [unrolled: 1-line block ×22, first 2 shown]
	v_mov_b32_e32 v60, 0
	ds_read_b128 v[61:64], v60 offset:352
	ds_read_b128 v[65:68], v60 offset:368
	v_cmp_lt_u32_e32 vcc, 12, v0
	s_waitcnt vmcnt(20) lgkmcnt(1)
	v_fma_f64 v[61:62], v[69:70], v[61:62], 0
	s_waitcnt vmcnt(18)
	v_fma_f64 v[61:62], v[71:72], v[63:64], v[61:62]
	buffer_load_dword v70, off, s[0:3], 0 offset:204
	buffer_load_dword v71, off, s[0:3], 0 offset:224
	;; [unrolled: 1-line block ×8, first 2 shown]
	s_waitcnt vmcnt(24) lgkmcnt(0)
	v_fma_f64 v[61:62], v[73:74], v[65:66], v[61:62]
	s_waitcnt vmcnt(22)
	v_fma_f64 v[73:74], v[75:76], v[67:68], v[61:62]
	ds_read_b128 v[61:64], v60 offset:384
	ds_read_b128 v[65:68], v60 offset:400
	s_waitcnt vmcnt(20) lgkmcnt(1)
	v_fma_f64 v[61:62], v[77:78], v[61:62], v[73:74]
	buffer_load_dword v73, off, s[0:3], 0 offset:104
	buffer_load_dword v74, off, s[0:3], 0 offset:108
	s_waitcnt vmcnt(20)
	v_fma_f64 v[61:62], v[79:80], v[63:64], v[61:62]
	s_waitcnt vmcnt(18) lgkmcnt(0)
	v_fma_f64 v[61:62], v[81:82], v[65:66], v[61:62]
	s_waitcnt vmcnt(13)
	v_fma_f64 v[75:76], v[83:84], v[67:68], v[61:62]
	ds_read_b128 v[61:64], v60 offset:416
	ds_read_b128 v[65:68], v60 offset:432
	s_waitcnt vmcnt(12) lgkmcnt(1)
	v_fma_f64 v[61:62], v[89:90], v[61:62], v[75:76]
	s_waitcnt vmcnt(11)
	v_fma_f64 v[61:62], v[87:88], v[63:64], v[61:62]
	s_waitcnt vmcnt(10) lgkmcnt(0)
	v_fma_f64 v[61:62], v[85:86], v[65:66], v[61:62]
	s_waitcnt vmcnt(5)
	v_fma_f64 v[65:66], v[69:70], v[67:68], v[61:62]
	ds_read_b128 v[61:64], v60 offset:448
	ds_read_b64 v[67:68], v60 offset:464
	s_waitcnt vmcnt(4) lgkmcnt(1)
	v_fma_f64 v[61:62], v[93:94], v[61:62], v[65:66]
	s_waitcnt vmcnt(3)
	v_fma_f64 v[61:62], v[91:92], v[63:64], v[61:62]
	s_waitcnt vmcnt(2) lgkmcnt(0)
	v_fma_f64 v[61:62], v[71:72], v[67:68], v[61:62]
	s_waitcnt vmcnt(0)
	v_add_f64 v[61:62], v[73:74], -v[61:62]
	buffer_store_dword v62, off, s[0:3], 0 offset:108
	buffer_store_dword v61, off, s[0:3], 0 offset:104
	s_and_saveexec_b64 s[4:5], vcc
	s_cbranch_execz .LBB92_157
; %bb.156:
	buffer_load_dword v61, off, s[0:3], 0 offset:96
	buffer_load_dword v62, off, s[0:3], 0 offset:100
	s_waitcnt vmcnt(0)
	ds_write_b64 v59, v[61:62]
	buffer_store_dword v60, off, s[0:3], 0 offset:96
	buffer_store_dword v60, off, s[0:3], 0 offset:100
.LBB92_157:
	s_or_b64 exec, exec, s[4:5]
	s_waitcnt lgkmcnt(0)
	; wave barrier
	buffer_load_dword v69, off, s[0:3], 0 offset:104
	buffer_load_dword v70, off, s[0:3], 0 offset:108
	;; [unrolled: 1-line block ×22, first 2 shown]
	ds_read2_b64 v[61:64], v60 offset0:43 offset1:44
	ds_read2_b64 v[65:68], v60 offset0:45 offset1:46
	v_cmp_lt_u32_e32 vcc, 11, v0
	s_waitcnt vmcnt(20) lgkmcnt(1)
	v_fma_f64 v[61:62], v[69:70], v[61:62], 0
	s_waitcnt vmcnt(18)
	v_fma_f64 v[61:62], v[71:72], v[63:64], v[61:62]
	buffer_load_dword v70, off, s[0:3], 0 offset:196
	buffer_load_dword v71, off, s[0:3], 0 offset:216
	;; [unrolled: 1-line block ×8, first 2 shown]
	s_waitcnt vmcnt(24) lgkmcnt(0)
	v_fma_f64 v[61:62], v[73:74], v[65:66], v[61:62]
	s_waitcnt vmcnt(22)
	v_fma_f64 v[73:74], v[75:76], v[67:68], v[61:62]
	ds_read2_b64 v[61:64], v60 offset0:47 offset1:48
	ds_read2_b64 v[65:68], v60 offset0:49 offset1:50
	s_waitcnt vmcnt(20) lgkmcnt(1)
	v_fma_f64 v[61:62], v[77:78], v[61:62], v[73:74]
	buffer_load_dword v74, off, s[0:3], 0 offset:228
	buffer_load_dword v73, off, s[0:3], 0 offset:224
	;; [unrolled: 1-line block ×4, first 2 shown]
	s_waitcnt vmcnt(22)
	v_fma_f64 v[61:62], v[79:80], v[63:64], v[61:62]
	s_waitcnt vmcnt(20) lgkmcnt(0)
	v_fma_f64 v[61:62], v[81:82], v[65:66], v[61:62]
	s_waitcnt vmcnt(15)
	v_fma_f64 v[77:78], v[83:84], v[67:68], v[61:62]
	ds_read2_b64 v[61:64], v60 offset0:51 offset1:52
	ds_read2_b64 v[65:68], v60 offset0:53 offset1:54
	s_waitcnt vmcnt(14) lgkmcnt(1)
	v_fma_f64 v[61:62], v[89:90], v[61:62], v[77:78]
	s_waitcnt vmcnt(13)
	v_fma_f64 v[61:62], v[87:88], v[63:64], v[61:62]
	s_waitcnt vmcnt(12) lgkmcnt(0)
	v_fma_f64 v[61:62], v[85:86], v[65:66], v[61:62]
	s_waitcnt vmcnt(7)
	v_fma_f64 v[69:70], v[69:70], v[67:68], v[61:62]
	ds_read2_b64 v[61:64], v60 offset0:55 offset1:56
	ds_read2_b64 v[65:68], v60 offset0:57 offset1:58
	s_waitcnt vmcnt(6) lgkmcnt(1)
	v_fma_f64 v[60:61], v[93:94], v[61:62], v[69:70]
	s_waitcnt vmcnt(5)
	v_fma_f64 v[60:61], v[91:92], v[63:64], v[60:61]
	s_waitcnt vmcnt(4) lgkmcnt(0)
	v_fma_f64 v[60:61], v[71:72], v[65:66], v[60:61]
	s_waitcnt vmcnt(2)
	v_fma_f64 v[60:61], v[73:74], v[67:68], v[60:61]
	s_waitcnt vmcnt(0)
	v_add_f64 v[60:61], v[75:76], -v[60:61]
	buffer_store_dword v61, off, s[0:3], 0 offset:100
	buffer_store_dword v60, off, s[0:3], 0 offset:96
	s_and_saveexec_b64 s[4:5], vcc
	s_cbranch_execz .LBB92_159
; %bb.158:
	buffer_load_dword v60, off, s[0:3], 0 offset:88
	buffer_load_dword v61, off, s[0:3], 0 offset:92
	v_mov_b32_e32 v62, 0
	buffer_store_dword v62, off, s[0:3], 0 offset:88
	buffer_store_dword v62, off, s[0:3], 0 offset:92
	s_waitcnt vmcnt(2)
	ds_write_b64 v59, v[60:61]
.LBB92_159:
	s_or_b64 exec, exec, s[4:5]
	s_waitcnt lgkmcnt(0)
	; wave barrier
	buffer_load_dword v69, off, s[0:3], 0 offset:96
	buffer_load_dword v70, off, s[0:3], 0 offset:100
	;; [unrolled: 1-line block ×22, first 2 shown]
	v_mov_b32_e32 v60, 0
	ds_read_b128 v[61:64], v60 offset:336
	ds_read_b128 v[65:68], v60 offset:352
	v_cmp_lt_u32_e32 vcc, 10, v0
	s_waitcnt vmcnt(20) lgkmcnt(1)
	v_fma_f64 v[61:62], v[69:70], v[61:62], 0
	s_waitcnt vmcnt(18)
	v_fma_f64 v[61:62], v[71:72], v[63:64], v[61:62]
	buffer_load_dword v70, off, s[0:3], 0 offset:188
	buffer_load_dword v71, off, s[0:3], 0 offset:208
	buffer_load_dword v91, off, s[0:3], 0 offset:200
	buffer_load_dword v93, off, s[0:3], 0 offset:192
	buffer_load_dword v69, off, s[0:3], 0 offset:184
	buffer_load_dword v94, off, s[0:3], 0 offset:196
	buffer_load_dword v92, off, s[0:3], 0 offset:204
	s_waitcnt vmcnt(23) lgkmcnt(0)
	v_fma_f64 v[61:62], v[73:74], v[65:66], v[61:62]
	s_waitcnt vmcnt(21)
	v_fma_f64 v[72:73], v[75:76], v[67:68], v[61:62]
	ds_read_b128 v[61:64], v60 offset:368
	ds_read_b128 v[65:68], v60 offset:384
	s_waitcnt vmcnt(19) lgkmcnt(1)
	v_fma_f64 v[61:62], v[77:78], v[61:62], v[72:73]
	buffer_load_dword v72, off, s[0:3], 0 offset:212
	buffer_load_dword v74, off, s[0:3], 0 offset:220
	;; [unrolled: 1-line block ×7, first 2 shown]
	s_waitcnt vmcnt(24)
	v_fma_f64 v[61:62], v[79:80], v[63:64], v[61:62]
	s_waitcnt vmcnt(22) lgkmcnt(0)
	v_fma_f64 v[61:62], v[81:82], v[65:66], v[61:62]
	s_waitcnt vmcnt(17)
	v_fma_f64 v[79:80], v[83:84], v[67:68], v[61:62]
	ds_read_b128 v[61:64], v60 offset:400
	ds_read_b128 v[65:68], v60 offset:416
	s_waitcnt vmcnt(16) lgkmcnt(1)
	v_fma_f64 v[61:62], v[89:90], v[61:62], v[79:80]
	s_waitcnt vmcnt(15)
	v_fma_f64 v[61:62], v[87:88], v[63:64], v[61:62]
	s_waitcnt vmcnt(14) lgkmcnt(0)
	v_fma_f64 v[61:62], v[85:86], v[65:66], v[61:62]
	s_waitcnt vmcnt(9)
	v_fma_f64 v[69:70], v[69:70], v[67:68], v[61:62]
	ds_read_b128 v[61:64], v60 offset:432
	ds_read_b128 v[65:68], v60 offset:448
	s_waitcnt vmcnt(8) lgkmcnt(1)
	v_fma_f64 v[61:62], v[93:94], v[61:62], v[69:70]
	s_waitcnt vmcnt(7)
	v_fma_f64 v[61:62], v[91:92], v[63:64], v[61:62]
	ds_read_b64 v[63:64], v60 offset:464
	s_waitcnt vmcnt(6) lgkmcnt(1)
	v_fma_f64 v[61:62], v[71:72], v[65:66], v[61:62]
	s_waitcnt vmcnt(3)
	v_fma_f64 v[61:62], v[73:74], v[67:68], v[61:62]
	s_waitcnt vmcnt(2) lgkmcnt(0)
	v_fma_f64 v[61:62], v[75:76], v[63:64], v[61:62]
	s_waitcnt vmcnt(0)
	v_add_f64 v[61:62], v[77:78], -v[61:62]
	buffer_store_dword v62, off, s[0:3], 0 offset:92
	buffer_store_dword v61, off, s[0:3], 0 offset:88
	s_and_saveexec_b64 s[4:5], vcc
	s_cbranch_execz .LBB92_161
; %bb.160:
	buffer_load_dword v61, off, s[0:3], 0 offset:80
	buffer_load_dword v62, off, s[0:3], 0 offset:84
	s_waitcnt vmcnt(0)
	ds_write_b64 v59, v[61:62]
	buffer_store_dword v60, off, s[0:3], 0 offset:80
	buffer_store_dword v60, off, s[0:3], 0 offset:84
.LBB92_161:
	s_or_b64 exec, exec, s[4:5]
	s_waitcnt lgkmcnt(0)
	; wave barrier
	buffer_load_dword v69, off, s[0:3], 0 offset:88
	buffer_load_dword v70, off, s[0:3], 0 offset:92
	;; [unrolled: 1-line block ×22, first 2 shown]
	ds_read2_b64 v[61:64], v60 offset0:41 offset1:42
	ds_read2_b64 v[65:68], v60 offset0:43 offset1:44
	v_cmp_lt_u32_e32 vcc, 9, v0
	s_waitcnt vmcnt(20) lgkmcnt(1)
	v_fma_f64 v[61:62], v[69:70], v[61:62], 0
	s_waitcnt vmcnt(18)
	v_fma_f64 v[61:62], v[71:72], v[63:64], v[61:62]
	buffer_load_dword v70, off, s[0:3], 0 offset:180
	buffer_load_dword v71, off, s[0:3], 0 offset:200
	;; [unrolled: 1-line block ×7, first 2 shown]
	s_waitcnt vmcnt(23) lgkmcnt(0)
	v_fma_f64 v[61:62], v[73:74], v[65:66], v[61:62]
	s_waitcnt vmcnt(21)
	v_fma_f64 v[72:73], v[75:76], v[67:68], v[61:62]
	ds_read2_b64 v[61:64], v60 offset0:45 offset1:46
	ds_read2_b64 v[65:68], v60 offset0:47 offset1:48
	s_waitcnt vmcnt(19) lgkmcnt(1)
	v_fma_f64 v[61:62], v[77:78], v[61:62], v[72:73]
	buffer_load_dword v72, off, s[0:3], 0 offset:204
	buffer_load_dword v74, off, s[0:3], 0 offset:212
	buffer_load_dword v75, off, s[0:3], 0 offset:224
	buffer_load_dword v77, off, s[0:3], 0 offset:216
	buffer_load_dword v73, off, s[0:3], 0 offset:208
	buffer_load_dword v78, off, s[0:3], 0 offset:220
	buffer_load_dword v76, off, s[0:3], 0 offset:228
	s_waitcnt vmcnt(24)
	v_fma_f64 v[61:62], v[79:80], v[63:64], v[61:62]
	s_waitcnt vmcnt(22) lgkmcnt(0)
	v_fma_f64 v[61:62], v[81:82], v[65:66], v[61:62]
	s_waitcnt vmcnt(17)
	v_fma_f64 v[79:80], v[83:84], v[67:68], v[61:62]
	ds_read2_b64 v[61:64], v60 offset0:49 offset1:50
	buffer_load_dword v81, off, s[0:3], 0 offset:80
	buffer_load_dword v82, off, s[0:3], 0 offset:84
	ds_read2_b64 v[65:68], v60 offset0:51 offset1:52
	s_waitcnt vmcnt(18) lgkmcnt(1)
	v_fma_f64 v[61:62], v[89:90], v[61:62], v[79:80]
	s_waitcnt vmcnt(17)
	v_fma_f64 v[61:62], v[87:88], v[63:64], v[61:62]
	s_waitcnt vmcnt(16) lgkmcnt(0)
	v_fma_f64 v[61:62], v[85:86], v[65:66], v[61:62]
	s_waitcnt vmcnt(11)
	v_fma_f64 v[69:70], v[69:70], v[67:68], v[61:62]
	ds_read2_b64 v[61:64], v60 offset0:53 offset1:54
	ds_read2_b64 v[65:68], v60 offset0:55 offset1:56
	s_waitcnt vmcnt(10) lgkmcnt(1)
	v_fma_f64 v[61:62], v[93:94], v[61:62], v[69:70]
	s_waitcnt vmcnt(9)
	v_fma_f64 v[61:62], v[91:92], v[63:64], v[61:62]
	s_waitcnt vmcnt(8) lgkmcnt(0)
	v_fma_f64 v[61:62], v[71:72], v[65:66], v[61:62]
	s_waitcnt vmcnt(4)
	v_fma_f64 v[64:65], v[73:74], v[67:68], v[61:62]
	ds_read2_b64 v[60:63], v60 offset0:57 offset1:58
	s_waitcnt vmcnt(3) lgkmcnt(0)
	v_fma_f64 v[60:61], v[77:78], v[60:61], v[64:65]
	s_waitcnt vmcnt(2)
	v_fma_f64 v[60:61], v[75:76], v[62:63], v[60:61]
	s_waitcnt vmcnt(0)
	v_add_f64 v[60:61], v[81:82], -v[60:61]
	buffer_store_dword v61, off, s[0:3], 0 offset:84
	buffer_store_dword v60, off, s[0:3], 0 offset:80
	s_and_saveexec_b64 s[4:5], vcc
	s_cbranch_execz .LBB92_163
; %bb.162:
	buffer_load_dword v60, off, s[0:3], 0 offset:72
	buffer_load_dword v61, off, s[0:3], 0 offset:76
	v_mov_b32_e32 v62, 0
	buffer_store_dword v62, off, s[0:3], 0 offset:72
	buffer_store_dword v62, off, s[0:3], 0 offset:76
	s_waitcnt vmcnt(2)
	ds_write_b64 v59, v[60:61]
.LBB92_163:
	s_or_b64 exec, exec, s[4:5]
	s_waitcnt lgkmcnt(0)
	; wave barrier
	buffer_load_dword v69, off, s[0:3], 0 offset:80
	buffer_load_dword v70, off, s[0:3], 0 offset:84
	;; [unrolled: 1-line block ×22, first 2 shown]
	v_mov_b32_e32 v60, 0
	ds_read_b128 v[61:64], v60 offset:320
	ds_read_b128 v[65:68], v60 offset:336
	v_cmp_lt_u32_e32 vcc, 8, v0
	s_waitcnt vmcnt(20) lgkmcnt(1)
	v_fma_f64 v[61:62], v[69:70], v[61:62], 0
	s_waitcnt vmcnt(18)
	v_fma_f64 v[61:62], v[71:72], v[63:64], v[61:62]
	buffer_load_dword v70, off, s[0:3], 0 offset:172
	buffer_load_dword v71, off, s[0:3], 0 offset:192
	buffer_load_dword v91, off, s[0:3], 0 offset:184
	buffer_load_dword v93, off, s[0:3], 0 offset:176
	buffer_load_dword v69, off, s[0:3], 0 offset:168
	buffer_load_dword v94, off, s[0:3], 0 offset:180
	buffer_load_dword v92, off, s[0:3], 0 offset:188
	s_waitcnt vmcnt(23) lgkmcnt(0)
	v_fma_f64 v[61:62], v[73:74], v[65:66], v[61:62]
	s_waitcnt vmcnt(21)
	v_fma_f64 v[72:73], v[75:76], v[67:68], v[61:62]
	ds_read_b128 v[61:64], v60 offset:352
	ds_read_b128 v[65:68], v60 offset:368
	s_waitcnt vmcnt(19) lgkmcnt(1)
	v_fma_f64 v[61:62], v[77:78], v[61:62], v[72:73]
	buffer_load_dword v72, off, s[0:3], 0 offset:196
	s_waitcnt vmcnt(18)
	v_fma_f64 v[61:62], v[79:80], v[63:64], v[61:62]
	buffer_load_dword v74, off, s[0:3], 0 offset:204
	buffer_load_dword v75, off, s[0:3], 0 offset:224
	;; [unrolled: 1-line block ×8, first 2 shown]
	s_waitcnt vmcnt(24) lgkmcnt(0)
	v_fma_f64 v[61:62], v[81:82], v[65:66], v[61:62]
	s_waitcnt vmcnt(19)
	v_fma_f64 v[81:82], v[83:84], v[67:68], v[61:62]
	ds_read_b128 v[61:64], v60 offset:384
	ds_read_b128 v[65:68], v60 offset:400
	s_waitcnt vmcnt(18) lgkmcnt(1)
	v_fma_f64 v[61:62], v[89:90], v[61:62], v[81:82]
	buffer_load_dword v81, off, s[0:3], 0 offset:72
	buffer_load_dword v82, off, s[0:3], 0 offset:76
	s_waitcnt vmcnt(19)
	v_fma_f64 v[61:62], v[87:88], v[63:64], v[61:62]
	s_waitcnt vmcnt(18) lgkmcnt(0)
	v_fma_f64 v[61:62], v[85:86], v[65:66], v[61:62]
	s_waitcnt vmcnt(13)
	v_fma_f64 v[69:70], v[69:70], v[67:68], v[61:62]
	ds_read_b128 v[61:64], v60 offset:416
	ds_read_b128 v[65:68], v60 offset:432
	s_waitcnt vmcnt(12) lgkmcnt(1)
	v_fma_f64 v[61:62], v[93:94], v[61:62], v[69:70]
	s_waitcnt vmcnt(11)
	v_fma_f64 v[61:62], v[91:92], v[63:64], v[61:62]
	s_waitcnt vmcnt(10) lgkmcnt(0)
	v_fma_f64 v[61:62], v[71:72], v[65:66], v[61:62]
	s_waitcnt vmcnt(5)
	v_fma_f64 v[65:66], v[73:74], v[67:68], v[61:62]
	ds_read_b128 v[61:64], v60 offset:448
	ds_read_b64 v[67:68], v60 offset:464
	s_waitcnt vmcnt(4) lgkmcnt(1)
	v_fma_f64 v[61:62], v[79:80], v[61:62], v[65:66]
	s_waitcnt vmcnt(3)
	v_fma_f64 v[61:62], v[77:78], v[63:64], v[61:62]
	s_waitcnt vmcnt(2) lgkmcnt(0)
	v_fma_f64 v[61:62], v[75:76], v[67:68], v[61:62]
	s_waitcnt vmcnt(0)
	v_add_f64 v[61:62], v[81:82], -v[61:62]
	buffer_store_dword v62, off, s[0:3], 0 offset:76
	buffer_store_dword v61, off, s[0:3], 0 offset:72
	s_and_saveexec_b64 s[4:5], vcc
	s_cbranch_execz .LBB92_165
; %bb.164:
	buffer_load_dword v61, off, s[0:3], 0 offset:64
	buffer_load_dword v62, off, s[0:3], 0 offset:68
	s_waitcnt vmcnt(0)
	ds_write_b64 v59, v[61:62]
	buffer_store_dword v60, off, s[0:3], 0 offset:64
	buffer_store_dword v60, off, s[0:3], 0 offset:68
.LBB92_165:
	s_or_b64 exec, exec, s[4:5]
	s_waitcnt lgkmcnt(0)
	; wave barrier
	buffer_load_dword v69, off, s[0:3], 0 offset:72
	buffer_load_dword v70, off, s[0:3], 0 offset:76
	;; [unrolled: 1-line block ×22, first 2 shown]
	ds_read2_b64 v[61:64], v60 offset0:39 offset1:40
	ds_read2_b64 v[65:68], v60 offset0:41 offset1:42
	v_cmp_lt_u32_e32 vcc, 7, v0
	s_waitcnt vmcnt(20) lgkmcnt(1)
	v_fma_f64 v[61:62], v[69:70], v[61:62], 0
	s_waitcnt vmcnt(18)
	v_fma_f64 v[61:62], v[71:72], v[63:64], v[61:62]
	buffer_load_dword v70, off, s[0:3], 0 offset:164
	buffer_load_dword v71, off, s[0:3], 0 offset:184
	buffer_load_dword v91, off, s[0:3], 0 offset:176
	buffer_load_dword v93, off, s[0:3], 0 offset:168
	buffer_load_dword v69, off, s[0:3], 0 offset:160
	buffer_load_dword v94, off, s[0:3], 0 offset:172
	buffer_load_dword v92, off, s[0:3], 0 offset:180
	s_waitcnt vmcnt(23) lgkmcnt(0)
	v_fma_f64 v[61:62], v[73:74], v[65:66], v[61:62]
	s_waitcnt vmcnt(21)
	v_fma_f64 v[72:73], v[75:76], v[67:68], v[61:62]
	ds_read2_b64 v[61:64], v60 offset0:43 offset1:44
	ds_read2_b64 v[65:68], v60 offset0:45 offset1:46
	s_waitcnt vmcnt(19) lgkmcnt(1)
	v_fma_f64 v[61:62], v[77:78], v[61:62], v[72:73]
	buffer_load_dword v72, off, s[0:3], 0 offset:188
	s_waitcnt vmcnt(18)
	v_fma_f64 v[61:62], v[79:80], v[63:64], v[61:62]
	buffer_load_dword v74, off, s[0:3], 0 offset:196
	buffer_load_dword v75, off, s[0:3], 0 offset:216
	;; [unrolled: 1-line block ×8, first 2 shown]
	s_waitcnt vmcnt(24) lgkmcnt(0)
	v_fma_f64 v[61:62], v[81:82], v[65:66], v[61:62]
	s_waitcnt vmcnt(19)
	v_fma_f64 v[81:82], v[83:84], v[67:68], v[61:62]
	ds_read2_b64 v[61:64], v60 offset0:47 offset1:48
	ds_read2_b64 v[65:68], v60 offset0:49 offset1:50
	s_waitcnt vmcnt(18) lgkmcnt(1)
	v_fma_f64 v[61:62], v[89:90], v[61:62], v[81:82]
	buffer_load_dword v82, off, s[0:3], 0 offset:228
	buffer_load_dword v81, off, s[0:3], 0 offset:224
	;; [unrolled: 1-line block ×4, first 2 shown]
	s_waitcnt vmcnt(21)
	v_fma_f64 v[61:62], v[87:88], v[63:64], v[61:62]
	s_waitcnt vmcnt(20) lgkmcnt(0)
	v_fma_f64 v[61:62], v[85:86], v[65:66], v[61:62]
	s_waitcnt vmcnt(15)
	v_fma_f64 v[69:70], v[69:70], v[67:68], v[61:62]
	ds_read2_b64 v[61:64], v60 offset0:51 offset1:52
	ds_read2_b64 v[65:68], v60 offset0:53 offset1:54
	s_waitcnt vmcnt(14) lgkmcnt(1)
	v_fma_f64 v[61:62], v[93:94], v[61:62], v[69:70]
	s_waitcnt vmcnt(13)
	v_fma_f64 v[61:62], v[91:92], v[63:64], v[61:62]
	s_waitcnt vmcnt(12) lgkmcnt(0)
	v_fma_f64 v[61:62], v[71:72], v[65:66], v[61:62]
	s_waitcnt vmcnt(7)
	v_fma_f64 v[69:70], v[73:74], v[67:68], v[61:62]
	ds_read2_b64 v[61:64], v60 offset0:55 offset1:56
	ds_read2_b64 v[65:68], v60 offset0:57 offset1:58
	s_waitcnt vmcnt(6) lgkmcnt(1)
	v_fma_f64 v[60:61], v[79:80], v[61:62], v[69:70]
	s_waitcnt vmcnt(5)
	v_fma_f64 v[60:61], v[77:78], v[63:64], v[60:61]
	s_waitcnt vmcnt(4) lgkmcnt(0)
	v_fma_f64 v[60:61], v[75:76], v[65:66], v[60:61]
	s_waitcnt vmcnt(2)
	v_fma_f64 v[60:61], v[81:82], v[67:68], v[60:61]
	s_waitcnt vmcnt(0)
	v_add_f64 v[60:61], v[83:84], -v[60:61]
	buffer_store_dword v61, off, s[0:3], 0 offset:68
	buffer_store_dword v60, off, s[0:3], 0 offset:64
	s_and_saveexec_b64 s[4:5], vcc
	s_cbranch_execz .LBB92_167
; %bb.166:
	buffer_load_dword v60, off, s[0:3], 0 offset:56
	buffer_load_dword v61, off, s[0:3], 0 offset:60
	v_mov_b32_e32 v62, 0
	buffer_store_dword v62, off, s[0:3], 0 offset:56
	buffer_store_dword v62, off, s[0:3], 0 offset:60
	s_waitcnt vmcnt(2)
	ds_write_b64 v59, v[60:61]
.LBB92_167:
	s_or_b64 exec, exec, s[4:5]
	s_waitcnt lgkmcnt(0)
	; wave barrier
	buffer_load_dword v69, off, s[0:3], 0 offset:64
	buffer_load_dword v70, off, s[0:3], 0 offset:68
	;; [unrolled: 1-line block ×21, first 2 shown]
	v_mov_b32_e32 v60, 0
	ds_read_b128 v[61:64], v60 offset:304
	ds_read_b128 v[65:68], v60 offset:320
	buffer_load_dword v86, off, s[0:3], 0 offset:148
	v_cmp_lt_u32_e32 vcc, 6, v0
	s_waitcnt vmcnt(20) lgkmcnt(1)
	v_fma_f64 v[61:62], v[69:70], v[61:62], 0
	s_waitcnt vmcnt(18)
	v_fma_f64 v[61:62], v[71:72], v[63:64], v[61:62]
	buffer_load_dword v70, off, s[0:3], 0 offset:156
	buffer_load_dword v71, off, s[0:3], 0 offset:176
	;; [unrolled: 1-line block ×7, first 2 shown]
	s_waitcnt vmcnt(23) lgkmcnt(0)
	v_fma_f64 v[61:62], v[73:74], v[65:66], v[61:62]
	s_waitcnt vmcnt(21)
	v_fma_f64 v[72:73], v[75:76], v[67:68], v[61:62]
	ds_read_b128 v[61:64], v60 offset:336
	ds_read_b128 v[65:68], v60 offset:352
	s_waitcnt vmcnt(19) lgkmcnt(1)
	v_fma_f64 v[61:62], v[77:78], v[61:62], v[72:73]
	buffer_load_dword v72, off, s[0:3], 0 offset:180
	s_waitcnt vmcnt(18)
	v_fma_f64 v[61:62], v[79:80], v[63:64], v[61:62]
	buffer_load_dword v74, off, s[0:3], 0 offset:188
	buffer_load_dword v75, off, s[0:3], 0 offset:208
	;; [unrolled: 1-line block ×7, first 2 shown]
	s_waitcnt vmcnt(23) lgkmcnt(0)
	v_fma_f64 v[61:62], v[81:82], v[65:66], v[61:62]
	s_waitcnt vmcnt(18)
	v_fma_f64 v[81:82], v[83:84], v[67:68], v[61:62]
	ds_read_b128 v[61:64], v60 offset:368
	ds_read_b128 v[65:68], v60 offset:384
	buffer_load_dword v76, off, s[0:3], 0 offset:212
	s_waitcnt vmcnt(18) lgkmcnt(1)
	v_fma_f64 v[61:62], v[89:90], v[61:62], v[81:82]
	buffer_load_dword v82, off, s[0:3], 0 offset:220
	buffer_load_dword v83, off, s[0:3], 0 offset:224
	;; [unrolled: 1-line block ×4, first 2 shown]
	s_waitcnt vmcnt(21)
	v_fma_f64 v[61:62], v[87:88], v[63:64], v[61:62]
	s_waitcnt vmcnt(20) lgkmcnt(0)
	v_fma_f64 v[61:62], v[85:86], v[65:66], v[61:62]
	buffer_load_dword v85, off, s[0:3], 0 offset:56
	buffer_load_dword v86, off, s[0:3], 0 offset:60
	s_waitcnt vmcnt(17)
	v_fma_f64 v[69:70], v[69:70], v[67:68], v[61:62]
	ds_read_b128 v[61:64], v60 offset:400
	ds_read_b128 v[65:68], v60 offset:416
	s_waitcnt vmcnt(16) lgkmcnt(1)
	v_fma_f64 v[61:62], v[93:94], v[61:62], v[69:70]
	s_waitcnt vmcnt(15)
	v_fma_f64 v[61:62], v[91:92], v[63:64], v[61:62]
	s_waitcnt vmcnt(14) lgkmcnt(0)
	v_fma_f64 v[61:62], v[71:72], v[65:66], v[61:62]
	s_waitcnt vmcnt(9)
	v_fma_f64 v[69:70], v[73:74], v[67:68], v[61:62]
	ds_read_b128 v[61:64], v60 offset:432
	ds_read_b128 v[65:68], v60 offset:448
	s_waitcnt vmcnt(8) lgkmcnt(1)
	v_fma_f64 v[61:62], v[79:80], v[61:62], v[69:70]
	s_waitcnt vmcnt(7)
	v_fma_f64 v[61:62], v[77:78], v[63:64], v[61:62]
	ds_read_b64 v[63:64], v60 offset:464
	s_waitcnt vmcnt(6) lgkmcnt(1)
	v_fma_f64 v[61:62], v[75:76], v[65:66], v[61:62]
	s_waitcnt vmcnt(3)
	v_fma_f64 v[61:62], v[81:82], v[67:68], v[61:62]
	s_waitcnt vmcnt(2) lgkmcnt(0)
	v_fma_f64 v[61:62], v[83:84], v[63:64], v[61:62]
	s_waitcnt vmcnt(0)
	v_add_f64 v[61:62], v[85:86], -v[61:62]
	buffer_store_dword v62, off, s[0:3], 0 offset:60
	buffer_store_dword v61, off, s[0:3], 0 offset:56
	s_and_saveexec_b64 s[4:5], vcc
	s_cbranch_execz .LBB92_169
; %bb.168:
	buffer_load_dword v61, off, s[0:3], 0 offset:48
	buffer_load_dword v62, off, s[0:3], 0 offset:52
	s_waitcnt vmcnt(0)
	ds_write_b64 v59, v[61:62]
	buffer_store_dword v60, off, s[0:3], 0 offset:48
	buffer_store_dword v60, off, s[0:3], 0 offset:52
.LBB92_169:
	s_or_b64 exec, exec, s[4:5]
	s_waitcnt lgkmcnt(0)
	; wave barrier
	buffer_load_dword v69, off, s[0:3], 0 offset:56
	buffer_load_dword v70, off, s[0:3], 0 offset:60
	;; [unrolled: 1-line block ×21, first 2 shown]
	ds_read2_b64 v[61:64], v60 offset0:37 offset1:38
	ds_read2_b64 v[65:68], v60 offset0:39 offset1:40
	buffer_load_dword v86, off, s[0:3], 0 offset:140
	v_cmp_lt_u32_e32 vcc, 5, v0
	s_waitcnt vmcnt(20) lgkmcnt(1)
	v_fma_f64 v[61:62], v[69:70], v[61:62], 0
	s_waitcnt vmcnt(18)
	v_fma_f64 v[61:62], v[71:72], v[63:64], v[61:62]
	buffer_load_dword v70, off, s[0:3], 0 offset:148
	buffer_load_dword v71, off, s[0:3], 0 offset:168
	;; [unrolled: 1-line block ×7, first 2 shown]
	s_waitcnt vmcnt(23) lgkmcnt(0)
	v_fma_f64 v[61:62], v[73:74], v[65:66], v[61:62]
	s_waitcnt vmcnt(21)
	v_fma_f64 v[72:73], v[75:76], v[67:68], v[61:62]
	ds_read2_b64 v[61:64], v60 offset0:41 offset1:42
	ds_read2_b64 v[65:68], v60 offset0:43 offset1:44
	s_waitcnt vmcnt(19) lgkmcnt(1)
	v_fma_f64 v[61:62], v[77:78], v[61:62], v[72:73]
	buffer_load_dword v72, off, s[0:3], 0 offset:172
	s_waitcnt vmcnt(18)
	v_fma_f64 v[61:62], v[79:80], v[63:64], v[61:62]
	buffer_load_dword v74, off, s[0:3], 0 offset:180
	buffer_load_dword v75, off, s[0:3], 0 offset:200
	;; [unrolled: 1-line block ×8, first 2 shown]
	s_waitcnt vmcnt(24) lgkmcnt(0)
	v_fma_f64 v[61:62], v[81:82], v[65:66], v[61:62]
	s_waitcnt vmcnt(19)
	v_fma_f64 v[81:82], v[83:84], v[67:68], v[61:62]
	ds_read2_b64 v[61:64], v60 offset0:45 offset1:46
	ds_read2_b64 v[65:68], v60 offset0:47 offset1:48
	s_waitcnt vmcnt(18) lgkmcnt(1)
	v_fma_f64 v[61:62], v[89:90], v[61:62], v[81:82]
	s_waitcnt vmcnt(17)
	v_fma_f64 v[61:62], v[87:88], v[63:64], v[61:62]
	buffer_load_dword v82, off, s[0:3], 0 offset:212
	buffer_load_dword v83, off, s[0:3], 0 offset:224
	;; [unrolled: 1-line block ×6, first 2 shown]
	s_waitcnt vmcnt(22) lgkmcnt(0)
	v_fma_f64 v[61:62], v[85:86], v[65:66], v[61:62]
	s_waitcnt vmcnt(17)
	v_fma_f64 v[69:70], v[69:70], v[67:68], v[61:62]
	ds_read2_b64 v[61:64], v60 offset0:49 offset1:50
	buffer_load_dword v85, off, s[0:3], 0 offset:48
	buffer_load_dword v86, off, s[0:3], 0 offset:52
	ds_read2_b64 v[65:68], v60 offset0:51 offset1:52
	s_waitcnt vmcnt(18) lgkmcnt(1)
	v_fma_f64 v[61:62], v[93:94], v[61:62], v[69:70]
	s_waitcnt vmcnt(17)
	v_fma_f64 v[61:62], v[91:92], v[63:64], v[61:62]
	s_waitcnt vmcnt(16) lgkmcnt(0)
	v_fma_f64 v[61:62], v[71:72], v[65:66], v[61:62]
	s_waitcnt vmcnt(11)
	v_fma_f64 v[69:70], v[73:74], v[67:68], v[61:62]
	ds_read2_b64 v[61:64], v60 offset0:53 offset1:54
	ds_read2_b64 v[65:68], v60 offset0:55 offset1:56
	s_waitcnt vmcnt(10) lgkmcnt(1)
	v_fma_f64 v[61:62], v[79:80], v[61:62], v[69:70]
	s_waitcnt vmcnt(9)
	v_fma_f64 v[61:62], v[77:78], v[63:64], v[61:62]
	s_waitcnt vmcnt(8) lgkmcnt(0)
	v_fma_f64 v[61:62], v[75:76], v[65:66], v[61:62]
	s_waitcnt vmcnt(4)
	v_fma_f64 v[64:65], v[81:82], v[67:68], v[61:62]
	ds_read2_b64 v[60:63], v60 offset0:57 offset1:58
	s_waitcnt vmcnt(3) lgkmcnt(0)
	v_fma_f64 v[60:61], v[87:88], v[60:61], v[64:65]
	s_waitcnt vmcnt(2)
	v_fma_f64 v[60:61], v[83:84], v[62:63], v[60:61]
	s_waitcnt vmcnt(0)
	v_add_f64 v[60:61], v[85:86], -v[60:61]
	buffer_store_dword v61, off, s[0:3], 0 offset:52
	buffer_store_dword v60, off, s[0:3], 0 offset:48
	s_and_saveexec_b64 s[4:5], vcc
	s_cbranch_execz .LBB92_171
; %bb.170:
	buffer_load_dword v60, off, s[0:3], 0 offset:40
	buffer_load_dword v61, off, s[0:3], 0 offset:44
	v_mov_b32_e32 v62, 0
	buffer_store_dword v62, off, s[0:3], 0 offset:40
	buffer_store_dword v62, off, s[0:3], 0 offset:44
	s_waitcnt vmcnt(2)
	ds_write_b64 v59, v[60:61]
.LBB92_171:
	s_or_b64 exec, exec, s[4:5]
	s_waitcnt lgkmcnt(0)
	; wave barrier
	buffer_load_dword v69, off, s[0:3], 0 offset:48
	buffer_load_dword v70, off, s[0:3], 0 offset:52
	;; [unrolled: 1-line block ×21, first 2 shown]
	v_mov_b32_e32 v60, 0
	ds_read_b128 v[61:64], v60 offset:288
	ds_read_b128 v[65:68], v60 offset:304
	buffer_load_dword v86, off, s[0:3], 0 offset:132
	v_cmp_lt_u32_e32 vcc, 4, v0
	s_waitcnt vmcnt(20) lgkmcnt(1)
	v_fma_f64 v[61:62], v[69:70], v[61:62], 0
	s_waitcnt vmcnt(18)
	v_fma_f64 v[61:62], v[71:72], v[63:64], v[61:62]
	buffer_load_dword v70, off, s[0:3], 0 offset:140
	buffer_load_dword v71, off, s[0:3], 0 offset:160
	buffer_load_dword v91, off, s[0:3], 0 offset:152
	buffer_load_dword v93, off, s[0:3], 0 offset:144
	buffer_load_dword v69, off, s[0:3], 0 offset:136
	buffer_load_dword v94, off, s[0:3], 0 offset:148
	buffer_load_dword v92, off, s[0:3], 0 offset:156
	s_waitcnt vmcnt(23) lgkmcnt(0)
	v_fma_f64 v[61:62], v[73:74], v[65:66], v[61:62]
	s_waitcnt vmcnt(21)
	v_fma_f64 v[72:73], v[75:76], v[67:68], v[61:62]
	ds_read_b128 v[61:64], v60 offset:320
	ds_read_b128 v[65:68], v60 offset:336
	s_waitcnt vmcnt(19) lgkmcnt(1)
	v_fma_f64 v[61:62], v[77:78], v[61:62], v[72:73]
	buffer_load_dword v72, off, s[0:3], 0 offset:164
	s_waitcnt vmcnt(18)
	v_fma_f64 v[61:62], v[79:80], v[63:64], v[61:62]
	buffer_load_dword v74, off, s[0:3], 0 offset:172
	buffer_load_dword v75, off, s[0:3], 0 offset:192
	;; [unrolled: 1-line block ×8, first 2 shown]
	s_waitcnt vmcnt(24) lgkmcnt(0)
	v_fma_f64 v[61:62], v[81:82], v[65:66], v[61:62]
	s_waitcnt vmcnt(19)
	v_fma_f64 v[81:82], v[83:84], v[67:68], v[61:62]
	ds_read_b128 v[61:64], v60 offset:352
	ds_read_b128 v[65:68], v60 offset:368
	s_waitcnt vmcnt(18) lgkmcnt(1)
	v_fma_f64 v[61:62], v[89:90], v[61:62], v[81:82]
	s_waitcnt vmcnt(17)
	v_fma_f64 v[61:62], v[87:88], v[63:64], v[61:62]
	buffer_load_dword v82, off, s[0:3], 0 offset:204
	buffer_load_dword v83, off, s[0:3], 0 offset:224
	;; [unrolled: 1-line block ×8, first 2 shown]
	s_waitcnt vmcnt(24) lgkmcnt(0)
	v_fma_f64 v[61:62], v[85:86], v[65:66], v[61:62]
	s_waitcnt vmcnt(19)
	v_fma_f64 v[69:70], v[69:70], v[67:68], v[61:62]
	ds_read_b128 v[61:64], v60 offset:384
	ds_read_b128 v[65:68], v60 offset:400
	s_waitcnt vmcnt(18) lgkmcnt(1)
	v_fma_f64 v[61:62], v[93:94], v[61:62], v[69:70]
	buffer_load_dword v69, off, s[0:3], 0 offset:40
	buffer_load_dword v70, off, s[0:3], 0 offset:44
	s_waitcnt vmcnt(19)
	v_fma_f64 v[61:62], v[91:92], v[63:64], v[61:62]
	s_waitcnt vmcnt(18) lgkmcnt(0)
	v_fma_f64 v[61:62], v[71:72], v[65:66], v[61:62]
	s_waitcnt vmcnt(13)
	v_fma_f64 v[71:72], v[73:74], v[67:68], v[61:62]
	ds_read_b128 v[61:64], v60 offset:416
	ds_read_b128 v[65:68], v60 offset:432
	s_waitcnt vmcnt(12) lgkmcnt(1)
	v_fma_f64 v[61:62], v[79:80], v[61:62], v[71:72]
	s_waitcnt vmcnt(11)
	v_fma_f64 v[61:62], v[77:78], v[63:64], v[61:62]
	s_waitcnt vmcnt(10) lgkmcnt(0)
	v_fma_f64 v[61:62], v[75:76], v[65:66], v[61:62]
	s_waitcnt vmcnt(5)
	v_fma_f64 v[65:66], v[81:82], v[67:68], v[61:62]
	ds_read_b128 v[61:64], v60 offset:448
	ds_read_b64 v[67:68], v60 offset:464
	s_waitcnt vmcnt(4) lgkmcnt(1)
	v_fma_f64 v[61:62], v[89:90], v[61:62], v[65:66]
	s_waitcnt vmcnt(3)
	v_fma_f64 v[61:62], v[87:88], v[63:64], v[61:62]
	s_waitcnt vmcnt(2) lgkmcnt(0)
	v_fma_f64 v[61:62], v[83:84], v[67:68], v[61:62]
	s_waitcnt vmcnt(0)
	v_add_f64 v[61:62], v[69:70], -v[61:62]
	buffer_store_dword v62, off, s[0:3], 0 offset:44
	buffer_store_dword v61, off, s[0:3], 0 offset:40
	s_and_saveexec_b64 s[4:5], vcc
	s_cbranch_execz .LBB92_173
; %bb.172:
	buffer_load_dword v61, off, s[0:3], 0 offset:32
	buffer_load_dword v62, off, s[0:3], 0 offset:36
	s_waitcnt vmcnt(0)
	ds_write_b64 v59, v[61:62]
	buffer_store_dword v60, off, s[0:3], 0 offset:32
	buffer_store_dword v60, off, s[0:3], 0 offset:36
.LBB92_173:
	s_or_b64 exec, exec, s[4:5]
	s_waitcnt lgkmcnt(0)
	; wave barrier
	buffer_load_dword v69, off, s[0:3], 0 offset:40
	buffer_load_dword v70, off, s[0:3], 0 offset:44
	;; [unrolled: 1-line block ×21, first 2 shown]
	ds_read2_b64 v[61:64], v60 offset0:35 offset1:36
	ds_read2_b64 v[65:68], v60 offset0:37 offset1:38
	buffer_load_dword v86, off, s[0:3], 0 offset:124
	v_cmp_lt_u32_e32 vcc, 3, v0
	s_waitcnt vmcnt(20) lgkmcnt(1)
	v_fma_f64 v[61:62], v[69:70], v[61:62], 0
	s_waitcnt vmcnt(18)
	v_fma_f64 v[61:62], v[71:72], v[63:64], v[61:62]
	buffer_load_dword v70, off, s[0:3], 0 offset:132
	buffer_load_dword v71, off, s[0:3], 0 offset:152
	buffer_load_dword v91, off, s[0:3], 0 offset:144
	buffer_load_dword v93, off, s[0:3], 0 offset:136
	buffer_load_dword v69, off, s[0:3], 0 offset:128
	buffer_load_dword v94, off, s[0:3], 0 offset:140
	buffer_load_dword v92, off, s[0:3], 0 offset:148
	s_waitcnt vmcnt(23) lgkmcnt(0)
	v_fma_f64 v[61:62], v[73:74], v[65:66], v[61:62]
	s_waitcnt vmcnt(21)
	v_fma_f64 v[72:73], v[75:76], v[67:68], v[61:62]
	ds_read2_b64 v[61:64], v60 offset0:39 offset1:40
	ds_read2_b64 v[65:68], v60 offset0:41 offset1:42
	s_waitcnt vmcnt(19) lgkmcnt(1)
	v_fma_f64 v[61:62], v[77:78], v[61:62], v[72:73]
	buffer_load_dword v72, off, s[0:3], 0 offset:156
	s_waitcnt vmcnt(18)
	v_fma_f64 v[61:62], v[79:80], v[63:64], v[61:62]
	buffer_load_dword v74, off, s[0:3], 0 offset:164
	buffer_load_dword v75, off, s[0:3], 0 offset:184
	;; [unrolled: 1-line block ×8, first 2 shown]
	s_waitcnt vmcnt(24) lgkmcnt(0)
	v_fma_f64 v[61:62], v[81:82], v[65:66], v[61:62]
	s_waitcnt vmcnt(19)
	v_fma_f64 v[81:82], v[83:84], v[67:68], v[61:62]
	ds_read2_b64 v[61:64], v60 offset0:43 offset1:44
	ds_read2_b64 v[65:68], v60 offset0:45 offset1:46
	s_waitcnt vmcnt(18) lgkmcnt(1)
	v_fma_f64 v[61:62], v[89:90], v[61:62], v[81:82]
	s_waitcnt vmcnt(17)
	v_fma_f64 v[61:62], v[87:88], v[63:64], v[61:62]
	buffer_load_dword v82, off, s[0:3], 0 offset:196
	buffer_load_dword v83, off, s[0:3], 0 offset:216
	;; [unrolled: 1-line block ×8, first 2 shown]
	s_waitcnt vmcnt(24) lgkmcnt(0)
	v_fma_f64 v[61:62], v[85:86], v[65:66], v[61:62]
	s_waitcnt vmcnt(19)
	v_fma_f64 v[69:70], v[69:70], v[67:68], v[61:62]
	ds_read2_b64 v[61:64], v60 offset0:47 offset1:48
	ds_read2_b64 v[65:68], v60 offset0:49 offset1:50
	s_waitcnt vmcnt(18) lgkmcnt(1)
	v_fma_f64 v[61:62], v[93:94], v[61:62], v[69:70]
	buffer_load_dword v70, off, s[0:3], 0 offset:228
	buffer_load_dword v69, off, s[0:3], 0 offset:224
	;; [unrolled: 1-line block ×4, first 2 shown]
	s_waitcnt vmcnt(21)
	v_fma_f64 v[61:62], v[91:92], v[63:64], v[61:62]
	s_waitcnt vmcnt(20) lgkmcnt(0)
	v_fma_f64 v[61:62], v[71:72], v[65:66], v[61:62]
	s_waitcnt vmcnt(15)
	v_fma_f64 v[71:72], v[73:74], v[67:68], v[61:62]
	ds_read2_b64 v[61:64], v60 offset0:51 offset1:52
	ds_read2_b64 v[65:68], v60 offset0:53 offset1:54
	s_waitcnt vmcnt(14) lgkmcnt(1)
	v_fma_f64 v[61:62], v[79:80], v[61:62], v[71:72]
	s_waitcnt vmcnt(13)
	v_fma_f64 v[61:62], v[77:78], v[63:64], v[61:62]
	s_waitcnt vmcnt(12) lgkmcnt(0)
	v_fma_f64 v[61:62], v[75:76], v[65:66], v[61:62]
	s_waitcnt vmcnt(7)
	v_fma_f64 v[71:72], v[81:82], v[67:68], v[61:62]
	ds_read2_b64 v[61:64], v60 offset0:55 offset1:56
	ds_read2_b64 v[65:68], v60 offset0:57 offset1:58
	s_waitcnt vmcnt(6) lgkmcnt(1)
	v_fma_f64 v[60:61], v[89:90], v[61:62], v[71:72]
	s_waitcnt vmcnt(5)
	v_fma_f64 v[60:61], v[87:88], v[63:64], v[60:61]
	s_waitcnt vmcnt(4) lgkmcnt(0)
	v_fma_f64 v[60:61], v[83:84], v[65:66], v[60:61]
	s_waitcnt vmcnt(2)
	v_fma_f64 v[60:61], v[69:70], v[67:68], v[60:61]
	s_waitcnt vmcnt(0)
	v_add_f64 v[60:61], v[85:86], -v[60:61]
	buffer_store_dword v61, off, s[0:3], 0 offset:36
	buffer_store_dword v60, off, s[0:3], 0 offset:32
	s_and_saveexec_b64 s[4:5], vcc
	s_cbranch_execz .LBB92_175
; %bb.174:
	buffer_load_dword v60, off, s[0:3], 0 offset:24
	buffer_load_dword v61, off, s[0:3], 0 offset:28
	v_mov_b32_e32 v62, 0
	buffer_store_dword v62, off, s[0:3], 0 offset:24
	buffer_store_dword v62, off, s[0:3], 0 offset:28
	s_waitcnt vmcnt(2)
	ds_write_b64 v59, v[60:61]
.LBB92_175:
	s_or_b64 exec, exec, s[4:5]
	s_waitcnt lgkmcnt(0)
	; wave barrier
	buffer_load_dword v69, off, s[0:3], 0 offset:32
	buffer_load_dword v70, off, s[0:3], 0 offset:36
	;; [unrolled: 1-line block ×21, first 2 shown]
	v_mov_b32_e32 v60, 0
	ds_read_b128 v[61:64], v60 offset:272
	ds_read_b128 v[65:68], v60 offset:288
	buffer_load_dword v86, off, s[0:3], 0 offset:116
	v_cmp_lt_u32_e32 vcc, 2, v0
	s_waitcnt vmcnt(20) lgkmcnt(1)
	v_fma_f64 v[61:62], v[69:70], v[61:62], 0
	s_waitcnt vmcnt(18)
	v_fma_f64 v[61:62], v[71:72], v[63:64], v[61:62]
	buffer_load_dword v70, off, s[0:3], 0 offset:124
	buffer_load_dword v71, off, s[0:3], 0 offset:144
	;; [unrolled: 1-line block ×7, first 2 shown]
	s_waitcnt vmcnt(23) lgkmcnt(0)
	v_fma_f64 v[61:62], v[73:74], v[65:66], v[61:62]
	s_waitcnt vmcnt(21)
	v_fma_f64 v[72:73], v[75:76], v[67:68], v[61:62]
	ds_read_b128 v[61:64], v60 offset:304
	ds_read_b128 v[65:68], v60 offset:320
	s_waitcnt vmcnt(19) lgkmcnt(1)
	v_fma_f64 v[61:62], v[77:78], v[61:62], v[72:73]
	buffer_load_dword v72, off, s[0:3], 0 offset:148
	s_waitcnt vmcnt(18)
	v_fma_f64 v[61:62], v[79:80], v[63:64], v[61:62]
	buffer_load_dword v74, off, s[0:3], 0 offset:156
	buffer_load_dword v75, off, s[0:3], 0 offset:176
	;; [unrolled: 1-line block ×8, first 2 shown]
	s_waitcnt vmcnt(24) lgkmcnt(0)
	v_fma_f64 v[61:62], v[81:82], v[65:66], v[61:62]
	s_waitcnt vmcnt(19)
	v_fma_f64 v[81:82], v[83:84], v[67:68], v[61:62]
	ds_read_b128 v[61:64], v60 offset:336
	ds_read_b128 v[65:68], v60 offset:352
	s_waitcnt vmcnt(18) lgkmcnt(1)
	v_fma_f64 v[61:62], v[89:90], v[61:62], v[81:82]
	s_waitcnt vmcnt(17)
	v_fma_f64 v[61:62], v[87:88], v[63:64], v[61:62]
	buffer_load_dword v82, off, s[0:3], 0 offset:188
	buffer_load_dword v83, off, s[0:3], 0 offset:208
	;; [unrolled: 1-line block ×7, first 2 shown]
	s_waitcnt vmcnt(23) lgkmcnt(0)
	v_fma_f64 v[61:62], v[85:86], v[65:66], v[61:62]
	s_waitcnt vmcnt(18)
	v_fma_f64 v[69:70], v[69:70], v[67:68], v[61:62]
	ds_read_b128 v[61:64], v60 offset:368
	ds_read_b128 v[65:68], v60 offset:384
	buffer_load_dword v84, off, s[0:3], 0 offset:212
	s_waitcnt vmcnt(18) lgkmcnt(1)
	v_fma_f64 v[61:62], v[93:94], v[61:62], v[69:70]
	buffer_load_dword v70, off, s[0:3], 0 offset:220
	buffer_load_dword v85, off, s[0:3], 0 offset:224
	;; [unrolled: 1-line block ×4, first 2 shown]
	s_waitcnt vmcnt(21)
	v_fma_f64 v[61:62], v[91:92], v[63:64], v[61:62]
	s_waitcnt vmcnt(20) lgkmcnt(0)
	v_fma_f64 v[61:62], v[71:72], v[65:66], v[61:62]
	buffer_load_dword v71, off, s[0:3], 0 offset:24
	buffer_load_dword v72, off, s[0:3], 0 offset:28
	s_waitcnt vmcnt(17)
	v_fma_f64 v[73:74], v[73:74], v[67:68], v[61:62]
	ds_read_b128 v[61:64], v60 offset:400
	ds_read_b128 v[65:68], v60 offset:416
	s_waitcnt vmcnt(16) lgkmcnt(1)
	v_fma_f64 v[61:62], v[79:80], v[61:62], v[73:74]
	s_waitcnt vmcnt(15)
	v_fma_f64 v[61:62], v[77:78], v[63:64], v[61:62]
	s_waitcnt vmcnt(14) lgkmcnt(0)
	v_fma_f64 v[61:62], v[75:76], v[65:66], v[61:62]
	s_waitcnt vmcnt(9)
	v_fma_f64 v[73:74], v[81:82], v[67:68], v[61:62]
	ds_read_b128 v[61:64], v60 offset:432
	ds_read_b128 v[65:68], v60 offset:448
	s_waitcnt vmcnt(8) lgkmcnt(1)
	v_fma_f64 v[61:62], v[89:90], v[61:62], v[73:74]
	s_waitcnt vmcnt(7)
	v_fma_f64 v[61:62], v[87:88], v[63:64], v[61:62]
	ds_read_b64 v[63:64], v60 offset:464
	s_waitcnt vmcnt(6) lgkmcnt(1)
	v_fma_f64 v[61:62], v[83:84], v[65:66], v[61:62]
	s_waitcnt vmcnt(3)
	v_fma_f64 v[61:62], v[69:70], v[67:68], v[61:62]
	s_waitcnt vmcnt(2) lgkmcnt(0)
	v_fma_f64 v[61:62], v[85:86], v[63:64], v[61:62]
	s_waitcnt vmcnt(0)
	v_add_f64 v[61:62], v[71:72], -v[61:62]
	buffer_store_dword v62, off, s[0:3], 0 offset:28
	buffer_store_dword v61, off, s[0:3], 0 offset:24
	s_and_saveexec_b64 s[4:5], vcc
	s_cbranch_execz .LBB92_177
; %bb.176:
	buffer_load_dword v61, off, s[0:3], 0 offset:16
	buffer_load_dword v62, off, s[0:3], 0 offset:20
	s_waitcnt vmcnt(0)
	ds_write_b64 v59, v[61:62]
	buffer_store_dword v60, off, s[0:3], 0 offset:16
	buffer_store_dword v60, off, s[0:3], 0 offset:20
.LBB92_177:
	s_or_b64 exec, exec, s[4:5]
	s_waitcnt lgkmcnt(0)
	; wave barrier
	buffer_load_dword v69, off, s[0:3], 0 offset:24
	buffer_load_dword v70, off, s[0:3], 0 offset:28
	;; [unrolled: 1-line block ×22, first 2 shown]
	ds_read2_b64 v[61:64], v60 offset0:33 offset1:34
	ds_read2_b64 v[65:68], v60 offset0:35 offset1:36
	v_cmp_lt_u32_e32 vcc, 1, v0
	s_waitcnt vmcnt(20) lgkmcnt(1)
	v_fma_f64 v[61:62], v[69:70], v[61:62], 0
	s_waitcnt vmcnt(18)
	v_fma_f64 v[61:62], v[71:72], v[63:64], v[61:62]
	buffer_load_dword v70, off, s[0:3], 0 offset:116
	buffer_load_dword v71, off, s[0:3], 0 offset:136
	;; [unrolled: 1-line block ×7, first 2 shown]
	s_waitcnt vmcnt(23) lgkmcnt(0)
	v_fma_f64 v[61:62], v[73:74], v[65:66], v[61:62]
	s_waitcnt vmcnt(21)
	v_fma_f64 v[72:73], v[75:76], v[67:68], v[61:62]
	ds_read2_b64 v[61:64], v60 offset0:37 offset1:38
	ds_read2_b64 v[65:68], v60 offset0:39 offset1:40
	s_waitcnt vmcnt(19) lgkmcnt(1)
	v_fma_f64 v[61:62], v[77:78], v[61:62], v[72:73]
	buffer_load_dword v72, off, s[0:3], 0 offset:140
	s_waitcnt vmcnt(18)
	v_fma_f64 v[61:62], v[79:80], v[63:64], v[61:62]
	buffer_load_dword v74, off, s[0:3], 0 offset:148
	buffer_load_dword v75, off, s[0:3], 0 offset:168
	;; [unrolled: 1-line block ×8, first 2 shown]
	s_waitcnt vmcnt(24) lgkmcnt(0)
	v_fma_f64 v[61:62], v[81:82], v[65:66], v[61:62]
	s_waitcnt vmcnt(19)
	v_fma_f64 v[81:82], v[83:84], v[67:68], v[61:62]
	ds_read2_b64 v[61:64], v60 offset0:41 offset1:42
	ds_read2_b64 v[65:68], v60 offset0:43 offset1:44
	s_waitcnt vmcnt(18) lgkmcnt(1)
	v_fma_f64 v[61:62], v[89:90], v[61:62], v[81:82]
	s_waitcnt vmcnt(17)
	v_fma_f64 v[61:62], v[87:88], v[63:64], v[61:62]
	buffer_load_dword v82, off, s[0:3], 0 offset:180
	buffer_load_dword v83, off, s[0:3], 0 offset:200
	;; [unrolled: 1-line block ×8, first 2 shown]
	s_waitcnt vmcnt(24) lgkmcnt(0)
	v_fma_f64 v[61:62], v[85:86], v[65:66], v[61:62]
	s_waitcnt vmcnt(19)
	v_fma_f64 v[69:70], v[69:70], v[67:68], v[61:62]
	ds_read2_b64 v[61:64], v60 offset0:45 offset1:46
	ds_read2_b64 v[65:68], v60 offset0:47 offset1:48
	s_waitcnt vmcnt(18) lgkmcnt(1)
	v_fma_f64 v[61:62], v[93:94], v[61:62], v[69:70]
	s_waitcnt vmcnt(17)
	v_fma_f64 v[61:62], v[91:92], v[63:64], v[61:62]
	buffer_load_dword v70, off, s[0:3], 0 offset:212
	buffer_load_dword v85, off, s[0:3], 0 offset:224
	;; [unrolled: 1-line block ×6, first 2 shown]
	s_waitcnt vmcnt(22) lgkmcnt(0)
	v_fma_f64 v[61:62], v[71:72], v[65:66], v[61:62]
	s_waitcnt vmcnt(17)
	v_fma_f64 v[71:72], v[73:74], v[67:68], v[61:62]
	ds_read2_b64 v[61:64], v60 offset0:49 offset1:50
	buffer_load_dword v73, off, s[0:3], 0 offset:16
	buffer_load_dword v74, off, s[0:3], 0 offset:20
	ds_read2_b64 v[65:68], v60 offset0:51 offset1:52
	s_waitcnt vmcnt(18) lgkmcnt(1)
	v_fma_f64 v[61:62], v[79:80], v[61:62], v[71:72]
	s_waitcnt vmcnt(17)
	v_fma_f64 v[61:62], v[77:78], v[63:64], v[61:62]
	s_waitcnt vmcnt(16) lgkmcnt(0)
	v_fma_f64 v[61:62], v[75:76], v[65:66], v[61:62]
	s_waitcnt vmcnt(11)
	v_fma_f64 v[71:72], v[81:82], v[67:68], v[61:62]
	ds_read2_b64 v[61:64], v60 offset0:53 offset1:54
	ds_read2_b64 v[65:68], v60 offset0:55 offset1:56
	s_waitcnt vmcnt(10) lgkmcnt(1)
	v_fma_f64 v[61:62], v[89:90], v[61:62], v[71:72]
	s_waitcnt vmcnt(9)
	v_fma_f64 v[61:62], v[87:88], v[63:64], v[61:62]
	s_waitcnt vmcnt(8) lgkmcnt(0)
	v_fma_f64 v[61:62], v[83:84], v[65:66], v[61:62]
	s_waitcnt vmcnt(4)
	v_fma_f64 v[64:65], v[69:70], v[67:68], v[61:62]
	ds_read2_b64 v[60:63], v60 offset0:57 offset1:58
	s_waitcnt vmcnt(3) lgkmcnt(0)
	v_fma_f64 v[60:61], v[91:92], v[60:61], v[64:65]
	s_waitcnt vmcnt(2)
	v_fma_f64 v[60:61], v[85:86], v[62:63], v[60:61]
	s_waitcnt vmcnt(0)
	v_add_f64 v[60:61], v[73:74], -v[60:61]
	buffer_store_dword v61, off, s[0:3], 0 offset:20
	buffer_store_dword v60, off, s[0:3], 0 offset:16
	s_and_saveexec_b64 s[4:5], vcc
	s_cbranch_execz .LBB92_179
; %bb.178:
	buffer_load_dword v60, off, s[0:3], 0 offset:8
	buffer_load_dword v61, off, s[0:3], 0 offset:12
	v_mov_b32_e32 v62, 0
	buffer_store_dword v62, off, s[0:3], 0 offset:8
	buffer_store_dword v62, off, s[0:3], 0 offset:12
	s_waitcnt vmcnt(2)
	ds_write_b64 v59, v[60:61]
.LBB92_179:
	s_or_b64 exec, exec, s[4:5]
	s_waitcnt lgkmcnt(0)
	; wave barrier
	buffer_load_dword v70, off, s[0:3], 0 offset:16
	buffer_load_dword v71, off, s[0:3], 0 offset:20
	;; [unrolled: 1-line block ×22, first 2 shown]
	v_mov_b32_e32 v61, 0
	ds_read_b128 v[62:65], v61 offset:256
	ds_read_b128 v[66:69], v61 offset:272
	v_cmp_ne_u32_e32 vcc, 0, v0
	s_waitcnt vmcnt(20) lgkmcnt(1)
	v_fma_f64 v[62:63], v[70:71], v[62:63], 0
	s_waitcnt vmcnt(18)
	v_fma_f64 v[62:63], v[72:73], v[64:65], v[62:63]
	buffer_load_dword v71, off, s[0:3], 0 offset:108
	buffer_load_dword v72, off, s[0:3], 0 offset:128
	;; [unrolled: 1-line block ×7, first 2 shown]
	s_waitcnt vmcnt(23) lgkmcnt(0)
	v_fma_f64 v[62:63], v[74:75], v[66:67], v[62:63]
	s_waitcnt vmcnt(21)
	v_fma_f64 v[73:74], v[76:77], v[68:69], v[62:63]
	ds_read_b128 v[62:65], v61 offset:288
	ds_read_b128 v[66:69], v61 offset:304
	s_waitcnt vmcnt(19) lgkmcnt(1)
	v_fma_f64 v[62:63], v[78:79], v[62:63], v[73:74]
	buffer_load_dword v73, off, s[0:3], 0 offset:132
	s_waitcnt vmcnt(18)
	v_fma_f64 v[62:63], v[80:81], v[64:65], v[62:63]
	buffer_load_dword v75, off, s[0:3], 0 offset:140
	buffer_load_dword v76, off, s[0:3], 0 offset:160
	buffer_load_dword v78, off, s[0:3], 0 offset:152
	buffer_load_dword v80, off, s[0:3], 0 offset:144
	buffer_load_dword v74, off, s[0:3], 0 offset:136
	buffer_load_dword v81, off, s[0:3], 0 offset:148
	buffer_load_dword v79, off, s[0:3], 0 offset:156
	buffer_load_dword v77, off, s[0:3], 0 offset:164
	s_waitcnt vmcnt(24) lgkmcnt(0)
	v_fma_f64 v[62:63], v[82:83], v[66:67], v[62:63]
	s_waitcnt vmcnt(19)
	v_fma_f64 v[82:83], v[84:85], v[68:69], v[62:63]
	ds_read_b128 v[62:65], v61 offset:320
	ds_read_b128 v[66:69], v61 offset:336
	s_waitcnt vmcnt(18) lgkmcnt(1)
	v_fma_f64 v[62:63], v[90:91], v[62:63], v[82:83]
	s_waitcnt vmcnt(17)
	v_fma_f64 v[62:63], v[88:89], v[64:65], v[62:63]
	buffer_load_dword v83, off, s[0:3], 0 offset:172
	buffer_load_dword v84, off, s[0:3], 0 offset:192
	buffer_load_dword v88, off, s[0:3], 0 offset:184
	buffer_load_dword v90, off, s[0:3], 0 offset:176
	buffer_load_dword v82, off, s[0:3], 0 offset:168
	buffer_load_dword v91, off, s[0:3], 0 offset:180
	buffer_load_dword v89, off, s[0:3], 0 offset:188
	buffer_load_dword v85, off, s[0:3], 0 offset:196
	s_waitcnt vmcnt(24) lgkmcnt(0)
	v_fma_f64 v[62:63], v[86:87], v[66:67], v[62:63]
	s_waitcnt vmcnt(19)
	v_fma_f64 v[70:71], v[70:71], v[68:69], v[62:63]
	ds_read_b128 v[62:65], v61 offset:352
	ds_read_b128 v[66:69], v61 offset:368
	s_waitcnt vmcnt(18) lgkmcnt(1)
	v_fma_f64 v[62:63], v[94:95], v[62:63], v[70:71]
	;; [unrolled: 18-line block ×3, first 2 shown]
	buffer_load_dword v72, off, s[0:3], 0 offset:8
	buffer_load_dword v73, off, s[0:3], 0 offset:12
	s_waitcnt vmcnt(19)
	v_fma_f64 v[62:63], v[78:79], v[64:65], v[62:63]
	s_waitcnt vmcnt(18) lgkmcnt(0)
	v_fma_f64 v[62:63], v[76:77], v[66:67], v[62:63]
	s_waitcnt vmcnt(13)
	v_fma_f64 v[74:75], v[82:83], v[68:69], v[62:63]
	ds_read_b128 v[62:65], v61 offset:416
	ds_read_b128 v[66:69], v61 offset:432
	s_waitcnt vmcnt(12) lgkmcnt(1)
	v_fma_f64 v[62:63], v[90:91], v[62:63], v[74:75]
	s_waitcnt vmcnt(11)
	v_fma_f64 v[62:63], v[88:89], v[64:65], v[62:63]
	s_waitcnt vmcnt(10) lgkmcnt(0)
	v_fma_f64 v[62:63], v[84:85], v[66:67], v[62:63]
	s_waitcnt vmcnt(5)
	v_fma_f64 v[66:67], v[70:71], v[68:69], v[62:63]
	ds_read_b128 v[62:65], v61 offset:448
	ds_read_b64 v[68:69], v61 offset:464
	s_waitcnt vmcnt(4) lgkmcnt(1)
	v_fma_f64 v[62:63], v[94:95], v[62:63], v[66:67]
	s_waitcnt vmcnt(3)
	v_fma_f64 v[62:63], v[92:93], v[64:65], v[62:63]
	s_waitcnt vmcnt(2) lgkmcnt(0)
	v_fma_f64 v[62:63], v[86:87], v[68:69], v[62:63]
	s_waitcnt vmcnt(0)
	v_add_f64 v[62:63], v[72:73], -v[62:63]
	buffer_store_dword v63, off, s[0:3], 0 offset:12
	buffer_store_dword v62, off, s[0:3], 0 offset:8
	s_and_saveexec_b64 s[4:5], vcc
	s_cbranch_execz .LBB92_181
; %bb.180:
	buffer_load_dword v62, off, s[0:3], 0
	buffer_load_dword v63, off, s[0:3], 0 offset:4
	s_waitcnt vmcnt(0)
	ds_write_b64 v59, v[62:63]
	buffer_store_dword v61, off, s[0:3], 0
	buffer_store_dword v61, off, s[0:3], 0 offset:4
.LBB92_181:
	s_or_b64 exec, exec, s[4:5]
	s_waitcnt lgkmcnt(0)
	; wave barrier
	buffer_load_dword v59, off, s[0:3], 0 offset:8
	buffer_load_dword v60, off, s[0:3], 0 offset:12
	;; [unrolled: 1-line block ×22, first 2 shown]
	ds_read2_b64 v[62:65], v61 offset0:31 offset1:32
	ds_read2_b64 v[66:69], v61 offset0:33 offset1:34
	s_and_b64 vcc, exec, s[14:15]
	s_waitcnt vmcnt(20) lgkmcnt(1)
	v_fma_f64 v[59:60], v[59:60], v[62:63], 0
	s_waitcnt vmcnt(18)
	v_fma_f64 v[59:60], v[70:71], v[64:65], v[59:60]
	buffer_load_dword v71, off, s[0:3], 0 offset:100
	buffer_load_dword v90, off, s[0:3], 0 offset:120
	;; [unrolled: 1-line block ×7, first 2 shown]
	s_waitcnt vmcnt(23) lgkmcnt(0)
	v_fma_f64 v[59:60], v[72:73], v[66:67], v[59:60]
	s_waitcnt vmcnt(21)
	v_fma_f64 v[59:60], v[74:75], v[68:69], v[59:60]
	ds_read2_b64 v[62:65], v61 offset0:35 offset1:36
	ds_read2_b64 v[66:69], v61 offset0:37 offset1:38
	buffer_load_dword v91, off, s[0:3], 0 offset:124
	s_waitcnt vmcnt(20) lgkmcnt(1)
	v_fma_f64 v[59:60], v[76:77], v[62:63], v[59:60]
	s_waitcnt vmcnt(18)
	v_fma_f64 v[59:60], v[78:79], v[64:65], v[59:60]
	buffer_load_dword v73, off, s[0:3], 0 offset:132
	buffer_load_dword v74, off, s[0:3], 0 offset:152
	;; [unrolled: 1-line block ×8, first 2 shown]
	ds_read2_b64 v[62:65], v61 offset0:39 offset1:40
	s_waitcnt vmcnt(24) lgkmcnt(1)
	v_fma_f64 v[59:60], v[80:81], v[66:67], v[59:60]
	s_waitcnt vmcnt(19)
	v_fma_f64 v[59:60], v[82:83], v[68:69], v[59:60]
	ds_read2_b64 v[66:69], v61 offset0:41 offset1:42
	s_waitcnt vmcnt(18) lgkmcnt(1)
	v_fma_f64 v[59:60], v[88:89], v[62:63], v[59:60]
	s_waitcnt vmcnt(17)
	v_fma_f64 v[59:60], v[86:87], v[64:65], v[59:60]
	buffer_load_dword v81, off, s[0:3], 0 offset:164
	buffer_load_dword v82, off, s[0:3], 0 offset:184
	;; [unrolled: 1-line block ×8, first 2 shown]
	ds_read2_b64 v[62:65], v61 offset0:43 offset1:44
	s_waitcnt vmcnt(24) lgkmcnt(1)
	v_fma_f64 v[59:60], v[84:85], v[66:67], v[59:60]
	s_waitcnt vmcnt(19)
	v_fma_f64 v[59:60], v[70:71], v[68:69], v[59:60]
	ds_read2_b64 v[66:69], v61 offset0:45 offset1:46
	s_waitcnt vmcnt(18) lgkmcnt(1)
	v_fma_f64 v[59:60], v[94:95], v[62:63], v[59:60]
	s_waitcnt vmcnt(17)
	v_fma_f64 v[62:63], v[92:93], v[64:65], v[59:60]
	buffer_load_dword v71, off, s[0:3], 0 offset:196
	buffer_load_dword v59, off, s[0:3], 0 offset:216
	;; [unrolled: 1-line block ×8, first 2 shown]
	s_waitcnt vmcnt(24) lgkmcnt(0)
	v_fma_f64 v[62:63], v[90:91], v[66:67], v[62:63]
	s_waitcnt vmcnt(19)
	v_fma_f64 v[72:73], v[72:73], v[68:69], v[62:63]
	ds_read2_b64 v[62:65], v61 offset0:47 offset1:48
	ds_read2_b64 v[66:69], v61 offset0:49 offset1:50
	s_waitcnt vmcnt(18) lgkmcnt(1)
	v_fma_f64 v[62:63], v[78:79], v[62:63], v[72:73]
	buffer_load_dword v73, off, s[0:3], 0 offset:228
	buffer_load_dword v72, off, s[0:3], 0 offset:224
	s_waitcnt vmcnt(19)
	v_fma_f64 v[62:63], v[76:77], v[64:65], v[62:63]
	buffer_load_dword v76, off, s[0:3], 0
	buffer_load_dword v77, off, s[0:3], 0 offset:4
	s_waitcnt vmcnt(20) lgkmcnt(0)
	v_fma_f64 v[62:63], v[74:75], v[66:67], v[62:63]
	s_waitcnt vmcnt(15)
	v_fma_f64 v[74:75], v[80:81], v[68:69], v[62:63]
	ds_read2_b64 v[62:65], v61 offset0:51 offset1:52
	ds_read2_b64 v[66:69], v61 offset0:53 offset1:54
	s_waitcnt vmcnt(14) lgkmcnt(1)
	v_fma_f64 v[62:63], v[88:89], v[62:63], v[74:75]
	s_waitcnt vmcnt(13)
	v_fma_f64 v[62:63], v[86:87], v[64:65], v[62:63]
	s_waitcnt vmcnt(12) lgkmcnt(0)
	v_fma_f64 v[62:63], v[82:83], v[66:67], v[62:63]
	s_waitcnt vmcnt(7)
	v_fma_f64 v[70:71], v[70:71], v[68:69], v[62:63]
	ds_read2_b64 v[62:65], v61 offset0:55 offset1:56
	ds_read2_b64 v[66:69], v61 offset0:57 offset1:58
	s_waitcnt vmcnt(6) lgkmcnt(1)
	v_fma_f64 v[61:62], v[92:93], v[62:63], v[70:71]
	s_waitcnt vmcnt(5)
	v_fma_f64 v[61:62], v[84:85], v[64:65], v[61:62]
	s_waitcnt vmcnt(4) lgkmcnt(0)
	v_fma_f64 v[61:62], v[59:60], v[66:67], v[61:62]
	s_waitcnt vmcnt(2)
	v_fma_f64 v[61:62], v[72:73], v[68:69], v[61:62]
	s_waitcnt vmcnt(0)
	v_add_f64 v[61:62], v[76:77], -v[61:62]
	buffer_store_dword v62, off, s[0:3], 0 offset:4
	buffer_store_dword v61, off, s[0:3], 0
	s_cbranch_vccz .LBB92_238
; %bb.182:
	v_mov_b32_e32 v0, 0
	global_load_dword v61, v0, s[12:13] offset:108
	s_waitcnt vmcnt(0)
	v_add_u32_e32 v61, -1, v61
	v_cmp_ne_u32_e32 vcc, 27, v61
	s_cbranch_vccz .LBB92_184
; %bb.183:
	v_lshlrev_b32_e32 v61, 3, v61
	buffer_load_dword v62, v61, s[0:3], 0 offen
	buffer_load_dword v63, v61, s[0:3], 0 offen offset:4
	s_waitcnt vmcnt(1)
	buffer_store_dword v62, off, s[0:3], 0 offset:216
	s_waitcnt vmcnt(1)
	buffer_store_dword v63, off, s[0:3], 0 offset:220
	buffer_store_dword v59, v61, s[0:3], 0 offen
	buffer_store_dword v60, v61, s[0:3], 0 offen offset:4
.LBB92_184:
	global_load_dword v0, v0, s[12:13] offset:104
	s_waitcnt vmcnt(0)
	v_add_u32_e32 v0, -1, v0
	v_cmp_eq_u32_e32 vcc, 26, v0
	s_cbranch_vccnz .LBB92_186
; %bb.185:
	v_lshlrev_b32_e32 v0, 3, v0
	buffer_load_dword v59, v0, s[0:3], 0 offen
	buffer_load_dword v60, v0, s[0:3], 0 offen offset:4
	buffer_load_dword v61, off, s[0:3], 0 offset:212
	buffer_load_dword v62, off, s[0:3], 0 offset:208
	s_waitcnt vmcnt(3)
	buffer_store_dword v59, off, s[0:3], 0 offset:208
	s_waitcnt vmcnt(3)
	buffer_store_dword v60, off, s[0:3], 0 offset:212
	s_waitcnt vmcnt(3)
	buffer_store_dword v61, v0, s[0:3], 0 offen offset:4
	s_waitcnt vmcnt(3)
	buffer_store_dword v62, v0, s[0:3], 0 offen
.LBB92_186:
	v_mov_b32_e32 v0, 0
	global_load_dword v59, v0, s[12:13] offset:100
	s_waitcnt vmcnt(0)
	v_add_u32_e32 v59, -1, v59
	v_cmp_eq_u32_e32 vcc, 25, v59
	s_cbranch_vccnz .LBB92_188
; %bb.187:
	v_lshlrev_b32_e32 v59, 3, v59
	buffer_load_dword v60, v59, s[0:3], 0 offen
	buffer_load_dword v61, v59, s[0:3], 0 offen offset:4
	buffer_load_dword v62, off, s[0:3], 0 offset:200
	buffer_load_dword v63, off, s[0:3], 0 offset:204
	s_waitcnt vmcnt(3)
	buffer_store_dword v60, off, s[0:3], 0 offset:200
	s_waitcnt vmcnt(3)
	buffer_store_dword v61, off, s[0:3], 0 offset:204
	s_waitcnt vmcnt(3)
	buffer_store_dword v62, v59, s[0:3], 0 offen
	s_waitcnt vmcnt(3)
	buffer_store_dword v63, v59, s[0:3], 0 offen offset:4
.LBB92_188:
	global_load_dword v0, v0, s[12:13] offset:96
	s_waitcnt vmcnt(0)
	v_add_u32_e32 v0, -1, v0
	v_cmp_eq_u32_e32 vcc, 24, v0
	s_cbranch_vccnz .LBB92_190
; %bb.189:
	v_lshlrev_b32_e32 v0, 3, v0
	buffer_load_dword v59, v0, s[0:3], 0 offen
	buffer_load_dword v60, v0, s[0:3], 0 offen offset:4
	buffer_load_dword v61, off, s[0:3], 0 offset:196
	buffer_load_dword v62, off, s[0:3], 0 offset:192
	s_waitcnt vmcnt(3)
	buffer_store_dword v59, off, s[0:3], 0 offset:192
	s_waitcnt vmcnt(3)
	buffer_store_dword v60, off, s[0:3], 0 offset:196
	s_waitcnt vmcnt(3)
	buffer_store_dword v61, v0, s[0:3], 0 offen offset:4
	s_waitcnt vmcnt(3)
	buffer_store_dword v62, v0, s[0:3], 0 offen
.LBB92_190:
	v_mov_b32_e32 v0, 0
	global_load_dword v59, v0, s[12:13] offset:92
	s_waitcnt vmcnt(0)
	v_add_u32_e32 v59, -1, v59
	v_cmp_eq_u32_e32 vcc, 23, v59
	s_cbranch_vccnz .LBB92_192
; %bb.191:
	v_lshlrev_b32_e32 v59, 3, v59
	buffer_load_dword v60, v59, s[0:3], 0 offen
	buffer_load_dword v61, v59, s[0:3], 0 offen offset:4
	buffer_load_dword v62, off, s[0:3], 0 offset:184
	buffer_load_dword v63, off, s[0:3], 0 offset:188
	s_waitcnt vmcnt(3)
	buffer_store_dword v60, off, s[0:3], 0 offset:184
	s_waitcnt vmcnt(3)
	buffer_store_dword v61, off, s[0:3], 0 offset:188
	s_waitcnt vmcnt(3)
	buffer_store_dword v62, v59, s[0:3], 0 offen
	s_waitcnt vmcnt(3)
	buffer_store_dword v63, v59, s[0:3], 0 offen offset:4
.LBB92_192:
	;; [unrolled: 41-line block ×13, first 2 shown]
	global_load_dword v0, v0, s[12:13]
	s_nop 0
	buffer_load_dword v61, off, s[0:3], 0
	buffer_load_dword v62, off, s[0:3], 0 offset:4
	s_waitcnt vmcnt(2)
	v_add_u32_e32 v0, -1, v0
	v_cmp_eq_u32_e32 vcc, 0, v0
	s_cbranch_vccnz .LBB92_238
; %bb.237:
	v_lshlrev_b32_e32 v0, 3, v0
	buffer_load_dword v59, v0, s[0:3], 0 offen offset:4
	buffer_load_dword v60, v0, s[0:3], 0 offen
	s_waitcnt vmcnt(1)
	buffer_store_dword v59, off, s[0:3], 0 offset:4
	s_waitcnt vmcnt(1)
	buffer_store_dword v60, off, s[0:3], 0
	buffer_store_dword v62, v0, s[0:3], 0 offen offset:4
	buffer_store_dword v61, v0, s[0:3], 0 offen
	buffer_load_dword v61, off, s[0:3], 0
	s_nop 0
	buffer_load_dword v62, off, s[0:3], 0 offset:4
.LBB92_238:
	s_waitcnt vmcnt(0)
	flat_store_dwordx2 v[1:2], v[61:62]
	buffer_load_dword v0, off, s[0:3], 0 offset:8
	s_nop 0
	buffer_load_dword v1, off, s[0:3], 0 offset:12
	s_waitcnt vmcnt(0)
	flat_store_dwordx2 v[3:4], v[0:1]
	buffer_load_dword v0, off, s[0:3], 0 offset:16
	s_nop 0
	buffer_load_dword v1, off, s[0:3], 0 offset:20
	;; [unrolled: 5-line block ×28, first 2 shown]
	s_waitcnt vmcnt(0)
	flat_store_dwordx2 v[57:58], v[0:1]
	s_endpgm
	.section	.rodata,"a",@progbits
	.p2align	6, 0x0
	.amdhsa_kernel _ZN9rocsolver6v33100L18getri_kernel_smallILi29EdPKPdEEvT1_iilPiilS6_bb
		.amdhsa_group_segment_fixed_size 472
		.amdhsa_private_segment_fixed_size 240
		.amdhsa_kernarg_size 60
		.amdhsa_user_sgpr_count 6
		.amdhsa_user_sgpr_private_segment_buffer 1
		.amdhsa_user_sgpr_dispatch_ptr 0
		.amdhsa_user_sgpr_queue_ptr 0
		.amdhsa_user_sgpr_kernarg_segment_ptr 1
		.amdhsa_user_sgpr_dispatch_id 0
		.amdhsa_user_sgpr_flat_scratch_init 0
		.amdhsa_user_sgpr_private_segment_size 0
		.amdhsa_uses_dynamic_stack 0
		.amdhsa_system_sgpr_private_segment_wavefront_offset 1
		.amdhsa_system_sgpr_workgroup_id_x 1
		.amdhsa_system_sgpr_workgroup_id_y 0
		.amdhsa_system_sgpr_workgroup_id_z 0
		.amdhsa_system_sgpr_workgroup_info 0
		.amdhsa_system_vgpr_workitem_id 0
		.amdhsa_next_free_vgpr 96
		.amdhsa_next_free_sgpr 21
		.amdhsa_reserve_vcc 1
		.amdhsa_reserve_flat_scratch 0
		.amdhsa_float_round_mode_32 0
		.amdhsa_float_round_mode_16_64 0
		.amdhsa_float_denorm_mode_32 3
		.amdhsa_float_denorm_mode_16_64 3
		.amdhsa_dx10_clamp 1
		.amdhsa_ieee_mode 1
		.amdhsa_fp16_overflow 0
		.amdhsa_exception_fp_ieee_invalid_op 0
		.amdhsa_exception_fp_denorm_src 0
		.amdhsa_exception_fp_ieee_div_zero 0
		.amdhsa_exception_fp_ieee_overflow 0
		.amdhsa_exception_fp_ieee_underflow 0
		.amdhsa_exception_fp_ieee_inexact 0
		.amdhsa_exception_int_div_zero 0
	.end_amdhsa_kernel
	.section	.text._ZN9rocsolver6v33100L18getri_kernel_smallILi29EdPKPdEEvT1_iilPiilS6_bb,"axG",@progbits,_ZN9rocsolver6v33100L18getri_kernel_smallILi29EdPKPdEEvT1_iilPiilS6_bb,comdat
.Lfunc_end92:
	.size	_ZN9rocsolver6v33100L18getri_kernel_smallILi29EdPKPdEEvT1_iilPiilS6_bb, .Lfunc_end92-_ZN9rocsolver6v33100L18getri_kernel_smallILi29EdPKPdEEvT1_iilPiilS6_bb
                                        ; -- End function
	.set _ZN9rocsolver6v33100L18getri_kernel_smallILi29EdPKPdEEvT1_iilPiilS6_bb.num_vgpr, 96
	.set _ZN9rocsolver6v33100L18getri_kernel_smallILi29EdPKPdEEvT1_iilPiilS6_bb.num_agpr, 0
	.set _ZN9rocsolver6v33100L18getri_kernel_smallILi29EdPKPdEEvT1_iilPiilS6_bb.numbered_sgpr, 21
	.set _ZN9rocsolver6v33100L18getri_kernel_smallILi29EdPKPdEEvT1_iilPiilS6_bb.num_named_barrier, 0
	.set _ZN9rocsolver6v33100L18getri_kernel_smallILi29EdPKPdEEvT1_iilPiilS6_bb.private_seg_size, 240
	.set _ZN9rocsolver6v33100L18getri_kernel_smallILi29EdPKPdEEvT1_iilPiilS6_bb.uses_vcc, 1
	.set _ZN9rocsolver6v33100L18getri_kernel_smallILi29EdPKPdEEvT1_iilPiilS6_bb.uses_flat_scratch, 0
	.set _ZN9rocsolver6v33100L18getri_kernel_smallILi29EdPKPdEEvT1_iilPiilS6_bb.has_dyn_sized_stack, 0
	.set _ZN9rocsolver6v33100L18getri_kernel_smallILi29EdPKPdEEvT1_iilPiilS6_bb.has_recursion, 0
	.set _ZN9rocsolver6v33100L18getri_kernel_smallILi29EdPKPdEEvT1_iilPiilS6_bb.has_indirect_call, 0
	.section	.AMDGPU.csdata,"",@progbits
; Kernel info:
; codeLenInByte = 27520
; TotalNumSgprs: 25
; NumVgprs: 96
; ScratchSize: 240
; MemoryBound: 0
; FloatMode: 240
; IeeeMode: 1
; LDSByteSize: 472 bytes/workgroup (compile time only)
; SGPRBlocks: 3
; VGPRBlocks: 23
; NumSGPRsForWavesPerEU: 25
; NumVGPRsForWavesPerEU: 96
; Occupancy: 2
; WaveLimiterHint : 1
; COMPUTE_PGM_RSRC2:SCRATCH_EN: 1
; COMPUTE_PGM_RSRC2:USER_SGPR: 6
; COMPUTE_PGM_RSRC2:TRAP_HANDLER: 0
; COMPUTE_PGM_RSRC2:TGID_X_EN: 1
; COMPUTE_PGM_RSRC2:TGID_Y_EN: 0
; COMPUTE_PGM_RSRC2:TGID_Z_EN: 0
; COMPUTE_PGM_RSRC2:TIDIG_COMP_CNT: 0
	.section	.text._ZN9rocsolver6v33100L18getri_kernel_smallILi30EdPKPdEEvT1_iilPiilS6_bb,"axG",@progbits,_ZN9rocsolver6v33100L18getri_kernel_smallILi30EdPKPdEEvT1_iilPiilS6_bb,comdat
	.globl	_ZN9rocsolver6v33100L18getri_kernel_smallILi30EdPKPdEEvT1_iilPiilS6_bb ; -- Begin function _ZN9rocsolver6v33100L18getri_kernel_smallILi30EdPKPdEEvT1_iilPiilS6_bb
	.p2align	8
	.type	_ZN9rocsolver6v33100L18getri_kernel_smallILi30EdPKPdEEvT1_iilPiilS6_bb,@function
_ZN9rocsolver6v33100L18getri_kernel_smallILi30EdPKPdEEvT1_iilPiilS6_bb: ; @_ZN9rocsolver6v33100L18getri_kernel_smallILi30EdPKPdEEvT1_iilPiilS6_bb
; %bb.0:
	s_add_u32 s0, s0, s7
	s_addc_u32 s1, s1, 0
	v_cmp_gt_u32_e32 vcc, 30, v0
	s_and_saveexec_b64 s[8:9], vcc
	s_cbranch_execz .LBB93_128
; %bb.1:
	s_load_dword s18, s[4:5], 0x38
	s_load_dwordx2 s[12:13], s[4:5], 0x0
	s_load_dwordx4 s[8:11], s[4:5], 0x28
	s_waitcnt lgkmcnt(0)
	s_bitcmp1_b32 s18, 8
	s_cselect_b64 s[14:15], -1, 0
	s_ashr_i32 s7, s6, 31
	s_lshl_b64 s[16:17], s[6:7], 3
	s_add_u32 s12, s12, s16
	s_addc_u32 s13, s13, s17
	s_load_dwordx2 s[16:17], s[12:13], 0x0
	s_bfe_u32 s12, s18, 0x10008
	s_cmp_eq_u32 s12, 0
                                        ; implicit-def: $sgpr12_sgpr13
	s_cbranch_scc1 .LBB93_3
; %bb.2:
	s_load_dword s12, s[4:5], 0x20
	s_load_dwordx2 s[18:19], s[4:5], 0x18
	s_mul_i32 s13, s8, s7
	s_mul_hi_u32 s20, s8, s6
	s_add_i32 s20, s20, s13
	s_mul_i32 s9, s9, s6
	s_add_i32 s9, s20, s9
	s_mul_i32 s8, s8, s6
	s_waitcnt lgkmcnt(0)
	s_ashr_i32 s13, s12, 31
	s_lshl_b64 s[8:9], s[8:9], 2
	s_add_u32 s18, s18, s8
	s_addc_u32 s19, s19, s9
	s_lshl_b64 s[8:9], s[12:13], 2
	s_add_u32 s12, s18, s8
	s_addc_u32 s13, s19, s9
.LBB93_3:
	s_load_dwordx2 s[8:9], s[4:5], 0x8
	s_load_dword s18, s[4:5], 0x38
	v_lshlrev_b32_e32 v63, 3, v0
	s_waitcnt lgkmcnt(0)
	s_ashr_i32 s5, s8, 31
	s_mov_b32 s4, s8
	s_lshl_b64 s[4:5], s[4:5], 3
	s_add_u32 s4, s16, s4
	s_addc_u32 s5, s17, s5
	v_mov_b32_e32 v2, s5
	v_add_co_u32_e32 v1, vcc, s4, v63
	v_addc_co_u32_e32 v2, vcc, 0, v2, vcc
	flat_load_dwordx2 v[5:6], v[1:2]
	s_mov_b32 s16, s9
	s_ashr_i32 s17, s9, 31
	s_lshl_b64 s[16:17], s[16:17], 3
	v_mov_b32_e32 v4, s17
	v_add_co_u32_e32 v3, vcc, s16, v1
	v_addc_co_u32_e32 v4, vcc, v2, v4, vcc
	s_add_i32 s8, s9, s9
	v_add_u32_e32 v9, s8, v0
	v_ashrrev_i32_e32 v10, 31, v9
	v_mov_b32_e32 v11, s5
	v_add_u32_e32 v12, s9, v9
	v_ashrrev_i32_e32 v13, 31, v12
	v_mov_b32_e32 v14, s5
	v_mov_b32_e32 v15, s5
	v_mov_b32_e32 v17, s5
	v_mov_b32_e32 v20, s5
	v_mov_b32_e32 v21, s5
	v_mov_b32_e32 v23, s5
	v_mov_b32_e32 v26, s5
	v_mov_b32_e32 v27, s5
	v_mov_b32_e32 v29, s5
	v_mov_b32_e32 v32, s5
	v_mov_b32_e32 v33, s5
	v_mov_b32_e32 v35, s5
	v_mov_b32_e32 v38, s5
	v_mov_b32_e32 v39, s5
	v_mov_b32_e32 v41, s5
	v_mov_b32_e32 v44, s5
	v_mov_b32_e32 v45, s5
	v_mov_b32_e32 v47, s5
	v_mov_b32_e32 v50, s5
	v_mov_b32_e32 v51, s5
	v_mov_b32_e32 v53, s5
	v_mov_b32_e32 v56, s5
	v_mov_b32_e32 v57, s5
	v_mov_b32_e32 v59, s5
	v_mov_b32_e32 v62, s5
	v_mov_b32_e32 v64, s5
	s_bitcmp0_b32 s18, 0
	s_waitcnt vmcnt(0) lgkmcnt(0)
	buffer_store_dword v6, off, s[0:3], 0 offset:4
	buffer_store_dword v5, off, s[0:3], 0
	flat_load_dwordx2 v[7:8], v[3:4]
	v_lshlrev_b64 v[5:6], 3, v[9:10]
	s_waitcnt vmcnt(0) lgkmcnt(0)
	buffer_store_dword v8, off, s[0:3], 0 offset:12
	buffer_store_dword v7, off, s[0:3], 0 offset:8
	v_add_co_u32_e32 v5, vcc, s4, v5
	v_addc_co_u32_e32 v6, vcc, v11, v6, vcc
	flat_load_dwordx2 v[10:11], v[5:6]
	v_lshlrev_b64 v[7:8], 3, v[12:13]
	s_waitcnt vmcnt(0) lgkmcnt(0)
	buffer_store_dword v11, off, s[0:3], 0 offset:20
	buffer_store_dword v10, off, s[0:3], 0 offset:16
	v_add_co_u32_e32 v7, vcc, s4, v7
	v_addc_co_u32_e32 v8, vcc, v14, v8, vcc
	flat_load_dwordx2 v[13:14], v[7:8]
	v_add_u32_e32 v11, s9, v12
	v_ashrrev_i32_e32 v12, 31, v11
	v_lshlrev_b64 v[9:10], 3, v[11:12]
	s_waitcnt vmcnt(0) lgkmcnt(0)
	buffer_store_dword v14, off, s[0:3], 0 offset:28
	buffer_store_dword v13, off, s[0:3], 0 offset:24
	v_add_co_u32_e32 v9, vcc, s4, v9
	v_addc_co_u32_e32 v10, vcc, v15, v10, vcc
	flat_load_dwordx2 v[13:14], v[9:10]
	v_add_u32_e32 v15, s9, v11
	v_ashrrev_i32_e32 v16, 31, v15
	v_lshlrev_b64 v[11:12], 3, v[15:16]
	v_add_u32_e32 v18, s9, v15
	v_add_co_u32_e32 v11, vcc, s4, v11
	v_addc_co_u32_e32 v12, vcc, v17, v12, vcc
	v_ashrrev_i32_e32 v19, 31, v18
	s_waitcnt vmcnt(0) lgkmcnt(0)
	buffer_store_dword v14, off, s[0:3], 0 offset:36
	buffer_store_dword v13, off, s[0:3], 0 offset:32
	flat_load_dwordx2 v[16:17], v[11:12]
	v_lshlrev_b64 v[13:14], 3, v[18:19]
	s_waitcnt vmcnt(0) lgkmcnt(0)
	buffer_store_dword v17, off, s[0:3], 0 offset:44
	buffer_store_dword v16, off, s[0:3], 0 offset:40
	v_add_co_u32_e32 v13, vcc, s4, v13
	v_addc_co_u32_e32 v14, vcc, v20, v14, vcc
	flat_load_dwordx2 v[19:20], v[13:14]
	v_add_u32_e32 v17, s9, v18
	v_ashrrev_i32_e32 v18, 31, v17
	v_lshlrev_b64 v[15:16], 3, v[17:18]
	s_waitcnt vmcnt(0) lgkmcnt(0)
	buffer_store_dword v20, off, s[0:3], 0 offset:52
	buffer_store_dword v19, off, s[0:3], 0 offset:48
	v_add_co_u32_e32 v15, vcc, s4, v15
	v_addc_co_u32_e32 v16, vcc, v21, v16, vcc
	flat_load_dwordx2 v[19:20], v[15:16]
	v_add_u32_e32 v21, s9, v17
	v_ashrrev_i32_e32 v22, 31, v21
	v_lshlrev_b64 v[17:18], 3, v[21:22]
	v_add_u32_e32 v24, s9, v21
	v_add_co_u32_e32 v17, vcc, s4, v17
	v_addc_co_u32_e32 v18, vcc, v23, v18, vcc
	v_ashrrev_i32_e32 v25, 31, v24
	s_waitcnt vmcnt(0) lgkmcnt(0)
	buffer_store_dword v20, off, s[0:3], 0 offset:60
	buffer_store_dword v19, off, s[0:3], 0 offset:56
	;; [unrolled: 27-line block ×7, first 2 shown]
	flat_load_dwordx2 v[52:53], v[47:48]
	v_lshlrev_b64 v[49:50], 3, v[54:55]
	s_waitcnt vmcnt(0) lgkmcnt(0)
	buffer_store_dword v53, off, s[0:3], 0 offset:188
	buffer_store_dword v52, off, s[0:3], 0 offset:184
	v_add_co_u32_e32 v49, vcc, s4, v49
	v_addc_co_u32_e32 v50, vcc, v56, v50, vcc
	flat_load_dwordx2 v[55:56], v[49:50]
	v_add_u32_e32 v53, s9, v54
	v_ashrrev_i32_e32 v54, 31, v53
	v_lshlrev_b64 v[51:52], 3, v[53:54]
	s_waitcnt vmcnt(0) lgkmcnt(0)
	buffer_store_dword v56, off, s[0:3], 0 offset:196
	buffer_store_dword v55, off, s[0:3], 0 offset:192
	v_add_co_u32_e32 v51, vcc, s4, v51
	v_addc_co_u32_e32 v52, vcc, v57, v52, vcc
	flat_load_dwordx2 v[55:56], v[51:52]
	v_add_u32_e32 v57, s9, v53
	v_ashrrev_i32_e32 v58, 31, v57
	v_lshlrev_b64 v[53:54], 3, v[57:58]
	v_add_u32_e32 v60, s9, v57
	v_add_co_u32_e32 v53, vcc, s4, v53
	v_addc_co_u32_e32 v54, vcc, v59, v54, vcc
	s_waitcnt vmcnt(0) lgkmcnt(0)
	buffer_store_dword v56, off, s[0:3], 0 offset:204
	buffer_store_dword v55, off, s[0:3], 0 offset:200
	flat_load_dwordx2 v[58:59], v[53:54]
	v_ashrrev_i32_e32 v61, 31, v60
	v_lshlrev_b64 v[55:56], 3, v[60:61]
	s_waitcnt vmcnt(0) lgkmcnt(0)
	buffer_store_dword v59, off, s[0:3], 0 offset:212
	buffer_store_dword v58, off, s[0:3], 0 offset:208
	v_add_co_u32_e32 v55, vcc, s4, v55
	v_addc_co_u32_e32 v56, vcc, v62, v56, vcc
	flat_load_dwordx2 v[61:62], v[55:56]
	v_add_u32_e32 v59, s9, v60
	v_ashrrev_i32_e32 v60, 31, v59
	v_lshlrev_b64 v[57:58], 3, v[59:60]
	s_waitcnt vmcnt(0) lgkmcnt(0)
	buffer_store_dword v62, off, s[0:3], 0 offset:220
	buffer_store_dword v61, off, s[0:3], 0 offset:216
	v_add_co_u32_e32 v57, vcc, s4, v57
	v_addc_co_u32_e32 v58, vcc, v64, v58, vcc
	flat_load_dwordx2 v[61:62], v[57:58]
	v_add_u32_e32 v59, s9, v59
	v_ashrrev_i32_e32 v60, 31, v59
	v_lshlrev_b64 v[59:60], 3, v[59:60]
	s_waitcnt vmcnt(0) lgkmcnt(0)
	buffer_store_dword v62, off, s[0:3], 0 offset:228
	buffer_store_dword v61, off, s[0:3], 0 offset:224
	v_add_co_u32_e32 v59, vcc, s4, v59
	v_addc_co_u32_e32 v60, vcc, v64, v60, vcc
	flat_load_dwordx2 v[61:62], v[59:60]
	s_mov_b64 s[8:9], -1
	s_waitcnt vmcnt(0) lgkmcnt(0)
	buffer_store_dword v62, off, s[0:3], 0 offset:236
	buffer_store_dword v61, off, s[0:3], 0 offset:232
	s_cbranch_scc1 .LBB93_126
; %bb.4:
	v_cmp_eq_u32_e64 s[4:5], 0, v0
	s_and_saveexec_b64 s[8:9], s[4:5]
; %bb.5:
	v_mov_b32_e32 v61, 0
	ds_write_b32 v61, v61 offset:480
; %bb.6:
	s_or_b64 exec, exec, s[8:9]
	v_mov_b32_e32 v61, 0
	v_lshl_add_u32 v61, v0, 3, v61
	s_waitcnt lgkmcnt(0)
	; wave barrier
	buffer_load_dword v64, v61, s[0:3], 0 offen
	buffer_load_dword v65, v61, s[0:3], 0 offen offset:4
	s_waitcnt vmcnt(0)
	v_cmp_eq_f64_e32 vcc, 0, v[64:65]
	s_and_saveexec_b64 s[16:17], vcc
	s_cbranch_execz .LBB93_10
; %bb.7:
	v_mov_b32_e32 v62, 0
	ds_read_b32 v65, v62 offset:480
	v_add_u32_e32 v64, 1, v0
	s_waitcnt lgkmcnt(0)
	v_readfirstlane_b32 s8, v65
	s_cmp_eq_u32 s8, 0
	s_cselect_b64 s[18:19], -1, 0
	v_cmp_gt_i32_e32 vcc, s8, v64
	s_or_b64 s[18:19], s[18:19], vcc
	s_and_b64 exec, exec, s[18:19]
	s_cbranch_execz .LBB93_10
; %bb.8:
	s_mov_b64 s[18:19], 0
	v_mov_b32_e32 v65, s8
.LBB93_9:                               ; =>This Inner Loop Header: Depth=1
	ds_cmpst_rtn_b32 v65, v62, v65, v64 offset:480
	s_waitcnt lgkmcnt(0)
	v_cmp_ne_u32_e32 vcc, 0, v65
	v_cmp_le_i32_e64 s[8:9], v65, v64
	s_and_b64 s[8:9], vcc, s[8:9]
	s_and_b64 s[8:9], exec, s[8:9]
	s_or_b64 s[18:19], s[8:9], s[18:19]
	s_andn2_b64 exec, exec, s[18:19]
	s_cbranch_execnz .LBB93_9
.LBB93_10:
	s_or_b64 exec, exec, s[16:17]
	v_mov_b32_e32 v64, 0
	; wave barrier
	ds_read_b32 v62, v64 offset:480
	s_and_saveexec_b64 s[8:9], s[4:5]
	s_cbranch_execz .LBB93_12
; %bb.11:
	s_lshl_b64 s[16:17], s[6:7], 2
	s_add_u32 s16, s10, s16
	s_addc_u32 s17, s11, s17
	s_waitcnt lgkmcnt(0)
	global_store_dword v64, v62, s[16:17]
.LBB93_12:
	s_or_b64 exec, exec, s[8:9]
	s_waitcnt lgkmcnt(0)
	v_cmp_ne_u32_e32 vcc, 0, v62
	s_mov_b64 s[8:9], 0
	s_cbranch_vccnz .LBB93_126
; %bb.13:
	buffer_load_dword v64, v61, s[0:3], 0 offen
	buffer_load_dword v65, v61, s[0:3], 0 offen offset:4
	s_waitcnt vmcnt(0)
	v_div_scale_f64 v[66:67], s[8:9], v[64:65], v[64:65], 1.0
	v_rcp_f64_e32 v[68:69], v[66:67]
	v_fma_f64 v[70:71], -v[66:67], v[68:69], 1.0
	v_fma_f64 v[68:69], v[68:69], v[70:71], v[68:69]
	v_div_scale_f64 v[70:71], vcc, 1.0, v[64:65], 1.0
	v_fma_f64 v[72:73], -v[66:67], v[68:69], 1.0
	v_fma_f64 v[68:69], v[68:69], v[72:73], v[68:69]
	v_mul_f64 v[72:73], v[70:71], v[68:69]
	v_fma_f64 v[66:67], -v[66:67], v[72:73], v[70:71]
	v_div_fmas_f64 v[66:67], v[66:67], v[68:69], v[72:73]
	v_div_fixup_f64 v[65:66], v[66:67], v[64:65], 1.0
	v_add_u32_e32 v64, 0xf0, v63
	buffer_store_dword v66, v61, s[0:3], 0 offen offset:4
	buffer_store_dword v65, v61, s[0:3], 0 offen
	buffer_load_dword v68, off, s[0:3], 0 offset:12
	buffer_load_dword v67, off, s[0:3], 0 offset:8
	v_xor_b32_e32 v66, 0x80000000, v66
	s_waitcnt vmcnt(0)
	ds_write2_b64 v63, v[65:66], v[67:68] offset1:30
	s_waitcnt lgkmcnt(0)
	; wave barrier
	s_and_saveexec_b64 s[8:9], s[4:5]
	s_cbranch_execz .LBB93_15
; %bb.14:
	buffer_load_dword v65, v61, s[0:3], 0 offen
	buffer_load_dword v66, v61, s[0:3], 0 offen offset:4
	ds_read_b64 v[67:68], v64
	v_mov_b32_e32 v62, 0
	ds_read_b64 v[69:70], v62 offset:8
	s_waitcnt vmcnt(0) lgkmcnt(1)
	v_fma_f64 v[65:66], v[65:66], v[67:68], 0
	s_waitcnt lgkmcnt(0)
	v_mul_f64 v[65:66], v[65:66], v[69:70]
	buffer_store_dword v65, off, s[0:3], 0 offset:8
	buffer_store_dword v66, off, s[0:3], 0 offset:12
.LBB93_15:
	s_or_b64 exec, exec, s[8:9]
	; wave barrier
	buffer_load_dword v65, off, s[0:3], 0 offset:16
	buffer_load_dword v66, off, s[0:3], 0 offset:20
	v_cmp_gt_u32_e32 vcc, 2, v0
	s_waitcnt vmcnt(0)
	ds_write_b64 v64, v[65:66]
	s_waitcnt lgkmcnt(0)
	; wave barrier
	s_and_saveexec_b64 s[8:9], vcc
	s_cbranch_execz .LBB93_17
; %bb.16:
	buffer_load_dword v65, v61, s[0:3], 0 offen
	buffer_load_dword v66, v61, s[0:3], 0 offen offset:4
                                        ; kill: killed $vgpr61
	s_nop 0
	buffer_load_dword v61, off, s[0:3], 0 offset:8
	buffer_load_dword v62, off, s[0:3], 0 offset:12
	ds_read_b64 v[67:68], v64
	s_waitcnt vmcnt(2) lgkmcnt(0)
	v_fma_f64 v[69:70], v[65:66], v[67:68], 0
	v_mov_b32_e32 v65, 0
	ds_read2_b64 v[65:68], v65 offset0:2 offset1:31
	s_waitcnt vmcnt(0) lgkmcnt(0)
	v_fma_f64 v[61:62], v[61:62], v[67:68], v[69:70]
	v_cndmask_b32_e64 v62, v70, v62, s[4:5]
	v_cndmask_b32_e64 v61, v69, v61, s[4:5]
	v_mul_f64 v[61:62], v[61:62], v[65:66]
	buffer_store_dword v62, off, s[0:3], 0 offset:20
	buffer_store_dword v61, off, s[0:3], 0 offset:16
.LBB93_17:
	s_or_b64 exec, exec, s[8:9]
	; wave barrier
	buffer_load_dword v61, off, s[0:3], 0 offset:24
	buffer_load_dword v62, off, s[0:3], 0 offset:28
	v_cmp_gt_u32_e32 vcc, 3, v0
	v_add_u32_e32 v65, -1, v0
	s_waitcnt vmcnt(0)
	ds_write_b64 v64, v[61:62]
	s_waitcnt lgkmcnt(0)
	; wave barrier
	s_and_saveexec_b64 s[4:5], vcc
	s_cbranch_execz .LBB93_21
; %bb.18:
	v_mov_b32_e32 v61, 0
	v_add_u32_e32 v66, -1, v0
	v_add_u32_e32 v67, 0xf0, v63
	v_mov_b32_e32 v68, v63
	v_mov_b32_e32 v62, 0
	s_mov_b64 s[8:9], 0
.LBB93_19:                              ; =>This Inner Loop Header: Depth=1
	buffer_load_dword v69, v68, s[0:3], 0 offen
	buffer_load_dword v70, v68, s[0:3], 0 offen offset:4
	ds_read_b64 v[71:72], v67
	v_add_u32_e32 v66, 1, v66
	v_cmp_lt_u32_e32 vcc, 1, v66
	v_add_u32_e32 v67, 8, v67
	s_or_b64 s[8:9], vcc, s[8:9]
	v_add_u32_e32 v68, 8, v68
	s_waitcnt vmcnt(0) lgkmcnt(0)
	v_fma_f64 v[61:62], v[69:70], v[71:72], v[61:62]
	s_andn2_b64 exec, exec, s[8:9]
	s_cbranch_execnz .LBB93_19
; %bb.20:
	s_or_b64 exec, exec, s[8:9]
	v_mov_b32_e32 v66, 0
	ds_read_b64 v[66:67], v66 offset:24
	s_waitcnt lgkmcnt(0)
	v_mul_f64 v[61:62], v[61:62], v[66:67]
	buffer_store_dword v62, off, s[0:3], 0 offset:28
	buffer_store_dword v61, off, s[0:3], 0 offset:24
.LBB93_21:
	s_or_b64 exec, exec, s[4:5]
	; wave barrier
	buffer_load_dword v61, off, s[0:3], 0 offset:32
	buffer_load_dword v62, off, s[0:3], 0 offset:36
	v_cmp_gt_u32_e32 vcc, 4, v0
	s_waitcnt vmcnt(0)
	ds_write_b64 v64, v[61:62]
	s_waitcnt lgkmcnt(0)
	; wave barrier
	s_and_saveexec_b64 s[4:5], vcc
	s_cbranch_execz .LBB93_25
; %bb.22:
	v_mov_b32_e32 v61, 0
	v_add_u32_e32 v66, -1, v0
	v_add_u32_e32 v67, 0xf0, v63
	v_mov_b32_e32 v68, v63
	v_mov_b32_e32 v62, 0
	s_mov_b64 s[8:9], 0
.LBB93_23:                              ; =>This Inner Loop Header: Depth=1
	buffer_load_dword v69, v68, s[0:3], 0 offen
	buffer_load_dword v70, v68, s[0:3], 0 offen offset:4
	ds_read_b64 v[71:72], v67
	v_add_u32_e32 v66, 1, v66
	v_cmp_lt_u32_e32 vcc, 2, v66
	v_add_u32_e32 v67, 8, v67
	s_or_b64 s[8:9], vcc, s[8:9]
	v_add_u32_e32 v68, 8, v68
	s_waitcnt vmcnt(0) lgkmcnt(0)
	v_fma_f64 v[61:62], v[69:70], v[71:72], v[61:62]
	s_andn2_b64 exec, exec, s[8:9]
	s_cbranch_execnz .LBB93_23
; %bb.24:
	s_or_b64 exec, exec, s[8:9]
	v_mov_b32_e32 v66, 0
	ds_read_b64 v[66:67], v66 offset:32
	s_waitcnt lgkmcnt(0)
	v_mul_f64 v[61:62], v[61:62], v[66:67]
	buffer_store_dword v62, off, s[0:3], 0 offset:36
	buffer_store_dword v61, off, s[0:3], 0 offset:32
.LBB93_25:
	s_or_b64 exec, exec, s[4:5]
	; wave barrier
	buffer_load_dword v61, off, s[0:3], 0 offset:40
	buffer_load_dword v62, off, s[0:3], 0 offset:44
	v_cmp_gt_u32_e32 vcc, 5, v0
	;; [unrolled: 40-line block ×21, first 2 shown]
	s_waitcnt vmcnt(0)
	ds_write_b64 v64, v[61:62]
	s_waitcnt lgkmcnt(0)
	; wave barrier
	s_and_saveexec_b64 s[4:5], vcc
	s_cbranch_execz .LBB93_105
; %bb.102:
	v_mov_b32_e32 v61, 0
	v_add_u32_e32 v66, -1, v0
	v_add_u32_e32 v67, 0xf0, v63
	v_mov_b32_e32 v68, v63
	v_mov_b32_e32 v62, 0
	s_mov_b64 s[8:9], 0
.LBB93_103:                             ; =>This Inner Loop Header: Depth=1
	buffer_load_dword v69, v68, s[0:3], 0 offen
	buffer_load_dword v70, v68, s[0:3], 0 offen offset:4
	ds_read_b64 v[71:72], v67
	v_add_u32_e32 v66, 1, v66
	v_cmp_lt_u32_e32 vcc, 22, v66
	v_add_u32_e32 v67, 8, v67
	s_or_b64 s[8:9], vcc, s[8:9]
	v_add_u32_e32 v68, 8, v68
	s_waitcnt vmcnt(0) lgkmcnt(0)
	v_fma_f64 v[61:62], v[69:70], v[71:72], v[61:62]
	s_andn2_b64 exec, exec, s[8:9]
	s_cbranch_execnz .LBB93_103
; %bb.104:
	s_or_b64 exec, exec, s[8:9]
	v_mov_b32_e32 v66, 0
	ds_read_b64 v[66:67], v66 offset:192
	s_waitcnt lgkmcnt(0)
	v_mul_f64 v[61:62], v[61:62], v[66:67]
	buffer_store_dword v62, off, s[0:3], 0 offset:196
	buffer_store_dword v61, off, s[0:3], 0 offset:192
.LBB93_105:
	s_or_b64 exec, exec, s[4:5]
	; wave barrier
	buffer_load_dword v61, off, s[0:3], 0 offset:200
	buffer_load_dword v62, off, s[0:3], 0 offset:204
	v_cmp_gt_u32_e32 vcc, 25, v0
	s_waitcnt vmcnt(0)
	ds_write_b64 v64, v[61:62]
	s_waitcnt lgkmcnt(0)
	; wave barrier
	s_and_saveexec_b64 s[4:5], vcc
	s_cbranch_execz .LBB93_109
; %bb.106:
	v_mov_b32_e32 v61, 0
	v_add_u32_e32 v66, -1, v0
	v_add_u32_e32 v67, 0xf0, v63
	v_mov_b32_e32 v68, v63
	v_mov_b32_e32 v62, 0
	s_mov_b64 s[8:9], 0
.LBB93_107:                             ; =>This Inner Loop Header: Depth=1
	buffer_load_dword v69, v68, s[0:3], 0 offen
	buffer_load_dword v70, v68, s[0:3], 0 offen offset:4
	ds_read_b64 v[71:72], v67
	v_add_u32_e32 v66, 1, v66
	v_cmp_lt_u32_e32 vcc, 23, v66
	v_add_u32_e32 v67, 8, v67
	s_or_b64 s[8:9], vcc, s[8:9]
	v_add_u32_e32 v68, 8, v68
	s_waitcnt vmcnt(0) lgkmcnt(0)
	v_fma_f64 v[61:62], v[69:70], v[71:72], v[61:62]
	s_andn2_b64 exec, exec, s[8:9]
	s_cbranch_execnz .LBB93_107
; %bb.108:
	s_or_b64 exec, exec, s[8:9]
	v_mov_b32_e32 v66, 0
	ds_read_b64 v[66:67], v66 offset:200
	s_waitcnt lgkmcnt(0)
	v_mul_f64 v[61:62], v[61:62], v[66:67]
	buffer_store_dword v62, off, s[0:3], 0 offset:204
	buffer_store_dword v61, off, s[0:3], 0 offset:200
.LBB93_109:
	s_or_b64 exec, exec, s[4:5]
	; wave barrier
	buffer_load_dword v61, off, s[0:3], 0 offset:208
	buffer_load_dword v62, off, s[0:3], 0 offset:212
	v_cmp_gt_u32_e32 vcc, 26, v0
	;; [unrolled: 40-line block ×4, first 2 shown]
	s_waitcnt vmcnt(0)
	ds_write_b64 v64, v[61:62]
	s_waitcnt lgkmcnt(0)
	; wave barrier
	s_and_saveexec_b64 s[4:5], vcc
	s_cbranch_execz .LBB93_121
; %bb.118:
	v_mov_b32_e32 v61, 0
	v_add_u32_e32 v66, -1, v0
	v_add_u32_e32 v67, 0xf0, v63
	v_mov_b32_e32 v68, v63
	v_mov_b32_e32 v62, 0
	s_mov_b64 s[8:9], 0
.LBB93_119:                             ; =>This Inner Loop Header: Depth=1
	buffer_load_dword v69, v68, s[0:3], 0 offen
	buffer_load_dword v70, v68, s[0:3], 0 offen offset:4
	ds_read_b64 v[71:72], v67
	v_add_u32_e32 v66, 1, v66
	v_cmp_lt_u32_e32 vcc, 26, v66
	v_add_u32_e32 v67, 8, v67
	s_or_b64 s[8:9], vcc, s[8:9]
	v_add_u32_e32 v68, 8, v68
	s_waitcnt vmcnt(0) lgkmcnt(0)
	v_fma_f64 v[61:62], v[69:70], v[71:72], v[61:62]
	s_andn2_b64 exec, exec, s[8:9]
	s_cbranch_execnz .LBB93_119
; %bb.120:
	s_or_b64 exec, exec, s[8:9]
	v_mov_b32_e32 v66, 0
	ds_read_b64 v[66:67], v66 offset:224
	s_waitcnt lgkmcnt(0)
	v_mul_f64 v[61:62], v[61:62], v[66:67]
	buffer_store_dword v62, off, s[0:3], 0 offset:228
	buffer_store_dword v61, off, s[0:3], 0 offset:224
.LBB93_121:
	s_or_b64 exec, exec, s[4:5]
	; wave barrier
	buffer_load_dword v61, off, s[0:3], 0 offset:232
	buffer_load_dword v62, off, s[0:3], 0 offset:236
	v_cmp_ne_u32_e32 vcc, 29, v0
	s_waitcnt vmcnt(0)
	ds_write_b64 v64, v[61:62]
	s_waitcnt lgkmcnt(0)
	; wave barrier
	s_and_saveexec_b64 s[4:5], vcc
	s_cbranch_execz .LBB93_125
; %bb.122:
	v_mov_b32_e32 v61, 0
	v_add_u32_e32 v64, 0xf0, v63
	v_mov_b32_e32 v62, 0
	s_mov_b64 s[8:9], 0
.LBB93_123:                             ; =>This Inner Loop Header: Depth=1
	buffer_load_dword v66, v63, s[0:3], 0 offen
	buffer_load_dword v67, v63, s[0:3], 0 offen offset:4
	ds_read_b64 v[68:69], v64
	v_add_u32_e32 v65, 1, v65
	v_cmp_lt_u32_e32 vcc, 27, v65
	v_add_u32_e32 v64, 8, v64
	s_or_b64 s[8:9], vcc, s[8:9]
	v_add_u32_e32 v63, 8, v63
	s_waitcnt vmcnt(0) lgkmcnt(0)
	v_fma_f64 v[61:62], v[66:67], v[68:69], v[61:62]
	s_andn2_b64 exec, exec, s[8:9]
	s_cbranch_execnz .LBB93_123
; %bb.124:
	s_or_b64 exec, exec, s[8:9]
	v_mov_b32_e32 v63, 0
	ds_read_b64 v[63:64], v63 offset:232
	s_waitcnt lgkmcnt(0)
	v_mul_f64 v[61:62], v[61:62], v[63:64]
	buffer_store_dword v62, off, s[0:3], 0 offset:236
	buffer_store_dword v61, off, s[0:3], 0 offset:232
.LBB93_125:
	s_or_b64 exec, exec, s[4:5]
	s_mov_b64 s[8:9], -1
	; wave barrier
.LBB93_126:
	s_and_b64 vcc, exec, s[8:9]
	s_cbranch_vccz .LBB93_128
; %bb.127:
	s_lshl_b64 s[4:5], s[6:7], 2
	s_add_u32 s4, s10, s4
	s_addc_u32 s5, s11, s5
	v_mov_b32_e32 v61, 0
	global_load_dword v61, v61, s[4:5]
	s_waitcnt vmcnt(0)
	v_cmp_ne_u32_e32 vcc, 0, v61
	s_cbranch_vccz .LBB93_129
.LBB93_128:
	s_endpgm
.LBB93_129:
	v_mov_b32_e32 v61, 0xf0
	v_lshl_add_u32 v61, v0, 3, v61
	v_cmp_eq_u32_e32 vcc, 29, v0
	s_and_saveexec_b64 s[4:5], vcc
	s_cbranch_execz .LBB93_131
; %bb.130:
	buffer_load_dword v62, off, s[0:3], 0 offset:224
	buffer_load_dword v63, off, s[0:3], 0 offset:228
	v_mov_b32_e32 v64, 0
	buffer_store_dword v64, off, s[0:3], 0 offset:224
	buffer_store_dword v64, off, s[0:3], 0 offset:228
	s_waitcnt vmcnt(2)
	ds_write_b64 v61, v[62:63]
.LBB93_131:
	s_or_b64 exec, exec, s[4:5]
	s_waitcnt lgkmcnt(0)
	; wave barrier
	buffer_load_dword v63, off, s[0:3], 0 offset:232
	buffer_load_dword v64, off, s[0:3], 0 offset:236
	;; [unrolled: 1-line block ×4, first 2 shown]
	v_mov_b32_e32 v62, 0
	ds_read_b64 v[67:68], v62 offset:472
	v_cmp_lt_u32_e32 vcc, 27, v0
	s_waitcnt vmcnt(2) lgkmcnt(0)
	v_fma_f64 v[63:64], v[63:64], v[67:68], 0
	s_waitcnt vmcnt(0)
	v_add_f64 v[63:64], v[65:66], -v[63:64]
	buffer_store_dword v63, off, s[0:3], 0 offset:224
	buffer_store_dword v64, off, s[0:3], 0 offset:228
	s_and_saveexec_b64 s[4:5], vcc
	s_cbranch_execz .LBB93_133
; %bb.132:
	buffer_load_dword v63, off, s[0:3], 0 offset:216
	buffer_load_dword v64, off, s[0:3], 0 offset:220
	s_waitcnt vmcnt(0)
	ds_write_b64 v61, v[63:64]
	buffer_store_dword v62, off, s[0:3], 0 offset:216
	buffer_store_dword v62, off, s[0:3], 0 offset:220
.LBB93_133:
	s_or_b64 exec, exec, s[4:5]
	s_waitcnt lgkmcnt(0)
	; wave barrier
	buffer_load_dword v66, off, s[0:3], 0 offset:224
	buffer_load_dword v67, off, s[0:3], 0 offset:228
	;; [unrolled: 1-line block ×6, first 2 shown]
	ds_read_b128 v[62:65], v62 offset:464
	v_cmp_lt_u32_e32 vcc, 26, v0
	s_waitcnt vmcnt(4) lgkmcnt(0)
	v_fma_f64 v[62:63], v[66:67], v[62:63], 0
	s_waitcnt vmcnt(2)
	v_fma_f64 v[62:63], v[68:69], v[64:65], v[62:63]
	s_waitcnt vmcnt(0)
	v_add_f64 v[62:63], v[70:71], -v[62:63]
	buffer_store_dword v62, off, s[0:3], 0 offset:216
	buffer_store_dword v63, off, s[0:3], 0 offset:220
	s_and_saveexec_b64 s[4:5], vcc
	s_cbranch_execz .LBB93_135
; %bb.134:
	buffer_load_dword v62, off, s[0:3], 0 offset:208
	buffer_load_dword v63, off, s[0:3], 0 offset:212
	v_mov_b32_e32 v64, 0
	buffer_store_dword v64, off, s[0:3], 0 offset:208
	buffer_store_dword v64, off, s[0:3], 0 offset:212
	s_waitcnt vmcnt(2)
	ds_write_b64 v61, v[62:63]
.LBB93_135:
	s_or_b64 exec, exec, s[4:5]
	s_waitcnt lgkmcnt(0)
	; wave barrier
	buffer_load_dword v67, off, s[0:3], 0 offset:216
	buffer_load_dword v68, off, s[0:3], 0 offset:220
	;; [unrolled: 1-line block ×8, first 2 shown]
	v_mov_b32_e32 v62, 0
	ds_read2_b64 v[63:66], v62 offset0:57 offset1:58
	ds_read_b64 v[75:76], v62 offset:472
	v_cmp_lt_u32_e32 vcc, 25, v0
	s_waitcnt vmcnt(6) lgkmcnt(1)
	v_fma_f64 v[63:64], v[67:68], v[63:64], 0
	s_waitcnt vmcnt(4)
	v_fma_f64 v[63:64], v[69:70], v[65:66], v[63:64]
	s_waitcnt vmcnt(2) lgkmcnt(0)
	v_fma_f64 v[63:64], v[71:72], v[75:76], v[63:64]
	s_waitcnt vmcnt(0)
	v_add_f64 v[63:64], v[73:74], -v[63:64]
	buffer_store_dword v63, off, s[0:3], 0 offset:208
	buffer_store_dword v64, off, s[0:3], 0 offset:212
	s_and_saveexec_b64 s[4:5], vcc
	s_cbranch_execz .LBB93_137
; %bb.136:
	buffer_load_dword v63, off, s[0:3], 0 offset:200
	buffer_load_dword v64, off, s[0:3], 0 offset:204
	s_waitcnt vmcnt(0)
	ds_write_b64 v61, v[63:64]
	buffer_store_dword v62, off, s[0:3], 0 offset:200
	buffer_store_dword v62, off, s[0:3], 0 offset:204
.LBB93_137:
	s_or_b64 exec, exec, s[4:5]
	s_waitcnt lgkmcnt(0)
	; wave barrier
	buffer_load_dword v71, off, s[0:3], 0 offset:208
	buffer_load_dword v72, off, s[0:3], 0 offset:212
	;; [unrolled: 1-line block ×10, first 2 shown]
	ds_read_b128 v[63:66], v62 offset:448
	ds_read_b128 v[67:70], v62 offset:464
	v_cmp_lt_u32_e32 vcc, 24, v0
	s_waitcnt vmcnt(8) lgkmcnt(1)
	v_fma_f64 v[62:63], v[71:72], v[63:64], 0
	s_waitcnt vmcnt(6)
	v_fma_f64 v[62:63], v[73:74], v[65:66], v[62:63]
	s_waitcnt vmcnt(4) lgkmcnt(0)
	v_fma_f64 v[62:63], v[75:76], v[67:68], v[62:63]
	s_waitcnt vmcnt(2)
	v_fma_f64 v[62:63], v[77:78], v[69:70], v[62:63]
	s_waitcnt vmcnt(0)
	v_add_f64 v[62:63], v[79:80], -v[62:63]
	buffer_store_dword v62, off, s[0:3], 0 offset:200
	buffer_store_dword v63, off, s[0:3], 0 offset:204
	s_and_saveexec_b64 s[4:5], vcc
	s_cbranch_execz .LBB93_139
; %bb.138:
	buffer_load_dword v62, off, s[0:3], 0 offset:192
	buffer_load_dword v63, off, s[0:3], 0 offset:196
	v_mov_b32_e32 v64, 0
	buffer_store_dword v64, off, s[0:3], 0 offset:192
	buffer_store_dword v64, off, s[0:3], 0 offset:196
	s_waitcnt vmcnt(2)
	ds_write_b64 v61, v[62:63]
.LBB93_139:
	s_or_b64 exec, exec, s[4:5]
	s_waitcnt lgkmcnt(0)
	; wave barrier
	buffer_load_dword v67, off, s[0:3], 0 offset:192
	buffer_load_dword v68, off, s[0:3], 0 offset:196
	;; [unrolled: 1-line block ×12, first 2 shown]
	v_mov_b32_e32 v62, 0
	ds_read2_b64 v[63:66], v62 offset0:55 offset1:56
	v_cmp_lt_u32_e32 vcc, 23, v0
	s_waitcnt vmcnt(8) lgkmcnt(0)
	v_fma_f64 v[63:64], v[69:70], v[63:64], 0
	s_waitcnt vmcnt(6)
	v_fma_f64 v[69:70], v[71:72], v[65:66], v[63:64]
	ds_read2_b64 v[63:66], v62 offset0:57 offset1:58
	s_waitcnt vmcnt(4) lgkmcnt(0)
	v_fma_f64 v[63:64], v[73:74], v[63:64], v[69:70]
	s_waitcnt vmcnt(2)
	v_fma_f64 v[63:64], v[75:76], v[65:66], v[63:64]
	ds_read_b64 v[65:66], v62 offset:472
	s_waitcnt vmcnt(0) lgkmcnt(0)
	v_fma_f64 v[63:64], v[77:78], v[65:66], v[63:64]
	v_add_f64 v[63:64], v[67:68], -v[63:64]
	buffer_store_dword v63, off, s[0:3], 0 offset:192
	buffer_store_dword v64, off, s[0:3], 0 offset:196
	s_and_saveexec_b64 s[4:5], vcc
	s_cbranch_execz .LBB93_141
; %bb.140:
	buffer_load_dword v63, off, s[0:3], 0 offset:184
	buffer_load_dword v64, off, s[0:3], 0 offset:188
	s_waitcnt vmcnt(0)
	ds_write_b64 v61, v[63:64]
	buffer_store_dword v62, off, s[0:3], 0 offset:184
	buffer_store_dword v62, off, s[0:3], 0 offset:188
.LBB93_141:
	s_or_b64 exec, exec, s[4:5]
	s_waitcnt lgkmcnt(0)
	; wave barrier
	buffer_load_dword v67, off, s[0:3], 0 offset:192
	buffer_load_dword v68, off, s[0:3], 0 offset:196
	;; [unrolled: 1-line block ×14, first 2 shown]
	ds_read_b128 v[63:66], v62 offset:432
	v_cmp_lt_u32_e32 vcc, 22, v0
	s_waitcnt vmcnt(12) lgkmcnt(0)
	v_fma_f64 v[63:64], v[67:68], v[63:64], 0
	s_waitcnt vmcnt(10)
	v_fma_f64 v[67:68], v[69:70], v[65:66], v[63:64]
	ds_read_b128 v[63:66], v62 offset:448
	s_waitcnt vmcnt(8) lgkmcnt(0)
	v_fma_f64 v[63:64], v[71:72], v[63:64], v[67:68]
	s_waitcnt vmcnt(6)
	v_fma_f64 v[66:67], v[73:74], v[65:66], v[63:64]
	ds_read_b128 v[62:65], v62 offset:464
	s_waitcnt vmcnt(4) lgkmcnt(0)
	v_fma_f64 v[62:63], v[75:76], v[62:63], v[66:67]
	s_waitcnt vmcnt(2)
	v_fma_f64 v[62:63], v[77:78], v[64:65], v[62:63]
	s_waitcnt vmcnt(0)
	v_add_f64 v[62:63], v[79:80], -v[62:63]
	buffer_store_dword v62, off, s[0:3], 0 offset:184
	buffer_store_dword v63, off, s[0:3], 0 offset:188
	s_and_saveexec_b64 s[4:5], vcc
	s_cbranch_execz .LBB93_143
; %bb.142:
	buffer_load_dword v62, off, s[0:3], 0 offset:176
	buffer_load_dword v63, off, s[0:3], 0 offset:180
	v_mov_b32_e32 v64, 0
	buffer_store_dword v64, off, s[0:3], 0 offset:176
	buffer_store_dword v64, off, s[0:3], 0 offset:180
	s_waitcnt vmcnt(2)
	ds_write_b64 v61, v[62:63]
.LBB93_143:
	s_or_b64 exec, exec, s[4:5]
	s_waitcnt lgkmcnt(0)
	; wave barrier
	buffer_load_dword v67, off, s[0:3], 0 offset:184
	buffer_load_dword v68, off, s[0:3], 0 offset:188
	;; [unrolled: 1-line block ×16, first 2 shown]
	v_mov_b32_e32 v62, 0
	ds_read2_b64 v[63:66], v62 offset0:53 offset1:54
	v_cmp_lt_u32_e32 vcc, 21, v0
	s_waitcnt vmcnt(14) lgkmcnt(0)
	v_fma_f64 v[63:64], v[67:68], v[63:64], 0
	s_waitcnt vmcnt(12)
	v_fma_f64 v[67:68], v[69:70], v[65:66], v[63:64]
	ds_read2_b64 v[63:66], v62 offset0:55 offset1:56
	s_waitcnt vmcnt(10) lgkmcnt(0)
	v_fma_f64 v[63:64], v[71:72], v[63:64], v[67:68]
	s_waitcnt vmcnt(8)
	v_fma_f64 v[67:68], v[73:74], v[65:66], v[63:64]
	ds_read2_b64 v[63:66], v62 offset0:57 offset1:58
	s_waitcnt vmcnt(6) lgkmcnt(0)
	v_fma_f64 v[63:64], v[75:76], v[63:64], v[67:68]
	s_waitcnt vmcnt(4)
	v_fma_f64 v[63:64], v[77:78], v[65:66], v[63:64]
	ds_read_b64 v[65:66], v62 offset:472
	s_waitcnt vmcnt(2) lgkmcnt(0)
	v_fma_f64 v[63:64], v[79:80], v[65:66], v[63:64]
	s_waitcnt vmcnt(0)
	v_add_f64 v[63:64], v[81:82], -v[63:64]
	buffer_store_dword v63, off, s[0:3], 0 offset:176
	buffer_store_dword v64, off, s[0:3], 0 offset:180
	s_and_saveexec_b64 s[4:5], vcc
	s_cbranch_execz .LBB93_145
; %bb.144:
	buffer_load_dword v63, off, s[0:3], 0 offset:168
	buffer_load_dword v64, off, s[0:3], 0 offset:172
	s_waitcnt vmcnt(0)
	ds_write_b64 v61, v[63:64]
	buffer_store_dword v62, off, s[0:3], 0 offset:168
	buffer_store_dword v62, off, s[0:3], 0 offset:172
.LBB93_145:
	s_or_b64 exec, exec, s[4:5]
	s_waitcnt lgkmcnt(0)
	; wave barrier
	buffer_load_dword v71, off, s[0:3], 0 offset:176
	buffer_load_dword v72, off, s[0:3], 0 offset:180
	;; [unrolled: 1-line block ×18, first 2 shown]
	ds_read_b128 v[63:66], v62 offset:416
	ds_read_b128 v[67:70], v62 offset:432
	v_cmp_lt_u32_e32 vcc, 20, v0
	s_waitcnt vmcnt(16) lgkmcnt(1)
	v_fma_f64 v[63:64], v[71:72], v[63:64], 0
	s_waitcnt vmcnt(14)
	v_fma_f64 v[63:64], v[73:74], v[65:66], v[63:64]
	s_waitcnt vmcnt(12) lgkmcnt(0)
	v_fma_f64 v[63:64], v[75:76], v[67:68], v[63:64]
	s_waitcnt vmcnt(10)
	v_fma_f64 v[71:72], v[77:78], v[69:70], v[63:64]
	ds_read_b128 v[63:66], v62 offset:448
	ds_read_b128 v[67:70], v62 offset:464
	s_waitcnt vmcnt(8) lgkmcnt(1)
	v_fma_f64 v[62:63], v[79:80], v[63:64], v[71:72]
	s_waitcnt vmcnt(6)
	v_fma_f64 v[62:63], v[81:82], v[65:66], v[62:63]
	s_waitcnt vmcnt(4) lgkmcnt(0)
	v_fma_f64 v[62:63], v[83:84], v[67:68], v[62:63]
	s_waitcnt vmcnt(2)
	v_fma_f64 v[62:63], v[85:86], v[69:70], v[62:63]
	s_waitcnt vmcnt(0)
	v_add_f64 v[62:63], v[87:88], -v[62:63]
	buffer_store_dword v62, off, s[0:3], 0 offset:168
	buffer_store_dword v63, off, s[0:3], 0 offset:172
	s_and_saveexec_b64 s[4:5], vcc
	s_cbranch_execz .LBB93_147
; %bb.146:
	buffer_load_dword v62, off, s[0:3], 0 offset:160
	buffer_load_dword v63, off, s[0:3], 0 offset:164
	v_mov_b32_e32 v64, 0
	buffer_store_dword v64, off, s[0:3], 0 offset:160
	buffer_store_dword v64, off, s[0:3], 0 offset:164
	s_waitcnt vmcnt(2)
	ds_write_b64 v61, v[62:63]
.LBB93_147:
	s_or_b64 exec, exec, s[4:5]
	s_waitcnt lgkmcnt(0)
	; wave barrier
	buffer_load_dword v71, off, s[0:3], 0 offset:168
	buffer_load_dword v72, off, s[0:3], 0 offset:172
	;; [unrolled: 1-line block ×20, first 2 shown]
	v_mov_b32_e32 v62, 0
	ds_read2_b64 v[63:66], v62 offset0:51 offset1:52
	ds_read2_b64 v[67:70], v62 offset0:53 offset1:54
	v_cmp_lt_u32_e32 vcc, 19, v0
	s_waitcnt vmcnt(18) lgkmcnt(1)
	v_fma_f64 v[63:64], v[71:72], v[63:64], 0
	s_waitcnt vmcnt(16)
	v_fma_f64 v[63:64], v[73:74], v[65:66], v[63:64]
	s_waitcnt vmcnt(14) lgkmcnt(0)
	v_fma_f64 v[63:64], v[75:76], v[67:68], v[63:64]
	s_waitcnt vmcnt(12)
	v_fma_f64 v[71:72], v[77:78], v[69:70], v[63:64]
	ds_read2_b64 v[63:66], v62 offset0:55 offset1:56
	ds_read2_b64 v[67:70], v62 offset0:57 offset1:58
	s_waitcnt vmcnt(10) lgkmcnt(1)
	v_fma_f64 v[63:64], v[79:80], v[63:64], v[71:72]
	s_waitcnt vmcnt(8)
	v_fma_f64 v[63:64], v[81:82], v[65:66], v[63:64]
	ds_read_b64 v[65:66], v62 offset:472
	s_waitcnt vmcnt(6) lgkmcnt(1)
	v_fma_f64 v[63:64], v[83:84], v[67:68], v[63:64]
	s_waitcnt vmcnt(3)
	v_fma_f64 v[63:64], v[85:86], v[69:70], v[63:64]
	s_waitcnt vmcnt(2) lgkmcnt(0)
	v_fma_f64 v[63:64], v[87:88], v[65:66], v[63:64]
	s_waitcnt vmcnt(0)
	v_add_f64 v[63:64], v[89:90], -v[63:64]
	buffer_store_dword v63, off, s[0:3], 0 offset:160
	buffer_store_dword v64, off, s[0:3], 0 offset:164
	s_and_saveexec_b64 s[4:5], vcc
	s_cbranch_execz .LBB93_149
; %bb.148:
	buffer_load_dword v63, off, s[0:3], 0 offset:152
	buffer_load_dword v64, off, s[0:3], 0 offset:156
	s_waitcnt vmcnt(0)
	ds_write_b64 v61, v[63:64]
	buffer_store_dword v62, off, s[0:3], 0 offset:152
	buffer_store_dword v62, off, s[0:3], 0 offset:156
.LBB93_149:
	s_or_b64 exec, exec, s[4:5]
	s_waitcnt lgkmcnt(0)
	; wave barrier
	buffer_load_dword v71, off, s[0:3], 0 offset:160
	buffer_load_dword v72, off, s[0:3], 0 offset:164
	;; [unrolled: 1-line block ×20, first 2 shown]
	ds_read_b128 v[63:66], v62 offset:400
	buffer_load_dword v91, off, s[0:3], 0 offset:152
	buffer_load_dword v92, off, s[0:3], 0 offset:156
	ds_read_b128 v[67:70], v62 offset:416
	v_cmp_lt_u32_e32 vcc, 18, v0
	s_waitcnt vmcnt(20) lgkmcnt(1)
	v_fma_f64 v[63:64], v[71:72], v[63:64], 0
	s_waitcnt vmcnt(18)
	v_fma_f64 v[63:64], v[73:74], v[65:66], v[63:64]
	s_waitcnt vmcnt(16) lgkmcnt(0)
	v_fma_f64 v[63:64], v[75:76], v[67:68], v[63:64]
	s_waitcnt vmcnt(14)
	v_fma_f64 v[71:72], v[77:78], v[69:70], v[63:64]
	ds_read_b128 v[63:66], v62 offset:432
	ds_read_b128 v[67:70], v62 offset:448
	s_waitcnt vmcnt(12) lgkmcnt(1)
	v_fma_f64 v[63:64], v[79:80], v[63:64], v[71:72]
	s_waitcnt vmcnt(10)
	v_fma_f64 v[63:64], v[81:82], v[65:66], v[63:64]
	s_waitcnt vmcnt(8) lgkmcnt(0)
	v_fma_f64 v[63:64], v[83:84], v[67:68], v[63:64]
	s_waitcnt vmcnt(4)
	v_fma_f64 v[66:67], v[85:86], v[69:70], v[63:64]
	ds_read_b128 v[62:65], v62 offset:464
	s_waitcnt vmcnt(3) lgkmcnt(0)
	v_fma_f64 v[62:63], v[89:90], v[62:63], v[66:67]
	s_waitcnt vmcnt(2)
	v_fma_f64 v[62:63], v[87:88], v[64:65], v[62:63]
	s_waitcnt vmcnt(0)
	v_add_f64 v[62:63], v[91:92], -v[62:63]
	buffer_store_dword v62, off, s[0:3], 0 offset:152
	buffer_store_dword v63, off, s[0:3], 0 offset:156
	s_and_saveexec_b64 s[4:5], vcc
	s_cbranch_execz .LBB93_151
; %bb.150:
	buffer_load_dword v62, off, s[0:3], 0 offset:144
	buffer_load_dword v63, off, s[0:3], 0 offset:148
	v_mov_b32_e32 v64, 0
	buffer_store_dword v64, off, s[0:3], 0 offset:144
	buffer_store_dword v64, off, s[0:3], 0 offset:148
	s_waitcnt vmcnt(2)
	ds_write_b64 v61, v[62:63]
.LBB93_151:
	s_or_b64 exec, exec, s[4:5]
	s_waitcnt lgkmcnt(0)
	; wave barrier
	buffer_load_dword v71, off, s[0:3], 0 offset:152
	buffer_load_dword v72, off, s[0:3], 0 offset:156
	;; [unrolled: 1-line block ×21, first 2 shown]
	v_mov_b32_e32 v62, 0
	ds_read2_b64 v[63:66], v62 offset0:49 offset1:50
	ds_read2_b64 v[67:70], v62 offset0:51 offset1:52
	buffer_load_dword v88, off, s[0:3], 0 offset:236
	v_cmp_lt_u32_e32 vcc, 17, v0
	s_waitcnt vmcnt(20) lgkmcnt(1)
	v_fma_f64 v[63:64], v[71:72], v[63:64], 0
	buffer_load_dword v71, off, s[0:3], 0 offset:144
	buffer_load_dword v72, off, s[0:3], 0 offset:148
	s_waitcnt vmcnt(20)
	v_fma_f64 v[63:64], v[73:74], v[65:66], v[63:64]
	s_waitcnt vmcnt(18) lgkmcnt(0)
	v_fma_f64 v[63:64], v[75:76], v[67:68], v[63:64]
	s_waitcnt vmcnt(16)
	v_fma_f64 v[73:74], v[77:78], v[69:70], v[63:64]
	ds_read2_b64 v[63:66], v62 offset0:53 offset1:54
	ds_read2_b64 v[67:70], v62 offset0:55 offset1:56
	s_waitcnt vmcnt(14) lgkmcnt(1)
	v_fma_f64 v[63:64], v[79:80], v[63:64], v[73:74]
	s_waitcnt vmcnt(12)
	v_fma_f64 v[63:64], v[81:82], v[65:66], v[63:64]
	s_waitcnt vmcnt(10) lgkmcnt(0)
	v_fma_f64 v[63:64], v[83:84], v[67:68], v[63:64]
	s_waitcnt vmcnt(5)
	v_fma_f64 v[67:68], v[85:86], v[69:70], v[63:64]
	ds_read2_b64 v[63:66], v62 offset0:57 offset1:58
	ds_read_b64 v[69:70], v62 offset:472
	s_waitcnt vmcnt(4) lgkmcnt(1)
	v_fma_f64 v[63:64], v[91:92], v[63:64], v[67:68]
	s_waitcnt vmcnt(3)
	v_fma_f64 v[63:64], v[89:90], v[65:66], v[63:64]
	s_waitcnt vmcnt(2) lgkmcnt(0)
	v_fma_f64 v[63:64], v[87:88], v[69:70], v[63:64]
	s_waitcnt vmcnt(0)
	v_add_f64 v[63:64], v[71:72], -v[63:64]
	buffer_store_dword v64, off, s[0:3], 0 offset:148
	buffer_store_dword v63, off, s[0:3], 0 offset:144
	s_and_saveexec_b64 s[4:5], vcc
	s_cbranch_execz .LBB93_153
; %bb.152:
	buffer_load_dword v63, off, s[0:3], 0 offset:136
	buffer_load_dword v64, off, s[0:3], 0 offset:140
	s_waitcnt vmcnt(0)
	ds_write_b64 v61, v[63:64]
	buffer_store_dword v62, off, s[0:3], 0 offset:136
	buffer_store_dword v62, off, s[0:3], 0 offset:140
.LBB93_153:
	s_or_b64 exec, exec, s[4:5]
	s_waitcnt lgkmcnt(0)
	; wave barrier
	buffer_load_dword v71, off, s[0:3], 0 offset:144
	buffer_load_dword v72, off, s[0:3], 0 offset:148
	;; [unrolled: 1-line block ×21, first 2 shown]
	ds_read_b128 v[63:66], v62 offset:384
	ds_read_b128 v[67:70], v62 offset:400
	buffer_load_dword v88, off, s[0:3], 0 offset:228
	v_cmp_lt_u32_e32 vcc, 16, v0
	s_waitcnt vmcnt(20) lgkmcnt(1)
	v_fma_f64 v[63:64], v[71:72], v[63:64], 0
	buffer_load_dword v72, off, s[0:3], 0 offset:236
	buffer_load_dword v71, off, s[0:3], 0 offset:232
	s_waitcnt vmcnt(20)
	v_fma_f64 v[63:64], v[73:74], v[65:66], v[63:64]
	buffer_load_dword v73, off, s[0:3], 0 offset:136
	buffer_load_dword v74, off, s[0:3], 0 offset:140
	s_waitcnt vmcnt(20) lgkmcnt(0)
	v_fma_f64 v[63:64], v[75:76], v[67:68], v[63:64]
	s_waitcnt vmcnt(18)
	v_fma_f64 v[75:76], v[77:78], v[69:70], v[63:64]
	ds_read_b128 v[63:66], v62 offset:416
	ds_read_b128 v[67:70], v62 offset:432
	s_waitcnt vmcnt(16) lgkmcnt(1)
	v_fma_f64 v[63:64], v[79:80], v[63:64], v[75:76]
	s_waitcnt vmcnt(14)
	v_fma_f64 v[63:64], v[81:82], v[65:66], v[63:64]
	s_waitcnt vmcnt(12) lgkmcnt(0)
	v_fma_f64 v[63:64], v[83:84], v[67:68], v[63:64]
	s_waitcnt vmcnt(7)
	v_fma_f64 v[75:76], v[85:86], v[69:70], v[63:64]
	ds_read_b128 v[63:66], v62 offset:448
	ds_read_b128 v[67:70], v62 offset:464
	s_waitcnt vmcnt(6) lgkmcnt(1)
	v_fma_f64 v[62:63], v[91:92], v[63:64], v[75:76]
	s_waitcnt vmcnt(5)
	v_fma_f64 v[62:63], v[89:90], v[65:66], v[62:63]
	s_waitcnt vmcnt(4) lgkmcnt(0)
	v_fma_f64 v[62:63], v[87:88], v[67:68], v[62:63]
	s_waitcnt vmcnt(2)
	v_fma_f64 v[62:63], v[71:72], v[69:70], v[62:63]
	s_waitcnt vmcnt(0)
	v_add_f64 v[62:63], v[73:74], -v[62:63]
	buffer_store_dword v63, off, s[0:3], 0 offset:140
	buffer_store_dword v62, off, s[0:3], 0 offset:136
	s_and_saveexec_b64 s[4:5], vcc
	s_cbranch_execz .LBB93_155
; %bb.154:
	buffer_load_dword v62, off, s[0:3], 0 offset:128
	buffer_load_dword v63, off, s[0:3], 0 offset:132
	v_mov_b32_e32 v64, 0
	buffer_store_dword v64, off, s[0:3], 0 offset:128
	buffer_store_dword v64, off, s[0:3], 0 offset:132
	s_waitcnt vmcnt(2)
	ds_write_b64 v61, v[62:63]
.LBB93_155:
	s_or_b64 exec, exec, s[4:5]
	s_waitcnt lgkmcnt(0)
	; wave barrier
	buffer_load_dword v71, off, s[0:3], 0 offset:136
	buffer_load_dword v72, off, s[0:3], 0 offset:140
	;; [unrolled: 1-line block ×21, first 2 shown]
	v_mov_b32_e32 v62, 0
	ds_read2_b64 v[63:66], v62 offset0:47 offset1:48
	ds_read2_b64 v[67:70], v62 offset0:49 offset1:50
	buffer_load_dword v88, off, s[0:3], 0 offset:220
	v_cmp_lt_u32_e32 vcc, 15, v0
	s_waitcnt vmcnt(20) lgkmcnt(1)
	v_fma_f64 v[63:64], v[71:72], v[63:64], 0
	s_waitcnt vmcnt(18)
	v_fma_f64 v[63:64], v[73:74], v[65:66], v[63:64]
	buffer_load_dword v72, off, s[0:3], 0 offset:228
	buffer_load_dword v73, off, s[0:3], 0 offset:232
	;; [unrolled: 1-line block ×4, first 2 shown]
	s_waitcnt vmcnt(20) lgkmcnt(0)
	v_fma_f64 v[63:64], v[75:76], v[67:68], v[63:64]
	buffer_load_dword v75, off, s[0:3], 0 offset:128
	buffer_load_dword v76, off, s[0:3], 0 offset:132
	s_waitcnt vmcnt(20)
	v_fma_f64 v[77:78], v[77:78], v[69:70], v[63:64]
	ds_read2_b64 v[63:66], v62 offset0:51 offset1:52
	ds_read2_b64 v[67:70], v62 offset0:53 offset1:54
	s_waitcnt vmcnt(18) lgkmcnt(1)
	v_fma_f64 v[63:64], v[79:80], v[63:64], v[77:78]
	s_waitcnt vmcnt(16)
	v_fma_f64 v[63:64], v[81:82], v[65:66], v[63:64]
	s_waitcnt vmcnt(14) lgkmcnt(0)
	v_fma_f64 v[63:64], v[83:84], v[67:68], v[63:64]
	s_waitcnt vmcnt(9)
	v_fma_f64 v[77:78], v[85:86], v[69:70], v[63:64]
	ds_read2_b64 v[63:66], v62 offset0:55 offset1:56
	ds_read2_b64 v[67:70], v62 offset0:57 offset1:58
	s_waitcnt vmcnt(8) lgkmcnt(1)
	v_fma_f64 v[63:64], v[91:92], v[63:64], v[77:78]
	s_waitcnt vmcnt(7)
	v_fma_f64 v[63:64], v[89:90], v[65:66], v[63:64]
	ds_read_b64 v[65:66], v62 offset:472
	s_waitcnt vmcnt(6) lgkmcnt(1)
	v_fma_f64 v[63:64], v[87:88], v[67:68], v[63:64]
	s_waitcnt vmcnt(3)
	v_fma_f64 v[63:64], v[71:72], v[69:70], v[63:64]
	s_waitcnt vmcnt(2) lgkmcnt(0)
	v_fma_f64 v[63:64], v[73:74], v[65:66], v[63:64]
	s_waitcnt vmcnt(0)
	v_add_f64 v[63:64], v[75:76], -v[63:64]
	buffer_store_dword v64, off, s[0:3], 0 offset:132
	buffer_store_dword v63, off, s[0:3], 0 offset:128
	s_and_saveexec_b64 s[4:5], vcc
	s_cbranch_execz .LBB93_157
; %bb.156:
	buffer_load_dword v63, off, s[0:3], 0 offset:120
	buffer_load_dword v64, off, s[0:3], 0 offset:124
	s_waitcnt vmcnt(0)
	ds_write_b64 v61, v[63:64]
	buffer_store_dword v62, off, s[0:3], 0 offset:120
	buffer_store_dword v62, off, s[0:3], 0 offset:124
.LBB93_157:
	s_or_b64 exec, exec, s[4:5]
	s_waitcnt lgkmcnt(0)
	; wave barrier
	buffer_load_dword v71, off, s[0:3], 0 offset:128
	buffer_load_dword v72, off, s[0:3], 0 offset:132
	;; [unrolled: 1-line block ×22, first 2 shown]
	ds_read_b128 v[63:66], v62 offset:368
	ds_read_b128 v[67:70], v62 offset:384
	v_cmp_lt_u32_e32 vcc, 14, v0
	s_waitcnt vmcnt(20) lgkmcnt(1)
	v_fma_f64 v[63:64], v[71:72], v[63:64], 0
	s_waitcnt vmcnt(18)
	v_fma_f64 v[63:64], v[73:74], v[65:66], v[63:64]
	buffer_load_dword v72, off, s[0:3], 0 offset:220
	buffer_load_dword v73, off, s[0:3], 0 offset:232
	;; [unrolled: 1-line block ×6, first 2 shown]
	s_waitcnt vmcnt(22) lgkmcnt(0)
	v_fma_f64 v[63:64], v[75:76], v[67:68], v[63:64]
	s_waitcnt vmcnt(20)
	v_fma_f64 v[75:76], v[77:78], v[69:70], v[63:64]
	ds_read_b128 v[63:66], v62 offset:400
	buffer_load_dword v77, off, s[0:3], 0 offset:120
	buffer_load_dword v78, off, s[0:3], 0 offset:124
	ds_read_b128 v[67:70], v62 offset:416
	s_waitcnt vmcnt(20) lgkmcnt(1)
	v_fma_f64 v[63:64], v[79:80], v[63:64], v[75:76]
	s_waitcnt vmcnt(18)
	v_fma_f64 v[63:64], v[81:82], v[65:66], v[63:64]
	s_waitcnt vmcnt(16) lgkmcnt(0)
	v_fma_f64 v[63:64], v[83:84], v[67:68], v[63:64]
	s_waitcnt vmcnt(11)
	v_fma_f64 v[75:76], v[85:86], v[69:70], v[63:64]
	ds_read_b128 v[63:66], v62 offset:432
	ds_read_b128 v[67:70], v62 offset:448
	s_waitcnt vmcnt(10) lgkmcnt(1)
	v_fma_f64 v[63:64], v[91:92], v[63:64], v[75:76]
	s_waitcnt vmcnt(9)
	v_fma_f64 v[63:64], v[89:90], v[65:66], v[63:64]
	s_waitcnt vmcnt(8) lgkmcnt(0)
	v_fma_f64 v[63:64], v[87:88], v[67:68], v[63:64]
	s_waitcnt vmcnt(4)
	v_fma_f64 v[66:67], v[71:72], v[69:70], v[63:64]
	ds_read_b128 v[62:65], v62 offset:464
	s_waitcnt vmcnt(3) lgkmcnt(0)
	v_fma_f64 v[62:63], v[93:94], v[62:63], v[66:67]
	s_waitcnt vmcnt(2)
	v_fma_f64 v[62:63], v[73:74], v[64:65], v[62:63]
	s_waitcnt vmcnt(0)
	v_add_f64 v[62:63], v[77:78], -v[62:63]
	buffer_store_dword v63, off, s[0:3], 0 offset:124
	buffer_store_dword v62, off, s[0:3], 0 offset:120
	s_and_saveexec_b64 s[4:5], vcc
	s_cbranch_execz .LBB93_159
; %bb.158:
	buffer_load_dword v62, off, s[0:3], 0 offset:112
	buffer_load_dword v63, off, s[0:3], 0 offset:116
	v_mov_b32_e32 v64, 0
	buffer_store_dword v64, off, s[0:3], 0 offset:112
	buffer_store_dword v64, off, s[0:3], 0 offset:116
	s_waitcnt vmcnt(2)
	ds_write_b64 v61, v[62:63]
.LBB93_159:
	s_or_b64 exec, exec, s[4:5]
	s_waitcnt lgkmcnt(0)
	; wave barrier
	buffer_load_dword v71, off, s[0:3], 0 offset:120
	buffer_load_dword v72, off, s[0:3], 0 offset:124
	;; [unrolled: 1-line block ×22, first 2 shown]
	v_mov_b32_e32 v62, 0
	ds_read2_b64 v[63:66], v62 offset0:45 offset1:46
	ds_read2_b64 v[67:70], v62 offset0:47 offset1:48
	v_cmp_lt_u32_e32 vcc, 13, v0
	s_waitcnt vmcnt(20) lgkmcnt(1)
	v_fma_f64 v[63:64], v[71:72], v[63:64], 0
	s_waitcnt vmcnt(18)
	v_fma_f64 v[63:64], v[73:74], v[65:66], v[63:64]
	buffer_load_dword v72, off, s[0:3], 0 offset:212
	buffer_load_dword v73, off, s[0:3], 0 offset:232
	;; [unrolled: 1-line block ×8, first 2 shown]
	s_waitcnt vmcnt(24) lgkmcnt(0)
	v_fma_f64 v[63:64], v[75:76], v[67:68], v[63:64]
	s_waitcnt vmcnt(22)
	v_fma_f64 v[75:76], v[77:78], v[69:70], v[63:64]
	ds_read2_b64 v[63:66], v62 offset0:49 offset1:50
	ds_read2_b64 v[67:70], v62 offset0:51 offset1:52
	s_waitcnt vmcnt(20) lgkmcnt(1)
	v_fma_f64 v[63:64], v[79:80], v[63:64], v[75:76]
	buffer_load_dword v75, off, s[0:3], 0 offset:112
	buffer_load_dword v76, off, s[0:3], 0 offset:116
	s_waitcnt vmcnt(20)
	v_fma_f64 v[63:64], v[81:82], v[65:66], v[63:64]
	s_waitcnt vmcnt(18) lgkmcnt(0)
	v_fma_f64 v[63:64], v[83:84], v[67:68], v[63:64]
	s_waitcnt vmcnt(13)
	v_fma_f64 v[77:78], v[85:86], v[69:70], v[63:64]
	ds_read2_b64 v[63:66], v62 offset0:53 offset1:54
	ds_read2_b64 v[67:70], v62 offset0:55 offset1:56
	s_waitcnt vmcnt(12) lgkmcnt(1)
	v_fma_f64 v[63:64], v[91:92], v[63:64], v[77:78]
	s_waitcnt vmcnt(11)
	v_fma_f64 v[63:64], v[89:90], v[65:66], v[63:64]
	s_waitcnt vmcnt(10) lgkmcnt(0)
	v_fma_f64 v[63:64], v[87:88], v[67:68], v[63:64]
	s_waitcnt vmcnt(5)
	v_fma_f64 v[67:68], v[71:72], v[69:70], v[63:64]
	ds_read2_b64 v[63:66], v62 offset0:57 offset1:58
	ds_read_b64 v[69:70], v62 offset:472
	s_waitcnt vmcnt(4) lgkmcnt(1)
	v_fma_f64 v[63:64], v[95:96], v[63:64], v[67:68]
	s_waitcnt vmcnt(3)
	v_fma_f64 v[63:64], v[93:94], v[65:66], v[63:64]
	s_waitcnt vmcnt(2) lgkmcnt(0)
	v_fma_f64 v[63:64], v[73:74], v[69:70], v[63:64]
	s_waitcnt vmcnt(0)
	v_add_f64 v[63:64], v[75:76], -v[63:64]
	buffer_store_dword v64, off, s[0:3], 0 offset:116
	buffer_store_dword v63, off, s[0:3], 0 offset:112
	s_and_saveexec_b64 s[4:5], vcc
	s_cbranch_execz .LBB93_161
; %bb.160:
	buffer_load_dword v63, off, s[0:3], 0 offset:104
	buffer_load_dword v64, off, s[0:3], 0 offset:108
	s_waitcnt vmcnt(0)
	ds_write_b64 v61, v[63:64]
	buffer_store_dword v62, off, s[0:3], 0 offset:104
	buffer_store_dword v62, off, s[0:3], 0 offset:108
.LBB93_161:
	s_or_b64 exec, exec, s[4:5]
	s_waitcnt lgkmcnt(0)
	; wave barrier
	buffer_load_dword v71, off, s[0:3], 0 offset:112
	buffer_load_dword v72, off, s[0:3], 0 offset:116
	;; [unrolled: 1-line block ×22, first 2 shown]
	ds_read_b128 v[63:66], v62 offset:352
	ds_read_b128 v[67:70], v62 offset:368
	v_cmp_lt_u32_e32 vcc, 12, v0
	s_waitcnt vmcnt(20) lgkmcnt(1)
	v_fma_f64 v[63:64], v[71:72], v[63:64], 0
	s_waitcnt vmcnt(18)
	v_fma_f64 v[63:64], v[73:74], v[65:66], v[63:64]
	buffer_load_dword v72, off, s[0:3], 0 offset:204
	buffer_load_dword v73, off, s[0:3], 0 offset:224
	buffer_load_dword v93, off, s[0:3], 0 offset:216
	buffer_load_dword v95, off, s[0:3], 0 offset:208
	buffer_load_dword v71, off, s[0:3], 0 offset:200
	buffer_load_dword v96, off, s[0:3], 0 offset:212
	buffer_load_dword v94, off, s[0:3], 0 offset:220
	buffer_load_dword v74, off, s[0:3], 0 offset:228
	s_waitcnt vmcnt(24) lgkmcnt(0)
	v_fma_f64 v[63:64], v[75:76], v[67:68], v[63:64]
	s_waitcnt vmcnt(22)
	v_fma_f64 v[75:76], v[77:78], v[69:70], v[63:64]
	ds_read_b128 v[63:66], v62 offset:384
	ds_read_b128 v[67:70], v62 offset:400
	s_waitcnt vmcnt(20) lgkmcnt(1)
	v_fma_f64 v[63:64], v[79:80], v[63:64], v[75:76]
	buffer_load_dword v76, off, s[0:3], 0 offset:236
	buffer_load_dword v75, off, s[0:3], 0 offset:232
	buffer_load_dword v77, off, s[0:3], 0 offset:104
	buffer_load_dword v78, off, s[0:3], 0 offset:108
	s_waitcnt vmcnt(22)
	v_fma_f64 v[63:64], v[81:82], v[65:66], v[63:64]
	s_waitcnt vmcnt(20) lgkmcnt(0)
	v_fma_f64 v[63:64], v[83:84], v[67:68], v[63:64]
	s_waitcnt vmcnt(15)
	v_fma_f64 v[79:80], v[85:86], v[69:70], v[63:64]
	ds_read_b128 v[63:66], v62 offset:416
	ds_read_b128 v[67:70], v62 offset:432
	s_waitcnt vmcnt(14) lgkmcnt(1)
	v_fma_f64 v[63:64], v[91:92], v[63:64], v[79:80]
	s_waitcnt vmcnt(13)
	v_fma_f64 v[63:64], v[89:90], v[65:66], v[63:64]
	s_waitcnt vmcnt(12) lgkmcnt(0)
	v_fma_f64 v[63:64], v[87:88], v[67:68], v[63:64]
	s_waitcnt vmcnt(7)
	v_fma_f64 v[71:72], v[71:72], v[69:70], v[63:64]
	ds_read_b128 v[63:66], v62 offset:448
	ds_read_b128 v[67:70], v62 offset:464
	s_waitcnt vmcnt(6) lgkmcnt(1)
	v_fma_f64 v[62:63], v[95:96], v[63:64], v[71:72]
	s_waitcnt vmcnt(5)
	v_fma_f64 v[62:63], v[93:94], v[65:66], v[62:63]
	s_waitcnt vmcnt(4) lgkmcnt(0)
	v_fma_f64 v[62:63], v[73:74], v[67:68], v[62:63]
	s_waitcnt vmcnt(2)
	v_fma_f64 v[62:63], v[75:76], v[69:70], v[62:63]
	s_waitcnt vmcnt(0)
	v_add_f64 v[62:63], v[77:78], -v[62:63]
	buffer_store_dword v63, off, s[0:3], 0 offset:108
	buffer_store_dword v62, off, s[0:3], 0 offset:104
	s_and_saveexec_b64 s[4:5], vcc
	s_cbranch_execz .LBB93_163
; %bb.162:
	buffer_load_dword v62, off, s[0:3], 0 offset:96
	buffer_load_dword v63, off, s[0:3], 0 offset:100
	v_mov_b32_e32 v64, 0
	buffer_store_dword v64, off, s[0:3], 0 offset:96
	buffer_store_dword v64, off, s[0:3], 0 offset:100
	s_waitcnt vmcnt(2)
	ds_write_b64 v61, v[62:63]
.LBB93_163:
	s_or_b64 exec, exec, s[4:5]
	s_waitcnt lgkmcnt(0)
	; wave barrier
	buffer_load_dword v71, off, s[0:3], 0 offset:104
	buffer_load_dword v72, off, s[0:3], 0 offset:108
	;; [unrolled: 1-line block ×22, first 2 shown]
	v_mov_b32_e32 v62, 0
	ds_read2_b64 v[63:66], v62 offset0:43 offset1:44
	ds_read2_b64 v[67:70], v62 offset0:45 offset1:46
	v_cmp_lt_u32_e32 vcc, 11, v0
	s_waitcnt vmcnt(20) lgkmcnt(1)
	v_fma_f64 v[63:64], v[71:72], v[63:64], 0
	s_waitcnt vmcnt(18)
	v_fma_f64 v[63:64], v[73:74], v[65:66], v[63:64]
	buffer_load_dword v72, off, s[0:3], 0 offset:196
	buffer_load_dword v73, off, s[0:3], 0 offset:216
	;; [unrolled: 1-line block ×7, first 2 shown]
	s_waitcnt vmcnt(23) lgkmcnt(0)
	v_fma_f64 v[63:64], v[75:76], v[67:68], v[63:64]
	s_waitcnt vmcnt(21)
	v_fma_f64 v[74:75], v[77:78], v[69:70], v[63:64]
	ds_read2_b64 v[63:66], v62 offset0:47 offset1:48
	ds_read2_b64 v[67:70], v62 offset0:49 offset1:50
	s_waitcnt vmcnt(19) lgkmcnt(1)
	v_fma_f64 v[63:64], v[79:80], v[63:64], v[74:75]
	buffer_load_dword v74, off, s[0:3], 0 offset:220
	buffer_load_dword v76, off, s[0:3], 0 offset:228
	;; [unrolled: 1-line block ×7, first 2 shown]
	s_waitcnt vmcnt(24)
	v_fma_f64 v[63:64], v[81:82], v[65:66], v[63:64]
	s_waitcnt vmcnt(22) lgkmcnt(0)
	v_fma_f64 v[63:64], v[83:84], v[67:68], v[63:64]
	s_waitcnt vmcnt(17)
	v_fma_f64 v[81:82], v[85:86], v[69:70], v[63:64]
	ds_read2_b64 v[63:66], v62 offset0:51 offset1:52
	ds_read2_b64 v[67:70], v62 offset0:53 offset1:54
	s_waitcnt vmcnt(16) lgkmcnt(1)
	v_fma_f64 v[63:64], v[91:92], v[63:64], v[81:82]
	s_waitcnt vmcnt(15)
	v_fma_f64 v[63:64], v[89:90], v[65:66], v[63:64]
	s_waitcnt vmcnt(14) lgkmcnt(0)
	v_fma_f64 v[63:64], v[87:88], v[67:68], v[63:64]
	s_waitcnt vmcnt(9)
	v_fma_f64 v[71:72], v[71:72], v[69:70], v[63:64]
	ds_read2_b64 v[63:66], v62 offset0:55 offset1:56
	ds_read2_b64 v[67:70], v62 offset0:57 offset1:58
	s_waitcnt vmcnt(8) lgkmcnt(1)
	v_fma_f64 v[63:64], v[95:96], v[63:64], v[71:72]
	s_waitcnt vmcnt(7)
	v_fma_f64 v[63:64], v[93:94], v[65:66], v[63:64]
	ds_read_b64 v[65:66], v62 offset:472
	s_waitcnt vmcnt(6) lgkmcnt(1)
	v_fma_f64 v[63:64], v[73:74], v[67:68], v[63:64]
	s_waitcnt vmcnt(3)
	v_fma_f64 v[63:64], v[75:76], v[69:70], v[63:64]
	s_waitcnt vmcnt(2) lgkmcnt(0)
	v_fma_f64 v[63:64], v[77:78], v[65:66], v[63:64]
	s_waitcnt vmcnt(0)
	v_add_f64 v[63:64], v[79:80], -v[63:64]
	buffer_store_dword v64, off, s[0:3], 0 offset:100
	buffer_store_dword v63, off, s[0:3], 0 offset:96
	s_and_saveexec_b64 s[4:5], vcc
	s_cbranch_execz .LBB93_165
; %bb.164:
	buffer_load_dword v63, off, s[0:3], 0 offset:88
	buffer_load_dword v64, off, s[0:3], 0 offset:92
	s_waitcnt vmcnt(0)
	ds_write_b64 v61, v[63:64]
	buffer_store_dword v62, off, s[0:3], 0 offset:88
	buffer_store_dword v62, off, s[0:3], 0 offset:92
.LBB93_165:
	s_or_b64 exec, exec, s[4:5]
	s_waitcnt lgkmcnt(0)
	; wave barrier
	buffer_load_dword v71, off, s[0:3], 0 offset:96
	buffer_load_dword v72, off, s[0:3], 0 offset:100
	;; [unrolled: 1-line block ×22, first 2 shown]
	ds_read_b128 v[63:66], v62 offset:336
	ds_read_b128 v[67:70], v62 offset:352
	v_cmp_lt_u32_e32 vcc, 10, v0
	s_waitcnt vmcnt(20) lgkmcnt(1)
	v_fma_f64 v[63:64], v[71:72], v[63:64], 0
	s_waitcnt vmcnt(18)
	v_fma_f64 v[63:64], v[73:74], v[65:66], v[63:64]
	buffer_load_dword v72, off, s[0:3], 0 offset:188
	buffer_load_dword v73, off, s[0:3], 0 offset:208
	;; [unrolled: 1-line block ×7, first 2 shown]
	s_waitcnt vmcnt(23) lgkmcnt(0)
	v_fma_f64 v[63:64], v[75:76], v[67:68], v[63:64]
	s_waitcnt vmcnt(21)
	v_fma_f64 v[74:75], v[77:78], v[69:70], v[63:64]
	ds_read_b128 v[63:66], v62 offset:368
	ds_read_b128 v[67:70], v62 offset:384
	s_waitcnt vmcnt(19) lgkmcnt(1)
	v_fma_f64 v[63:64], v[79:80], v[63:64], v[74:75]
	buffer_load_dword v74, off, s[0:3], 0 offset:212
	buffer_load_dword v76, off, s[0:3], 0 offset:220
	;; [unrolled: 1-line block ×7, first 2 shown]
	s_waitcnt vmcnt(24)
	v_fma_f64 v[63:64], v[81:82], v[65:66], v[63:64]
	s_waitcnt vmcnt(22) lgkmcnt(0)
	v_fma_f64 v[63:64], v[83:84], v[67:68], v[63:64]
	s_waitcnt vmcnt(17)
	v_fma_f64 v[81:82], v[85:86], v[69:70], v[63:64]
	ds_read_b128 v[63:66], v62 offset:400
	buffer_load_dword v83, off, s[0:3], 0 offset:88
	buffer_load_dword v84, off, s[0:3], 0 offset:92
	ds_read_b128 v[67:70], v62 offset:416
	s_waitcnt vmcnt(18) lgkmcnt(1)
	v_fma_f64 v[63:64], v[91:92], v[63:64], v[81:82]
	s_waitcnt vmcnt(17)
	v_fma_f64 v[63:64], v[89:90], v[65:66], v[63:64]
	s_waitcnt vmcnt(16) lgkmcnt(0)
	v_fma_f64 v[63:64], v[87:88], v[67:68], v[63:64]
	s_waitcnt vmcnt(11)
	v_fma_f64 v[71:72], v[71:72], v[69:70], v[63:64]
	ds_read_b128 v[63:66], v62 offset:432
	ds_read_b128 v[67:70], v62 offset:448
	s_waitcnt vmcnt(10) lgkmcnt(1)
	v_fma_f64 v[63:64], v[95:96], v[63:64], v[71:72]
	s_waitcnt vmcnt(9)
	v_fma_f64 v[63:64], v[93:94], v[65:66], v[63:64]
	s_waitcnt vmcnt(8) lgkmcnt(0)
	v_fma_f64 v[63:64], v[73:74], v[67:68], v[63:64]
	s_waitcnt vmcnt(4)
	v_fma_f64 v[66:67], v[75:76], v[69:70], v[63:64]
	ds_read_b128 v[62:65], v62 offset:464
	s_waitcnt vmcnt(3) lgkmcnt(0)
	v_fma_f64 v[62:63], v[79:80], v[62:63], v[66:67]
	s_waitcnt vmcnt(2)
	v_fma_f64 v[62:63], v[77:78], v[64:65], v[62:63]
	s_waitcnt vmcnt(0)
	v_add_f64 v[62:63], v[83:84], -v[62:63]
	buffer_store_dword v63, off, s[0:3], 0 offset:92
	buffer_store_dword v62, off, s[0:3], 0 offset:88
	s_and_saveexec_b64 s[4:5], vcc
	s_cbranch_execz .LBB93_167
; %bb.166:
	buffer_load_dword v62, off, s[0:3], 0 offset:80
	buffer_load_dword v63, off, s[0:3], 0 offset:84
	v_mov_b32_e32 v64, 0
	buffer_store_dword v64, off, s[0:3], 0 offset:80
	buffer_store_dword v64, off, s[0:3], 0 offset:84
	s_waitcnt vmcnt(2)
	ds_write_b64 v61, v[62:63]
.LBB93_167:
	s_or_b64 exec, exec, s[4:5]
	s_waitcnt lgkmcnt(0)
	; wave barrier
	buffer_load_dword v71, off, s[0:3], 0 offset:88
	buffer_load_dword v72, off, s[0:3], 0 offset:92
	;; [unrolled: 1-line block ×22, first 2 shown]
	v_mov_b32_e32 v62, 0
	ds_read2_b64 v[63:66], v62 offset0:41 offset1:42
	ds_read2_b64 v[67:70], v62 offset0:43 offset1:44
	v_cmp_lt_u32_e32 vcc, 9, v0
	s_waitcnt vmcnt(20) lgkmcnt(1)
	v_fma_f64 v[63:64], v[71:72], v[63:64], 0
	s_waitcnt vmcnt(18)
	v_fma_f64 v[63:64], v[73:74], v[65:66], v[63:64]
	buffer_load_dword v72, off, s[0:3], 0 offset:180
	buffer_load_dword v73, off, s[0:3], 0 offset:200
	;; [unrolled: 1-line block ×7, first 2 shown]
	s_waitcnt vmcnt(23) lgkmcnt(0)
	v_fma_f64 v[63:64], v[75:76], v[67:68], v[63:64]
	s_waitcnt vmcnt(21)
	v_fma_f64 v[74:75], v[77:78], v[69:70], v[63:64]
	ds_read2_b64 v[63:66], v62 offset0:45 offset1:46
	ds_read2_b64 v[67:70], v62 offset0:47 offset1:48
	s_waitcnt vmcnt(19) lgkmcnt(1)
	v_fma_f64 v[63:64], v[79:80], v[63:64], v[74:75]
	buffer_load_dword v74, off, s[0:3], 0 offset:204
	s_waitcnt vmcnt(18)
	v_fma_f64 v[63:64], v[81:82], v[65:66], v[63:64]
	buffer_load_dword v76, off, s[0:3], 0 offset:212
	buffer_load_dword v77, off, s[0:3], 0 offset:232
	;; [unrolled: 1-line block ×8, first 2 shown]
	s_waitcnt vmcnt(24) lgkmcnt(0)
	v_fma_f64 v[63:64], v[83:84], v[67:68], v[63:64]
	s_waitcnt vmcnt(19)
	v_fma_f64 v[83:84], v[85:86], v[69:70], v[63:64]
	ds_read2_b64 v[63:66], v62 offset0:49 offset1:50
	ds_read2_b64 v[67:70], v62 offset0:51 offset1:52
	s_waitcnt vmcnt(18) lgkmcnt(1)
	v_fma_f64 v[63:64], v[91:92], v[63:64], v[83:84]
	buffer_load_dword v83, off, s[0:3], 0 offset:80
	buffer_load_dword v84, off, s[0:3], 0 offset:84
	s_waitcnt vmcnt(19)
	v_fma_f64 v[63:64], v[89:90], v[65:66], v[63:64]
	s_waitcnt vmcnt(18) lgkmcnt(0)
	v_fma_f64 v[63:64], v[87:88], v[67:68], v[63:64]
	s_waitcnt vmcnt(13)
	v_fma_f64 v[71:72], v[71:72], v[69:70], v[63:64]
	ds_read2_b64 v[63:66], v62 offset0:53 offset1:54
	ds_read2_b64 v[67:70], v62 offset0:55 offset1:56
	s_waitcnt vmcnt(12) lgkmcnt(1)
	v_fma_f64 v[63:64], v[95:96], v[63:64], v[71:72]
	s_waitcnt vmcnt(11)
	v_fma_f64 v[63:64], v[93:94], v[65:66], v[63:64]
	s_waitcnt vmcnt(10) lgkmcnt(0)
	v_fma_f64 v[63:64], v[73:74], v[67:68], v[63:64]
	s_waitcnt vmcnt(5)
	v_fma_f64 v[67:68], v[75:76], v[69:70], v[63:64]
	ds_read2_b64 v[63:66], v62 offset0:57 offset1:58
	ds_read_b64 v[69:70], v62 offset:472
	s_waitcnt vmcnt(4) lgkmcnt(1)
	v_fma_f64 v[63:64], v[81:82], v[63:64], v[67:68]
	s_waitcnt vmcnt(3)
	v_fma_f64 v[63:64], v[79:80], v[65:66], v[63:64]
	s_waitcnt vmcnt(2) lgkmcnt(0)
	v_fma_f64 v[63:64], v[77:78], v[69:70], v[63:64]
	s_waitcnt vmcnt(0)
	v_add_f64 v[63:64], v[83:84], -v[63:64]
	buffer_store_dword v64, off, s[0:3], 0 offset:84
	buffer_store_dword v63, off, s[0:3], 0 offset:80
	s_and_saveexec_b64 s[4:5], vcc
	s_cbranch_execz .LBB93_169
; %bb.168:
	buffer_load_dword v63, off, s[0:3], 0 offset:72
	buffer_load_dword v64, off, s[0:3], 0 offset:76
	s_waitcnt vmcnt(0)
	ds_write_b64 v61, v[63:64]
	buffer_store_dword v62, off, s[0:3], 0 offset:72
	buffer_store_dword v62, off, s[0:3], 0 offset:76
.LBB93_169:
	s_or_b64 exec, exec, s[4:5]
	s_waitcnt lgkmcnt(0)
	; wave barrier
	buffer_load_dword v71, off, s[0:3], 0 offset:80
	buffer_load_dword v72, off, s[0:3], 0 offset:84
	;; [unrolled: 1-line block ×22, first 2 shown]
	ds_read_b128 v[63:66], v62 offset:320
	ds_read_b128 v[67:70], v62 offset:336
	v_cmp_lt_u32_e32 vcc, 8, v0
	s_waitcnt vmcnt(20) lgkmcnt(1)
	v_fma_f64 v[63:64], v[71:72], v[63:64], 0
	s_waitcnt vmcnt(18)
	v_fma_f64 v[63:64], v[73:74], v[65:66], v[63:64]
	buffer_load_dword v72, off, s[0:3], 0 offset:172
	buffer_load_dword v73, off, s[0:3], 0 offset:192
	;; [unrolled: 1-line block ×7, first 2 shown]
	s_waitcnt vmcnt(23) lgkmcnt(0)
	v_fma_f64 v[63:64], v[75:76], v[67:68], v[63:64]
	s_waitcnt vmcnt(21)
	v_fma_f64 v[74:75], v[77:78], v[69:70], v[63:64]
	ds_read_b128 v[63:66], v62 offset:352
	ds_read_b128 v[67:70], v62 offset:368
	s_waitcnt vmcnt(19) lgkmcnt(1)
	v_fma_f64 v[63:64], v[79:80], v[63:64], v[74:75]
	buffer_load_dword v74, off, s[0:3], 0 offset:196
	s_waitcnt vmcnt(18)
	v_fma_f64 v[63:64], v[81:82], v[65:66], v[63:64]
	buffer_load_dword v76, off, s[0:3], 0 offset:204
	buffer_load_dword v77, off, s[0:3], 0 offset:224
	;; [unrolled: 1-line block ×8, first 2 shown]
	s_waitcnt vmcnt(24) lgkmcnt(0)
	v_fma_f64 v[63:64], v[83:84], v[67:68], v[63:64]
	s_waitcnt vmcnt(19)
	v_fma_f64 v[83:84], v[85:86], v[69:70], v[63:64]
	ds_read_b128 v[63:66], v62 offset:384
	ds_read_b128 v[67:70], v62 offset:400
	s_waitcnt vmcnt(18) lgkmcnt(1)
	v_fma_f64 v[63:64], v[91:92], v[63:64], v[83:84]
	buffer_load_dword v84, off, s[0:3], 0 offset:236
	buffer_load_dword v83, off, s[0:3], 0 offset:232
	;; [unrolled: 1-line block ×4, first 2 shown]
	s_waitcnt vmcnt(21)
	v_fma_f64 v[63:64], v[89:90], v[65:66], v[63:64]
	s_waitcnt vmcnt(20) lgkmcnt(0)
	v_fma_f64 v[63:64], v[87:88], v[67:68], v[63:64]
	s_waitcnt vmcnt(15)
	v_fma_f64 v[71:72], v[71:72], v[69:70], v[63:64]
	ds_read_b128 v[63:66], v62 offset:416
	ds_read_b128 v[67:70], v62 offset:432
	s_waitcnt vmcnt(14) lgkmcnt(1)
	v_fma_f64 v[63:64], v[95:96], v[63:64], v[71:72]
	s_waitcnt vmcnt(13)
	v_fma_f64 v[63:64], v[93:94], v[65:66], v[63:64]
	s_waitcnt vmcnt(12) lgkmcnt(0)
	v_fma_f64 v[63:64], v[73:74], v[67:68], v[63:64]
	s_waitcnt vmcnt(7)
	v_fma_f64 v[71:72], v[75:76], v[69:70], v[63:64]
	ds_read_b128 v[63:66], v62 offset:448
	ds_read_b128 v[67:70], v62 offset:464
	s_waitcnt vmcnt(6) lgkmcnt(1)
	v_fma_f64 v[62:63], v[81:82], v[63:64], v[71:72]
	s_waitcnt vmcnt(5)
	v_fma_f64 v[62:63], v[79:80], v[65:66], v[62:63]
	s_waitcnt vmcnt(4) lgkmcnt(0)
	v_fma_f64 v[62:63], v[77:78], v[67:68], v[62:63]
	s_waitcnt vmcnt(2)
	v_fma_f64 v[62:63], v[83:84], v[69:70], v[62:63]
	s_waitcnt vmcnt(0)
	v_add_f64 v[62:63], v[85:86], -v[62:63]
	buffer_store_dword v63, off, s[0:3], 0 offset:76
	buffer_store_dword v62, off, s[0:3], 0 offset:72
	s_and_saveexec_b64 s[4:5], vcc
	s_cbranch_execz .LBB93_171
; %bb.170:
	buffer_load_dword v62, off, s[0:3], 0 offset:64
	buffer_load_dword v63, off, s[0:3], 0 offset:68
	v_mov_b32_e32 v64, 0
	buffer_store_dword v64, off, s[0:3], 0 offset:64
	buffer_store_dword v64, off, s[0:3], 0 offset:68
	s_waitcnt vmcnt(2)
	ds_write_b64 v61, v[62:63]
.LBB93_171:
	s_or_b64 exec, exec, s[4:5]
	s_waitcnt lgkmcnt(0)
	; wave barrier
	buffer_load_dword v71, off, s[0:3], 0 offset:72
	buffer_load_dword v72, off, s[0:3], 0 offset:76
	;; [unrolled: 1-line block ×21, first 2 shown]
	v_mov_b32_e32 v62, 0
	ds_read2_b64 v[63:66], v62 offset0:39 offset1:40
	ds_read2_b64 v[67:70], v62 offset0:41 offset1:42
	buffer_load_dword v88, off, s[0:3], 0 offset:156
	v_cmp_lt_u32_e32 vcc, 7, v0
	s_waitcnt vmcnt(20) lgkmcnt(1)
	v_fma_f64 v[63:64], v[71:72], v[63:64], 0
	s_waitcnt vmcnt(18)
	v_fma_f64 v[63:64], v[73:74], v[65:66], v[63:64]
	buffer_load_dword v72, off, s[0:3], 0 offset:164
	buffer_load_dword v73, off, s[0:3], 0 offset:184
	;; [unrolled: 1-line block ×7, first 2 shown]
	s_waitcnt vmcnt(23) lgkmcnt(0)
	v_fma_f64 v[63:64], v[75:76], v[67:68], v[63:64]
	s_waitcnt vmcnt(21)
	v_fma_f64 v[74:75], v[77:78], v[69:70], v[63:64]
	ds_read2_b64 v[63:66], v62 offset0:43 offset1:44
	ds_read2_b64 v[67:70], v62 offset0:45 offset1:46
	s_waitcnt vmcnt(19) lgkmcnt(1)
	v_fma_f64 v[63:64], v[79:80], v[63:64], v[74:75]
	buffer_load_dword v74, off, s[0:3], 0 offset:188
	s_waitcnt vmcnt(18)
	v_fma_f64 v[63:64], v[81:82], v[65:66], v[63:64]
	buffer_load_dword v76, off, s[0:3], 0 offset:196
	buffer_load_dword v77, off, s[0:3], 0 offset:216
	;; [unrolled: 1-line block ×7, first 2 shown]
	s_waitcnt vmcnt(23) lgkmcnt(0)
	v_fma_f64 v[63:64], v[83:84], v[67:68], v[63:64]
	s_waitcnt vmcnt(18)
	v_fma_f64 v[83:84], v[85:86], v[69:70], v[63:64]
	ds_read2_b64 v[63:66], v62 offset0:47 offset1:48
	ds_read2_b64 v[67:70], v62 offset0:49 offset1:50
	buffer_load_dword v78, off, s[0:3], 0 offset:220
	s_waitcnt vmcnt(18) lgkmcnt(1)
	v_fma_f64 v[63:64], v[91:92], v[63:64], v[83:84]
	buffer_load_dword v84, off, s[0:3], 0 offset:228
	buffer_load_dword v85, off, s[0:3], 0 offset:232
	;; [unrolled: 1-line block ×4, first 2 shown]
	s_waitcnt vmcnt(21)
	v_fma_f64 v[63:64], v[89:90], v[65:66], v[63:64]
	s_waitcnt vmcnt(20) lgkmcnt(0)
	v_fma_f64 v[63:64], v[87:88], v[67:68], v[63:64]
	buffer_load_dword v87, off, s[0:3], 0 offset:64
	buffer_load_dword v88, off, s[0:3], 0 offset:68
	s_waitcnt vmcnt(17)
	v_fma_f64 v[71:72], v[71:72], v[69:70], v[63:64]
	ds_read2_b64 v[63:66], v62 offset0:51 offset1:52
	ds_read2_b64 v[67:70], v62 offset0:53 offset1:54
	s_waitcnt vmcnt(16) lgkmcnt(1)
	v_fma_f64 v[63:64], v[95:96], v[63:64], v[71:72]
	s_waitcnt vmcnt(15)
	v_fma_f64 v[63:64], v[93:94], v[65:66], v[63:64]
	s_waitcnt vmcnt(14) lgkmcnt(0)
	v_fma_f64 v[63:64], v[73:74], v[67:68], v[63:64]
	s_waitcnt vmcnt(9)
	v_fma_f64 v[71:72], v[75:76], v[69:70], v[63:64]
	ds_read2_b64 v[63:66], v62 offset0:55 offset1:56
	ds_read2_b64 v[67:70], v62 offset0:57 offset1:58
	s_waitcnt vmcnt(8) lgkmcnt(1)
	v_fma_f64 v[63:64], v[81:82], v[63:64], v[71:72]
	s_waitcnt vmcnt(7)
	v_fma_f64 v[63:64], v[79:80], v[65:66], v[63:64]
	ds_read_b64 v[65:66], v62 offset:472
	s_waitcnt vmcnt(6) lgkmcnt(1)
	v_fma_f64 v[63:64], v[77:78], v[67:68], v[63:64]
	s_waitcnt vmcnt(3)
	v_fma_f64 v[63:64], v[83:84], v[69:70], v[63:64]
	s_waitcnt vmcnt(2) lgkmcnt(0)
	v_fma_f64 v[63:64], v[85:86], v[65:66], v[63:64]
	s_waitcnt vmcnt(0)
	v_add_f64 v[63:64], v[87:88], -v[63:64]
	buffer_store_dword v64, off, s[0:3], 0 offset:68
	buffer_store_dword v63, off, s[0:3], 0 offset:64
	s_and_saveexec_b64 s[4:5], vcc
	s_cbranch_execz .LBB93_173
; %bb.172:
	buffer_load_dword v63, off, s[0:3], 0 offset:56
	buffer_load_dword v64, off, s[0:3], 0 offset:60
	s_waitcnt vmcnt(0)
	ds_write_b64 v61, v[63:64]
	buffer_store_dword v62, off, s[0:3], 0 offset:56
	buffer_store_dword v62, off, s[0:3], 0 offset:60
.LBB93_173:
	s_or_b64 exec, exec, s[4:5]
	s_waitcnt lgkmcnt(0)
	; wave barrier
	buffer_load_dword v71, off, s[0:3], 0 offset:64
	buffer_load_dword v72, off, s[0:3], 0 offset:68
	buffer_load_dword v73, off, s[0:3], 0 offset:72
	buffer_load_dword v74, off, s[0:3], 0 offset:76
	buffer_load_dword v75, off, s[0:3], 0 offset:80
	buffer_load_dword v76, off, s[0:3], 0 offset:84
	buffer_load_dword v77, off, s[0:3], 0 offset:88
	buffer_load_dword v78, off, s[0:3], 0 offset:92
	buffer_load_dword v79, off, s[0:3], 0 offset:96
	buffer_load_dword v80, off, s[0:3], 0 offset:100
	buffer_load_dword v81, off, s[0:3], 0 offset:104
	buffer_load_dword v82, off, s[0:3], 0 offset:108
	buffer_load_dword v83, off, s[0:3], 0 offset:112
	buffer_load_dword v84, off, s[0:3], 0 offset:116
	buffer_load_dword v86, off, s[0:3], 0 offset:124
	buffer_load_dword v87, off, s[0:3], 0 offset:144
	buffer_load_dword v89, off, s[0:3], 0 offset:136
	buffer_load_dword v91, off, s[0:3], 0 offset:128
	buffer_load_dword v85, off, s[0:3], 0 offset:120
	buffer_load_dword v92, off, s[0:3], 0 offset:132
	buffer_load_dword v90, off, s[0:3], 0 offset:140
	ds_read_b128 v[63:66], v62 offset:304
	ds_read_b128 v[67:70], v62 offset:320
	buffer_load_dword v88, off, s[0:3], 0 offset:148
	v_cmp_lt_u32_e32 vcc, 6, v0
	s_waitcnt vmcnt(20) lgkmcnt(1)
	v_fma_f64 v[63:64], v[71:72], v[63:64], 0
	s_waitcnt vmcnt(18)
	v_fma_f64 v[63:64], v[73:74], v[65:66], v[63:64]
	buffer_load_dword v72, off, s[0:3], 0 offset:156
	buffer_load_dword v73, off, s[0:3], 0 offset:176
	buffer_load_dword v93, off, s[0:3], 0 offset:168
	buffer_load_dword v95, off, s[0:3], 0 offset:160
	buffer_load_dword v71, off, s[0:3], 0 offset:152
	buffer_load_dword v96, off, s[0:3], 0 offset:164
	buffer_load_dword v94, off, s[0:3], 0 offset:172
	s_waitcnt vmcnt(23) lgkmcnt(0)
	v_fma_f64 v[63:64], v[75:76], v[67:68], v[63:64]
	s_waitcnt vmcnt(21)
	v_fma_f64 v[74:75], v[77:78], v[69:70], v[63:64]
	ds_read_b128 v[63:66], v62 offset:336
	ds_read_b128 v[67:70], v62 offset:352
	s_waitcnt vmcnt(19) lgkmcnt(1)
	v_fma_f64 v[63:64], v[79:80], v[63:64], v[74:75]
	buffer_load_dword v74, off, s[0:3], 0 offset:180
	s_waitcnt vmcnt(18)
	v_fma_f64 v[63:64], v[81:82], v[65:66], v[63:64]
	buffer_load_dword v76, off, s[0:3], 0 offset:188
	buffer_load_dword v77, off, s[0:3], 0 offset:208
	;; [unrolled: 1-line block ×8, first 2 shown]
	s_waitcnt vmcnt(24) lgkmcnt(0)
	v_fma_f64 v[63:64], v[83:84], v[67:68], v[63:64]
	s_waitcnt vmcnt(19)
	v_fma_f64 v[83:84], v[85:86], v[69:70], v[63:64]
	ds_read_b128 v[63:66], v62 offset:368
	ds_read_b128 v[67:70], v62 offset:384
	s_waitcnt vmcnt(18) lgkmcnt(1)
	v_fma_f64 v[63:64], v[91:92], v[63:64], v[83:84]
	s_waitcnt vmcnt(17)
	v_fma_f64 v[63:64], v[89:90], v[65:66], v[63:64]
	buffer_load_dword v84, off, s[0:3], 0 offset:220
	buffer_load_dword v85, off, s[0:3], 0 offset:232
	;; [unrolled: 1-line block ×6, first 2 shown]
	s_waitcnt vmcnt(22) lgkmcnt(0)
	v_fma_f64 v[63:64], v[87:88], v[67:68], v[63:64]
	s_waitcnt vmcnt(17)
	v_fma_f64 v[71:72], v[71:72], v[69:70], v[63:64]
	ds_read_b128 v[63:66], v62 offset:400
	buffer_load_dword v87, off, s[0:3], 0 offset:56
	buffer_load_dword v88, off, s[0:3], 0 offset:60
	ds_read_b128 v[67:70], v62 offset:416
	s_waitcnt vmcnt(18) lgkmcnt(1)
	v_fma_f64 v[63:64], v[95:96], v[63:64], v[71:72]
	s_waitcnt vmcnt(17)
	v_fma_f64 v[63:64], v[93:94], v[65:66], v[63:64]
	s_waitcnt vmcnt(16) lgkmcnt(0)
	v_fma_f64 v[63:64], v[73:74], v[67:68], v[63:64]
	s_waitcnt vmcnt(11)
	v_fma_f64 v[71:72], v[75:76], v[69:70], v[63:64]
	ds_read_b128 v[63:66], v62 offset:432
	ds_read_b128 v[67:70], v62 offset:448
	s_waitcnt vmcnt(10) lgkmcnt(1)
	v_fma_f64 v[63:64], v[81:82], v[63:64], v[71:72]
	s_waitcnt vmcnt(9)
	v_fma_f64 v[63:64], v[79:80], v[65:66], v[63:64]
	s_waitcnt vmcnt(8) lgkmcnt(0)
	v_fma_f64 v[63:64], v[77:78], v[67:68], v[63:64]
	s_waitcnt vmcnt(4)
	v_fma_f64 v[66:67], v[83:84], v[69:70], v[63:64]
	ds_read_b128 v[62:65], v62 offset:464
	s_waitcnt vmcnt(3) lgkmcnt(0)
	v_fma_f64 v[62:63], v[89:90], v[62:63], v[66:67]
	s_waitcnt vmcnt(2)
	v_fma_f64 v[62:63], v[85:86], v[64:65], v[62:63]
	s_waitcnt vmcnt(0)
	v_add_f64 v[62:63], v[87:88], -v[62:63]
	buffer_store_dword v63, off, s[0:3], 0 offset:60
	buffer_store_dword v62, off, s[0:3], 0 offset:56
	s_and_saveexec_b64 s[4:5], vcc
	s_cbranch_execz .LBB93_175
; %bb.174:
	buffer_load_dword v62, off, s[0:3], 0 offset:48
	buffer_load_dword v63, off, s[0:3], 0 offset:52
	v_mov_b32_e32 v64, 0
	buffer_store_dword v64, off, s[0:3], 0 offset:48
	buffer_store_dword v64, off, s[0:3], 0 offset:52
	s_waitcnt vmcnt(2)
	ds_write_b64 v61, v[62:63]
.LBB93_175:
	s_or_b64 exec, exec, s[4:5]
	s_waitcnt lgkmcnt(0)
	; wave barrier
	buffer_load_dword v71, off, s[0:3], 0 offset:56
	buffer_load_dword v72, off, s[0:3], 0 offset:60
	;; [unrolled: 1-line block ×21, first 2 shown]
	v_mov_b32_e32 v62, 0
	ds_read2_b64 v[63:66], v62 offset0:37 offset1:38
	ds_read2_b64 v[67:70], v62 offset0:39 offset1:40
	buffer_load_dword v88, off, s[0:3], 0 offset:140
	v_cmp_lt_u32_e32 vcc, 5, v0
	s_waitcnt vmcnt(20) lgkmcnt(1)
	v_fma_f64 v[63:64], v[71:72], v[63:64], 0
	s_waitcnt vmcnt(18)
	v_fma_f64 v[63:64], v[73:74], v[65:66], v[63:64]
	buffer_load_dword v72, off, s[0:3], 0 offset:148
	buffer_load_dword v73, off, s[0:3], 0 offset:168
	;; [unrolled: 1-line block ×7, first 2 shown]
	s_waitcnt vmcnt(23) lgkmcnt(0)
	v_fma_f64 v[63:64], v[75:76], v[67:68], v[63:64]
	s_waitcnt vmcnt(21)
	v_fma_f64 v[74:75], v[77:78], v[69:70], v[63:64]
	ds_read2_b64 v[63:66], v62 offset0:41 offset1:42
	ds_read2_b64 v[67:70], v62 offset0:43 offset1:44
	s_waitcnt vmcnt(19) lgkmcnt(1)
	v_fma_f64 v[63:64], v[79:80], v[63:64], v[74:75]
	buffer_load_dword v74, off, s[0:3], 0 offset:172
	s_waitcnt vmcnt(18)
	v_fma_f64 v[63:64], v[81:82], v[65:66], v[63:64]
	buffer_load_dword v76, off, s[0:3], 0 offset:180
	buffer_load_dword v77, off, s[0:3], 0 offset:200
	;; [unrolled: 1-line block ×8, first 2 shown]
	s_waitcnt vmcnt(24) lgkmcnt(0)
	v_fma_f64 v[63:64], v[83:84], v[67:68], v[63:64]
	s_waitcnt vmcnt(19)
	v_fma_f64 v[83:84], v[85:86], v[69:70], v[63:64]
	ds_read2_b64 v[63:66], v62 offset0:45 offset1:46
	ds_read2_b64 v[67:70], v62 offset0:47 offset1:48
	s_waitcnt vmcnt(18) lgkmcnt(1)
	v_fma_f64 v[63:64], v[91:92], v[63:64], v[83:84]
	s_waitcnt vmcnt(17)
	v_fma_f64 v[63:64], v[89:90], v[65:66], v[63:64]
	buffer_load_dword v84, off, s[0:3], 0 offset:212
	buffer_load_dword v85, off, s[0:3], 0 offset:232
	;; [unrolled: 1-line block ×8, first 2 shown]
	s_waitcnt vmcnt(24) lgkmcnt(0)
	v_fma_f64 v[63:64], v[87:88], v[67:68], v[63:64]
	s_waitcnt vmcnt(19)
	v_fma_f64 v[71:72], v[71:72], v[69:70], v[63:64]
	ds_read2_b64 v[63:66], v62 offset0:49 offset1:50
	ds_read2_b64 v[67:70], v62 offset0:51 offset1:52
	s_waitcnt vmcnt(18) lgkmcnt(1)
	v_fma_f64 v[63:64], v[95:96], v[63:64], v[71:72]
	buffer_load_dword v71, off, s[0:3], 0 offset:48
	buffer_load_dword v72, off, s[0:3], 0 offset:52
	s_waitcnt vmcnt(19)
	v_fma_f64 v[63:64], v[93:94], v[65:66], v[63:64]
	s_waitcnt vmcnt(18) lgkmcnt(0)
	v_fma_f64 v[63:64], v[73:74], v[67:68], v[63:64]
	s_waitcnt vmcnt(13)
	v_fma_f64 v[73:74], v[75:76], v[69:70], v[63:64]
	ds_read2_b64 v[63:66], v62 offset0:53 offset1:54
	ds_read2_b64 v[67:70], v62 offset0:55 offset1:56
	s_waitcnt vmcnt(12) lgkmcnt(1)
	v_fma_f64 v[63:64], v[81:82], v[63:64], v[73:74]
	s_waitcnt vmcnt(11)
	v_fma_f64 v[63:64], v[79:80], v[65:66], v[63:64]
	s_waitcnt vmcnt(10) lgkmcnt(0)
	v_fma_f64 v[63:64], v[77:78], v[67:68], v[63:64]
	s_waitcnt vmcnt(5)
	v_fma_f64 v[67:68], v[83:84], v[69:70], v[63:64]
	ds_read2_b64 v[63:66], v62 offset0:57 offset1:58
	ds_read_b64 v[69:70], v62 offset:472
	s_waitcnt vmcnt(4) lgkmcnt(1)
	v_fma_f64 v[63:64], v[91:92], v[63:64], v[67:68]
	s_waitcnt vmcnt(3)
	v_fma_f64 v[63:64], v[89:90], v[65:66], v[63:64]
	s_waitcnt vmcnt(2) lgkmcnt(0)
	v_fma_f64 v[63:64], v[85:86], v[69:70], v[63:64]
	s_waitcnt vmcnt(0)
	v_add_f64 v[63:64], v[71:72], -v[63:64]
	buffer_store_dword v64, off, s[0:3], 0 offset:52
	buffer_store_dword v63, off, s[0:3], 0 offset:48
	s_and_saveexec_b64 s[4:5], vcc
	s_cbranch_execz .LBB93_177
; %bb.176:
	buffer_load_dword v63, off, s[0:3], 0 offset:40
	buffer_load_dword v64, off, s[0:3], 0 offset:44
	s_waitcnt vmcnt(0)
	ds_write_b64 v61, v[63:64]
	buffer_store_dword v62, off, s[0:3], 0 offset:40
	buffer_store_dword v62, off, s[0:3], 0 offset:44
.LBB93_177:
	s_or_b64 exec, exec, s[4:5]
	s_waitcnt lgkmcnt(0)
	; wave barrier
	buffer_load_dword v71, off, s[0:3], 0 offset:48
	buffer_load_dword v72, off, s[0:3], 0 offset:52
	buffer_load_dword v73, off, s[0:3], 0 offset:56
	buffer_load_dword v74, off, s[0:3], 0 offset:60
	buffer_load_dword v75, off, s[0:3], 0 offset:64
	buffer_load_dword v76, off, s[0:3], 0 offset:68
	buffer_load_dword v77, off, s[0:3], 0 offset:72
	buffer_load_dword v78, off, s[0:3], 0 offset:76
	buffer_load_dword v79, off, s[0:3], 0 offset:80
	buffer_load_dword v80, off, s[0:3], 0 offset:84
	buffer_load_dword v81, off, s[0:3], 0 offset:88
	buffer_load_dword v82, off, s[0:3], 0 offset:92
	buffer_load_dword v83, off, s[0:3], 0 offset:96
	buffer_load_dword v84, off, s[0:3], 0 offset:100
	buffer_load_dword v86, off, s[0:3], 0 offset:108
	buffer_load_dword v87, off, s[0:3], 0 offset:128
	buffer_load_dword v89, off, s[0:3], 0 offset:120
	buffer_load_dword v91, off, s[0:3], 0 offset:112
	buffer_load_dword v85, off, s[0:3], 0 offset:104
	buffer_load_dword v92, off, s[0:3], 0 offset:116
	buffer_load_dword v90, off, s[0:3], 0 offset:124
	ds_read_b128 v[63:66], v62 offset:288
	ds_read_b128 v[67:70], v62 offset:304
	buffer_load_dword v88, off, s[0:3], 0 offset:132
	v_cmp_lt_u32_e32 vcc, 4, v0
	s_waitcnt vmcnt(20) lgkmcnt(1)
	v_fma_f64 v[63:64], v[71:72], v[63:64], 0
	s_waitcnt vmcnt(18)
	v_fma_f64 v[63:64], v[73:74], v[65:66], v[63:64]
	buffer_load_dword v72, off, s[0:3], 0 offset:140
	buffer_load_dword v73, off, s[0:3], 0 offset:160
	;; [unrolled: 1-line block ×7, first 2 shown]
	s_waitcnt vmcnt(23) lgkmcnt(0)
	v_fma_f64 v[63:64], v[75:76], v[67:68], v[63:64]
	s_waitcnt vmcnt(21)
	v_fma_f64 v[74:75], v[77:78], v[69:70], v[63:64]
	ds_read_b128 v[63:66], v62 offset:320
	ds_read_b128 v[67:70], v62 offset:336
	s_waitcnt vmcnt(19) lgkmcnt(1)
	v_fma_f64 v[63:64], v[79:80], v[63:64], v[74:75]
	buffer_load_dword v74, off, s[0:3], 0 offset:164
	s_waitcnt vmcnt(18)
	v_fma_f64 v[63:64], v[81:82], v[65:66], v[63:64]
	buffer_load_dword v76, off, s[0:3], 0 offset:172
	buffer_load_dword v77, off, s[0:3], 0 offset:192
	buffer_load_dword v79, off, s[0:3], 0 offset:184
	buffer_load_dword v81, off, s[0:3], 0 offset:176
	buffer_load_dword v75, off, s[0:3], 0 offset:168
	buffer_load_dword v82, off, s[0:3], 0 offset:180
	buffer_load_dword v80, off, s[0:3], 0 offset:188
	buffer_load_dword v78, off, s[0:3], 0 offset:196
	s_waitcnt vmcnt(24) lgkmcnt(0)
	v_fma_f64 v[63:64], v[83:84], v[67:68], v[63:64]
	s_waitcnt vmcnt(19)
	v_fma_f64 v[83:84], v[85:86], v[69:70], v[63:64]
	ds_read_b128 v[63:66], v62 offset:352
	ds_read_b128 v[67:70], v62 offset:368
	s_waitcnt vmcnt(18) lgkmcnt(1)
	v_fma_f64 v[63:64], v[91:92], v[63:64], v[83:84]
	s_waitcnt vmcnt(17)
	v_fma_f64 v[63:64], v[89:90], v[65:66], v[63:64]
	buffer_load_dword v84, off, s[0:3], 0 offset:204
	buffer_load_dword v85, off, s[0:3], 0 offset:224
	;; [unrolled: 1-line block ×8, first 2 shown]
	s_waitcnt vmcnt(24) lgkmcnt(0)
	v_fma_f64 v[63:64], v[87:88], v[67:68], v[63:64]
	s_waitcnt vmcnt(19)
	v_fma_f64 v[71:72], v[71:72], v[69:70], v[63:64]
	ds_read_b128 v[63:66], v62 offset:384
	ds_read_b128 v[67:70], v62 offset:400
	s_waitcnt vmcnt(18) lgkmcnt(1)
	v_fma_f64 v[63:64], v[95:96], v[63:64], v[71:72]
	buffer_load_dword v72, off, s[0:3], 0 offset:236
	buffer_load_dword v71, off, s[0:3], 0 offset:232
	;; [unrolled: 1-line block ×4, first 2 shown]
	s_waitcnt vmcnt(21)
	v_fma_f64 v[63:64], v[93:94], v[65:66], v[63:64]
	s_waitcnt vmcnt(20) lgkmcnt(0)
	v_fma_f64 v[63:64], v[73:74], v[67:68], v[63:64]
	s_waitcnt vmcnt(15)
	v_fma_f64 v[73:74], v[75:76], v[69:70], v[63:64]
	ds_read_b128 v[63:66], v62 offset:416
	ds_read_b128 v[67:70], v62 offset:432
	s_waitcnt vmcnt(14) lgkmcnt(1)
	v_fma_f64 v[63:64], v[81:82], v[63:64], v[73:74]
	s_waitcnt vmcnt(13)
	v_fma_f64 v[63:64], v[79:80], v[65:66], v[63:64]
	s_waitcnt vmcnt(12) lgkmcnt(0)
	v_fma_f64 v[63:64], v[77:78], v[67:68], v[63:64]
	s_waitcnt vmcnt(7)
	v_fma_f64 v[73:74], v[83:84], v[69:70], v[63:64]
	ds_read_b128 v[63:66], v62 offset:448
	ds_read_b128 v[67:70], v62 offset:464
	s_waitcnt vmcnt(6) lgkmcnt(1)
	v_fma_f64 v[62:63], v[91:92], v[63:64], v[73:74]
	s_waitcnt vmcnt(5)
	v_fma_f64 v[62:63], v[89:90], v[65:66], v[62:63]
	s_waitcnt vmcnt(4) lgkmcnt(0)
	v_fma_f64 v[62:63], v[85:86], v[67:68], v[62:63]
	s_waitcnt vmcnt(2)
	v_fma_f64 v[62:63], v[71:72], v[69:70], v[62:63]
	s_waitcnt vmcnt(0)
	v_add_f64 v[62:63], v[87:88], -v[62:63]
	buffer_store_dword v63, off, s[0:3], 0 offset:44
	buffer_store_dword v62, off, s[0:3], 0 offset:40
	s_and_saveexec_b64 s[4:5], vcc
	s_cbranch_execz .LBB93_179
; %bb.178:
	buffer_load_dword v62, off, s[0:3], 0 offset:32
	buffer_load_dword v63, off, s[0:3], 0 offset:36
	v_mov_b32_e32 v64, 0
	buffer_store_dword v64, off, s[0:3], 0 offset:32
	buffer_store_dword v64, off, s[0:3], 0 offset:36
	s_waitcnt vmcnt(2)
	ds_write_b64 v61, v[62:63]
.LBB93_179:
	s_or_b64 exec, exec, s[4:5]
	s_waitcnt lgkmcnt(0)
	; wave barrier
	buffer_load_dword v71, off, s[0:3], 0 offset:40
	buffer_load_dword v72, off, s[0:3], 0 offset:44
	;; [unrolled: 1-line block ×21, first 2 shown]
	v_mov_b32_e32 v62, 0
	ds_read2_b64 v[63:66], v62 offset0:35 offset1:36
	ds_read2_b64 v[67:70], v62 offset0:37 offset1:38
	buffer_load_dword v88, off, s[0:3], 0 offset:124
	v_cmp_lt_u32_e32 vcc, 3, v0
	s_waitcnt vmcnt(20) lgkmcnt(1)
	v_fma_f64 v[63:64], v[71:72], v[63:64], 0
	s_waitcnt vmcnt(18)
	v_fma_f64 v[63:64], v[73:74], v[65:66], v[63:64]
	buffer_load_dword v72, off, s[0:3], 0 offset:132
	buffer_load_dword v73, off, s[0:3], 0 offset:152
	;; [unrolled: 1-line block ×7, first 2 shown]
	s_waitcnt vmcnt(23) lgkmcnt(0)
	v_fma_f64 v[63:64], v[75:76], v[67:68], v[63:64]
	s_waitcnt vmcnt(21)
	v_fma_f64 v[74:75], v[77:78], v[69:70], v[63:64]
	ds_read2_b64 v[63:66], v62 offset0:39 offset1:40
	ds_read2_b64 v[67:70], v62 offset0:41 offset1:42
	s_waitcnt vmcnt(19) lgkmcnt(1)
	v_fma_f64 v[63:64], v[79:80], v[63:64], v[74:75]
	buffer_load_dword v74, off, s[0:3], 0 offset:156
	s_waitcnt vmcnt(18)
	v_fma_f64 v[63:64], v[81:82], v[65:66], v[63:64]
	buffer_load_dword v76, off, s[0:3], 0 offset:164
	buffer_load_dword v77, off, s[0:3], 0 offset:184
	;; [unrolled: 1-line block ×8, first 2 shown]
	s_waitcnt vmcnt(24) lgkmcnt(0)
	v_fma_f64 v[63:64], v[83:84], v[67:68], v[63:64]
	s_waitcnt vmcnt(19)
	v_fma_f64 v[83:84], v[85:86], v[69:70], v[63:64]
	ds_read2_b64 v[63:66], v62 offset0:43 offset1:44
	ds_read2_b64 v[67:70], v62 offset0:45 offset1:46
	s_waitcnt vmcnt(18) lgkmcnt(1)
	v_fma_f64 v[63:64], v[91:92], v[63:64], v[83:84]
	s_waitcnt vmcnt(17)
	v_fma_f64 v[63:64], v[89:90], v[65:66], v[63:64]
	buffer_load_dword v84, off, s[0:3], 0 offset:196
	buffer_load_dword v85, off, s[0:3], 0 offset:216
	;; [unrolled: 1-line block ×7, first 2 shown]
	s_waitcnt vmcnt(23) lgkmcnt(0)
	v_fma_f64 v[63:64], v[87:88], v[67:68], v[63:64]
	s_waitcnt vmcnt(18)
	v_fma_f64 v[71:72], v[71:72], v[69:70], v[63:64]
	ds_read2_b64 v[63:66], v62 offset0:47 offset1:48
	ds_read2_b64 v[67:70], v62 offset0:49 offset1:50
	buffer_load_dword v86, off, s[0:3], 0 offset:220
	s_waitcnt vmcnt(18) lgkmcnt(1)
	v_fma_f64 v[63:64], v[95:96], v[63:64], v[71:72]
	buffer_load_dword v72, off, s[0:3], 0 offset:228
	buffer_load_dword v87, off, s[0:3], 0 offset:232
	;; [unrolled: 1-line block ×4, first 2 shown]
	s_waitcnt vmcnt(21)
	v_fma_f64 v[63:64], v[93:94], v[65:66], v[63:64]
	s_waitcnt vmcnt(20) lgkmcnt(0)
	v_fma_f64 v[63:64], v[73:74], v[67:68], v[63:64]
	buffer_load_dword v73, off, s[0:3], 0 offset:32
	buffer_load_dword v74, off, s[0:3], 0 offset:36
	s_waitcnt vmcnt(17)
	v_fma_f64 v[75:76], v[75:76], v[69:70], v[63:64]
	ds_read2_b64 v[63:66], v62 offset0:51 offset1:52
	ds_read2_b64 v[67:70], v62 offset0:53 offset1:54
	s_waitcnt vmcnt(16) lgkmcnt(1)
	v_fma_f64 v[63:64], v[81:82], v[63:64], v[75:76]
	s_waitcnt vmcnt(15)
	v_fma_f64 v[63:64], v[79:80], v[65:66], v[63:64]
	s_waitcnt vmcnt(14) lgkmcnt(0)
	v_fma_f64 v[63:64], v[77:78], v[67:68], v[63:64]
	s_waitcnt vmcnt(9)
	v_fma_f64 v[75:76], v[83:84], v[69:70], v[63:64]
	ds_read2_b64 v[63:66], v62 offset0:55 offset1:56
	ds_read2_b64 v[67:70], v62 offset0:57 offset1:58
	s_waitcnt vmcnt(8) lgkmcnt(1)
	v_fma_f64 v[63:64], v[91:92], v[63:64], v[75:76]
	s_waitcnt vmcnt(7)
	v_fma_f64 v[63:64], v[89:90], v[65:66], v[63:64]
	ds_read_b64 v[65:66], v62 offset:472
	s_waitcnt vmcnt(6) lgkmcnt(1)
	v_fma_f64 v[63:64], v[85:86], v[67:68], v[63:64]
	s_waitcnt vmcnt(3)
	v_fma_f64 v[63:64], v[71:72], v[69:70], v[63:64]
	s_waitcnt vmcnt(2) lgkmcnt(0)
	v_fma_f64 v[63:64], v[87:88], v[65:66], v[63:64]
	s_waitcnt vmcnt(0)
	v_add_f64 v[63:64], v[73:74], -v[63:64]
	buffer_store_dword v64, off, s[0:3], 0 offset:36
	buffer_store_dword v63, off, s[0:3], 0 offset:32
	s_and_saveexec_b64 s[4:5], vcc
	s_cbranch_execz .LBB93_181
; %bb.180:
	buffer_load_dword v63, off, s[0:3], 0 offset:24
	buffer_load_dword v64, off, s[0:3], 0 offset:28
	s_waitcnt vmcnt(0)
	ds_write_b64 v61, v[63:64]
	buffer_store_dword v62, off, s[0:3], 0 offset:24
	buffer_store_dword v62, off, s[0:3], 0 offset:28
.LBB93_181:
	s_or_b64 exec, exec, s[4:5]
	s_waitcnt lgkmcnt(0)
	; wave barrier
	buffer_load_dword v71, off, s[0:3], 0 offset:32
	buffer_load_dword v72, off, s[0:3], 0 offset:36
	;; [unrolled: 1-line block ×22, first 2 shown]
	ds_read_b128 v[63:66], v62 offset:272
	ds_read_b128 v[67:70], v62 offset:288
	v_cmp_lt_u32_e32 vcc, 2, v0
	s_waitcnt vmcnt(20) lgkmcnt(1)
	v_fma_f64 v[63:64], v[71:72], v[63:64], 0
	s_waitcnt vmcnt(18)
	v_fma_f64 v[63:64], v[73:74], v[65:66], v[63:64]
	buffer_load_dword v72, off, s[0:3], 0 offset:124
	buffer_load_dword v73, off, s[0:3], 0 offset:144
	;; [unrolled: 1-line block ×7, first 2 shown]
	s_waitcnt vmcnt(23) lgkmcnt(0)
	v_fma_f64 v[63:64], v[75:76], v[67:68], v[63:64]
	s_waitcnt vmcnt(21)
	v_fma_f64 v[74:75], v[77:78], v[69:70], v[63:64]
	ds_read_b128 v[63:66], v62 offset:304
	ds_read_b128 v[67:70], v62 offset:320
	s_waitcnt vmcnt(19) lgkmcnt(1)
	v_fma_f64 v[63:64], v[79:80], v[63:64], v[74:75]
	buffer_load_dword v74, off, s[0:3], 0 offset:148
	s_waitcnt vmcnt(18)
	v_fma_f64 v[63:64], v[81:82], v[65:66], v[63:64]
	buffer_load_dword v76, off, s[0:3], 0 offset:156
	buffer_load_dword v77, off, s[0:3], 0 offset:176
	;; [unrolled: 1-line block ×8, first 2 shown]
	s_waitcnt vmcnt(24) lgkmcnt(0)
	v_fma_f64 v[63:64], v[83:84], v[67:68], v[63:64]
	s_waitcnt vmcnt(19)
	v_fma_f64 v[83:84], v[85:86], v[69:70], v[63:64]
	ds_read_b128 v[63:66], v62 offset:336
	ds_read_b128 v[67:70], v62 offset:352
	s_waitcnt vmcnt(18) lgkmcnt(1)
	v_fma_f64 v[63:64], v[91:92], v[63:64], v[83:84]
	s_waitcnt vmcnt(17)
	v_fma_f64 v[63:64], v[89:90], v[65:66], v[63:64]
	buffer_load_dword v84, off, s[0:3], 0 offset:188
	buffer_load_dword v85, off, s[0:3], 0 offset:208
	;; [unrolled: 1-line block ×8, first 2 shown]
	s_waitcnt vmcnt(24) lgkmcnt(0)
	v_fma_f64 v[63:64], v[87:88], v[67:68], v[63:64]
	s_waitcnt vmcnt(19)
	v_fma_f64 v[71:72], v[71:72], v[69:70], v[63:64]
	ds_read_b128 v[63:66], v62 offset:368
	ds_read_b128 v[67:70], v62 offset:384
	s_waitcnt vmcnt(18) lgkmcnt(1)
	v_fma_f64 v[63:64], v[95:96], v[63:64], v[71:72]
	s_waitcnt vmcnt(17)
	v_fma_f64 v[63:64], v[93:94], v[65:66], v[63:64]
	buffer_load_dword v72, off, s[0:3], 0 offset:220
	buffer_load_dword v87, off, s[0:3], 0 offset:232
	;; [unrolled: 1-line block ×6, first 2 shown]
	s_waitcnt vmcnt(22) lgkmcnt(0)
	v_fma_f64 v[63:64], v[73:74], v[67:68], v[63:64]
	s_waitcnt vmcnt(17)
	v_fma_f64 v[73:74], v[75:76], v[69:70], v[63:64]
	ds_read_b128 v[63:66], v62 offset:400
	buffer_load_dword v75, off, s[0:3], 0 offset:24
	buffer_load_dword v76, off, s[0:3], 0 offset:28
	ds_read_b128 v[67:70], v62 offset:416
	s_waitcnt vmcnt(18) lgkmcnt(1)
	v_fma_f64 v[63:64], v[81:82], v[63:64], v[73:74]
	s_waitcnt vmcnt(17)
	v_fma_f64 v[63:64], v[79:80], v[65:66], v[63:64]
	s_waitcnt vmcnt(16) lgkmcnt(0)
	v_fma_f64 v[63:64], v[77:78], v[67:68], v[63:64]
	s_waitcnt vmcnt(11)
	v_fma_f64 v[73:74], v[83:84], v[69:70], v[63:64]
	ds_read_b128 v[63:66], v62 offset:432
	ds_read_b128 v[67:70], v62 offset:448
	s_waitcnt vmcnt(10) lgkmcnt(1)
	v_fma_f64 v[63:64], v[91:92], v[63:64], v[73:74]
	s_waitcnt vmcnt(9)
	v_fma_f64 v[63:64], v[89:90], v[65:66], v[63:64]
	s_waitcnt vmcnt(8) lgkmcnt(0)
	v_fma_f64 v[63:64], v[85:86], v[67:68], v[63:64]
	s_waitcnt vmcnt(4)
	v_fma_f64 v[66:67], v[71:72], v[69:70], v[63:64]
	ds_read_b128 v[62:65], v62 offset:464
	s_waitcnt vmcnt(3) lgkmcnt(0)
	v_fma_f64 v[62:63], v[93:94], v[62:63], v[66:67]
	s_waitcnt vmcnt(2)
	v_fma_f64 v[62:63], v[87:88], v[64:65], v[62:63]
	s_waitcnt vmcnt(0)
	v_add_f64 v[62:63], v[75:76], -v[62:63]
	buffer_store_dword v63, off, s[0:3], 0 offset:28
	buffer_store_dword v62, off, s[0:3], 0 offset:24
	s_and_saveexec_b64 s[4:5], vcc
	s_cbranch_execz .LBB93_183
; %bb.182:
	buffer_load_dword v62, off, s[0:3], 0 offset:16
	buffer_load_dword v63, off, s[0:3], 0 offset:20
	v_mov_b32_e32 v64, 0
	buffer_store_dword v64, off, s[0:3], 0 offset:16
	buffer_store_dword v64, off, s[0:3], 0 offset:20
	s_waitcnt vmcnt(2)
	ds_write_b64 v61, v[62:63]
.LBB93_183:
	s_or_b64 exec, exec, s[4:5]
	s_waitcnt lgkmcnt(0)
	; wave barrier
	buffer_load_dword v71, off, s[0:3], 0 offset:24
	buffer_load_dword v72, off, s[0:3], 0 offset:28
	;; [unrolled: 1-line block ×22, first 2 shown]
	v_mov_b32_e32 v62, 0
	ds_read2_b64 v[63:66], v62 offset0:33 offset1:34
	ds_read2_b64 v[67:70], v62 offset0:35 offset1:36
	v_cmp_lt_u32_e32 vcc, 1, v0
	s_waitcnt vmcnt(20) lgkmcnt(1)
	v_fma_f64 v[63:64], v[71:72], v[63:64], 0
	s_waitcnt vmcnt(18)
	v_fma_f64 v[63:64], v[73:74], v[65:66], v[63:64]
	buffer_load_dword v72, off, s[0:3], 0 offset:116
	buffer_load_dword v73, off, s[0:3], 0 offset:136
	;; [unrolled: 1-line block ×7, first 2 shown]
	s_waitcnt vmcnt(23) lgkmcnt(0)
	v_fma_f64 v[63:64], v[75:76], v[67:68], v[63:64]
	s_waitcnt vmcnt(21)
	v_fma_f64 v[74:75], v[77:78], v[69:70], v[63:64]
	ds_read2_b64 v[63:66], v62 offset0:37 offset1:38
	ds_read2_b64 v[67:70], v62 offset0:39 offset1:40
	s_waitcnt vmcnt(19) lgkmcnt(1)
	v_fma_f64 v[63:64], v[79:80], v[63:64], v[74:75]
	buffer_load_dword v74, off, s[0:3], 0 offset:140
	s_waitcnt vmcnt(18)
	v_fma_f64 v[63:64], v[81:82], v[65:66], v[63:64]
	buffer_load_dword v76, off, s[0:3], 0 offset:148
	buffer_load_dword v77, off, s[0:3], 0 offset:168
	buffer_load_dword v79, off, s[0:3], 0 offset:160
	buffer_load_dword v81, off, s[0:3], 0 offset:152
	buffer_load_dword v75, off, s[0:3], 0 offset:144
	buffer_load_dword v82, off, s[0:3], 0 offset:156
	buffer_load_dword v80, off, s[0:3], 0 offset:164
	buffer_load_dword v78, off, s[0:3], 0 offset:172
	s_waitcnt vmcnt(24) lgkmcnt(0)
	v_fma_f64 v[63:64], v[83:84], v[67:68], v[63:64]
	s_waitcnt vmcnt(19)
	v_fma_f64 v[83:84], v[85:86], v[69:70], v[63:64]
	ds_read2_b64 v[63:66], v62 offset0:41 offset1:42
	ds_read2_b64 v[67:70], v62 offset0:43 offset1:44
	s_waitcnt vmcnt(18) lgkmcnt(1)
	v_fma_f64 v[63:64], v[91:92], v[63:64], v[83:84]
	s_waitcnt vmcnt(17)
	v_fma_f64 v[63:64], v[89:90], v[65:66], v[63:64]
	buffer_load_dword v84, off, s[0:3], 0 offset:180
	buffer_load_dword v85, off, s[0:3], 0 offset:200
	buffer_load_dword v89, off, s[0:3], 0 offset:192
	buffer_load_dword v91, off, s[0:3], 0 offset:184
	buffer_load_dword v83, off, s[0:3], 0 offset:176
	buffer_load_dword v92, off, s[0:3], 0 offset:188
	buffer_load_dword v90, off, s[0:3], 0 offset:196
	buffer_load_dword v86, off, s[0:3], 0 offset:204
	s_waitcnt vmcnt(24) lgkmcnt(0)
	v_fma_f64 v[63:64], v[87:88], v[67:68], v[63:64]
	s_waitcnt vmcnt(19)
	v_fma_f64 v[71:72], v[71:72], v[69:70], v[63:64]
	ds_read2_b64 v[63:66], v62 offset0:45 offset1:46
	ds_read2_b64 v[67:70], v62 offset0:47 offset1:48
	s_waitcnt vmcnt(18) lgkmcnt(1)
	v_fma_f64 v[63:64], v[95:96], v[63:64], v[71:72]
	;; [unrolled: 18-line block ×3, first 2 shown]
	buffer_load_dword v73, off, s[0:3], 0 offset:16
	buffer_load_dword v74, off, s[0:3], 0 offset:20
	s_waitcnt vmcnt(19)
	v_fma_f64 v[63:64], v[79:80], v[65:66], v[63:64]
	s_waitcnt vmcnt(18) lgkmcnt(0)
	v_fma_f64 v[63:64], v[77:78], v[67:68], v[63:64]
	s_waitcnt vmcnt(13)
	v_fma_f64 v[75:76], v[83:84], v[69:70], v[63:64]
	ds_read2_b64 v[63:66], v62 offset0:53 offset1:54
	ds_read2_b64 v[67:70], v62 offset0:55 offset1:56
	s_waitcnt vmcnt(12) lgkmcnt(1)
	v_fma_f64 v[63:64], v[91:92], v[63:64], v[75:76]
	s_waitcnt vmcnt(11)
	v_fma_f64 v[63:64], v[89:90], v[65:66], v[63:64]
	s_waitcnt vmcnt(10) lgkmcnt(0)
	v_fma_f64 v[63:64], v[85:86], v[67:68], v[63:64]
	s_waitcnt vmcnt(5)
	v_fma_f64 v[67:68], v[71:72], v[69:70], v[63:64]
	ds_read2_b64 v[63:66], v62 offset0:57 offset1:58
	ds_read_b64 v[69:70], v62 offset:472
	s_waitcnt vmcnt(4) lgkmcnt(1)
	v_fma_f64 v[63:64], v[95:96], v[63:64], v[67:68]
	s_waitcnt vmcnt(3)
	v_fma_f64 v[63:64], v[93:94], v[65:66], v[63:64]
	s_waitcnt vmcnt(2) lgkmcnt(0)
	v_fma_f64 v[63:64], v[87:88], v[69:70], v[63:64]
	s_waitcnt vmcnt(0)
	v_add_f64 v[63:64], v[73:74], -v[63:64]
	buffer_store_dword v64, off, s[0:3], 0 offset:20
	buffer_store_dword v63, off, s[0:3], 0 offset:16
	s_and_saveexec_b64 s[4:5], vcc
	s_cbranch_execz .LBB93_185
; %bb.184:
	buffer_load_dword v63, off, s[0:3], 0 offset:8
	buffer_load_dword v64, off, s[0:3], 0 offset:12
	s_waitcnt vmcnt(0)
	ds_write_b64 v61, v[63:64]
	buffer_store_dword v62, off, s[0:3], 0 offset:8
	buffer_store_dword v62, off, s[0:3], 0 offset:12
.LBB93_185:
	s_or_b64 exec, exec, s[4:5]
	s_waitcnt lgkmcnt(0)
	; wave barrier
	buffer_load_dword v71, off, s[0:3], 0 offset:16
	buffer_load_dword v72, off, s[0:3], 0 offset:20
	;; [unrolled: 1-line block ×22, first 2 shown]
	ds_read_b128 v[63:66], v62 offset:256
	ds_read_b128 v[67:70], v62 offset:272
	v_cmp_ne_u32_e32 vcc, 0, v0
	s_waitcnt vmcnt(20) lgkmcnt(1)
	v_fma_f64 v[63:64], v[71:72], v[63:64], 0
	s_waitcnt vmcnt(18)
	v_fma_f64 v[63:64], v[73:74], v[65:66], v[63:64]
	buffer_load_dword v72, off, s[0:3], 0 offset:108
	buffer_load_dword v73, off, s[0:3], 0 offset:128
	;; [unrolled: 1-line block ×7, first 2 shown]
	s_waitcnt vmcnt(23) lgkmcnt(0)
	v_fma_f64 v[63:64], v[75:76], v[67:68], v[63:64]
	s_waitcnt vmcnt(21)
	v_fma_f64 v[74:75], v[77:78], v[69:70], v[63:64]
	ds_read_b128 v[63:66], v62 offset:288
	ds_read_b128 v[67:70], v62 offset:304
	s_waitcnt vmcnt(19) lgkmcnt(1)
	v_fma_f64 v[63:64], v[79:80], v[63:64], v[74:75]
	buffer_load_dword v74, off, s[0:3], 0 offset:132
	s_waitcnt vmcnt(18)
	v_fma_f64 v[63:64], v[81:82], v[65:66], v[63:64]
	buffer_load_dword v76, off, s[0:3], 0 offset:140
	buffer_load_dword v77, off, s[0:3], 0 offset:160
	buffer_load_dword v79, off, s[0:3], 0 offset:152
	buffer_load_dword v81, off, s[0:3], 0 offset:144
	buffer_load_dword v75, off, s[0:3], 0 offset:136
	buffer_load_dword v82, off, s[0:3], 0 offset:148
	buffer_load_dword v80, off, s[0:3], 0 offset:156
	buffer_load_dword v78, off, s[0:3], 0 offset:164
	s_waitcnt vmcnt(24) lgkmcnt(0)
	v_fma_f64 v[63:64], v[83:84], v[67:68], v[63:64]
	s_waitcnt vmcnt(19)
	v_fma_f64 v[83:84], v[85:86], v[69:70], v[63:64]
	ds_read_b128 v[63:66], v62 offset:320
	ds_read_b128 v[67:70], v62 offset:336
	s_waitcnt vmcnt(18) lgkmcnt(1)
	v_fma_f64 v[63:64], v[91:92], v[63:64], v[83:84]
	s_waitcnt vmcnt(17)
	v_fma_f64 v[63:64], v[89:90], v[65:66], v[63:64]
	buffer_load_dword v84, off, s[0:3], 0 offset:172
	buffer_load_dword v85, off, s[0:3], 0 offset:192
	buffer_load_dword v89, off, s[0:3], 0 offset:184
	buffer_load_dword v91, off, s[0:3], 0 offset:176
	buffer_load_dword v83, off, s[0:3], 0 offset:168
	buffer_load_dword v92, off, s[0:3], 0 offset:180
	buffer_load_dword v90, off, s[0:3], 0 offset:188
	buffer_load_dword v86, off, s[0:3], 0 offset:196
	s_waitcnt vmcnt(24) lgkmcnt(0)
	v_fma_f64 v[63:64], v[87:88], v[67:68], v[63:64]
	s_waitcnt vmcnt(19)
	v_fma_f64 v[71:72], v[71:72], v[69:70], v[63:64]
	ds_read_b128 v[63:66], v62 offset:352
	ds_read_b128 v[67:70], v62 offset:368
	s_waitcnt vmcnt(18) lgkmcnt(1)
	v_fma_f64 v[63:64], v[95:96], v[63:64], v[71:72]
	;; [unrolled: 18-line block ×3, first 2 shown]
	buffer_load_dword v74, off, s[0:3], 0 offset:236
	buffer_load_dword v73, off, s[0:3], 0 offset:232
	;; [unrolled: 1-line block ×4, first 2 shown]
	s_waitcnt vmcnt(21)
	v_fma_f64 v[63:64], v[79:80], v[65:66], v[63:64]
	s_waitcnt vmcnt(20) lgkmcnt(0)
	v_fma_f64 v[63:64], v[77:78], v[67:68], v[63:64]
	s_waitcnt vmcnt(15)
	v_fma_f64 v[77:78], v[83:84], v[69:70], v[63:64]
	ds_read_b128 v[63:66], v62 offset:416
	ds_read_b128 v[67:70], v62 offset:432
	s_waitcnt vmcnt(14) lgkmcnt(1)
	v_fma_f64 v[63:64], v[91:92], v[63:64], v[77:78]
	s_waitcnt vmcnt(13)
	v_fma_f64 v[63:64], v[89:90], v[65:66], v[63:64]
	s_waitcnt vmcnt(12) lgkmcnt(0)
	v_fma_f64 v[63:64], v[85:86], v[67:68], v[63:64]
	s_waitcnt vmcnt(7)
	v_fma_f64 v[71:72], v[71:72], v[69:70], v[63:64]
	ds_read_b128 v[63:66], v62 offset:448
	ds_read_b128 v[67:70], v62 offset:464
	s_waitcnt vmcnt(6) lgkmcnt(1)
	v_fma_f64 v[62:63], v[95:96], v[63:64], v[71:72]
	s_waitcnt vmcnt(5)
	v_fma_f64 v[62:63], v[93:94], v[65:66], v[62:63]
	s_waitcnt vmcnt(4) lgkmcnt(0)
	v_fma_f64 v[62:63], v[87:88], v[67:68], v[62:63]
	s_waitcnt vmcnt(2)
	v_fma_f64 v[62:63], v[73:74], v[69:70], v[62:63]
	s_waitcnt vmcnt(0)
	v_add_f64 v[62:63], v[75:76], -v[62:63]
	buffer_store_dword v63, off, s[0:3], 0 offset:12
	buffer_store_dword v62, off, s[0:3], 0 offset:8
	s_and_saveexec_b64 s[4:5], vcc
	s_cbranch_execz .LBB93_187
; %bb.186:
	buffer_load_dword v62, off, s[0:3], 0
	buffer_load_dword v63, off, s[0:3], 0 offset:4
	v_mov_b32_e32 v0, 0
	buffer_store_dword v0, off, s[0:3], 0
	buffer_store_dword v0, off, s[0:3], 0 offset:4
	s_waitcnt vmcnt(2)
	ds_write_b64 v61, v[62:63]
.LBB93_187:
	s_or_b64 exec, exec, s[4:5]
	s_waitcnt lgkmcnt(0)
	; wave barrier
	buffer_load_dword v69, off, s[0:3], 0 offset:8
	buffer_load_dword v70, off, s[0:3], 0 offset:12
	;; [unrolled: 1-line block ×22, first 2 shown]
	v_mov_b32_e32 v0, 0
	ds_read2_b64 v[61:64], v0 offset0:31 offset1:32
	ds_read2_b64 v[65:68], v0 offset0:33 offset1:34
	s_and_b64 vcc, exec, s[14:15]
	s_waitcnt vmcnt(20) lgkmcnt(1)
	v_fma_f64 v[61:62], v[69:70], v[61:62], 0
	s_waitcnt vmcnt(18)
	v_fma_f64 v[61:62], v[71:72], v[63:64], v[61:62]
	buffer_load_dword v70, off, s[0:3], 0 offset:100
	buffer_load_dword v71, off, s[0:3], 0 offset:120
	;; [unrolled: 1-line block ×7, first 2 shown]
	s_waitcnt vmcnt(23) lgkmcnt(0)
	v_fma_f64 v[61:62], v[73:74], v[65:66], v[61:62]
	s_waitcnt vmcnt(21)
	v_fma_f64 v[72:73], v[75:76], v[67:68], v[61:62]
	ds_read2_b64 v[61:64], v0 offset0:35 offset1:36
	ds_read2_b64 v[65:68], v0 offset0:37 offset1:38
	s_waitcnt vmcnt(19) lgkmcnt(1)
	v_fma_f64 v[61:62], v[77:78], v[61:62], v[72:73]
	buffer_load_dword v72, off, s[0:3], 0 offset:124
	s_waitcnt vmcnt(18)
	v_fma_f64 v[61:62], v[79:80], v[63:64], v[61:62]
	buffer_load_dword v74, off, s[0:3], 0 offset:132
	buffer_load_dword v75, off, s[0:3], 0 offset:152
	;; [unrolled: 1-line block ×7, first 2 shown]
	s_waitcnt vmcnt(23) lgkmcnt(0)
	v_fma_f64 v[61:62], v[81:82], v[65:66], v[61:62]
	s_waitcnt vmcnt(18)
	v_fma_f64 v[81:82], v[83:84], v[67:68], v[61:62]
	ds_read2_b64 v[61:64], v0 offset0:39 offset1:40
	ds_read2_b64 v[65:68], v0 offset0:41 offset1:42
	buffer_load_dword v76, off, s[0:3], 0 offset:156
	s_waitcnt vmcnt(18) lgkmcnt(1)
	v_fma_f64 v[61:62], v[89:90], v[61:62], v[81:82]
	s_waitcnt vmcnt(17)
	v_fma_f64 v[61:62], v[87:88], v[63:64], v[61:62]
	buffer_load_dword v82, off, s[0:3], 0 offset:164
	buffer_load_dword v83, off, s[0:3], 0 offset:184
	;; [unrolled: 1-line block ×8, first 2 shown]
	s_waitcnt vmcnt(24) lgkmcnt(0)
	v_fma_f64 v[61:62], v[85:86], v[65:66], v[61:62]
	s_waitcnt vmcnt(19)
	v_fma_f64 v[69:70], v[69:70], v[67:68], v[61:62]
	ds_read2_b64 v[61:64], v0 offset0:43 offset1:44
	ds_read2_b64 v[65:68], v0 offset0:45 offset1:46
	s_waitcnt vmcnt(18) lgkmcnt(1)
	v_fma_f64 v[61:62], v[93:94], v[61:62], v[69:70]
	s_waitcnt vmcnt(17)
	v_fma_f64 v[61:62], v[91:92], v[63:64], v[61:62]
	buffer_load_dword v86, off, s[0:3], 0 offset:196
	buffer_load_dword v91, off, s[0:3], 0 offset:216
	;; [unrolled: 1-line block ×7, first 2 shown]
	s_waitcnt vmcnt(23) lgkmcnt(0)
	v_fma_f64 v[61:62], v[71:72], v[65:66], v[61:62]
	s_waitcnt vmcnt(18)
	v_fma_f64 v[69:70], v[73:74], v[67:68], v[61:62]
	ds_read2_b64 v[61:64], v0 offset0:47 offset1:48
	ds_read2_b64 v[65:68], v0 offset0:49 offset1:50
	buffer_load_dword v92, off, s[0:3], 0 offset:220
	s_waitcnt vmcnt(18) lgkmcnt(1)
	v_fma_f64 v[61:62], v[79:80], v[61:62], v[69:70]
	s_waitcnt vmcnt(17)
	v_fma_f64 v[63:64], v[77:78], v[63:64], v[61:62]
	buffer_load_dword v62, off, s[0:3], 0 offset:228
	buffer_load_dword v71, off, s[0:3], 0 offset:232
	;; [unrolled: 1-line block ×4, first 2 shown]
	buffer_load_dword v73, off, s[0:3], 0
	buffer_load_dword v74, off, s[0:3], 0 offset:4
	s_waitcnt vmcnt(22) lgkmcnt(0)
	v_fma_f64 v[63:64], v[75:76], v[65:66], v[63:64]
	s_waitcnt vmcnt(17)
	v_fma_f64 v[75:76], v[81:82], v[67:68], v[63:64]
	ds_read2_b64 v[63:66], v0 offset0:51 offset1:52
	ds_read2_b64 v[67:70], v0 offset0:53 offset1:54
	s_waitcnt vmcnt(16) lgkmcnt(1)
	v_fma_f64 v[63:64], v[89:90], v[63:64], v[75:76]
	s_waitcnt vmcnt(15)
	v_fma_f64 v[63:64], v[87:88], v[65:66], v[63:64]
	s_waitcnt vmcnt(14) lgkmcnt(0)
	v_fma_f64 v[63:64], v[83:84], v[67:68], v[63:64]
	s_waitcnt vmcnt(9)
	v_fma_f64 v[75:76], v[85:86], v[69:70], v[63:64]
	ds_read2_b64 v[63:66], v0 offset0:55 offset1:56
	ds_read2_b64 v[67:70], v0 offset0:57 offset1:58
	s_waitcnt vmcnt(8) lgkmcnt(1)
	v_fma_f64 v[63:64], v[95:96], v[63:64], v[75:76]
	s_waitcnt vmcnt(7)
	v_fma_f64 v[63:64], v[93:94], v[65:66], v[63:64]
	ds_read_b64 v[65:66], v0 offset:472
	s_waitcnt vmcnt(6) lgkmcnt(1)
	v_fma_f64 v[63:64], v[91:92], v[67:68], v[63:64]
	s_waitcnt vmcnt(3)
	v_fma_f64 v[63:64], v[61:62], v[69:70], v[63:64]
	s_waitcnt vmcnt(2) lgkmcnt(0)
	v_fma_f64 v[63:64], v[71:72], v[65:66], v[63:64]
	s_waitcnt vmcnt(0)
	v_add_f64 v[63:64], v[73:74], -v[63:64]
	buffer_store_dword v64, off, s[0:3], 0 offset:4
	buffer_store_dword v63, off, s[0:3], 0
	s_cbranch_vccz .LBB93_246
; %bb.188:
	global_load_dword v0, v0, s[12:13] offset:112
	s_waitcnt vmcnt(0)
	v_add_u32_e32 v0, -1, v0
	v_cmp_ne_u32_e32 vcc, 28, v0
	s_cbranch_vccz .LBB93_190
; %bb.189:
	v_lshlrev_b32_e32 v0, 3, v0
	buffer_load_dword v63, v0, s[0:3], 0 offen offset:4
	buffer_load_dword v64, v0, s[0:3], 0 offen
	s_waitcnt vmcnt(1)
	buffer_store_dword v63, off, s[0:3], 0 offset:228
	s_waitcnt vmcnt(1)
	buffer_store_dword v64, off, s[0:3], 0 offset:224
	buffer_store_dword v62, v0, s[0:3], 0 offen offset:4
	buffer_store_dword v61, v0, s[0:3], 0 offen
.LBB93_190:
	v_mov_b32_e32 v0, 0
	global_load_dword v61, v0, s[12:13] offset:108
	s_waitcnt vmcnt(0)
	v_add_u32_e32 v61, -1, v61
	v_cmp_eq_u32_e32 vcc, 27, v61
	s_cbranch_vccnz .LBB93_192
; %bb.191:
	v_lshlrev_b32_e32 v61, 3, v61
	buffer_load_dword v62, v61, s[0:3], 0 offen
	buffer_load_dword v63, v61, s[0:3], 0 offen offset:4
	buffer_load_dword v64, off, s[0:3], 0 offset:216
	buffer_load_dword v65, off, s[0:3], 0 offset:220
	s_waitcnt vmcnt(3)
	buffer_store_dword v62, off, s[0:3], 0 offset:216
	s_waitcnt vmcnt(3)
	buffer_store_dword v63, off, s[0:3], 0 offset:220
	s_waitcnt vmcnt(3)
	buffer_store_dword v64, v61, s[0:3], 0 offen
	s_waitcnt vmcnt(3)
	buffer_store_dword v65, v61, s[0:3], 0 offen offset:4
.LBB93_192:
	global_load_dword v0, v0, s[12:13] offset:104
	s_waitcnt vmcnt(0)
	v_add_u32_e32 v0, -1, v0
	v_cmp_eq_u32_e32 vcc, 26, v0
	s_cbranch_vccnz .LBB93_194
; %bb.193:
	v_lshlrev_b32_e32 v0, 3, v0
	buffer_load_dword v61, v0, s[0:3], 0 offen
	buffer_load_dword v62, v0, s[0:3], 0 offen offset:4
	buffer_load_dword v63, off, s[0:3], 0 offset:212
	buffer_load_dword v64, off, s[0:3], 0 offset:208
	s_waitcnt vmcnt(3)
	buffer_store_dword v61, off, s[0:3], 0 offset:208
	s_waitcnt vmcnt(3)
	buffer_store_dword v62, off, s[0:3], 0 offset:212
	s_waitcnt vmcnt(3)
	buffer_store_dword v63, v0, s[0:3], 0 offen offset:4
	s_waitcnt vmcnt(3)
	buffer_store_dword v64, v0, s[0:3], 0 offen
.LBB93_194:
	v_mov_b32_e32 v0, 0
	global_load_dword v61, v0, s[12:13] offset:100
	s_waitcnt vmcnt(0)
	v_add_u32_e32 v61, -1, v61
	v_cmp_eq_u32_e32 vcc, 25, v61
	s_cbranch_vccnz .LBB93_196
; %bb.195:
	v_lshlrev_b32_e32 v61, 3, v61
	buffer_load_dword v62, v61, s[0:3], 0 offen
	buffer_load_dword v63, v61, s[0:3], 0 offen offset:4
	buffer_load_dword v64, off, s[0:3], 0 offset:200
	buffer_load_dword v65, off, s[0:3], 0 offset:204
	s_waitcnt vmcnt(3)
	buffer_store_dword v62, off, s[0:3], 0 offset:200
	s_waitcnt vmcnt(3)
	buffer_store_dword v63, off, s[0:3], 0 offset:204
	s_waitcnt vmcnt(3)
	buffer_store_dword v64, v61, s[0:3], 0 offen
	s_waitcnt vmcnt(3)
	buffer_store_dword v65, v61, s[0:3], 0 offen offset:4
.LBB93_196:
	global_load_dword v0, v0, s[12:13] offset:96
	s_waitcnt vmcnt(0)
	v_add_u32_e32 v0, -1, v0
	v_cmp_eq_u32_e32 vcc, 24, v0
	s_cbranch_vccnz .LBB93_198
; %bb.197:
	v_lshlrev_b32_e32 v0, 3, v0
	buffer_load_dword v61, v0, s[0:3], 0 offen
	buffer_load_dword v62, v0, s[0:3], 0 offen offset:4
	buffer_load_dword v63, off, s[0:3], 0 offset:196
	buffer_load_dword v64, off, s[0:3], 0 offset:192
	s_waitcnt vmcnt(3)
	buffer_store_dword v61, off, s[0:3], 0 offset:192
	s_waitcnt vmcnt(3)
	buffer_store_dword v62, off, s[0:3], 0 offset:196
	s_waitcnt vmcnt(3)
	buffer_store_dword v63, v0, s[0:3], 0 offen offset:4
	s_waitcnt vmcnt(3)
	buffer_store_dword v64, v0, s[0:3], 0 offen
.LBB93_198:
	;; [unrolled: 41-line block ×13, first 2 shown]
	v_mov_b32_e32 v0, 0
	global_load_dword v61, v0, s[12:13] offset:4
	s_waitcnt vmcnt(0)
	v_add_u32_e32 v61, -1, v61
	v_cmp_eq_u32_e32 vcc, 1, v61
	s_cbranch_vccnz .LBB93_244
; %bb.243:
	v_lshlrev_b32_e32 v61, 3, v61
	buffer_load_dword v62, v61, s[0:3], 0 offen
	buffer_load_dword v63, v61, s[0:3], 0 offen offset:4
	buffer_load_dword v64, off, s[0:3], 0 offset:8
	buffer_load_dword v65, off, s[0:3], 0 offset:12
	s_waitcnt vmcnt(3)
	buffer_store_dword v62, off, s[0:3], 0 offset:8
	s_waitcnt vmcnt(3)
	buffer_store_dword v63, off, s[0:3], 0 offset:12
	s_waitcnt vmcnt(3)
	buffer_store_dword v64, v61, s[0:3], 0 offen
	s_waitcnt vmcnt(3)
	buffer_store_dword v65, v61, s[0:3], 0 offen offset:4
.LBB93_244:
	global_load_dword v0, v0, s[12:13]
	s_nop 0
	buffer_load_dword v63, off, s[0:3], 0
	buffer_load_dword v64, off, s[0:3], 0 offset:4
	s_waitcnt vmcnt(2)
	v_add_u32_e32 v0, -1, v0
	v_cmp_eq_u32_e32 vcc, 0, v0
	s_cbranch_vccnz .LBB93_246
; %bb.245:
	v_lshlrev_b32_e32 v0, 3, v0
	buffer_load_dword v61, v0, s[0:3], 0 offen offset:4
	buffer_load_dword v62, v0, s[0:3], 0 offen
	s_waitcnt vmcnt(1)
	buffer_store_dword v61, off, s[0:3], 0 offset:4
	s_waitcnt vmcnt(1)
	buffer_store_dword v62, off, s[0:3], 0
	buffer_store_dword v64, v0, s[0:3], 0 offen offset:4
	buffer_store_dword v63, v0, s[0:3], 0 offen
	buffer_load_dword v63, off, s[0:3], 0
	s_nop 0
	buffer_load_dword v64, off, s[0:3], 0 offset:4
.LBB93_246:
	s_waitcnt vmcnt(0)
	flat_store_dwordx2 v[1:2], v[63:64]
	buffer_load_dword v0, off, s[0:3], 0 offset:8
	s_nop 0
	buffer_load_dword v1, off, s[0:3], 0 offset:12
	s_waitcnt vmcnt(0)
	flat_store_dwordx2 v[3:4], v[0:1]
	buffer_load_dword v0, off, s[0:3], 0 offset:16
	s_nop 0
	buffer_load_dword v1, off, s[0:3], 0 offset:20
	;; [unrolled: 5-line block ×29, first 2 shown]
	s_waitcnt vmcnt(0)
	flat_store_dwordx2 v[59:60], v[0:1]
	s_endpgm
	.section	.rodata,"a",@progbits
	.p2align	6, 0x0
	.amdhsa_kernel _ZN9rocsolver6v33100L18getri_kernel_smallILi30EdPKPdEEvT1_iilPiilS6_bb
		.amdhsa_group_segment_fixed_size 488
		.amdhsa_private_segment_fixed_size 256
		.amdhsa_kernarg_size 60
		.amdhsa_user_sgpr_count 6
		.amdhsa_user_sgpr_private_segment_buffer 1
		.amdhsa_user_sgpr_dispatch_ptr 0
		.amdhsa_user_sgpr_queue_ptr 0
		.amdhsa_user_sgpr_kernarg_segment_ptr 1
		.amdhsa_user_sgpr_dispatch_id 0
		.amdhsa_user_sgpr_flat_scratch_init 0
		.amdhsa_user_sgpr_private_segment_size 0
		.amdhsa_uses_dynamic_stack 0
		.amdhsa_system_sgpr_private_segment_wavefront_offset 1
		.amdhsa_system_sgpr_workgroup_id_x 1
		.amdhsa_system_sgpr_workgroup_id_y 0
		.amdhsa_system_sgpr_workgroup_id_z 0
		.amdhsa_system_sgpr_workgroup_info 0
		.amdhsa_system_vgpr_workitem_id 0
		.amdhsa_next_free_vgpr 97
		.amdhsa_next_free_sgpr 21
		.amdhsa_reserve_vcc 1
		.amdhsa_reserve_flat_scratch 0
		.amdhsa_float_round_mode_32 0
		.amdhsa_float_round_mode_16_64 0
		.amdhsa_float_denorm_mode_32 3
		.amdhsa_float_denorm_mode_16_64 3
		.amdhsa_dx10_clamp 1
		.amdhsa_ieee_mode 1
		.amdhsa_fp16_overflow 0
		.amdhsa_exception_fp_ieee_invalid_op 0
		.amdhsa_exception_fp_denorm_src 0
		.amdhsa_exception_fp_ieee_div_zero 0
		.amdhsa_exception_fp_ieee_overflow 0
		.amdhsa_exception_fp_ieee_underflow 0
		.amdhsa_exception_fp_ieee_inexact 0
		.amdhsa_exception_int_div_zero 0
	.end_amdhsa_kernel
	.section	.text._ZN9rocsolver6v33100L18getri_kernel_smallILi30EdPKPdEEvT1_iilPiilS6_bb,"axG",@progbits,_ZN9rocsolver6v33100L18getri_kernel_smallILi30EdPKPdEEvT1_iilPiilS6_bb,comdat
.Lfunc_end93:
	.size	_ZN9rocsolver6v33100L18getri_kernel_smallILi30EdPKPdEEvT1_iilPiilS6_bb, .Lfunc_end93-_ZN9rocsolver6v33100L18getri_kernel_smallILi30EdPKPdEEvT1_iilPiilS6_bb
                                        ; -- End function
	.set _ZN9rocsolver6v33100L18getri_kernel_smallILi30EdPKPdEEvT1_iilPiilS6_bb.num_vgpr, 97
	.set _ZN9rocsolver6v33100L18getri_kernel_smallILi30EdPKPdEEvT1_iilPiilS6_bb.num_agpr, 0
	.set _ZN9rocsolver6v33100L18getri_kernel_smallILi30EdPKPdEEvT1_iilPiilS6_bb.numbered_sgpr, 21
	.set _ZN9rocsolver6v33100L18getri_kernel_smallILi30EdPKPdEEvT1_iilPiilS6_bb.num_named_barrier, 0
	.set _ZN9rocsolver6v33100L18getri_kernel_smallILi30EdPKPdEEvT1_iilPiilS6_bb.private_seg_size, 256
	.set _ZN9rocsolver6v33100L18getri_kernel_smallILi30EdPKPdEEvT1_iilPiilS6_bb.uses_vcc, 1
	.set _ZN9rocsolver6v33100L18getri_kernel_smallILi30EdPKPdEEvT1_iilPiilS6_bb.uses_flat_scratch, 0
	.set _ZN9rocsolver6v33100L18getri_kernel_smallILi30EdPKPdEEvT1_iilPiilS6_bb.has_dyn_sized_stack, 0
	.set _ZN9rocsolver6v33100L18getri_kernel_smallILi30EdPKPdEEvT1_iilPiilS6_bb.has_recursion, 0
	.set _ZN9rocsolver6v33100L18getri_kernel_smallILi30EdPKPdEEvT1_iilPiilS6_bb.has_indirect_call, 0
	.section	.AMDGPU.csdata,"",@progbits
; Kernel info:
; codeLenInByte = 28944
; TotalNumSgprs: 25
; NumVgprs: 97
; ScratchSize: 256
; MemoryBound: 0
; FloatMode: 240
; IeeeMode: 1
; LDSByteSize: 488 bytes/workgroup (compile time only)
; SGPRBlocks: 3
; VGPRBlocks: 24
; NumSGPRsForWavesPerEU: 25
; NumVGPRsForWavesPerEU: 97
; Occupancy: 2
; WaveLimiterHint : 1
; COMPUTE_PGM_RSRC2:SCRATCH_EN: 1
; COMPUTE_PGM_RSRC2:USER_SGPR: 6
; COMPUTE_PGM_RSRC2:TRAP_HANDLER: 0
; COMPUTE_PGM_RSRC2:TGID_X_EN: 1
; COMPUTE_PGM_RSRC2:TGID_Y_EN: 0
; COMPUTE_PGM_RSRC2:TGID_Z_EN: 0
; COMPUTE_PGM_RSRC2:TIDIG_COMP_CNT: 0
	.section	.text._ZN9rocsolver6v33100L18getri_kernel_smallILi31EdPKPdEEvT1_iilPiilS6_bb,"axG",@progbits,_ZN9rocsolver6v33100L18getri_kernel_smallILi31EdPKPdEEvT1_iilPiilS6_bb,comdat
	.globl	_ZN9rocsolver6v33100L18getri_kernel_smallILi31EdPKPdEEvT1_iilPiilS6_bb ; -- Begin function _ZN9rocsolver6v33100L18getri_kernel_smallILi31EdPKPdEEvT1_iilPiilS6_bb
	.p2align	8
	.type	_ZN9rocsolver6v33100L18getri_kernel_smallILi31EdPKPdEEvT1_iilPiilS6_bb,@function
_ZN9rocsolver6v33100L18getri_kernel_smallILi31EdPKPdEEvT1_iilPiilS6_bb: ; @_ZN9rocsolver6v33100L18getri_kernel_smallILi31EdPKPdEEvT1_iilPiilS6_bb
; %bb.0:
	s_add_u32 s0, s0, s7
	s_addc_u32 s1, s1, 0
	v_cmp_gt_u32_e32 vcc, 31, v0
	s_and_saveexec_b64 s[8:9], vcc
	s_cbranch_execz .LBB94_132
; %bb.1:
	s_load_dword s18, s[4:5], 0x38
	s_load_dwordx2 s[12:13], s[4:5], 0x0
	s_load_dwordx4 s[8:11], s[4:5], 0x28
	s_waitcnt lgkmcnt(0)
	s_bitcmp1_b32 s18, 8
	s_cselect_b64 s[14:15], -1, 0
	s_ashr_i32 s7, s6, 31
	s_lshl_b64 s[16:17], s[6:7], 3
	s_add_u32 s12, s12, s16
	s_addc_u32 s13, s13, s17
	s_load_dwordx2 s[16:17], s[12:13], 0x0
	s_bfe_u32 s12, s18, 0x10008
	s_cmp_eq_u32 s12, 0
                                        ; implicit-def: $sgpr12_sgpr13
	s_cbranch_scc1 .LBB94_3
; %bb.2:
	s_load_dword s12, s[4:5], 0x20
	s_load_dwordx2 s[18:19], s[4:5], 0x18
	s_mul_i32 s13, s8, s7
	s_mul_hi_u32 s20, s8, s6
	s_add_i32 s20, s20, s13
	s_mul_i32 s9, s9, s6
	s_add_i32 s9, s20, s9
	s_mul_i32 s8, s8, s6
	s_waitcnt lgkmcnt(0)
	s_ashr_i32 s13, s12, 31
	s_lshl_b64 s[8:9], s[8:9], 2
	s_add_u32 s18, s18, s8
	s_addc_u32 s19, s19, s9
	s_lshl_b64 s[8:9], s[12:13], 2
	s_add_u32 s12, s18, s8
	s_addc_u32 s13, s19, s9
.LBB94_3:
	s_load_dwordx2 s[8:9], s[4:5], 0x8
	s_load_dword s18, s[4:5], 0x38
	v_lshlrev_b32_e32 v65, 3, v0
	s_waitcnt lgkmcnt(0)
	s_ashr_i32 s5, s8, 31
	s_mov_b32 s4, s8
	s_lshl_b64 s[4:5], s[4:5], 3
	s_add_u32 s4, s16, s4
	s_addc_u32 s5, s17, s5
	v_mov_b32_e32 v2, s5
	v_add_co_u32_e32 v1, vcc, s4, v65
	v_addc_co_u32_e32 v2, vcc, 0, v2, vcc
	flat_load_dwordx2 v[5:6], v[1:2]
	s_mov_b32 s16, s9
	s_ashr_i32 s17, s9, 31
	s_lshl_b64 s[16:17], s[16:17], 3
	v_mov_b32_e32 v4, s17
	v_add_co_u32_e32 v3, vcc, s16, v1
	v_addc_co_u32_e32 v4, vcc, v2, v4, vcc
	s_add_i32 s8, s9, s9
	v_add_u32_e32 v9, s8, v0
	v_ashrrev_i32_e32 v10, 31, v9
	v_mov_b32_e32 v11, s5
	v_add_u32_e32 v12, s9, v9
	v_ashrrev_i32_e32 v13, 31, v12
	v_mov_b32_e32 v14, s5
	v_mov_b32_e32 v15, s5
	;; [unrolled: 1-line block ×27, first 2 shown]
	s_bitcmp0_b32 s18, 0
	s_waitcnt vmcnt(0) lgkmcnt(0)
	buffer_store_dword v6, off, s[0:3], 0 offset:4
	buffer_store_dword v5, off, s[0:3], 0
	flat_load_dwordx2 v[7:8], v[3:4]
	v_lshlrev_b64 v[5:6], 3, v[9:10]
	s_waitcnt vmcnt(0) lgkmcnt(0)
	buffer_store_dword v8, off, s[0:3], 0 offset:12
	buffer_store_dword v7, off, s[0:3], 0 offset:8
	v_add_co_u32_e32 v5, vcc, s4, v5
	v_addc_co_u32_e32 v6, vcc, v11, v6, vcc
	flat_load_dwordx2 v[10:11], v[5:6]
	v_lshlrev_b64 v[7:8], 3, v[12:13]
	s_waitcnt vmcnt(0) lgkmcnt(0)
	buffer_store_dword v11, off, s[0:3], 0 offset:20
	buffer_store_dword v10, off, s[0:3], 0 offset:16
	v_add_co_u32_e32 v7, vcc, s4, v7
	v_addc_co_u32_e32 v8, vcc, v14, v8, vcc
	flat_load_dwordx2 v[13:14], v[7:8]
	v_add_u32_e32 v11, s9, v12
	v_ashrrev_i32_e32 v12, 31, v11
	v_lshlrev_b64 v[9:10], 3, v[11:12]
	s_waitcnt vmcnt(0) lgkmcnt(0)
	buffer_store_dword v14, off, s[0:3], 0 offset:28
	buffer_store_dword v13, off, s[0:3], 0 offset:24
	v_add_co_u32_e32 v9, vcc, s4, v9
	v_addc_co_u32_e32 v10, vcc, v15, v10, vcc
	flat_load_dwordx2 v[13:14], v[9:10]
	v_add_u32_e32 v15, s9, v11
	v_ashrrev_i32_e32 v16, 31, v15
	v_lshlrev_b64 v[11:12], 3, v[15:16]
	v_add_u32_e32 v18, s9, v15
	v_add_co_u32_e32 v11, vcc, s4, v11
	v_addc_co_u32_e32 v12, vcc, v17, v12, vcc
	v_ashrrev_i32_e32 v19, 31, v18
	s_waitcnt vmcnt(0) lgkmcnt(0)
	buffer_store_dword v14, off, s[0:3], 0 offset:36
	buffer_store_dword v13, off, s[0:3], 0 offset:32
	flat_load_dwordx2 v[16:17], v[11:12]
	v_lshlrev_b64 v[13:14], 3, v[18:19]
	s_waitcnt vmcnt(0) lgkmcnt(0)
	buffer_store_dword v17, off, s[0:3], 0 offset:44
	buffer_store_dword v16, off, s[0:3], 0 offset:40
	v_add_co_u32_e32 v13, vcc, s4, v13
	v_addc_co_u32_e32 v14, vcc, v20, v14, vcc
	flat_load_dwordx2 v[19:20], v[13:14]
	v_add_u32_e32 v17, s9, v18
	v_ashrrev_i32_e32 v18, 31, v17
	v_lshlrev_b64 v[15:16], 3, v[17:18]
	s_waitcnt vmcnt(0) lgkmcnt(0)
	buffer_store_dword v20, off, s[0:3], 0 offset:52
	buffer_store_dword v19, off, s[0:3], 0 offset:48
	v_add_co_u32_e32 v15, vcc, s4, v15
	v_addc_co_u32_e32 v16, vcc, v21, v16, vcc
	flat_load_dwordx2 v[19:20], v[15:16]
	v_add_u32_e32 v21, s9, v17
	v_ashrrev_i32_e32 v22, 31, v21
	v_lshlrev_b64 v[17:18], 3, v[21:22]
	v_add_u32_e32 v24, s9, v21
	v_add_co_u32_e32 v17, vcc, s4, v17
	v_addc_co_u32_e32 v18, vcc, v23, v18, vcc
	v_ashrrev_i32_e32 v25, 31, v24
	s_waitcnt vmcnt(0) lgkmcnt(0)
	buffer_store_dword v20, off, s[0:3], 0 offset:60
	buffer_store_dword v19, off, s[0:3], 0 offset:56
	;; [unrolled: 27-line block ×7, first 2 shown]
	flat_load_dwordx2 v[52:53], v[47:48]
	v_lshlrev_b64 v[49:50], 3, v[54:55]
	s_waitcnt vmcnt(0) lgkmcnt(0)
	buffer_store_dword v53, off, s[0:3], 0 offset:188
	buffer_store_dword v52, off, s[0:3], 0 offset:184
	v_add_co_u32_e32 v49, vcc, s4, v49
	v_addc_co_u32_e32 v50, vcc, v56, v50, vcc
	flat_load_dwordx2 v[55:56], v[49:50]
	v_add_u32_e32 v53, s9, v54
	v_ashrrev_i32_e32 v54, 31, v53
	v_lshlrev_b64 v[51:52], 3, v[53:54]
	s_waitcnt vmcnt(0) lgkmcnt(0)
	buffer_store_dword v56, off, s[0:3], 0 offset:196
	buffer_store_dword v55, off, s[0:3], 0 offset:192
	v_add_co_u32_e32 v51, vcc, s4, v51
	v_addc_co_u32_e32 v52, vcc, v57, v52, vcc
	flat_load_dwordx2 v[55:56], v[51:52]
	v_add_u32_e32 v57, s9, v53
	v_ashrrev_i32_e32 v58, 31, v57
	v_lshlrev_b64 v[53:54], 3, v[57:58]
	v_add_u32_e32 v60, s9, v57
	v_add_co_u32_e32 v53, vcc, s4, v53
	v_addc_co_u32_e32 v54, vcc, v59, v54, vcc
	s_waitcnt vmcnt(0) lgkmcnt(0)
	buffer_store_dword v56, off, s[0:3], 0 offset:204
	buffer_store_dword v55, off, s[0:3], 0 offset:200
	flat_load_dwordx2 v[58:59], v[53:54]
	v_ashrrev_i32_e32 v61, 31, v60
	v_lshlrev_b64 v[55:56], 3, v[60:61]
	s_waitcnt vmcnt(0) lgkmcnt(0)
	buffer_store_dword v59, off, s[0:3], 0 offset:212
	buffer_store_dword v58, off, s[0:3], 0 offset:208
	v_add_co_u32_e32 v55, vcc, s4, v55
	v_addc_co_u32_e32 v56, vcc, v62, v56, vcc
	flat_load_dwordx2 v[61:62], v[55:56]
	v_add_u32_e32 v59, s9, v60
	v_ashrrev_i32_e32 v60, 31, v59
	v_lshlrev_b64 v[57:58], 3, v[59:60]
	s_waitcnt vmcnt(0) lgkmcnt(0)
	buffer_store_dword v62, off, s[0:3], 0 offset:220
	buffer_store_dword v61, off, s[0:3], 0 offset:216
	v_add_co_u32_e32 v57, vcc, s4, v57
	v_addc_co_u32_e32 v58, vcc, v63, v58, vcc
	flat_load_dwordx2 v[61:62], v[57:58]
	v_add_u32_e32 v63, s9, v59
	;; [unrolled: 9-line block ×3, first 2 shown]
	v_ashrrev_i32_e32 v62, 31, v61
	v_lshlrev_b64 v[61:62], 3, v[61:62]
	v_mov_b32_e32 v64, s5
	v_add_co_u32_e32 v61, vcc, s4, v61
	v_addc_co_u32_e32 v62, vcc, v64, v62, vcc
	s_waitcnt vmcnt(0) lgkmcnt(0)
	buffer_store_dword v67, off, s[0:3], 0 offset:236
	buffer_store_dword v66, off, s[0:3], 0 offset:232
	flat_load_dwordx2 v[63:64], v[61:62]
	s_mov_b64 s[8:9], -1
	s_waitcnt vmcnt(0) lgkmcnt(0)
	buffer_store_dword v64, off, s[0:3], 0 offset:244
	buffer_store_dword v63, off, s[0:3], 0 offset:240
	s_cbranch_scc1 .LBB94_130
; %bb.4:
	v_cmp_eq_u32_e64 s[4:5], 0, v0
	s_and_saveexec_b64 s[8:9], s[4:5]
; %bb.5:
	v_mov_b32_e32 v63, 0
	ds_write_b32 v63, v63 offset:248
; %bb.6:
	s_or_b64 exec, exec, s[8:9]
	v_mov_b32_e32 v63, 0
	v_lshl_add_u32 v63, v0, 3, v63
	s_waitcnt lgkmcnt(0)
	; wave barrier
	buffer_load_dword v66, v63, s[0:3], 0 offen
	buffer_load_dword v67, v63, s[0:3], 0 offen offset:4
	s_waitcnt vmcnt(0)
	v_cmp_eq_f64_e32 vcc, 0, v[66:67]
	s_and_saveexec_b64 s[16:17], vcc
	s_cbranch_execz .LBB94_10
; %bb.7:
	v_mov_b32_e32 v64, 0
	ds_read_b32 v67, v64 offset:248
	v_add_u32_e32 v66, 1, v0
	s_waitcnt lgkmcnt(0)
	v_readfirstlane_b32 s8, v67
	s_cmp_eq_u32 s8, 0
	s_cselect_b64 s[18:19], -1, 0
	v_cmp_gt_i32_e32 vcc, s8, v66
	s_or_b64 s[18:19], s[18:19], vcc
	s_and_b64 exec, exec, s[18:19]
	s_cbranch_execz .LBB94_10
; %bb.8:
	s_mov_b64 s[18:19], 0
	v_mov_b32_e32 v67, s8
.LBB94_9:                               ; =>This Inner Loop Header: Depth=1
	ds_cmpst_rtn_b32 v67, v64, v67, v66 offset:248
	s_waitcnt lgkmcnt(0)
	v_cmp_ne_u32_e32 vcc, 0, v67
	v_cmp_le_i32_e64 s[8:9], v67, v66
	s_and_b64 s[8:9], vcc, s[8:9]
	s_and_b64 s[8:9], exec, s[8:9]
	s_or_b64 s[18:19], s[8:9], s[18:19]
	s_andn2_b64 exec, exec, s[18:19]
	s_cbranch_execnz .LBB94_9
.LBB94_10:
	s_or_b64 exec, exec, s[16:17]
	v_mov_b32_e32 v66, 0
	; wave barrier
	ds_read_b32 v64, v66 offset:248
	s_and_saveexec_b64 s[8:9], s[4:5]
	s_cbranch_execz .LBB94_12
; %bb.11:
	s_lshl_b64 s[16:17], s[6:7], 2
	s_add_u32 s16, s10, s16
	s_addc_u32 s17, s11, s17
	s_waitcnt lgkmcnt(0)
	global_store_dword v66, v64, s[16:17]
.LBB94_12:
	s_or_b64 exec, exec, s[8:9]
	s_waitcnt lgkmcnt(0)
	v_cmp_ne_u32_e32 vcc, 0, v64
	s_mov_b64 s[8:9], 0
	s_cbranch_vccnz .LBB94_130
; %bb.13:
	buffer_load_dword v66, v63, s[0:3], 0 offen
	buffer_load_dword v67, v63, s[0:3], 0 offen offset:4
	s_waitcnt vmcnt(0)
	v_div_scale_f64 v[68:69], s[8:9], v[66:67], v[66:67], 1.0
	v_rcp_f64_e32 v[70:71], v[68:69]
	v_fma_f64 v[72:73], -v[68:69], v[70:71], 1.0
	v_fma_f64 v[70:71], v[70:71], v[72:73], v[70:71]
	v_div_scale_f64 v[72:73], vcc, 1.0, v[66:67], 1.0
	v_fma_f64 v[74:75], -v[68:69], v[70:71], 1.0
	v_fma_f64 v[70:71], v[70:71], v[74:75], v[70:71]
	v_mul_f64 v[74:75], v[72:73], v[70:71]
	v_fma_f64 v[68:69], -v[68:69], v[74:75], v[72:73]
	v_div_fmas_f64 v[68:69], v[68:69], v[70:71], v[74:75]
	v_div_fixup_f64 v[67:68], v[68:69], v[66:67], 1.0
	v_add_u32_e32 v66, 0x100, v65
	buffer_store_dword v68, v63, s[0:3], 0 offen offset:4
	buffer_store_dword v67, v63, s[0:3], 0 offen
	buffer_load_dword v70, off, s[0:3], 0 offset:12
	buffer_load_dword v69, off, s[0:3], 0 offset:8
	v_xor_b32_e32 v68, 0x80000000, v68
	s_waitcnt vmcnt(0)
	ds_write2_b64 v65, v[67:68], v[69:70] offset1:32
	s_waitcnt lgkmcnt(0)
	; wave barrier
	s_and_saveexec_b64 s[8:9], s[4:5]
	s_cbranch_execz .LBB94_15
; %bb.14:
	buffer_load_dword v67, v63, s[0:3], 0 offen
	buffer_load_dword v68, v63, s[0:3], 0 offen offset:4
	ds_read_b64 v[69:70], v66
	v_mov_b32_e32 v64, 0
	ds_read_b64 v[71:72], v64 offset:8
	s_waitcnt vmcnt(0) lgkmcnt(1)
	v_fma_f64 v[67:68], v[67:68], v[69:70], 0
	s_waitcnt lgkmcnt(0)
	v_mul_f64 v[67:68], v[67:68], v[71:72]
	buffer_store_dword v67, off, s[0:3], 0 offset:8
	buffer_store_dword v68, off, s[0:3], 0 offset:12
.LBB94_15:
	s_or_b64 exec, exec, s[8:9]
	; wave barrier
	buffer_load_dword v67, off, s[0:3], 0 offset:16
	buffer_load_dword v68, off, s[0:3], 0 offset:20
	v_cmp_gt_u32_e32 vcc, 2, v0
	s_waitcnt vmcnt(0)
	ds_write_b64 v66, v[67:68]
	s_waitcnt lgkmcnt(0)
	; wave barrier
	s_and_saveexec_b64 s[8:9], vcc
	s_cbranch_execz .LBB94_17
; %bb.16:
	buffer_load_dword v67, v63, s[0:3], 0 offen
	buffer_load_dword v68, v63, s[0:3], 0 offen offset:4
                                        ; kill: killed $vgpr63
	s_nop 0
	buffer_load_dword v63, off, s[0:3], 0 offset:8
	buffer_load_dword v64, off, s[0:3], 0 offset:12
	ds_read_b64 v[69:70], v66
	s_waitcnt vmcnt(2) lgkmcnt(0)
	v_fma_f64 v[71:72], v[67:68], v[69:70], 0
	v_mov_b32_e32 v67, 0
	ds_read2_b64 v[67:70], v67 offset0:2 offset1:33
	s_waitcnt vmcnt(0) lgkmcnt(0)
	v_fma_f64 v[63:64], v[63:64], v[69:70], v[71:72]
	v_cndmask_b32_e64 v64, v72, v64, s[4:5]
	v_cndmask_b32_e64 v63, v71, v63, s[4:5]
	v_mul_f64 v[63:64], v[63:64], v[67:68]
	buffer_store_dword v64, off, s[0:3], 0 offset:20
	buffer_store_dword v63, off, s[0:3], 0 offset:16
.LBB94_17:
	s_or_b64 exec, exec, s[8:9]
	; wave barrier
	buffer_load_dword v63, off, s[0:3], 0 offset:24
	buffer_load_dword v64, off, s[0:3], 0 offset:28
	v_cmp_gt_u32_e32 vcc, 3, v0
	v_add_u32_e32 v67, -1, v0
	s_waitcnt vmcnt(0)
	ds_write_b64 v66, v[63:64]
	s_waitcnt lgkmcnt(0)
	; wave barrier
	s_and_saveexec_b64 s[4:5], vcc
	s_cbranch_execz .LBB94_21
; %bb.18:
	v_mov_b32_e32 v63, 0
	v_add_u32_e32 v68, -1, v0
	v_add_u32_e32 v69, 0x100, v65
	v_mov_b32_e32 v70, v65
	v_mov_b32_e32 v64, 0
	s_mov_b64 s[8:9], 0
.LBB94_19:                              ; =>This Inner Loop Header: Depth=1
	buffer_load_dword v71, v70, s[0:3], 0 offen
	buffer_load_dword v72, v70, s[0:3], 0 offen offset:4
	ds_read_b64 v[73:74], v69
	v_add_u32_e32 v68, 1, v68
	v_cmp_lt_u32_e32 vcc, 1, v68
	v_add_u32_e32 v69, 8, v69
	s_or_b64 s[8:9], vcc, s[8:9]
	v_add_u32_e32 v70, 8, v70
	s_waitcnt vmcnt(0) lgkmcnt(0)
	v_fma_f64 v[63:64], v[71:72], v[73:74], v[63:64]
	s_andn2_b64 exec, exec, s[8:9]
	s_cbranch_execnz .LBB94_19
; %bb.20:
	s_or_b64 exec, exec, s[8:9]
	v_mov_b32_e32 v68, 0
	ds_read_b64 v[68:69], v68 offset:24
	s_waitcnt lgkmcnt(0)
	v_mul_f64 v[63:64], v[63:64], v[68:69]
	buffer_store_dword v64, off, s[0:3], 0 offset:28
	buffer_store_dword v63, off, s[0:3], 0 offset:24
.LBB94_21:
	s_or_b64 exec, exec, s[4:5]
	; wave barrier
	buffer_load_dword v63, off, s[0:3], 0 offset:32
	buffer_load_dword v64, off, s[0:3], 0 offset:36
	v_cmp_gt_u32_e32 vcc, 4, v0
	s_waitcnt vmcnt(0)
	ds_write_b64 v66, v[63:64]
	s_waitcnt lgkmcnt(0)
	; wave barrier
	s_and_saveexec_b64 s[4:5], vcc
	s_cbranch_execz .LBB94_25
; %bb.22:
	v_mov_b32_e32 v63, 0
	v_add_u32_e32 v68, -1, v0
	v_add_u32_e32 v69, 0x100, v65
	v_mov_b32_e32 v70, v65
	v_mov_b32_e32 v64, 0
	s_mov_b64 s[8:9], 0
.LBB94_23:                              ; =>This Inner Loop Header: Depth=1
	buffer_load_dword v71, v70, s[0:3], 0 offen
	buffer_load_dword v72, v70, s[0:3], 0 offen offset:4
	ds_read_b64 v[73:74], v69
	v_add_u32_e32 v68, 1, v68
	v_cmp_lt_u32_e32 vcc, 2, v68
	v_add_u32_e32 v69, 8, v69
	s_or_b64 s[8:9], vcc, s[8:9]
	v_add_u32_e32 v70, 8, v70
	s_waitcnt vmcnt(0) lgkmcnt(0)
	v_fma_f64 v[63:64], v[71:72], v[73:74], v[63:64]
	s_andn2_b64 exec, exec, s[8:9]
	s_cbranch_execnz .LBB94_23
; %bb.24:
	s_or_b64 exec, exec, s[8:9]
	v_mov_b32_e32 v68, 0
	ds_read_b64 v[68:69], v68 offset:32
	s_waitcnt lgkmcnt(0)
	v_mul_f64 v[63:64], v[63:64], v[68:69]
	buffer_store_dword v64, off, s[0:3], 0 offset:36
	buffer_store_dword v63, off, s[0:3], 0 offset:32
.LBB94_25:
	s_or_b64 exec, exec, s[4:5]
	; wave barrier
	buffer_load_dword v63, off, s[0:3], 0 offset:40
	buffer_load_dword v64, off, s[0:3], 0 offset:44
	v_cmp_gt_u32_e32 vcc, 5, v0
	;; [unrolled: 40-line block ×21, first 2 shown]
	s_waitcnt vmcnt(0)
	ds_write_b64 v66, v[63:64]
	s_waitcnt lgkmcnt(0)
	; wave barrier
	s_and_saveexec_b64 s[4:5], vcc
	s_cbranch_execz .LBB94_105
; %bb.102:
	v_mov_b32_e32 v63, 0
	v_add_u32_e32 v68, -1, v0
	v_add_u32_e32 v69, 0x100, v65
	v_mov_b32_e32 v70, v65
	v_mov_b32_e32 v64, 0
	s_mov_b64 s[8:9], 0
.LBB94_103:                             ; =>This Inner Loop Header: Depth=1
	buffer_load_dword v71, v70, s[0:3], 0 offen
	buffer_load_dword v72, v70, s[0:3], 0 offen offset:4
	ds_read_b64 v[73:74], v69
	v_add_u32_e32 v68, 1, v68
	v_cmp_lt_u32_e32 vcc, 22, v68
	v_add_u32_e32 v69, 8, v69
	s_or_b64 s[8:9], vcc, s[8:9]
	v_add_u32_e32 v70, 8, v70
	s_waitcnt vmcnt(0) lgkmcnt(0)
	v_fma_f64 v[63:64], v[71:72], v[73:74], v[63:64]
	s_andn2_b64 exec, exec, s[8:9]
	s_cbranch_execnz .LBB94_103
; %bb.104:
	s_or_b64 exec, exec, s[8:9]
	v_mov_b32_e32 v68, 0
	ds_read_b64 v[68:69], v68 offset:192
	s_waitcnt lgkmcnt(0)
	v_mul_f64 v[63:64], v[63:64], v[68:69]
	buffer_store_dword v64, off, s[0:3], 0 offset:196
	buffer_store_dword v63, off, s[0:3], 0 offset:192
.LBB94_105:
	s_or_b64 exec, exec, s[4:5]
	; wave barrier
	buffer_load_dword v63, off, s[0:3], 0 offset:200
	buffer_load_dword v64, off, s[0:3], 0 offset:204
	v_cmp_gt_u32_e32 vcc, 25, v0
	s_waitcnt vmcnt(0)
	ds_write_b64 v66, v[63:64]
	s_waitcnt lgkmcnt(0)
	; wave barrier
	s_and_saveexec_b64 s[4:5], vcc
	s_cbranch_execz .LBB94_109
; %bb.106:
	v_mov_b32_e32 v63, 0
	v_add_u32_e32 v68, -1, v0
	v_add_u32_e32 v69, 0x100, v65
	v_mov_b32_e32 v70, v65
	v_mov_b32_e32 v64, 0
	s_mov_b64 s[8:9], 0
.LBB94_107:                             ; =>This Inner Loop Header: Depth=1
	buffer_load_dword v71, v70, s[0:3], 0 offen
	buffer_load_dword v72, v70, s[0:3], 0 offen offset:4
	ds_read_b64 v[73:74], v69
	v_add_u32_e32 v68, 1, v68
	v_cmp_lt_u32_e32 vcc, 23, v68
	v_add_u32_e32 v69, 8, v69
	s_or_b64 s[8:9], vcc, s[8:9]
	v_add_u32_e32 v70, 8, v70
	s_waitcnt vmcnt(0) lgkmcnt(0)
	v_fma_f64 v[63:64], v[71:72], v[73:74], v[63:64]
	s_andn2_b64 exec, exec, s[8:9]
	s_cbranch_execnz .LBB94_107
; %bb.108:
	s_or_b64 exec, exec, s[8:9]
	v_mov_b32_e32 v68, 0
	ds_read_b64 v[68:69], v68 offset:200
	s_waitcnt lgkmcnt(0)
	v_mul_f64 v[63:64], v[63:64], v[68:69]
	buffer_store_dword v64, off, s[0:3], 0 offset:204
	buffer_store_dword v63, off, s[0:3], 0 offset:200
.LBB94_109:
	s_or_b64 exec, exec, s[4:5]
	; wave barrier
	buffer_load_dword v63, off, s[0:3], 0 offset:208
	buffer_load_dword v64, off, s[0:3], 0 offset:212
	v_cmp_gt_u32_e32 vcc, 26, v0
	s_waitcnt vmcnt(0)
	ds_write_b64 v66, v[63:64]
	s_waitcnt lgkmcnt(0)
	; wave barrier
	s_and_saveexec_b64 s[4:5], vcc
	s_cbranch_execz .LBB94_113
; %bb.110:
	v_mov_b32_e32 v63, 0
	v_add_u32_e32 v68, -1, v0
	v_add_u32_e32 v69, 0x100, v65
	v_mov_b32_e32 v70, v65
	v_mov_b32_e32 v64, 0
	s_mov_b64 s[8:9], 0
.LBB94_111:                             ; =>This Inner Loop Header: Depth=1
	buffer_load_dword v71, v70, s[0:3], 0 offen
	buffer_load_dword v72, v70, s[0:3], 0 offen offset:4
	ds_read_b64 v[73:74], v69
	v_add_u32_e32 v68, 1, v68
	v_cmp_lt_u32_e32 vcc, 24, v68
	v_add_u32_e32 v69, 8, v69
	s_or_b64 s[8:9], vcc, s[8:9]
	v_add_u32_e32 v70, 8, v70
	s_waitcnt vmcnt(0) lgkmcnt(0)
	v_fma_f64 v[63:64], v[71:72], v[73:74], v[63:64]
	s_andn2_b64 exec, exec, s[8:9]
	s_cbranch_execnz .LBB94_111
; %bb.112:
	s_or_b64 exec, exec, s[8:9]
	v_mov_b32_e32 v68, 0
	ds_read_b64 v[68:69], v68 offset:208
	s_waitcnt lgkmcnt(0)
	v_mul_f64 v[63:64], v[63:64], v[68:69]
	buffer_store_dword v64, off, s[0:3], 0 offset:212
	buffer_store_dword v63, off, s[0:3], 0 offset:208
.LBB94_113:
	s_or_b64 exec, exec, s[4:5]
	; wave barrier
	buffer_load_dword v63, off, s[0:3], 0 offset:216
	buffer_load_dword v64, off, s[0:3], 0 offset:220
	v_cmp_gt_u32_e32 vcc, 27, v0
	s_waitcnt vmcnt(0)
	ds_write_b64 v66, v[63:64]
	s_waitcnt lgkmcnt(0)
	; wave barrier
	s_and_saveexec_b64 s[4:5], vcc
	s_cbranch_execz .LBB94_117
; %bb.114:
	v_mov_b32_e32 v63, 0
	v_add_u32_e32 v68, -1, v0
	v_add_u32_e32 v69, 0x100, v65
	v_mov_b32_e32 v70, v65
	v_mov_b32_e32 v64, 0
	s_mov_b64 s[8:9], 0
.LBB94_115:                             ; =>This Inner Loop Header: Depth=1
	buffer_load_dword v71, v70, s[0:3], 0 offen
	buffer_load_dword v72, v70, s[0:3], 0 offen offset:4
	ds_read_b64 v[73:74], v69
	v_add_u32_e32 v68, 1, v68
	v_cmp_lt_u32_e32 vcc, 25, v68
	v_add_u32_e32 v69, 8, v69
	s_or_b64 s[8:9], vcc, s[8:9]
	v_add_u32_e32 v70, 8, v70
	s_waitcnt vmcnt(0) lgkmcnt(0)
	v_fma_f64 v[63:64], v[71:72], v[73:74], v[63:64]
	s_andn2_b64 exec, exec, s[8:9]
	s_cbranch_execnz .LBB94_115
; %bb.116:
	s_or_b64 exec, exec, s[8:9]
	v_mov_b32_e32 v68, 0
	ds_read_b64 v[68:69], v68 offset:216
	s_waitcnt lgkmcnt(0)
	v_mul_f64 v[63:64], v[63:64], v[68:69]
	buffer_store_dword v64, off, s[0:3], 0 offset:220
	buffer_store_dword v63, off, s[0:3], 0 offset:216
.LBB94_117:
	s_or_b64 exec, exec, s[4:5]
	; wave barrier
	buffer_load_dword v63, off, s[0:3], 0 offset:224
	buffer_load_dword v64, off, s[0:3], 0 offset:228
	v_cmp_gt_u32_e32 vcc, 28, v0
	s_waitcnt vmcnt(0)
	ds_write_b64 v66, v[63:64]
	s_waitcnt lgkmcnt(0)
	; wave barrier
	s_and_saveexec_b64 s[4:5], vcc
	s_cbranch_execz .LBB94_121
; %bb.118:
	v_mov_b32_e32 v63, 0
	v_add_u32_e32 v68, -1, v0
	v_add_u32_e32 v69, 0x100, v65
	v_mov_b32_e32 v70, v65
	v_mov_b32_e32 v64, 0
	s_mov_b64 s[8:9], 0
.LBB94_119:                             ; =>This Inner Loop Header: Depth=1
	buffer_load_dword v71, v70, s[0:3], 0 offen
	buffer_load_dword v72, v70, s[0:3], 0 offen offset:4
	ds_read_b64 v[73:74], v69
	v_add_u32_e32 v68, 1, v68
	v_cmp_lt_u32_e32 vcc, 26, v68
	v_add_u32_e32 v69, 8, v69
	s_or_b64 s[8:9], vcc, s[8:9]
	v_add_u32_e32 v70, 8, v70
	s_waitcnt vmcnt(0) lgkmcnt(0)
	v_fma_f64 v[63:64], v[71:72], v[73:74], v[63:64]
	s_andn2_b64 exec, exec, s[8:9]
	s_cbranch_execnz .LBB94_119
; %bb.120:
	s_or_b64 exec, exec, s[8:9]
	v_mov_b32_e32 v68, 0
	ds_read_b64 v[68:69], v68 offset:224
	s_waitcnt lgkmcnt(0)
	v_mul_f64 v[63:64], v[63:64], v[68:69]
	buffer_store_dword v64, off, s[0:3], 0 offset:228
	buffer_store_dword v63, off, s[0:3], 0 offset:224
.LBB94_121:
	s_or_b64 exec, exec, s[4:5]
	; wave barrier
	buffer_load_dword v63, off, s[0:3], 0 offset:232
	buffer_load_dword v64, off, s[0:3], 0 offset:236
	v_cmp_gt_u32_e32 vcc, 29, v0
	s_waitcnt vmcnt(0)
	ds_write_b64 v66, v[63:64]
	s_waitcnt lgkmcnt(0)
	; wave barrier
	s_and_saveexec_b64 s[4:5], vcc
	s_cbranch_execz .LBB94_125
; %bb.122:
	v_mov_b32_e32 v63, 0
	v_add_u32_e32 v68, -1, v0
	v_add_u32_e32 v69, 0x100, v65
	v_mov_b32_e32 v70, v65
	v_mov_b32_e32 v64, 0
	s_mov_b64 s[8:9], 0
.LBB94_123:                             ; =>This Inner Loop Header: Depth=1
	buffer_load_dword v71, v70, s[0:3], 0 offen
	buffer_load_dword v72, v70, s[0:3], 0 offen offset:4
	ds_read_b64 v[73:74], v69
	v_add_u32_e32 v68, 1, v68
	v_cmp_lt_u32_e32 vcc, 27, v68
	v_add_u32_e32 v69, 8, v69
	s_or_b64 s[8:9], vcc, s[8:9]
	v_add_u32_e32 v70, 8, v70
	s_waitcnt vmcnt(0) lgkmcnt(0)
	v_fma_f64 v[63:64], v[71:72], v[73:74], v[63:64]
	s_andn2_b64 exec, exec, s[8:9]
	s_cbranch_execnz .LBB94_123
; %bb.124:
	s_or_b64 exec, exec, s[8:9]
	v_mov_b32_e32 v68, 0
	ds_read_b64 v[68:69], v68 offset:232
	s_waitcnt lgkmcnt(0)
	v_mul_f64 v[63:64], v[63:64], v[68:69]
	buffer_store_dword v64, off, s[0:3], 0 offset:236
	buffer_store_dword v63, off, s[0:3], 0 offset:232
.LBB94_125:
	s_or_b64 exec, exec, s[4:5]
	; wave barrier
	buffer_load_dword v63, off, s[0:3], 0 offset:240
	buffer_load_dword v64, off, s[0:3], 0 offset:244
	v_cmp_ne_u32_e32 vcc, 30, v0
	s_waitcnt vmcnt(0)
	ds_write_b64 v66, v[63:64]
	s_waitcnt lgkmcnt(0)
	; wave barrier
	s_and_saveexec_b64 s[4:5], vcc
	s_cbranch_execz .LBB94_129
; %bb.126:
	v_mov_b32_e32 v63, 0
	v_add_u32_e32 v66, 0x100, v65
	v_mov_b32_e32 v64, 0
	s_mov_b64 s[8:9], 0
.LBB94_127:                             ; =>This Inner Loop Header: Depth=1
	buffer_load_dword v68, v65, s[0:3], 0 offen
	buffer_load_dword v69, v65, s[0:3], 0 offen offset:4
	ds_read_b64 v[70:71], v66
	v_add_u32_e32 v67, 1, v67
	v_cmp_lt_u32_e32 vcc, 28, v67
	v_add_u32_e32 v66, 8, v66
	s_or_b64 s[8:9], vcc, s[8:9]
	v_add_u32_e32 v65, 8, v65
	s_waitcnt vmcnt(0) lgkmcnt(0)
	v_fma_f64 v[63:64], v[68:69], v[70:71], v[63:64]
	s_andn2_b64 exec, exec, s[8:9]
	s_cbranch_execnz .LBB94_127
; %bb.128:
	s_or_b64 exec, exec, s[8:9]
	v_mov_b32_e32 v65, 0
	ds_read_b64 v[65:66], v65 offset:240
	s_waitcnt lgkmcnt(0)
	v_mul_f64 v[63:64], v[63:64], v[65:66]
	buffer_store_dword v64, off, s[0:3], 0 offset:244
	buffer_store_dword v63, off, s[0:3], 0 offset:240
.LBB94_129:
	s_or_b64 exec, exec, s[4:5]
	s_mov_b64 s[8:9], -1
	; wave barrier
.LBB94_130:
	s_and_b64 vcc, exec, s[8:9]
	s_cbranch_vccz .LBB94_132
; %bb.131:
	s_lshl_b64 s[4:5], s[6:7], 2
	s_add_u32 s4, s10, s4
	s_addc_u32 s5, s11, s5
	v_mov_b32_e32 v63, 0
	global_load_dword v63, v63, s[4:5]
	s_waitcnt vmcnt(0)
	v_cmp_ne_u32_e32 vcc, 0, v63
	s_cbranch_vccz .LBB94_133
.LBB94_132:
	s_endpgm
.LBB94_133:
	v_mov_b32_e32 v63, 0x100
	v_lshl_add_u32 v63, v0, 3, v63
	v_cmp_eq_u32_e32 vcc, 30, v0
	s_and_saveexec_b64 s[4:5], vcc
	s_cbranch_execz .LBB94_135
; %bb.134:
	buffer_load_dword v64, off, s[0:3], 0 offset:232
	buffer_load_dword v65, off, s[0:3], 0 offset:236
	v_mov_b32_e32 v66, 0
	buffer_store_dword v66, off, s[0:3], 0 offset:232
	buffer_store_dword v66, off, s[0:3], 0 offset:236
	s_waitcnt vmcnt(2)
	ds_write_b64 v63, v[64:65]
.LBB94_135:
	s_or_b64 exec, exec, s[4:5]
	s_waitcnt lgkmcnt(0)
	; wave barrier
	buffer_load_dword v65, off, s[0:3], 0 offset:240
	buffer_load_dword v66, off, s[0:3], 0 offset:244
	;; [unrolled: 1-line block ×4, first 2 shown]
	v_mov_b32_e32 v64, 0
	ds_read_b64 v[69:70], v64 offset:496
	v_cmp_lt_u32_e32 vcc, 28, v0
	s_waitcnt vmcnt(2) lgkmcnt(0)
	v_fma_f64 v[65:66], v[65:66], v[69:70], 0
	s_waitcnt vmcnt(0)
	v_add_f64 v[65:66], v[67:68], -v[65:66]
	buffer_store_dword v65, off, s[0:3], 0 offset:232
	buffer_store_dword v66, off, s[0:3], 0 offset:236
	s_and_saveexec_b64 s[4:5], vcc
	s_cbranch_execz .LBB94_137
; %bb.136:
	buffer_load_dword v65, off, s[0:3], 0 offset:224
	buffer_load_dword v66, off, s[0:3], 0 offset:228
	s_waitcnt vmcnt(0)
	ds_write_b64 v63, v[65:66]
	buffer_store_dword v64, off, s[0:3], 0 offset:224
	buffer_store_dword v64, off, s[0:3], 0 offset:228
.LBB94_137:
	s_or_b64 exec, exec, s[4:5]
	s_waitcnt lgkmcnt(0)
	; wave barrier
	buffer_load_dword v68, off, s[0:3], 0 offset:232
	buffer_load_dword v69, off, s[0:3], 0 offset:236
	;; [unrolled: 1-line block ×6, first 2 shown]
	ds_read2_b64 v[64:67], v64 offset0:61 offset1:62
	v_cmp_lt_u32_e32 vcc, 27, v0
	s_waitcnt vmcnt(4) lgkmcnt(0)
	v_fma_f64 v[64:65], v[68:69], v[64:65], 0
	s_waitcnt vmcnt(2)
	v_fma_f64 v[64:65], v[70:71], v[66:67], v[64:65]
	s_waitcnt vmcnt(0)
	v_add_f64 v[64:65], v[72:73], -v[64:65]
	buffer_store_dword v64, off, s[0:3], 0 offset:224
	buffer_store_dword v65, off, s[0:3], 0 offset:228
	s_and_saveexec_b64 s[4:5], vcc
	s_cbranch_execz .LBB94_139
; %bb.138:
	buffer_load_dword v64, off, s[0:3], 0 offset:216
	buffer_load_dword v65, off, s[0:3], 0 offset:220
	v_mov_b32_e32 v66, 0
	buffer_store_dword v66, off, s[0:3], 0 offset:216
	buffer_store_dword v66, off, s[0:3], 0 offset:220
	s_waitcnt vmcnt(2)
	ds_write_b64 v63, v[64:65]
.LBB94_139:
	s_or_b64 exec, exec, s[4:5]
	s_waitcnt lgkmcnt(0)
	; wave barrier
	buffer_load_dword v69, off, s[0:3], 0 offset:224
	buffer_load_dword v70, off, s[0:3], 0 offset:228
	;; [unrolled: 1-line block ×8, first 2 shown]
	v_mov_b32_e32 v64, 0
	ds_read_b128 v[65:68], v64 offset:480
	ds_read_b64 v[77:78], v64 offset:496
	v_cmp_lt_u32_e32 vcc, 26, v0
	s_waitcnt vmcnt(6) lgkmcnt(1)
	v_fma_f64 v[65:66], v[69:70], v[65:66], 0
	s_waitcnt vmcnt(4)
	v_fma_f64 v[65:66], v[71:72], v[67:68], v[65:66]
	s_waitcnt vmcnt(2) lgkmcnt(0)
	v_fma_f64 v[65:66], v[73:74], v[77:78], v[65:66]
	s_waitcnt vmcnt(0)
	v_add_f64 v[65:66], v[75:76], -v[65:66]
	buffer_store_dword v65, off, s[0:3], 0 offset:216
	buffer_store_dword v66, off, s[0:3], 0 offset:220
	s_and_saveexec_b64 s[4:5], vcc
	s_cbranch_execz .LBB94_141
; %bb.140:
	buffer_load_dword v65, off, s[0:3], 0 offset:208
	buffer_load_dword v66, off, s[0:3], 0 offset:212
	s_waitcnt vmcnt(0)
	ds_write_b64 v63, v[65:66]
	buffer_store_dword v64, off, s[0:3], 0 offset:208
	buffer_store_dword v64, off, s[0:3], 0 offset:212
.LBB94_141:
	s_or_b64 exec, exec, s[4:5]
	s_waitcnt lgkmcnt(0)
	; wave barrier
	buffer_load_dword v73, off, s[0:3], 0 offset:216
	buffer_load_dword v74, off, s[0:3], 0 offset:220
	;; [unrolled: 1-line block ×10, first 2 shown]
	ds_read2_b64 v[65:68], v64 offset0:59 offset1:60
	ds_read2_b64 v[69:72], v64 offset0:61 offset1:62
	v_cmp_lt_u32_e32 vcc, 25, v0
	s_waitcnt vmcnt(8) lgkmcnt(1)
	v_fma_f64 v[64:65], v[73:74], v[65:66], 0
	s_waitcnt vmcnt(6)
	v_fma_f64 v[64:65], v[75:76], v[67:68], v[64:65]
	s_waitcnt vmcnt(4) lgkmcnt(0)
	v_fma_f64 v[64:65], v[77:78], v[69:70], v[64:65]
	s_waitcnt vmcnt(2)
	v_fma_f64 v[64:65], v[79:80], v[71:72], v[64:65]
	s_waitcnt vmcnt(0)
	v_add_f64 v[64:65], v[81:82], -v[64:65]
	buffer_store_dword v64, off, s[0:3], 0 offset:208
	buffer_store_dword v65, off, s[0:3], 0 offset:212
	s_and_saveexec_b64 s[4:5], vcc
	s_cbranch_execz .LBB94_143
; %bb.142:
	buffer_load_dword v64, off, s[0:3], 0 offset:200
	buffer_load_dword v65, off, s[0:3], 0 offset:204
	v_mov_b32_e32 v66, 0
	buffer_store_dword v66, off, s[0:3], 0 offset:200
	buffer_store_dword v66, off, s[0:3], 0 offset:204
	s_waitcnt vmcnt(2)
	ds_write_b64 v63, v[64:65]
.LBB94_143:
	s_or_b64 exec, exec, s[4:5]
	s_waitcnt lgkmcnt(0)
	; wave barrier
	buffer_load_dword v69, off, s[0:3], 0 offset:208
	buffer_load_dword v70, off, s[0:3], 0 offset:212
	;; [unrolled: 1-line block ×12, first 2 shown]
	v_mov_b32_e32 v64, 0
	ds_read_b128 v[65:68], v64 offset:464
	v_cmp_lt_u32_e32 vcc, 24, v0
	s_waitcnt vmcnt(10) lgkmcnt(0)
	v_fma_f64 v[65:66], v[69:70], v[65:66], 0
	s_waitcnt vmcnt(8)
	v_fma_f64 v[69:70], v[71:72], v[67:68], v[65:66]
	ds_read_b128 v[65:68], v64 offset:480
	s_waitcnt vmcnt(6) lgkmcnt(0)
	v_fma_f64 v[65:66], v[73:74], v[65:66], v[69:70]
	s_waitcnt vmcnt(4)
	v_fma_f64 v[65:66], v[75:76], v[67:68], v[65:66]
	ds_read_b64 v[67:68], v64 offset:496
	s_waitcnt vmcnt(2) lgkmcnt(0)
	v_fma_f64 v[65:66], v[77:78], v[67:68], v[65:66]
	s_waitcnt vmcnt(0)
	v_add_f64 v[65:66], v[79:80], -v[65:66]
	buffer_store_dword v65, off, s[0:3], 0 offset:200
	buffer_store_dword v66, off, s[0:3], 0 offset:204
	s_and_saveexec_b64 s[4:5], vcc
	s_cbranch_execz .LBB94_145
; %bb.144:
	buffer_load_dword v65, off, s[0:3], 0 offset:192
	buffer_load_dword v66, off, s[0:3], 0 offset:196
	s_waitcnt vmcnt(0)
	ds_write_b64 v63, v[65:66]
	buffer_store_dword v64, off, s[0:3], 0 offset:192
	buffer_store_dword v64, off, s[0:3], 0 offset:196
.LBB94_145:
	s_or_b64 exec, exec, s[4:5]
	s_waitcnt lgkmcnt(0)
	; wave barrier
	buffer_load_dword v69, off, s[0:3], 0 offset:200
	buffer_load_dword v70, off, s[0:3], 0 offset:204
	;; [unrolled: 1-line block ×14, first 2 shown]
	ds_read2_b64 v[65:68], v64 offset0:57 offset1:58
	v_cmp_lt_u32_e32 vcc, 23, v0
	s_waitcnt vmcnt(12) lgkmcnt(0)
	v_fma_f64 v[65:66], v[69:70], v[65:66], 0
	s_waitcnt vmcnt(10)
	v_fma_f64 v[69:70], v[71:72], v[67:68], v[65:66]
	ds_read2_b64 v[65:68], v64 offset0:59 offset1:60
	s_waitcnt vmcnt(8) lgkmcnt(0)
	v_fma_f64 v[65:66], v[73:74], v[65:66], v[69:70]
	s_waitcnt vmcnt(6)
	v_fma_f64 v[68:69], v[75:76], v[67:68], v[65:66]
	ds_read2_b64 v[64:67], v64 offset0:61 offset1:62
	s_waitcnt vmcnt(4) lgkmcnt(0)
	v_fma_f64 v[64:65], v[77:78], v[64:65], v[68:69]
	s_waitcnt vmcnt(2)
	v_fma_f64 v[64:65], v[79:80], v[66:67], v[64:65]
	s_waitcnt vmcnt(0)
	v_add_f64 v[64:65], v[81:82], -v[64:65]
	buffer_store_dword v64, off, s[0:3], 0 offset:192
	buffer_store_dword v65, off, s[0:3], 0 offset:196
	s_and_saveexec_b64 s[4:5], vcc
	s_cbranch_execz .LBB94_147
; %bb.146:
	buffer_load_dword v64, off, s[0:3], 0 offset:184
	buffer_load_dword v65, off, s[0:3], 0 offset:188
	v_mov_b32_e32 v66, 0
	buffer_store_dword v66, off, s[0:3], 0 offset:184
	buffer_store_dword v66, off, s[0:3], 0 offset:188
	s_waitcnt vmcnt(2)
	ds_write_b64 v63, v[64:65]
.LBB94_147:
	s_or_b64 exec, exec, s[4:5]
	s_waitcnt lgkmcnt(0)
	; wave barrier
	buffer_load_dword v73, off, s[0:3], 0 offset:192
	buffer_load_dword v74, off, s[0:3], 0 offset:196
	;; [unrolled: 1-line block ×16, first 2 shown]
	v_mov_b32_e32 v64, 0
	ds_read_b128 v[65:68], v64 offset:448
	ds_read_b128 v[69:72], v64 offset:464
	v_cmp_lt_u32_e32 vcc, 22, v0
	s_waitcnt vmcnt(14) lgkmcnt(1)
	v_fma_f64 v[65:66], v[73:74], v[65:66], 0
	s_waitcnt vmcnt(12)
	v_fma_f64 v[65:66], v[75:76], v[67:68], v[65:66]
	s_waitcnt vmcnt(10) lgkmcnt(0)
	v_fma_f64 v[65:66], v[77:78], v[69:70], v[65:66]
	s_waitcnt vmcnt(8)
	v_fma_f64 v[69:70], v[79:80], v[71:72], v[65:66]
	ds_read_b128 v[65:68], v64 offset:480
	ds_read_b64 v[71:72], v64 offset:496
	s_waitcnt vmcnt(6) lgkmcnt(1)
	v_fma_f64 v[65:66], v[81:82], v[65:66], v[69:70]
	s_waitcnt vmcnt(4)
	v_fma_f64 v[65:66], v[83:84], v[67:68], v[65:66]
	s_waitcnt vmcnt(2) lgkmcnt(0)
	v_fma_f64 v[65:66], v[85:86], v[71:72], v[65:66]
	s_waitcnt vmcnt(0)
	v_add_f64 v[65:66], v[87:88], -v[65:66]
	buffer_store_dword v65, off, s[0:3], 0 offset:184
	buffer_store_dword v66, off, s[0:3], 0 offset:188
	s_and_saveexec_b64 s[4:5], vcc
	s_cbranch_execz .LBB94_149
; %bb.148:
	buffer_load_dword v65, off, s[0:3], 0 offset:176
	buffer_load_dword v66, off, s[0:3], 0 offset:180
	s_waitcnt vmcnt(0)
	ds_write_b64 v63, v[65:66]
	buffer_store_dword v64, off, s[0:3], 0 offset:176
	buffer_store_dword v64, off, s[0:3], 0 offset:180
.LBB94_149:
	s_or_b64 exec, exec, s[4:5]
	s_waitcnt lgkmcnt(0)
	; wave barrier
	buffer_load_dword v73, off, s[0:3], 0 offset:184
	buffer_load_dword v74, off, s[0:3], 0 offset:188
	;; [unrolled: 1-line block ×18, first 2 shown]
	ds_read2_b64 v[65:68], v64 offset0:55 offset1:56
	ds_read2_b64 v[69:72], v64 offset0:57 offset1:58
	v_cmp_lt_u32_e32 vcc, 21, v0
	s_waitcnt vmcnt(16) lgkmcnt(1)
	v_fma_f64 v[65:66], v[73:74], v[65:66], 0
	s_waitcnt vmcnt(14)
	v_fma_f64 v[65:66], v[75:76], v[67:68], v[65:66]
	s_waitcnt vmcnt(12) lgkmcnt(0)
	v_fma_f64 v[65:66], v[77:78], v[69:70], v[65:66]
	s_waitcnt vmcnt(10)
	v_fma_f64 v[73:74], v[79:80], v[71:72], v[65:66]
	ds_read2_b64 v[65:68], v64 offset0:59 offset1:60
	ds_read2_b64 v[69:72], v64 offset0:61 offset1:62
	s_waitcnt vmcnt(8) lgkmcnt(1)
	v_fma_f64 v[64:65], v[81:82], v[65:66], v[73:74]
	s_waitcnt vmcnt(6)
	v_fma_f64 v[64:65], v[83:84], v[67:68], v[64:65]
	s_waitcnt vmcnt(4) lgkmcnt(0)
	v_fma_f64 v[64:65], v[85:86], v[69:70], v[64:65]
	s_waitcnt vmcnt(2)
	v_fma_f64 v[64:65], v[87:88], v[71:72], v[64:65]
	s_waitcnt vmcnt(0)
	v_add_f64 v[64:65], v[89:90], -v[64:65]
	buffer_store_dword v64, off, s[0:3], 0 offset:176
	buffer_store_dword v65, off, s[0:3], 0 offset:180
	s_and_saveexec_b64 s[4:5], vcc
	s_cbranch_execz .LBB94_151
; %bb.150:
	buffer_load_dword v64, off, s[0:3], 0 offset:168
	buffer_load_dword v65, off, s[0:3], 0 offset:172
	v_mov_b32_e32 v66, 0
	buffer_store_dword v66, off, s[0:3], 0 offset:168
	buffer_store_dword v66, off, s[0:3], 0 offset:172
	s_waitcnt vmcnt(2)
	ds_write_b64 v63, v[64:65]
.LBB94_151:
	s_or_b64 exec, exec, s[4:5]
	s_waitcnt lgkmcnt(0)
	; wave barrier
	buffer_load_dword v73, off, s[0:3], 0 offset:176
	buffer_load_dword v74, off, s[0:3], 0 offset:180
	;; [unrolled: 1-line block ×20, first 2 shown]
	v_mov_b32_e32 v64, 0
	ds_read_b128 v[65:68], v64 offset:432
	ds_read_b128 v[69:72], v64 offset:448
	v_cmp_lt_u32_e32 vcc, 20, v0
	s_waitcnt vmcnt(18) lgkmcnt(1)
	v_fma_f64 v[65:66], v[73:74], v[65:66], 0
	s_waitcnt vmcnt(16)
	v_fma_f64 v[65:66], v[75:76], v[67:68], v[65:66]
	s_waitcnt vmcnt(14) lgkmcnt(0)
	v_fma_f64 v[65:66], v[77:78], v[69:70], v[65:66]
	s_waitcnt vmcnt(12)
	v_fma_f64 v[73:74], v[79:80], v[71:72], v[65:66]
	ds_read_b128 v[65:68], v64 offset:464
	ds_read_b128 v[69:72], v64 offset:480
	s_waitcnt vmcnt(10) lgkmcnt(1)
	v_fma_f64 v[65:66], v[81:82], v[65:66], v[73:74]
	s_waitcnt vmcnt(8)
	v_fma_f64 v[65:66], v[83:84], v[67:68], v[65:66]
	ds_read_b64 v[67:68], v64 offset:496
	s_waitcnt vmcnt(6) lgkmcnt(1)
	v_fma_f64 v[65:66], v[85:86], v[69:70], v[65:66]
	s_waitcnt vmcnt(3)
	v_fma_f64 v[65:66], v[87:88], v[71:72], v[65:66]
	s_waitcnt vmcnt(2) lgkmcnt(0)
	v_fma_f64 v[65:66], v[89:90], v[67:68], v[65:66]
	s_waitcnt vmcnt(0)
	v_add_f64 v[65:66], v[91:92], -v[65:66]
	buffer_store_dword v65, off, s[0:3], 0 offset:168
	buffer_store_dword v66, off, s[0:3], 0 offset:172
	s_and_saveexec_b64 s[4:5], vcc
	s_cbranch_execz .LBB94_153
; %bb.152:
	buffer_load_dword v65, off, s[0:3], 0 offset:160
	buffer_load_dword v66, off, s[0:3], 0 offset:164
	s_waitcnt vmcnt(0)
	ds_write_b64 v63, v[65:66]
	buffer_store_dword v64, off, s[0:3], 0 offset:160
	buffer_store_dword v64, off, s[0:3], 0 offset:164
.LBB94_153:
	s_or_b64 exec, exec, s[4:5]
	s_waitcnt lgkmcnt(0)
	; wave barrier
	buffer_load_dword v73, off, s[0:3], 0 offset:168
	buffer_load_dword v74, off, s[0:3], 0 offset:172
	;; [unrolled: 1-line block ×20, first 2 shown]
	ds_read2_b64 v[65:68], v64 offset0:53 offset1:54
	buffer_load_dword v93, off, s[0:3], 0 offset:160
	buffer_load_dword v94, off, s[0:3], 0 offset:164
	ds_read2_b64 v[69:72], v64 offset0:55 offset1:56
	v_cmp_lt_u32_e32 vcc, 19, v0
	s_waitcnt vmcnt(20) lgkmcnt(1)
	v_fma_f64 v[65:66], v[73:74], v[65:66], 0
	s_waitcnt vmcnt(18)
	v_fma_f64 v[65:66], v[75:76], v[67:68], v[65:66]
	s_waitcnt vmcnt(16) lgkmcnt(0)
	v_fma_f64 v[65:66], v[77:78], v[69:70], v[65:66]
	s_waitcnt vmcnt(14)
	v_fma_f64 v[73:74], v[79:80], v[71:72], v[65:66]
	ds_read2_b64 v[65:68], v64 offset0:57 offset1:58
	ds_read2_b64 v[69:72], v64 offset0:59 offset1:60
	s_waitcnt vmcnt(12) lgkmcnt(1)
	v_fma_f64 v[65:66], v[81:82], v[65:66], v[73:74]
	s_waitcnt vmcnt(10)
	v_fma_f64 v[65:66], v[83:84], v[67:68], v[65:66]
	s_waitcnt vmcnt(8) lgkmcnt(0)
	v_fma_f64 v[65:66], v[85:86], v[69:70], v[65:66]
	s_waitcnt vmcnt(4)
	v_fma_f64 v[68:69], v[87:88], v[71:72], v[65:66]
	ds_read2_b64 v[64:67], v64 offset0:61 offset1:62
	s_waitcnt vmcnt(3) lgkmcnt(0)
	v_fma_f64 v[64:65], v[91:92], v[64:65], v[68:69]
	s_waitcnt vmcnt(2)
	v_fma_f64 v[64:65], v[89:90], v[66:67], v[64:65]
	s_waitcnt vmcnt(0)
	v_add_f64 v[64:65], v[93:94], -v[64:65]
	buffer_store_dword v64, off, s[0:3], 0 offset:160
	buffer_store_dword v65, off, s[0:3], 0 offset:164
	s_and_saveexec_b64 s[4:5], vcc
	s_cbranch_execz .LBB94_155
; %bb.154:
	buffer_load_dword v64, off, s[0:3], 0 offset:152
	buffer_load_dword v65, off, s[0:3], 0 offset:156
	v_mov_b32_e32 v66, 0
	buffer_store_dword v66, off, s[0:3], 0 offset:152
	buffer_store_dword v66, off, s[0:3], 0 offset:156
	s_waitcnt vmcnt(2)
	ds_write_b64 v63, v[64:65]
.LBB94_155:
	s_or_b64 exec, exec, s[4:5]
	s_waitcnt lgkmcnt(0)
	; wave barrier
	buffer_load_dword v73, off, s[0:3], 0 offset:160
	buffer_load_dword v74, off, s[0:3], 0 offset:164
	;; [unrolled: 1-line block ×21, first 2 shown]
	v_mov_b32_e32 v64, 0
	ds_read_b128 v[65:68], v64 offset:416
	ds_read_b128 v[69:72], v64 offset:432
	buffer_load_dword v90, off, s[0:3], 0 offset:244
	v_cmp_lt_u32_e32 vcc, 18, v0
	s_waitcnt vmcnt(20) lgkmcnt(1)
	v_fma_f64 v[65:66], v[73:74], v[65:66], 0
	buffer_load_dword v73, off, s[0:3], 0 offset:152
	buffer_load_dword v74, off, s[0:3], 0 offset:156
	s_waitcnt vmcnt(20)
	v_fma_f64 v[65:66], v[75:76], v[67:68], v[65:66]
	s_waitcnt vmcnt(18) lgkmcnt(0)
	v_fma_f64 v[65:66], v[77:78], v[69:70], v[65:66]
	s_waitcnt vmcnt(16)
	v_fma_f64 v[75:76], v[79:80], v[71:72], v[65:66]
	ds_read_b128 v[65:68], v64 offset:448
	ds_read_b128 v[69:72], v64 offset:464
	s_waitcnt vmcnt(14) lgkmcnt(1)
	v_fma_f64 v[65:66], v[81:82], v[65:66], v[75:76]
	s_waitcnt vmcnt(12)
	v_fma_f64 v[65:66], v[83:84], v[67:68], v[65:66]
	s_waitcnt vmcnt(10) lgkmcnt(0)
	v_fma_f64 v[65:66], v[85:86], v[69:70], v[65:66]
	s_waitcnt vmcnt(5)
	v_fma_f64 v[69:70], v[87:88], v[71:72], v[65:66]
	ds_read_b128 v[65:68], v64 offset:480
	ds_read_b64 v[71:72], v64 offset:496
	s_waitcnt vmcnt(4) lgkmcnt(1)
	v_fma_f64 v[65:66], v[93:94], v[65:66], v[69:70]
	s_waitcnt vmcnt(3)
	v_fma_f64 v[65:66], v[91:92], v[67:68], v[65:66]
	s_waitcnt vmcnt(2) lgkmcnt(0)
	v_fma_f64 v[65:66], v[89:90], v[71:72], v[65:66]
	s_waitcnt vmcnt(0)
	v_add_f64 v[65:66], v[73:74], -v[65:66]
	buffer_store_dword v66, off, s[0:3], 0 offset:156
	buffer_store_dword v65, off, s[0:3], 0 offset:152
	s_and_saveexec_b64 s[4:5], vcc
	s_cbranch_execz .LBB94_157
; %bb.156:
	buffer_load_dword v65, off, s[0:3], 0 offset:144
	buffer_load_dword v66, off, s[0:3], 0 offset:148
	s_waitcnt vmcnt(0)
	ds_write_b64 v63, v[65:66]
	buffer_store_dword v64, off, s[0:3], 0 offset:144
	buffer_store_dword v64, off, s[0:3], 0 offset:148
.LBB94_157:
	s_or_b64 exec, exec, s[4:5]
	s_waitcnt lgkmcnt(0)
	; wave barrier
	buffer_load_dword v73, off, s[0:3], 0 offset:152
	buffer_load_dword v74, off, s[0:3], 0 offset:156
	;; [unrolled: 1-line block ×21, first 2 shown]
	ds_read2_b64 v[65:68], v64 offset0:51 offset1:52
	ds_read2_b64 v[69:72], v64 offset0:53 offset1:54
	buffer_load_dword v90, off, s[0:3], 0 offset:236
	v_cmp_lt_u32_e32 vcc, 17, v0
	s_waitcnt vmcnt(20) lgkmcnt(1)
	v_fma_f64 v[65:66], v[73:74], v[65:66], 0
	buffer_load_dword v74, off, s[0:3], 0 offset:244
	buffer_load_dword v73, off, s[0:3], 0 offset:240
	s_waitcnt vmcnt(20)
	v_fma_f64 v[65:66], v[75:76], v[67:68], v[65:66]
	buffer_load_dword v75, off, s[0:3], 0 offset:144
	buffer_load_dword v76, off, s[0:3], 0 offset:148
	s_waitcnt vmcnt(20) lgkmcnt(0)
	v_fma_f64 v[65:66], v[77:78], v[69:70], v[65:66]
	s_waitcnt vmcnt(18)
	v_fma_f64 v[77:78], v[79:80], v[71:72], v[65:66]
	ds_read2_b64 v[65:68], v64 offset0:55 offset1:56
	ds_read2_b64 v[69:72], v64 offset0:57 offset1:58
	s_waitcnt vmcnt(16) lgkmcnt(1)
	v_fma_f64 v[65:66], v[81:82], v[65:66], v[77:78]
	s_waitcnt vmcnt(14)
	v_fma_f64 v[65:66], v[83:84], v[67:68], v[65:66]
	s_waitcnt vmcnt(12) lgkmcnt(0)
	v_fma_f64 v[65:66], v[85:86], v[69:70], v[65:66]
	s_waitcnt vmcnt(7)
	v_fma_f64 v[77:78], v[87:88], v[71:72], v[65:66]
	ds_read2_b64 v[65:68], v64 offset0:59 offset1:60
	ds_read2_b64 v[69:72], v64 offset0:61 offset1:62
	s_waitcnt vmcnt(6) lgkmcnt(1)
	v_fma_f64 v[64:65], v[93:94], v[65:66], v[77:78]
	s_waitcnt vmcnt(5)
	v_fma_f64 v[64:65], v[91:92], v[67:68], v[64:65]
	s_waitcnt vmcnt(4) lgkmcnt(0)
	v_fma_f64 v[64:65], v[89:90], v[69:70], v[64:65]
	s_waitcnt vmcnt(2)
	v_fma_f64 v[64:65], v[73:74], v[71:72], v[64:65]
	s_waitcnt vmcnt(0)
	v_add_f64 v[64:65], v[75:76], -v[64:65]
	buffer_store_dword v65, off, s[0:3], 0 offset:148
	buffer_store_dword v64, off, s[0:3], 0 offset:144
	s_and_saveexec_b64 s[4:5], vcc
	s_cbranch_execz .LBB94_159
; %bb.158:
	buffer_load_dword v64, off, s[0:3], 0 offset:136
	buffer_load_dword v65, off, s[0:3], 0 offset:140
	v_mov_b32_e32 v66, 0
	buffer_store_dword v66, off, s[0:3], 0 offset:136
	buffer_store_dword v66, off, s[0:3], 0 offset:140
	s_waitcnt vmcnt(2)
	ds_write_b64 v63, v[64:65]
.LBB94_159:
	s_or_b64 exec, exec, s[4:5]
	s_waitcnt lgkmcnt(0)
	; wave barrier
	buffer_load_dword v73, off, s[0:3], 0 offset:144
	buffer_load_dword v74, off, s[0:3], 0 offset:148
	;; [unrolled: 1-line block ×21, first 2 shown]
	v_mov_b32_e32 v64, 0
	ds_read_b128 v[65:68], v64 offset:400
	ds_read_b128 v[69:72], v64 offset:416
	buffer_load_dword v90, off, s[0:3], 0 offset:228
	v_cmp_lt_u32_e32 vcc, 16, v0
	s_waitcnt vmcnt(20) lgkmcnt(1)
	v_fma_f64 v[65:66], v[73:74], v[65:66], 0
	s_waitcnt vmcnt(18)
	v_fma_f64 v[65:66], v[75:76], v[67:68], v[65:66]
	buffer_load_dword v74, off, s[0:3], 0 offset:236
	buffer_load_dword v75, off, s[0:3], 0 offset:240
	;; [unrolled: 1-line block ×4, first 2 shown]
	s_waitcnt vmcnt(20) lgkmcnt(0)
	v_fma_f64 v[65:66], v[77:78], v[69:70], v[65:66]
	buffer_load_dword v77, off, s[0:3], 0 offset:136
	buffer_load_dword v78, off, s[0:3], 0 offset:140
	s_waitcnt vmcnt(20)
	v_fma_f64 v[79:80], v[79:80], v[71:72], v[65:66]
	ds_read_b128 v[65:68], v64 offset:432
	ds_read_b128 v[69:72], v64 offset:448
	s_waitcnt vmcnt(18) lgkmcnt(1)
	v_fma_f64 v[65:66], v[81:82], v[65:66], v[79:80]
	s_waitcnt vmcnt(16)
	v_fma_f64 v[65:66], v[83:84], v[67:68], v[65:66]
	s_waitcnt vmcnt(14) lgkmcnt(0)
	v_fma_f64 v[65:66], v[85:86], v[69:70], v[65:66]
	s_waitcnt vmcnt(9)
	v_fma_f64 v[79:80], v[87:88], v[71:72], v[65:66]
	ds_read_b128 v[65:68], v64 offset:464
	ds_read_b128 v[69:72], v64 offset:480
	s_waitcnt vmcnt(8) lgkmcnt(1)
	v_fma_f64 v[65:66], v[93:94], v[65:66], v[79:80]
	s_waitcnt vmcnt(7)
	v_fma_f64 v[65:66], v[91:92], v[67:68], v[65:66]
	ds_read_b64 v[67:68], v64 offset:496
	s_waitcnt vmcnt(6) lgkmcnt(1)
	v_fma_f64 v[65:66], v[89:90], v[69:70], v[65:66]
	s_waitcnt vmcnt(3)
	v_fma_f64 v[65:66], v[73:74], v[71:72], v[65:66]
	s_waitcnt vmcnt(2) lgkmcnt(0)
	v_fma_f64 v[65:66], v[75:76], v[67:68], v[65:66]
	s_waitcnt vmcnt(0)
	v_add_f64 v[65:66], v[77:78], -v[65:66]
	buffer_store_dword v66, off, s[0:3], 0 offset:140
	buffer_store_dword v65, off, s[0:3], 0 offset:136
	s_and_saveexec_b64 s[4:5], vcc
	s_cbranch_execz .LBB94_161
; %bb.160:
	buffer_load_dword v65, off, s[0:3], 0 offset:128
	buffer_load_dword v66, off, s[0:3], 0 offset:132
	s_waitcnt vmcnt(0)
	ds_write_b64 v63, v[65:66]
	buffer_store_dword v64, off, s[0:3], 0 offset:128
	buffer_store_dword v64, off, s[0:3], 0 offset:132
.LBB94_161:
	s_or_b64 exec, exec, s[4:5]
	s_waitcnt lgkmcnt(0)
	; wave barrier
	buffer_load_dword v73, off, s[0:3], 0 offset:136
	buffer_load_dword v74, off, s[0:3], 0 offset:140
	;; [unrolled: 1-line block ×22, first 2 shown]
	ds_read2_b64 v[65:68], v64 offset0:49 offset1:50
	ds_read2_b64 v[69:72], v64 offset0:51 offset1:52
	v_cmp_lt_u32_e32 vcc, 15, v0
	s_waitcnt vmcnt(20) lgkmcnt(1)
	v_fma_f64 v[65:66], v[73:74], v[65:66], 0
	s_waitcnt vmcnt(18)
	v_fma_f64 v[65:66], v[75:76], v[67:68], v[65:66]
	buffer_load_dword v74, off, s[0:3], 0 offset:228
	buffer_load_dword v75, off, s[0:3], 0 offset:240
	;; [unrolled: 1-line block ×6, first 2 shown]
	s_waitcnt vmcnt(22) lgkmcnt(0)
	v_fma_f64 v[65:66], v[77:78], v[69:70], v[65:66]
	s_waitcnt vmcnt(20)
	v_fma_f64 v[77:78], v[79:80], v[71:72], v[65:66]
	ds_read2_b64 v[65:68], v64 offset0:53 offset1:54
	buffer_load_dword v79, off, s[0:3], 0 offset:128
	buffer_load_dword v80, off, s[0:3], 0 offset:132
	ds_read2_b64 v[69:72], v64 offset0:55 offset1:56
	s_waitcnt vmcnt(20) lgkmcnt(1)
	v_fma_f64 v[65:66], v[81:82], v[65:66], v[77:78]
	s_waitcnt vmcnt(18)
	v_fma_f64 v[65:66], v[83:84], v[67:68], v[65:66]
	s_waitcnt vmcnt(16) lgkmcnt(0)
	v_fma_f64 v[65:66], v[85:86], v[69:70], v[65:66]
	s_waitcnt vmcnt(11)
	v_fma_f64 v[77:78], v[87:88], v[71:72], v[65:66]
	ds_read2_b64 v[65:68], v64 offset0:57 offset1:58
	ds_read2_b64 v[69:72], v64 offset0:59 offset1:60
	s_waitcnt vmcnt(10) lgkmcnt(1)
	v_fma_f64 v[65:66], v[93:94], v[65:66], v[77:78]
	s_waitcnt vmcnt(9)
	v_fma_f64 v[65:66], v[91:92], v[67:68], v[65:66]
	s_waitcnt vmcnt(8) lgkmcnt(0)
	v_fma_f64 v[65:66], v[89:90], v[69:70], v[65:66]
	s_waitcnt vmcnt(4)
	v_fma_f64 v[68:69], v[73:74], v[71:72], v[65:66]
	ds_read2_b64 v[64:67], v64 offset0:61 offset1:62
	s_waitcnt vmcnt(3) lgkmcnt(0)
	v_fma_f64 v[64:65], v[95:96], v[64:65], v[68:69]
	s_waitcnt vmcnt(2)
	v_fma_f64 v[64:65], v[75:76], v[66:67], v[64:65]
	s_waitcnt vmcnt(0)
	v_add_f64 v[64:65], v[79:80], -v[64:65]
	buffer_store_dword v65, off, s[0:3], 0 offset:132
	buffer_store_dword v64, off, s[0:3], 0 offset:128
	s_and_saveexec_b64 s[4:5], vcc
	s_cbranch_execz .LBB94_163
; %bb.162:
	buffer_load_dword v64, off, s[0:3], 0 offset:120
	buffer_load_dword v65, off, s[0:3], 0 offset:124
	v_mov_b32_e32 v66, 0
	buffer_store_dword v66, off, s[0:3], 0 offset:120
	buffer_store_dword v66, off, s[0:3], 0 offset:124
	s_waitcnt vmcnt(2)
	ds_write_b64 v63, v[64:65]
.LBB94_163:
	s_or_b64 exec, exec, s[4:5]
	s_waitcnt lgkmcnt(0)
	; wave barrier
	buffer_load_dword v73, off, s[0:3], 0 offset:128
	buffer_load_dword v74, off, s[0:3], 0 offset:132
	buffer_load_dword v75, off, s[0:3], 0 offset:136
	buffer_load_dword v76, off, s[0:3], 0 offset:140
	buffer_load_dword v77, off, s[0:3], 0 offset:144
	buffer_load_dword v78, off, s[0:3], 0 offset:148
	buffer_load_dword v79, off, s[0:3], 0 offset:152
	buffer_load_dword v80, off, s[0:3], 0 offset:156
	buffer_load_dword v81, off, s[0:3], 0 offset:160
	buffer_load_dword v82, off, s[0:3], 0 offset:164
	buffer_load_dword v83, off, s[0:3], 0 offset:168
	buffer_load_dword v84, off, s[0:3], 0 offset:172
	buffer_load_dword v85, off, s[0:3], 0 offset:176
	buffer_load_dword v86, off, s[0:3], 0 offset:180
	buffer_load_dword v88, off, s[0:3], 0 offset:188
	buffer_load_dword v89, off, s[0:3], 0 offset:208
	buffer_load_dword v91, off, s[0:3], 0 offset:200
	buffer_load_dword v93, off, s[0:3], 0 offset:192
	buffer_load_dword v87, off, s[0:3], 0 offset:184
	buffer_load_dword v94, off, s[0:3], 0 offset:196
	buffer_load_dword v92, off, s[0:3], 0 offset:204
	buffer_load_dword v90, off, s[0:3], 0 offset:212
	v_mov_b32_e32 v64, 0
	ds_read_b128 v[65:68], v64 offset:384
	ds_read_b128 v[69:72], v64 offset:400
	v_cmp_lt_u32_e32 vcc, 14, v0
	s_waitcnt vmcnt(20) lgkmcnt(1)
	v_fma_f64 v[65:66], v[73:74], v[65:66], 0
	s_waitcnt vmcnt(18)
	v_fma_f64 v[65:66], v[75:76], v[67:68], v[65:66]
	buffer_load_dword v74, off, s[0:3], 0 offset:220
	buffer_load_dword v75, off, s[0:3], 0 offset:240
	buffer_load_dword v95, off, s[0:3], 0 offset:232
	buffer_load_dword v97, off, s[0:3], 0 offset:224
	buffer_load_dword v73, off, s[0:3], 0 offset:216
	buffer_load_dword v98, off, s[0:3], 0 offset:228
	buffer_load_dword v96, off, s[0:3], 0 offset:236
	buffer_load_dword v76, off, s[0:3], 0 offset:244
	s_waitcnt vmcnt(24) lgkmcnt(0)
	v_fma_f64 v[65:66], v[77:78], v[69:70], v[65:66]
	s_waitcnt vmcnt(22)
	v_fma_f64 v[77:78], v[79:80], v[71:72], v[65:66]
	ds_read_b128 v[65:68], v64 offset:416
	ds_read_b128 v[69:72], v64 offset:432
	s_waitcnt vmcnt(20) lgkmcnt(1)
	v_fma_f64 v[65:66], v[81:82], v[65:66], v[77:78]
	buffer_load_dword v77, off, s[0:3], 0 offset:120
	buffer_load_dword v78, off, s[0:3], 0 offset:124
	s_waitcnt vmcnt(20)
	v_fma_f64 v[65:66], v[83:84], v[67:68], v[65:66]
	s_waitcnt vmcnt(18) lgkmcnt(0)
	v_fma_f64 v[65:66], v[85:86], v[69:70], v[65:66]
	s_waitcnt vmcnt(13)
	v_fma_f64 v[79:80], v[87:88], v[71:72], v[65:66]
	ds_read_b128 v[65:68], v64 offset:448
	ds_read_b128 v[69:72], v64 offset:464
	s_waitcnt vmcnt(12) lgkmcnt(1)
	v_fma_f64 v[65:66], v[93:94], v[65:66], v[79:80]
	s_waitcnt vmcnt(11)
	v_fma_f64 v[65:66], v[91:92], v[67:68], v[65:66]
	s_waitcnt vmcnt(10) lgkmcnt(0)
	v_fma_f64 v[65:66], v[89:90], v[69:70], v[65:66]
	s_waitcnt vmcnt(5)
	v_fma_f64 v[69:70], v[73:74], v[71:72], v[65:66]
	ds_read_b128 v[65:68], v64 offset:480
	ds_read_b64 v[71:72], v64 offset:496
	s_waitcnt vmcnt(4) lgkmcnt(1)
	v_fma_f64 v[65:66], v[97:98], v[65:66], v[69:70]
	s_waitcnt vmcnt(3)
	v_fma_f64 v[65:66], v[95:96], v[67:68], v[65:66]
	s_waitcnt vmcnt(2) lgkmcnt(0)
	v_fma_f64 v[65:66], v[75:76], v[71:72], v[65:66]
	s_waitcnt vmcnt(0)
	v_add_f64 v[65:66], v[77:78], -v[65:66]
	buffer_store_dword v66, off, s[0:3], 0 offset:124
	buffer_store_dword v65, off, s[0:3], 0 offset:120
	s_and_saveexec_b64 s[4:5], vcc
	s_cbranch_execz .LBB94_165
; %bb.164:
	buffer_load_dword v65, off, s[0:3], 0 offset:112
	buffer_load_dword v66, off, s[0:3], 0 offset:116
	s_waitcnt vmcnt(0)
	ds_write_b64 v63, v[65:66]
	buffer_store_dword v64, off, s[0:3], 0 offset:112
	buffer_store_dword v64, off, s[0:3], 0 offset:116
.LBB94_165:
	s_or_b64 exec, exec, s[4:5]
	s_waitcnt lgkmcnt(0)
	; wave barrier
	buffer_load_dword v73, off, s[0:3], 0 offset:120
	buffer_load_dword v74, off, s[0:3], 0 offset:124
	;; [unrolled: 1-line block ×22, first 2 shown]
	ds_read2_b64 v[65:68], v64 offset0:47 offset1:48
	ds_read2_b64 v[69:72], v64 offset0:49 offset1:50
	v_cmp_lt_u32_e32 vcc, 13, v0
	s_waitcnt vmcnt(20) lgkmcnt(1)
	v_fma_f64 v[65:66], v[73:74], v[65:66], 0
	s_waitcnt vmcnt(18)
	v_fma_f64 v[65:66], v[75:76], v[67:68], v[65:66]
	buffer_load_dword v74, off, s[0:3], 0 offset:212
	buffer_load_dword v75, off, s[0:3], 0 offset:232
	;; [unrolled: 1-line block ×8, first 2 shown]
	s_waitcnt vmcnt(24) lgkmcnt(0)
	v_fma_f64 v[65:66], v[77:78], v[69:70], v[65:66]
	s_waitcnt vmcnt(22)
	v_fma_f64 v[77:78], v[79:80], v[71:72], v[65:66]
	ds_read2_b64 v[65:68], v64 offset0:51 offset1:52
	ds_read2_b64 v[69:72], v64 offset0:53 offset1:54
	s_waitcnt vmcnt(20) lgkmcnt(1)
	v_fma_f64 v[65:66], v[81:82], v[65:66], v[77:78]
	buffer_load_dword v78, off, s[0:3], 0 offset:244
	buffer_load_dword v77, off, s[0:3], 0 offset:240
	;; [unrolled: 1-line block ×4, first 2 shown]
	s_waitcnt vmcnt(22)
	v_fma_f64 v[65:66], v[83:84], v[67:68], v[65:66]
	s_waitcnt vmcnt(20) lgkmcnt(0)
	v_fma_f64 v[65:66], v[85:86], v[69:70], v[65:66]
	s_waitcnt vmcnt(15)
	v_fma_f64 v[81:82], v[87:88], v[71:72], v[65:66]
	ds_read2_b64 v[65:68], v64 offset0:55 offset1:56
	ds_read2_b64 v[69:72], v64 offset0:57 offset1:58
	s_waitcnt vmcnt(14) lgkmcnt(1)
	v_fma_f64 v[65:66], v[93:94], v[65:66], v[81:82]
	s_waitcnt vmcnt(13)
	v_fma_f64 v[65:66], v[91:92], v[67:68], v[65:66]
	s_waitcnt vmcnt(12) lgkmcnt(0)
	v_fma_f64 v[65:66], v[89:90], v[69:70], v[65:66]
	s_waitcnt vmcnt(7)
	v_fma_f64 v[73:74], v[73:74], v[71:72], v[65:66]
	ds_read2_b64 v[65:68], v64 offset0:59 offset1:60
	ds_read2_b64 v[69:72], v64 offset0:61 offset1:62
	s_waitcnt vmcnt(6) lgkmcnt(1)
	v_fma_f64 v[64:65], v[97:98], v[65:66], v[73:74]
	s_waitcnt vmcnt(5)
	v_fma_f64 v[64:65], v[95:96], v[67:68], v[64:65]
	s_waitcnt vmcnt(4) lgkmcnt(0)
	v_fma_f64 v[64:65], v[75:76], v[69:70], v[64:65]
	s_waitcnt vmcnt(2)
	v_fma_f64 v[64:65], v[77:78], v[71:72], v[64:65]
	s_waitcnt vmcnt(0)
	v_add_f64 v[64:65], v[79:80], -v[64:65]
	buffer_store_dword v65, off, s[0:3], 0 offset:116
	buffer_store_dword v64, off, s[0:3], 0 offset:112
	s_and_saveexec_b64 s[4:5], vcc
	s_cbranch_execz .LBB94_167
; %bb.166:
	buffer_load_dword v64, off, s[0:3], 0 offset:104
	buffer_load_dword v65, off, s[0:3], 0 offset:108
	v_mov_b32_e32 v66, 0
	buffer_store_dword v66, off, s[0:3], 0 offset:104
	buffer_store_dword v66, off, s[0:3], 0 offset:108
	s_waitcnt vmcnt(2)
	ds_write_b64 v63, v[64:65]
.LBB94_167:
	s_or_b64 exec, exec, s[4:5]
	s_waitcnt lgkmcnt(0)
	; wave barrier
	buffer_load_dword v73, off, s[0:3], 0 offset:112
	buffer_load_dword v74, off, s[0:3], 0 offset:116
	;; [unrolled: 1-line block ×22, first 2 shown]
	v_mov_b32_e32 v64, 0
	ds_read_b128 v[65:68], v64 offset:368
	ds_read_b128 v[69:72], v64 offset:384
	v_cmp_lt_u32_e32 vcc, 12, v0
	s_waitcnt vmcnt(20) lgkmcnt(1)
	v_fma_f64 v[65:66], v[73:74], v[65:66], 0
	s_waitcnt vmcnt(18)
	v_fma_f64 v[65:66], v[75:76], v[67:68], v[65:66]
	buffer_load_dword v74, off, s[0:3], 0 offset:204
	buffer_load_dword v75, off, s[0:3], 0 offset:224
	;; [unrolled: 1-line block ×7, first 2 shown]
	s_waitcnt vmcnt(23) lgkmcnt(0)
	v_fma_f64 v[65:66], v[77:78], v[69:70], v[65:66]
	s_waitcnt vmcnt(21)
	v_fma_f64 v[76:77], v[79:80], v[71:72], v[65:66]
	ds_read_b128 v[65:68], v64 offset:400
	ds_read_b128 v[69:72], v64 offset:416
	s_waitcnt vmcnt(19) lgkmcnt(1)
	v_fma_f64 v[65:66], v[81:82], v[65:66], v[76:77]
	buffer_load_dword v76, off, s[0:3], 0 offset:228
	buffer_load_dword v78, off, s[0:3], 0 offset:236
	;; [unrolled: 1-line block ×7, first 2 shown]
	s_waitcnt vmcnt(24)
	v_fma_f64 v[65:66], v[83:84], v[67:68], v[65:66]
	s_waitcnt vmcnt(22) lgkmcnt(0)
	v_fma_f64 v[65:66], v[85:86], v[69:70], v[65:66]
	s_waitcnt vmcnt(17)
	v_fma_f64 v[83:84], v[87:88], v[71:72], v[65:66]
	ds_read_b128 v[65:68], v64 offset:432
	ds_read_b128 v[69:72], v64 offset:448
	s_waitcnt vmcnt(16) lgkmcnt(1)
	v_fma_f64 v[65:66], v[93:94], v[65:66], v[83:84]
	s_waitcnt vmcnt(15)
	v_fma_f64 v[65:66], v[91:92], v[67:68], v[65:66]
	s_waitcnt vmcnt(14) lgkmcnt(0)
	v_fma_f64 v[65:66], v[89:90], v[69:70], v[65:66]
	s_waitcnt vmcnt(9)
	v_fma_f64 v[73:74], v[73:74], v[71:72], v[65:66]
	ds_read_b128 v[65:68], v64 offset:464
	ds_read_b128 v[69:72], v64 offset:480
	s_waitcnt vmcnt(8) lgkmcnt(1)
	v_fma_f64 v[65:66], v[97:98], v[65:66], v[73:74]
	s_waitcnt vmcnt(7)
	v_fma_f64 v[65:66], v[95:96], v[67:68], v[65:66]
	ds_read_b64 v[67:68], v64 offset:496
	s_waitcnt vmcnt(6) lgkmcnt(1)
	v_fma_f64 v[65:66], v[75:76], v[69:70], v[65:66]
	s_waitcnt vmcnt(3)
	v_fma_f64 v[65:66], v[77:78], v[71:72], v[65:66]
	s_waitcnt vmcnt(2) lgkmcnt(0)
	v_fma_f64 v[65:66], v[79:80], v[67:68], v[65:66]
	s_waitcnt vmcnt(0)
	v_add_f64 v[65:66], v[81:82], -v[65:66]
	buffer_store_dword v66, off, s[0:3], 0 offset:108
	buffer_store_dword v65, off, s[0:3], 0 offset:104
	s_and_saveexec_b64 s[4:5], vcc
	s_cbranch_execz .LBB94_169
; %bb.168:
	buffer_load_dword v65, off, s[0:3], 0 offset:96
	buffer_load_dword v66, off, s[0:3], 0 offset:100
	s_waitcnt vmcnt(0)
	ds_write_b64 v63, v[65:66]
	buffer_store_dword v64, off, s[0:3], 0 offset:96
	buffer_store_dword v64, off, s[0:3], 0 offset:100
.LBB94_169:
	s_or_b64 exec, exec, s[4:5]
	s_waitcnt lgkmcnt(0)
	; wave barrier
	buffer_load_dword v73, off, s[0:3], 0 offset:104
	buffer_load_dword v74, off, s[0:3], 0 offset:108
	;; [unrolled: 1-line block ×22, first 2 shown]
	ds_read2_b64 v[65:68], v64 offset0:45 offset1:46
	ds_read2_b64 v[69:72], v64 offset0:47 offset1:48
	v_cmp_lt_u32_e32 vcc, 11, v0
	s_waitcnt vmcnt(20) lgkmcnt(1)
	v_fma_f64 v[65:66], v[73:74], v[65:66], 0
	s_waitcnt vmcnt(18)
	v_fma_f64 v[65:66], v[75:76], v[67:68], v[65:66]
	buffer_load_dword v74, off, s[0:3], 0 offset:196
	buffer_load_dword v75, off, s[0:3], 0 offset:216
	;; [unrolled: 1-line block ×7, first 2 shown]
	s_waitcnt vmcnt(23) lgkmcnt(0)
	v_fma_f64 v[65:66], v[77:78], v[69:70], v[65:66]
	s_waitcnt vmcnt(21)
	v_fma_f64 v[76:77], v[79:80], v[71:72], v[65:66]
	ds_read2_b64 v[65:68], v64 offset0:49 offset1:50
	ds_read2_b64 v[69:72], v64 offset0:51 offset1:52
	s_waitcnt vmcnt(19) lgkmcnt(1)
	v_fma_f64 v[65:66], v[81:82], v[65:66], v[76:77]
	buffer_load_dword v76, off, s[0:3], 0 offset:220
	buffer_load_dword v78, off, s[0:3], 0 offset:228
	;; [unrolled: 1-line block ×7, first 2 shown]
	s_waitcnt vmcnt(24)
	v_fma_f64 v[65:66], v[83:84], v[67:68], v[65:66]
	s_waitcnt vmcnt(22) lgkmcnt(0)
	v_fma_f64 v[65:66], v[85:86], v[69:70], v[65:66]
	s_waitcnt vmcnt(17)
	v_fma_f64 v[83:84], v[87:88], v[71:72], v[65:66]
	ds_read2_b64 v[65:68], v64 offset0:53 offset1:54
	buffer_load_dword v85, off, s[0:3], 0 offset:96
	buffer_load_dword v86, off, s[0:3], 0 offset:100
	ds_read2_b64 v[69:72], v64 offset0:55 offset1:56
	s_waitcnt vmcnt(18) lgkmcnt(1)
	v_fma_f64 v[65:66], v[93:94], v[65:66], v[83:84]
	s_waitcnt vmcnt(17)
	v_fma_f64 v[65:66], v[91:92], v[67:68], v[65:66]
	s_waitcnt vmcnt(16) lgkmcnt(0)
	v_fma_f64 v[65:66], v[89:90], v[69:70], v[65:66]
	s_waitcnt vmcnt(11)
	v_fma_f64 v[73:74], v[73:74], v[71:72], v[65:66]
	ds_read2_b64 v[65:68], v64 offset0:57 offset1:58
	ds_read2_b64 v[69:72], v64 offset0:59 offset1:60
	s_waitcnt vmcnt(10) lgkmcnt(1)
	v_fma_f64 v[65:66], v[97:98], v[65:66], v[73:74]
	s_waitcnt vmcnt(9)
	v_fma_f64 v[65:66], v[95:96], v[67:68], v[65:66]
	s_waitcnt vmcnt(8) lgkmcnt(0)
	v_fma_f64 v[65:66], v[75:76], v[69:70], v[65:66]
	s_waitcnt vmcnt(4)
	v_fma_f64 v[68:69], v[77:78], v[71:72], v[65:66]
	ds_read2_b64 v[64:67], v64 offset0:61 offset1:62
	s_waitcnt vmcnt(3) lgkmcnt(0)
	v_fma_f64 v[64:65], v[81:82], v[64:65], v[68:69]
	s_waitcnt vmcnt(2)
	v_fma_f64 v[64:65], v[79:80], v[66:67], v[64:65]
	s_waitcnt vmcnt(0)
	v_add_f64 v[64:65], v[85:86], -v[64:65]
	buffer_store_dword v65, off, s[0:3], 0 offset:100
	buffer_store_dword v64, off, s[0:3], 0 offset:96
	s_and_saveexec_b64 s[4:5], vcc
	s_cbranch_execz .LBB94_171
; %bb.170:
	buffer_load_dword v64, off, s[0:3], 0 offset:88
	buffer_load_dword v65, off, s[0:3], 0 offset:92
	v_mov_b32_e32 v66, 0
	buffer_store_dword v66, off, s[0:3], 0 offset:88
	buffer_store_dword v66, off, s[0:3], 0 offset:92
	s_waitcnt vmcnt(2)
	ds_write_b64 v63, v[64:65]
.LBB94_171:
	s_or_b64 exec, exec, s[4:5]
	s_waitcnt lgkmcnt(0)
	; wave barrier
	buffer_load_dword v73, off, s[0:3], 0 offset:96
	buffer_load_dword v74, off, s[0:3], 0 offset:100
	;; [unrolled: 1-line block ×22, first 2 shown]
	v_mov_b32_e32 v64, 0
	ds_read_b128 v[65:68], v64 offset:352
	ds_read_b128 v[69:72], v64 offset:368
	v_cmp_lt_u32_e32 vcc, 10, v0
	s_waitcnt vmcnt(20) lgkmcnt(1)
	v_fma_f64 v[65:66], v[73:74], v[65:66], 0
	s_waitcnt vmcnt(18)
	v_fma_f64 v[65:66], v[75:76], v[67:68], v[65:66]
	buffer_load_dword v74, off, s[0:3], 0 offset:188
	buffer_load_dword v75, off, s[0:3], 0 offset:208
	;; [unrolled: 1-line block ×7, first 2 shown]
	s_waitcnt vmcnt(23) lgkmcnt(0)
	v_fma_f64 v[65:66], v[77:78], v[69:70], v[65:66]
	s_waitcnt vmcnt(21)
	v_fma_f64 v[76:77], v[79:80], v[71:72], v[65:66]
	ds_read_b128 v[65:68], v64 offset:384
	ds_read_b128 v[69:72], v64 offset:400
	s_waitcnt vmcnt(19) lgkmcnt(1)
	v_fma_f64 v[65:66], v[81:82], v[65:66], v[76:77]
	buffer_load_dword v76, off, s[0:3], 0 offset:212
	s_waitcnt vmcnt(18)
	v_fma_f64 v[65:66], v[83:84], v[67:68], v[65:66]
	buffer_load_dword v78, off, s[0:3], 0 offset:220
	buffer_load_dword v79, off, s[0:3], 0 offset:240
	buffer_load_dword v81, off, s[0:3], 0 offset:232
	buffer_load_dword v83, off, s[0:3], 0 offset:224
	buffer_load_dword v77, off, s[0:3], 0 offset:216
	buffer_load_dword v84, off, s[0:3], 0 offset:228
	buffer_load_dword v82, off, s[0:3], 0 offset:236
	buffer_load_dword v80, off, s[0:3], 0 offset:244
	s_waitcnt vmcnt(24) lgkmcnt(0)
	v_fma_f64 v[65:66], v[85:86], v[69:70], v[65:66]
	s_waitcnt vmcnt(19)
	v_fma_f64 v[85:86], v[87:88], v[71:72], v[65:66]
	ds_read_b128 v[65:68], v64 offset:416
	ds_read_b128 v[69:72], v64 offset:432
	s_waitcnt vmcnt(18) lgkmcnt(1)
	v_fma_f64 v[65:66], v[93:94], v[65:66], v[85:86]
	buffer_load_dword v85, off, s[0:3], 0 offset:88
	buffer_load_dword v86, off, s[0:3], 0 offset:92
	s_waitcnt vmcnt(19)
	v_fma_f64 v[65:66], v[91:92], v[67:68], v[65:66]
	s_waitcnt vmcnt(18) lgkmcnt(0)
	v_fma_f64 v[65:66], v[89:90], v[69:70], v[65:66]
	s_waitcnt vmcnt(13)
	v_fma_f64 v[73:74], v[73:74], v[71:72], v[65:66]
	ds_read_b128 v[65:68], v64 offset:448
	ds_read_b128 v[69:72], v64 offset:464
	s_waitcnt vmcnt(12) lgkmcnt(1)
	v_fma_f64 v[65:66], v[97:98], v[65:66], v[73:74]
	s_waitcnt vmcnt(11)
	v_fma_f64 v[65:66], v[95:96], v[67:68], v[65:66]
	s_waitcnt vmcnt(10) lgkmcnt(0)
	v_fma_f64 v[65:66], v[75:76], v[69:70], v[65:66]
	s_waitcnt vmcnt(5)
	v_fma_f64 v[69:70], v[77:78], v[71:72], v[65:66]
	ds_read_b128 v[65:68], v64 offset:480
	ds_read_b64 v[71:72], v64 offset:496
	s_waitcnt vmcnt(4) lgkmcnt(1)
	v_fma_f64 v[65:66], v[83:84], v[65:66], v[69:70]
	s_waitcnt vmcnt(3)
	v_fma_f64 v[65:66], v[81:82], v[67:68], v[65:66]
	s_waitcnt vmcnt(2) lgkmcnt(0)
	v_fma_f64 v[65:66], v[79:80], v[71:72], v[65:66]
	s_waitcnt vmcnt(0)
	v_add_f64 v[65:66], v[85:86], -v[65:66]
	buffer_store_dword v66, off, s[0:3], 0 offset:92
	buffer_store_dword v65, off, s[0:3], 0 offset:88
	s_and_saveexec_b64 s[4:5], vcc
	s_cbranch_execz .LBB94_173
; %bb.172:
	buffer_load_dword v65, off, s[0:3], 0 offset:80
	buffer_load_dword v66, off, s[0:3], 0 offset:84
	s_waitcnt vmcnt(0)
	ds_write_b64 v63, v[65:66]
	buffer_store_dword v64, off, s[0:3], 0 offset:80
	buffer_store_dword v64, off, s[0:3], 0 offset:84
.LBB94_173:
	s_or_b64 exec, exec, s[4:5]
	s_waitcnt lgkmcnt(0)
	; wave barrier
	buffer_load_dword v73, off, s[0:3], 0 offset:88
	buffer_load_dword v74, off, s[0:3], 0 offset:92
	;; [unrolled: 1-line block ×22, first 2 shown]
	ds_read2_b64 v[65:68], v64 offset0:43 offset1:44
	ds_read2_b64 v[69:72], v64 offset0:45 offset1:46
	v_cmp_lt_u32_e32 vcc, 9, v0
	s_waitcnt vmcnt(20) lgkmcnt(1)
	v_fma_f64 v[65:66], v[73:74], v[65:66], 0
	s_waitcnt vmcnt(18)
	v_fma_f64 v[65:66], v[75:76], v[67:68], v[65:66]
	buffer_load_dword v74, off, s[0:3], 0 offset:180
	buffer_load_dword v75, off, s[0:3], 0 offset:200
	;; [unrolled: 1-line block ×7, first 2 shown]
	s_waitcnt vmcnt(23) lgkmcnt(0)
	v_fma_f64 v[65:66], v[77:78], v[69:70], v[65:66]
	s_waitcnt vmcnt(21)
	v_fma_f64 v[76:77], v[79:80], v[71:72], v[65:66]
	ds_read2_b64 v[65:68], v64 offset0:47 offset1:48
	ds_read2_b64 v[69:72], v64 offset0:49 offset1:50
	s_waitcnt vmcnt(19) lgkmcnt(1)
	v_fma_f64 v[65:66], v[81:82], v[65:66], v[76:77]
	buffer_load_dword v76, off, s[0:3], 0 offset:204
	s_waitcnt vmcnt(18)
	v_fma_f64 v[65:66], v[83:84], v[67:68], v[65:66]
	buffer_load_dword v78, off, s[0:3], 0 offset:212
	buffer_load_dword v79, off, s[0:3], 0 offset:232
	;; [unrolled: 1-line block ×8, first 2 shown]
	s_waitcnt vmcnt(24) lgkmcnt(0)
	v_fma_f64 v[65:66], v[85:86], v[69:70], v[65:66]
	s_waitcnt vmcnt(19)
	v_fma_f64 v[85:86], v[87:88], v[71:72], v[65:66]
	ds_read2_b64 v[65:68], v64 offset0:51 offset1:52
	ds_read2_b64 v[69:72], v64 offset0:53 offset1:54
	s_waitcnt vmcnt(18) lgkmcnt(1)
	v_fma_f64 v[65:66], v[93:94], v[65:66], v[85:86]
	buffer_load_dword v86, off, s[0:3], 0 offset:244
	buffer_load_dword v85, off, s[0:3], 0 offset:240
	;; [unrolled: 1-line block ×4, first 2 shown]
	s_waitcnt vmcnt(21)
	v_fma_f64 v[65:66], v[91:92], v[67:68], v[65:66]
	s_waitcnt vmcnt(20) lgkmcnt(0)
	v_fma_f64 v[65:66], v[89:90], v[69:70], v[65:66]
	s_waitcnt vmcnt(15)
	v_fma_f64 v[73:74], v[73:74], v[71:72], v[65:66]
	ds_read2_b64 v[65:68], v64 offset0:55 offset1:56
	ds_read2_b64 v[69:72], v64 offset0:57 offset1:58
	s_waitcnt vmcnt(14) lgkmcnt(1)
	v_fma_f64 v[65:66], v[97:98], v[65:66], v[73:74]
	s_waitcnt vmcnt(13)
	v_fma_f64 v[65:66], v[95:96], v[67:68], v[65:66]
	s_waitcnt vmcnt(12) lgkmcnt(0)
	v_fma_f64 v[65:66], v[75:76], v[69:70], v[65:66]
	s_waitcnt vmcnt(7)
	v_fma_f64 v[73:74], v[77:78], v[71:72], v[65:66]
	ds_read2_b64 v[65:68], v64 offset0:59 offset1:60
	ds_read2_b64 v[69:72], v64 offset0:61 offset1:62
	s_waitcnt vmcnt(6) lgkmcnt(1)
	v_fma_f64 v[64:65], v[83:84], v[65:66], v[73:74]
	s_waitcnt vmcnt(5)
	v_fma_f64 v[64:65], v[81:82], v[67:68], v[64:65]
	s_waitcnt vmcnt(4) lgkmcnt(0)
	v_fma_f64 v[64:65], v[79:80], v[69:70], v[64:65]
	s_waitcnt vmcnt(2)
	v_fma_f64 v[64:65], v[85:86], v[71:72], v[64:65]
	s_waitcnt vmcnt(0)
	v_add_f64 v[64:65], v[87:88], -v[64:65]
	buffer_store_dword v65, off, s[0:3], 0 offset:84
	buffer_store_dword v64, off, s[0:3], 0 offset:80
	s_and_saveexec_b64 s[4:5], vcc
	s_cbranch_execz .LBB94_175
; %bb.174:
	buffer_load_dword v64, off, s[0:3], 0 offset:72
	buffer_load_dword v65, off, s[0:3], 0 offset:76
	v_mov_b32_e32 v66, 0
	buffer_store_dword v66, off, s[0:3], 0 offset:72
	buffer_store_dword v66, off, s[0:3], 0 offset:76
	s_waitcnt vmcnt(2)
	ds_write_b64 v63, v[64:65]
.LBB94_175:
	s_or_b64 exec, exec, s[4:5]
	s_waitcnt lgkmcnt(0)
	; wave barrier
	buffer_load_dword v73, off, s[0:3], 0 offset:80
	buffer_load_dword v74, off, s[0:3], 0 offset:84
	;; [unrolled: 1-line block ×21, first 2 shown]
	v_mov_b32_e32 v64, 0
	ds_read_b128 v[65:68], v64 offset:336
	ds_read_b128 v[69:72], v64 offset:352
	buffer_load_dword v90, off, s[0:3], 0 offset:164
	v_cmp_lt_u32_e32 vcc, 8, v0
	s_waitcnt vmcnt(20) lgkmcnt(1)
	v_fma_f64 v[65:66], v[73:74], v[65:66], 0
	s_waitcnt vmcnt(18)
	v_fma_f64 v[65:66], v[75:76], v[67:68], v[65:66]
	buffer_load_dword v74, off, s[0:3], 0 offset:172
	buffer_load_dword v75, off, s[0:3], 0 offset:192
	buffer_load_dword v95, off, s[0:3], 0 offset:184
	buffer_load_dword v97, off, s[0:3], 0 offset:176
	buffer_load_dword v73, off, s[0:3], 0 offset:168
	buffer_load_dword v98, off, s[0:3], 0 offset:180
	buffer_load_dword v96, off, s[0:3], 0 offset:188
	s_waitcnt vmcnt(23) lgkmcnt(0)
	v_fma_f64 v[65:66], v[77:78], v[69:70], v[65:66]
	s_waitcnt vmcnt(21)
	v_fma_f64 v[76:77], v[79:80], v[71:72], v[65:66]
	ds_read_b128 v[65:68], v64 offset:368
	ds_read_b128 v[69:72], v64 offset:384
	s_waitcnt vmcnt(19) lgkmcnt(1)
	v_fma_f64 v[65:66], v[81:82], v[65:66], v[76:77]
	buffer_load_dword v76, off, s[0:3], 0 offset:196
	s_waitcnt vmcnt(18)
	v_fma_f64 v[65:66], v[83:84], v[67:68], v[65:66]
	buffer_load_dword v78, off, s[0:3], 0 offset:204
	buffer_load_dword v79, off, s[0:3], 0 offset:224
	;; [unrolled: 1-line block ×7, first 2 shown]
	s_waitcnt vmcnt(23) lgkmcnt(0)
	v_fma_f64 v[65:66], v[85:86], v[69:70], v[65:66]
	s_waitcnt vmcnt(18)
	v_fma_f64 v[85:86], v[87:88], v[71:72], v[65:66]
	ds_read_b128 v[65:68], v64 offset:400
	ds_read_b128 v[69:72], v64 offset:416
	buffer_load_dword v80, off, s[0:3], 0 offset:228
	s_waitcnt vmcnt(18) lgkmcnt(1)
	v_fma_f64 v[65:66], v[93:94], v[65:66], v[85:86]
	buffer_load_dword v86, off, s[0:3], 0 offset:236
	buffer_load_dword v87, off, s[0:3], 0 offset:240
	;; [unrolled: 1-line block ×4, first 2 shown]
	s_waitcnt vmcnt(21)
	v_fma_f64 v[65:66], v[91:92], v[67:68], v[65:66]
	s_waitcnt vmcnt(20) lgkmcnt(0)
	v_fma_f64 v[65:66], v[89:90], v[69:70], v[65:66]
	buffer_load_dword v89, off, s[0:3], 0 offset:72
	buffer_load_dword v90, off, s[0:3], 0 offset:76
	s_waitcnt vmcnt(17)
	v_fma_f64 v[73:74], v[73:74], v[71:72], v[65:66]
	ds_read_b128 v[65:68], v64 offset:432
	ds_read_b128 v[69:72], v64 offset:448
	s_waitcnt vmcnt(16) lgkmcnt(1)
	v_fma_f64 v[65:66], v[97:98], v[65:66], v[73:74]
	s_waitcnt vmcnt(15)
	v_fma_f64 v[65:66], v[95:96], v[67:68], v[65:66]
	s_waitcnt vmcnt(14) lgkmcnt(0)
	v_fma_f64 v[65:66], v[75:76], v[69:70], v[65:66]
	s_waitcnt vmcnt(9)
	v_fma_f64 v[73:74], v[77:78], v[71:72], v[65:66]
	ds_read_b128 v[65:68], v64 offset:464
	ds_read_b128 v[69:72], v64 offset:480
	s_waitcnt vmcnt(8) lgkmcnt(1)
	v_fma_f64 v[65:66], v[83:84], v[65:66], v[73:74]
	s_waitcnt vmcnt(7)
	v_fma_f64 v[65:66], v[81:82], v[67:68], v[65:66]
	ds_read_b64 v[67:68], v64 offset:496
	s_waitcnt vmcnt(6) lgkmcnt(1)
	v_fma_f64 v[65:66], v[79:80], v[69:70], v[65:66]
	s_waitcnt vmcnt(3)
	v_fma_f64 v[65:66], v[85:86], v[71:72], v[65:66]
	s_waitcnt vmcnt(2) lgkmcnt(0)
	v_fma_f64 v[65:66], v[87:88], v[67:68], v[65:66]
	s_waitcnt vmcnt(0)
	v_add_f64 v[65:66], v[89:90], -v[65:66]
	buffer_store_dword v66, off, s[0:3], 0 offset:76
	buffer_store_dword v65, off, s[0:3], 0 offset:72
	s_and_saveexec_b64 s[4:5], vcc
	s_cbranch_execz .LBB94_177
; %bb.176:
	buffer_load_dword v65, off, s[0:3], 0 offset:64
	buffer_load_dword v66, off, s[0:3], 0 offset:68
	s_waitcnt vmcnt(0)
	ds_write_b64 v63, v[65:66]
	buffer_store_dword v64, off, s[0:3], 0 offset:64
	buffer_store_dword v64, off, s[0:3], 0 offset:68
.LBB94_177:
	s_or_b64 exec, exec, s[4:5]
	s_waitcnt lgkmcnt(0)
	; wave barrier
	buffer_load_dword v73, off, s[0:3], 0 offset:72
	buffer_load_dword v74, off, s[0:3], 0 offset:76
	;; [unrolled: 1-line block ×21, first 2 shown]
	ds_read2_b64 v[65:68], v64 offset0:41 offset1:42
	ds_read2_b64 v[69:72], v64 offset0:43 offset1:44
	buffer_load_dword v90, off, s[0:3], 0 offset:156
	v_cmp_lt_u32_e32 vcc, 7, v0
	s_waitcnt vmcnt(20) lgkmcnt(1)
	v_fma_f64 v[65:66], v[73:74], v[65:66], 0
	s_waitcnt vmcnt(18)
	v_fma_f64 v[65:66], v[75:76], v[67:68], v[65:66]
	buffer_load_dword v74, off, s[0:3], 0 offset:164
	buffer_load_dword v75, off, s[0:3], 0 offset:184
	buffer_load_dword v95, off, s[0:3], 0 offset:176
	buffer_load_dword v97, off, s[0:3], 0 offset:168
	buffer_load_dword v73, off, s[0:3], 0 offset:160
	buffer_load_dword v98, off, s[0:3], 0 offset:172
	buffer_load_dword v96, off, s[0:3], 0 offset:180
	s_waitcnt vmcnt(23) lgkmcnt(0)
	v_fma_f64 v[65:66], v[77:78], v[69:70], v[65:66]
	s_waitcnt vmcnt(21)
	v_fma_f64 v[76:77], v[79:80], v[71:72], v[65:66]
	ds_read2_b64 v[65:68], v64 offset0:45 offset1:46
	ds_read2_b64 v[69:72], v64 offset0:47 offset1:48
	s_waitcnt vmcnt(19) lgkmcnt(1)
	v_fma_f64 v[65:66], v[81:82], v[65:66], v[76:77]
	buffer_load_dword v76, off, s[0:3], 0 offset:188
	s_waitcnt vmcnt(18)
	v_fma_f64 v[65:66], v[83:84], v[67:68], v[65:66]
	buffer_load_dword v78, off, s[0:3], 0 offset:196
	buffer_load_dword v79, off, s[0:3], 0 offset:216
	;; [unrolled: 1-line block ×8, first 2 shown]
	s_waitcnt vmcnt(24) lgkmcnt(0)
	v_fma_f64 v[65:66], v[85:86], v[69:70], v[65:66]
	s_waitcnt vmcnt(19)
	v_fma_f64 v[85:86], v[87:88], v[71:72], v[65:66]
	ds_read2_b64 v[65:68], v64 offset0:49 offset1:50
	ds_read2_b64 v[69:72], v64 offset0:51 offset1:52
	s_waitcnt vmcnt(18) lgkmcnt(1)
	v_fma_f64 v[65:66], v[93:94], v[65:66], v[85:86]
	s_waitcnt vmcnt(17)
	v_fma_f64 v[65:66], v[91:92], v[67:68], v[65:66]
	buffer_load_dword v86, off, s[0:3], 0 offset:228
	buffer_load_dword v87, off, s[0:3], 0 offset:240
	;; [unrolled: 1-line block ×6, first 2 shown]
	s_waitcnt vmcnt(22) lgkmcnt(0)
	v_fma_f64 v[65:66], v[89:90], v[69:70], v[65:66]
	s_waitcnt vmcnt(17)
	v_fma_f64 v[73:74], v[73:74], v[71:72], v[65:66]
	ds_read2_b64 v[65:68], v64 offset0:53 offset1:54
	buffer_load_dword v89, off, s[0:3], 0 offset:64
	buffer_load_dword v90, off, s[0:3], 0 offset:68
	ds_read2_b64 v[69:72], v64 offset0:55 offset1:56
	s_waitcnt vmcnt(18) lgkmcnt(1)
	v_fma_f64 v[65:66], v[97:98], v[65:66], v[73:74]
	s_waitcnt vmcnt(17)
	v_fma_f64 v[65:66], v[95:96], v[67:68], v[65:66]
	s_waitcnt vmcnt(16) lgkmcnt(0)
	v_fma_f64 v[65:66], v[75:76], v[69:70], v[65:66]
	s_waitcnt vmcnt(11)
	v_fma_f64 v[73:74], v[77:78], v[71:72], v[65:66]
	ds_read2_b64 v[65:68], v64 offset0:57 offset1:58
	ds_read2_b64 v[69:72], v64 offset0:59 offset1:60
	s_waitcnt vmcnt(10) lgkmcnt(1)
	v_fma_f64 v[65:66], v[83:84], v[65:66], v[73:74]
	s_waitcnt vmcnt(9)
	v_fma_f64 v[65:66], v[81:82], v[67:68], v[65:66]
	s_waitcnt vmcnt(8) lgkmcnt(0)
	v_fma_f64 v[65:66], v[79:80], v[69:70], v[65:66]
	s_waitcnt vmcnt(4)
	v_fma_f64 v[68:69], v[85:86], v[71:72], v[65:66]
	ds_read2_b64 v[64:67], v64 offset0:61 offset1:62
	s_waitcnt vmcnt(3) lgkmcnt(0)
	v_fma_f64 v[64:65], v[91:92], v[64:65], v[68:69]
	s_waitcnt vmcnt(2)
	v_fma_f64 v[64:65], v[87:88], v[66:67], v[64:65]
	s_waitcnt vmcnt(0)
	v_add_f64 v[64:65], v[89:90], -v[64:65]
	buffer_store_dword v65, off, s[0:3], 0 offset:68
	buffer_store_dword v64, off, s[0:3], 0 offset:64
	s_and_saveexec_b64 s[4:5], vcc
	s_cbranch_execz .LBB94_179
; %bb.178:
	buffer_load_dword v64, off, s[0:3], 0 offset:56
	buffer_load_dword v65, off, s[0:3], 0 offset:60
	v_mov_b32_e32 v66, 0
	buffer_store_dword v66, off, s[0:3], 0 offset:56
	buffer_store_dword v66, off, s[0:3], 0 offset:60
	s_waitcnt vmcnt(2)
	ds_write_b64 v63, v[64:65]
.LBB94_179:
	s_or_b64 exec, exec, s[4:5]
	s_waitcnt lgkmcnt(0)
	; wave barrier
	buffer_load_dword v73, off, s[0:3], 0 offset:64
	buffer_load_dword v74, off, s[0:3], 0 offset:68
	;; [unrolled: 1-line block ×21, first 2 shown]
	v_mov_b32_e32 v64, 0
	ds_read_b128 v[65:68], v64 offset:320
	ds_read_b128 v[69:72], v64 offset:336
	buffer_load_dword v90, off, s[0:3], 0 offset:148
	v_cmp_lt_u32_e32 vcc, 6, v0
	s_waitcnt vmcnt(20) lgkmcnt(1)
	v_fma_f64 v[65:66], v[73:74], v[65:66], 0
	s_waitcnt vmcnt(18)
	v_fma_f64 v[65:66], v[75:76], v[67:68], v[65:66]
	buffer_load_dword v74, off, s[0:3], 0 offset:156
	buffer_load_dword v75, off, s[0:3], 0 offset:176
	;; [unrolled: 1-line block ×7, first 2 shown]
	s_waitcnt vmcnt(23) lgkmcnt(0)
	v_fma_f64 v[65:66], v[77:78], v[69:70], v[65:66]
	s_waitcnt vmcnt(21)
	v_fma_f64 v[76:77], v[79:80], v[71:72], v[65:66]
	ds_read_b128 v[65:68], v64 offset:352
	ds_read_b128 v[69:72], v64 offset:368
	s_waitcnt vmcnt(19) lgkmcnt(1)
	v_fma_f64 v[65:66], v[81:82], v[65:66], v[76:77]
	buffer_load_dword v76, off, s[0:3], 0 offset:180
	s_waitcnt vmcnt(18)
	v_fma_f64 v[65:66], v[83:84], v[67:68], v[65:66]
	buffer_load_dword v78, off, s[0:3], 0 offset:188
	buffer_load_dword v79, off, s[0:3], 0 offset:208
	;; [unrolled: 1-line block ×8, first 2 shown]
	s_waitcnt vmcnt(24) lgkmcnt(0)
	v_fma_f64 v[65:66], v[85:86], v[69:70], v[65:66]
	s_waitcnt vmcnt(19)
	v_fma_f64 v[85:86], v[87:88], v[71:72], v[65:66]
	ds_read_b128 v[65:68], v64 offset:384
	ds_read_b128 v[69:72], v64 offset:400
	s_waitcnt vmcnt(18) lgkmcnt(1)
	v_fma_f64 v[65:66], v[93:94], v[65:66], v[85:86]
	s_waitcnt vmcnt(17)
	v_fma_f64 v[65:66], v[91:92], v[67:68], v[65:66]
	buffer_load_dword v86, off, s[0:3], 0 offset:220
	buffer_load_dword v87, off, s[0:3], 0 offset:240
	;; [unrolled: 1-line block ×8, first 2 shown]
	s_waitcnt vmcnt(24) lgkmcnt(0)
	v_fma_f64 v[65:66], v[89:90], v[69:70], v[65:66]
	s_waitcnt vmcnt(19)
	v_fma_f64 v[73:74], v[73:74], v[71:72], v[65:66]
	ds_read_b128 v[65:68], v64 offset:416
	ds_read_b128 v[69:72], v64 offset:432
	s_waitcnt vmcnt(18) lgkmcnt(1)
	v_fma_f64 v[65:66], v[97:98], v[65:66], v[73:74]
	buffer_load_dword v73, off, s[0:3], 0 offset:56
	buffer_load_dword v74, off, s[0:3], 0 offset:60
	s_waitcnt vmcnt(19)
	v_fma_f64 v[65:66], v[95:96], v[67:68], v[65:66]
	s_waitcnt vmcnt(18) lgkmcnt(0)
	v_fma_f64 v[65:66], v[75:76], v[69:70], v[65:66]
	s_waitcnt vmcnt(13)
	v_fma_f64 v[75:76], v[77:78], v[71:72], v[65:66]
	ds_read_b128 v[65:68], v64 offset:448
	ds_read_b128 v[69:72], v64 offset:464
	s_waitcnt vmcnt(12) lgkmcnt(1)
	v_fma_f64 v[65:66], v[83:84], v[65:66], v[75:76]
	s_waitcnt vmcnt(11)
	v_fma_f64 v[65:66], v[81:82], v[67:68], v[65:66]
	s_waitcnt vmcnt(10) lgkmcnt(0)
	v_fma_f64 v[65:66], v[79:80], v[69:70], v[65:66]
	s_waitcnt vmcnt(5)
	v_fma_f64 v[69:70], v[85:86], v[71:72], v[65:66]
	ds_read_b128 v[65:68], v64 offset:480
	ds_read_b64 v[71:72], v64 offset:496
	s_waitcnt vmcnt(4) lgkmcnt(1)
	v_fma_f64 v[65:66], v[93:94], v[65:66], v[69:70]
	s_waitcnt vmcnt(3)
	v_fma_f64 v[65:66], v[91:92], v[67:68], v[65:66]
	s_waitcnt vmcnt(2) lgkmcnt(0)
	v_fma_f64 v[65:66], v[87:88], v[71:72], v[65:66]
	s_waitcnt vmcnt(0)
	v_add_f64 v[65:66], v[73:74], -v[65:66]
	buffer_store_dword v66, off, s[0:3], 0 offset:60
	buffer_store_dword v65, off, s[0:3], 0 offset:56
	s_and_saveexec_b64 s[4:5], vcc
	s_cbranch_execz .LBB94_181
; %bb.180:
	buffer_load_dword v65, off, s[0:3], 0 offset:48
	buffer_load_dword v66, off, s[0:3], 0 offset:52
	s_waitcnt vmcnt(0)
	ds_write_b64 v63, v[65:66]
	buffer_store_dword v64, off, s[0:3], 0 offset:48
	buffer_store_dword v64, off, s[0:3], 0 offset:52
.LBB94_181:
	s_or_b64 exec, exec, s[4:5]
	s_waitcnt lgkmcnt(0)
	; wave barrier
	buffer_load_dword v73, off, s[0:3], 0 offset:56
	buffer_load_dword v74, off, s[0:3], 0 offset:60
	;; [unrolled: 1-line block ×21, first 2 shown]
	ds_read2_b64 v[65:68], v64 offset0:39 offset1:40
	ds_read2_b64 v[69:72], v64 offset0:41 offset1:42
	buffer_load_dword v90, off, s[0:3], 0 offset:140
	v_cmp_lt_u32_e32 vcc, 5, v0
	s_waitcnt vmcnt(20) lgkmcnt(1)
	v_fma_f64 v[65:66], v[73:74], v[65:66], 0
	s_waitcnt vmcnt(18)
	v_fma_f64 v[65:66], v[75:76], v[67:68], v[65:66]
	buffer_load_dword v74, off, s[0:3], 0 offset:148
	buffer_load_dword v75, off, s[0:3], 0 offset:168
	;; [unrolled: 1-line block ×7, first 2 shown]
	s_waitcnt vmcnt(23) lgkmcnt(0)
	v_fma_f64 v[65:66], v[77:78], v[69:70], v[65:66]
	s_waitcnt vmcnt(21)
	v_fma_f64 v[76:77], v[79:80], v[71:72], v[65:66]
	ds_read2_b64 v[65:68], v64 offset0:43 offset1:44
	ds_read2_b64 v[69:72], v64 offset0:45 offset1:46
	s_waitcnt vmcnt(19) lgkmcnt(1)
	v_fma_f64 v[65:66], v[81:82], v[65:66], v[76:77]
	buffer_load_dword v76, off, s[0:3], 0 offset:172
	s_waitcnt vmcnt(18)
	v_fma_f64 v[65:66], v[83:84], v[67:68], v[65:66]
	buffer_load_dword v78, off, s[0:3], 0 offset:180
	buffer_load_dword v79, off, s[0:3], 0 offset:200
	;; [unrolled: 1-line block ×8, first 2 shown]
	s_waitcnt vmcnt(24) lgkmcnt(0)
	v_fma_f64 v[65:66], v[85:86], v[69:70], v[65:66]
	s_waitcnt vmcnt(19)
	v_fma_f64 v[85:86], v[87:88], v[71:72], v[65:66]
	ds_read2_b64 v[65:68], v64 offset0:47 offset1:48
	ds_read2_b64 v[69:72], v64 offset0:49 offset1:50
	s_waitcnt vmcnt(18) lgkmcnt(1)
	v_fma_f64 v[65:66], v[93:94], v[65:66], v[85:86]
	s_waitcnt vmcnt(17)
	v_fma_f64 v[65:66], v[91:92], v[67:68], v[65:66]
	buffer_load_dword v86, off, s[0:3], 0 offset:212
	buffer_load_dword v87, off, s[0:3], 0 offset:232
	;; [unrolled: 1-line block ×8, first 2 shown]
	s_waitcnt vmcnt(24) lgkmcnt(0)
	v_fma_f64 v[65:66], v[89:90], v[69:70], v[65:66]
	s_waitcnt vmcnt(19)
	v_fma_f64 v[73:74], v[73:74], v[71:72], v[65:66]
	ds_read2_b64 v[65:68], v64 offset0:51 offset1:52
	ds_read2_b64 v[69:72], v64 offset0:53 offset1:54
	s_waitcnt vmcnt(18) lgkmcnt(1)
	v_fma_f64 v[65:66], v[97:98], v[65:66], v[73:74]
	buffer_load_dword v74, off, s[0:3], 0 offset:244
	buffer_load_dword v73, off, s[0:3], 0 offset:240
	;; [unrolled: 1-line block ×4, first 2 shown]
	s_waitcnt vmcnt(21)
	v_fma_f64 v[65:66], v[95:96], v[67:68], v[65:66]
	s_waitcnt vmcnt(20) lgkmcnt(0)
	v_fma_f64 v[65:66], v[75:76], v[69:70], v[65:66]
	s_waitcnt vmcnt(15)
	v_fma_f64 v[75:76], v[77:78], v[71:72], v[65:66]
	ds_read2_b64 v[65:68], v64 offset0:55 offset1:56
	ds_read2_b64 v[69:72], v64 offset0:57 offset1:58
	s_waitcnt vmcnt(14) lgkmcnt(1)
	v_fma_f64 v[65:66], v[83:84], v[65:66], v[75:76]
	s_waitcnt vmcnt(13)
	v_fma_f64 v[65:66], v[81:82], v[67:68], v[65:66]
	s_waitcnt vmcnt(12) lgkmcnt(0)
	v_fma_f64 v[65:66], v[79:80], v[69:70], v[65:66]
	s_waitcnt vmcnt(7)
	v_fma_f64 v[75:76], v[85:86], v[71:72], v[65:66]
	ds_read2_b64 v[65:68], v64 offset0:59 offset1:60
	ds_read2_b64 v[69:72], v64 offset0:61 offset1:62
	s_waitcnt vmcnt(6) lgkmcnt(1)
	v_fma_f64 v[64:65], v[93:94], v[65:66], v[75:76]
	s_waitcnt vmcnt(5)
	v_fma_f64 v[64:65], v[91:92], v[67:68], v[64:65]
	s_waitcnt vmcnt(4) lgkmcnt(0)
	v_fma_f64 v[64:65], v[87:88], v[69:70], v[64:65]
	s_waitcnt vmcnt(2)
	v_fma_f64 v[64:65], v[73:74], v[71:72], v[64:65]
	s_waitcnt vmcnt(0)
	v_add_f64 v[64:65], v[89:90], -v[64:65]
	buffer_store_dword v65, off, s[0:3], 0 offset:52
	buffer_store_dword v64, off, s[0:3], 0 offset:48
	s_and_saveexec_b64 s[4:5], vcc
	s_cbranch_execz .LBB94_183
; %bb.182:
	buffer_load_dword v64, off, s[0:3], 0 offset:40
	buffer_load_dword v65, off, s[0:3], 0 offset:44
	v_mov_b32_e32 v66, 0
	buffer_store_dword v66, off, s[0:3], 0 offset:40
	buffer_store_dword v66, off, s[0:3], 0 offset:44
	s_waitcnt vmcnt(2)
	ds_write_b64 v63, v[64:65]
.LBB94_183:
	s_or_b64 exec, exec, s[4:5]
	s_waitcnt lgkmcnt(0)
	; wave barrier
	buffer_load_dword v73, off, s[0:3], 0 offset:48
	buffer_load_dword v74, off, s[0:3], 0 offset:52
	;; [unrolled: 1-line block ×21, first 2 shown]
	v_mov_b32_e32 v64, 0
	ds_read_b128 v[65:68], v64 offset:304
	ds_read_b128 v[69:72], v64 offset:320
	buffer_load_dword v90, off, s[0:3], 0 offset:132
	v_cmp_lt_u32_e32 vcc, 4, v0
	s_waitcnt vmcnt(20) lgkmcnt(1)
	v_fma_f64 v[65:66], v[73:74], v[65:66], 0
	s_waitcnt vmcnt(18)
	v_fma_f64 v[65:66], v[75:76], v[67:68], v[65:66]
	buffer_load_dword v74, off, s[0:3], 0 offset:140
	buffer_load_dword v75, off, s[0:3], 0 offset:160
	;; [unrolled: 1-line block ×7, first 2 shown]
	s_waitcnt vmcnt(23) lgkmcnt(0)
	v_fma_f64 v[65:66], v[77:78], v[69:70], v[65:66]
	s_waitcnt vmcnt(21)
	v_fma_f64 v[76:77], v[79:80], v[71:72], v[65:66]
	ds_read_b128 v[65:68], v64 offset:336
	ds_read_b128 v[69:72], v64 offset:352
	s_waitcnt vmcnt(19) lgkmcnt(1)
	v_fma_f64 v[65:66], v[81:82], v[65:66], v[76:77]
	buffer_load_dword v76, off, s[0:3], 0 offset:164
	s_waitcnt vmcnt(18)
	v_fma_f64 v[65:66], v[83:84], v[67:68], v[65:66]
	buffer_load_dword v78, off, s[0:3], 0 offset:172
	buffer_load_dword v79, off, s[0:3], 0 offset:192
	;; [unrolled: 1-line block ×8, first 2 shown]
	s_waitcnt vmcnt(24) lgkmcnt(0)
	v_fma_f64 v[65:66], v[85:86], v[69:70], v[65:66]
	s_waitcnt vmcnt(19)
	v_fma_f64 v[85:86], v[87:88], v[71:72], v[65:66]
	ds_read_b128 v[65:68], v64 offset:368
	ds_read_b128 v[69:72], v64 offset:384
	s_waitcnt vmcnt(18) lgkmcnt(1)
	v_fma_f64 v[65:66], v[93:94], v[65:66], v[85:86]
	s_waitcnt vmcnt(17)
	v_fma_f64 v[65:66], v[91:92], v[67:68], v[65:66]
	buffer_load_dword v86, off, s[0:3], 0 offset:204
	buffer_load_dword v87, off, s[0:3], 0 offset:224
	;; [unrolled: 1-line block ×7, first 2 shown]
	s_waitcnt vmcnt(23) lgkmcnt(0)
	v_fma_f64 v[65:66], v[89:90], v[69:70], v[65:66]
	s_waitcnt vmcnt(18)
	v_fma_f64 v[73:74], v[73:74], v[71:72], v[65:66]
	ds_read_b128 v[65:68], v64 offset:400
	ds_read_b128 v[69:72], v64 offset:416
	buffer_load_dword v88, off, s[0:3], 0 offset:228
	s_waitcnt vmcnt(18) lgkmcnt(1)
	v_fma_f64 v[65:66], v[97:98], v[65:66], v[73:74]
	buffer_load_dword v74, off, s[0:3], 0 offset:236
	buffer_load_dword v89, off, s[0:3], 0 offset:240
	;; [unrolled: 1-line block ×4, first 2 shown]
	s_waitcnt vmcnt(21)
	v_fma_f64 v[65:66], v[95:96], v[67:68], v[65:66]
	s_waitcnt vmcnt(20) lgkmcnt(0)
	v_fma_f64 v[65:66], v[75:76], v[69:70], v[65:66]
	buffer_load_dword v75, off, s[0:3], 0 offset:40
	buffer_load_dword v76, off, s[0:3], 0 offset:44
	s_waitcnt vmcnt(17)
	v_fma_f64 v[77:78], v[77:78], v[71:72], v[65:66]
	ds_read_b128 v[65:68], v64 offset:432
	ds_read_b128 v[69:72], v64 offset:448
	s_waitcnt vmcnt(16) lgkmcnt(1)
	v_fma_f64 v[65:66], v[83:84], v[65:66], v[77:78]
	s_waitcnt vmcnt(15)
	v_fma_f64 v[65:66], v[81:82], v[67:68], v[65:66]
	s_waitcnt vmcnt(14) lgkmcnt(0)
	v_fma_f64 v[65:66], v[79:80], v[69:70], v[65:66]
	s_waitcnt vmcnt(9)
	v_fma_f64 v[77:78], v[85:86], v[71:72], v[65:66]
	ds_read_b128 v[65:68], v64 offset:464
	ds_read_b128 v[69:72], v64 offset:480
	s_waitcnt vmcnt(8) lgkmcnt(1)
	v_fma_f64 v[65:66], v[93:94], v[65:66], v[77:78]
	s_waitcnt vmcnt(7)
	v_fma_f64 v[65:66], v[91:92], v[67:68], v[65:66]
	ds_read_b64 v[67:68], v64 offset:496
	s_waitcnt vmcnt(6) lgkmcnt(1)
	v_fma_f64 v[65:66], v[87:88], v[69:70], v[65:66]
	s_waitcnt vmcnt(3)
	v_fma_f64 v[65:66], v[73:74], v[71:72], v[65:66]
	s_waitcnt vmcnt(2) lgkmcnt(0)
	v_fma_f64 v[65:66], v[89:90], v[67:68], v[65:66]
	s_waitcnt vmcnt(0)
	v_add_f64 v[65:66], v[75:76], -v[65:66]
	buffer_store_dword v66, off, s[0:3], 0 offset:44
	buffer_store_dword v65, off, s[0:3], 0 offset:40
	s_and_saveexec_b64 s[4:5], vcc
	s_cbranch_execz .LBB94_185
; %bb.184:
	buffer_load_dword v65, off, s[0:3], 0 offset:32
	buffer_load_dword v66, off, s[0:3], 0 offset:36
	s_waitcnt vmcnt(0)
	ds_write_b64 v63, v[65:66]
	buffer_store_dword v64, off, s[0:3], 0 offset:32
	buffer_store_dword v64, off, s[0:3], 0 offset:36
.LBB94_185:
	s_or_b64 exec, exec, s[4:5]
	s_waitcnt lgkmcnt(0)
	; wave barrier
	buffer_load_dword v73, off, s[0:3], 0 offset:40
	buffer_load_dword v74, off, s[0:3], 0 offset:44
	;; [unrolled: 1-line block ×22, first 2 shown]
	ds_read2_b64 v[65:68], v64 offset0:37 offset1:38
	ds_read2_b64 v[69:72], v64 offset0:39 offset1:40
	v_cmp_lt_u32_e32 vcc, 3, v0
	s_waitcnt vmcnt(20) lgkmcnt(1)
	v_fma_f64 v[65:66], v[73:74], v[65:66], 0
	s_waitcnt vmcnt(18)
	v_fma_f64 v[65:66], v[75:76], v[67:68], v[65:66]
	buffer_load_dword v74, off, s[0:3], 0 offset:132
	buffer_load_dword v75, off, s[0:3], 0 offset:152
	;; [unrolled: 1-line block ×7, first 2 shown]
	s_waitcnt vmcnt(23) lgkmcnt(0)
	v_fma_f64 v[65:66], v[77:78], v[69:70], v[65:66]
	s_waitcnt vmcnt(21)
	v_fma_f64 v[76:77], v[79:80], v[71:72], v[65:66]
	ds_read2_b64 v[65:68], v64 offset0:41 offset1:42
	ds_read2_b64 v[69:72], v64 offset0:43 offset1:44
	s_waitcnt vmcnt(19) lgkmcnt(1)
	v_fma_f64 v[65:66], v[81:82], v[65:66], v[76:77]
	buffer_load_dword v76, off, s[0:3], 0 offset:156
	s_waitcnt vmcnt(18)
	v_fma_f64 v[65:66], v[83:84], v[67:68], v[65:66]
	buffer_load_dword v78, off, s[0:3], 0 offset:164
	buffer_load_dword v79, off, s[0:3], 0 offset:184
	buffer_load_dword v81, off, s[0:3], 0 offset:176
	buffer_load_dword v83, off, s[0:3], 0 offset:168
	buffer_load_dword v77, off, s[0:3], 0 offset:160
	buffer_load_dword v84, off, s[0:3], 0 offset:172
	buffer_load_dword v82, off, s[0:3], 0 offset:180
	buffer_load_dword v80, off, s[0:3], 0 offset:188
	s_waitcnt vmcnt(24) lgkmcnt(0)
	v_fma_f64 v[65:66], v[85:86], v[69:70], v[65:66]
	s_waitcnt vmcnt(19)
	v_fma_f64 v[85:86], v[87:88], v[71:72], v[65:66]
	ds_read2_b64 v[65:68], v64 offset0:45 offset1:46
	ds_read2_b64 v[69:72], v64 offset0:47 offset1:48
	s_waitcnt vmcnt(18) lgkmcnt(1)
	v_fma_f64 v[65:66], v[93:94], v[65:66], v[85:86]
	s_waitcnt vmcnt(17)
	v_fma_f64 v[65:66], v[91:92], v[67:68], v[65:66]
	buffer_load_dword v86, off, s[0:3], 0 offset:196
	buffer_load_dword v87, off, s[0:3], 0 offset:216
	;; [unrolled: 1-line block ×8, first 2 shown]
	s_waitcnt vmcnt(24) lgkmcnt(0)
	v_fma_f64 v[65:66], v[89:90], v[69:70], v[65:66]
	s_waitcnt vmcnt(19)
	v_fma_f64 v[73:74], v[73:74], v[71:72], v[65:66]
	ds_read2_b64 v[65:68], v64 offset0:49 offset1:50
	ds_read2_b64 v[69:72], v64 offset0:51 offset1:52
	s_waitcnt vmcnt(18) lgkmcnt(1)
	v_fma_f64 v[65:66], v[97:98], v[65:66], v[73:74]
	s_waitcnt vmcnt(17)
	v_fma_f64 v[65:66], v[95:96], v[67:68], v[65:66]
	buffer_load_dword v74, off, s[0:3], 0 offset:228
	buffer_load_dword v89, off, s[0:3], 0 offset:240
	;; [unrolled: 1-line block ×6, first 2 shown]
	s_waitcnt vmcnt(22) lgkmcnt(0)
	v_fma_f64 v[65:66], v[75:76], v[69:70], v[65:66]
	s_waitcnt vmcnt(17)
	v_fma_f64 v[75:76], v[77:78], v[71:72], v[65:66]
	ds_read2_b64 v[65:68], v64 offset0:53 offset1:54
	buffer_load_dword v77, off, s[0:3], 0 offset:32
	buffer_load_dword v78, off, s[0:3], 0 offset:36
	ds_read2_b64 v[69:72], v64 offset0:55 offset1:56
	s_waitcnt vmcnt(18) lgkmcnt(1)
	v_fma_f64 v[65:66], v[83:84], v[65:66], v[75:76]
	s_waitcnt vmcnt(17)
	v_fma_f64 v[65:66], v[81:82], v[67:68], v[65:66]
	s_waitcnt vmcnt(16) lgkmcnt(0)
	v_fma_f64 v[65:66], v[79:80], v[69:70], v[65:66]
	s_waitcnt vmcnt(11)
	v_fma_f64 v[75:76], v[85:86], v[71:72], v[65:66]
	ds_read2_b64 v[65:68], v64 offset0:57 offset1:58
	ds_read2_b64 v[69:72], v64 offset0:59 offset1:60
	s_waitcnt vmcnt(10) lgkmcnt(1)
	v_fma_f64 v[65:66], v[93:94], v[65:66], v[75:76]
	s_waitcnt vmcnt(9)
	v_fma_f64 v[65:66], v[91:92], v[67:68], v[65:66]
	s_waitcnt vmcnt(8) lgkmcnt(0)
	v_fma_f64 v[65:66], v[87:88], v[69:70], v[65:66]
	s_waitcnt vmcnt(4)
	v_fma_f64 v[68:69], v[73:74], v[71:72], v[65:66]
	ds_read2_b64 v[64:67], v64 offset0:61 offset1:62
	s_waitcnt vmcnt(3) lgkmcnt(0)
	v_fma_f64 v[64:65], v[95:96], v[64:65], v[68:69]
	s_waitcnt vmcnt(2)
	v_fma_f64 v[64:65], v[89:90], v[66:67], v[64:65]
	s_waitcnt vmcnt(0)
	v_add_f64 v[64:65], v[77:78], -v[64:65]
	buffer_store_dword v65, off, s[0:3], 0 offset:36
	buffer_store_dword v64, off, s[0:3], 0 offset:32
	s_and_saveexec_b64 s[4:5], vcc
	s_cbranch_execz .LBB94_187
; %bb.186:
	buffer_load_dword v64, off, s[0:3], 0 offset:24
	buffer_load_dword v65, off, s[0:3], 0 offset:28
	v_mov_b32_e32 v66, 0
	buffer_store_dword v66, off, s[0:3], 0 offset:24
	buffer_store_dword v66, off, s[0:3], 0 offset:28
	s_waitcnt vmcnt(2)
	ds_write_b64 v63, v[64:65]
.LBB94_187:
	s_or_b64 exec, exec, s[4:5]
	s_waitcnt lgkmcnt(0)
	; wave barrier
	buffer_load_dword v73, off, s[0:3], 0 offset:32
	buffer_load_dword v74, off, s[0:3], 0 offset:36
	;; [unrolled: 1-line block ×22, first 2 shown]
	v_mov_b32_e32 v64, 0
	ds_read_b128 v[65:68], v64 offset:288
	ds_read_b128 v[69:72], v64 offset:304
	v_cmp_lt_u32_e32 vcc, 2, v0
	s_waitcnt vmcnt(20) lgkmcnt(1)
	v_fma_f64 v[65:66], v[73:74], v[65:66], 0
	s_waitcnt vmcnt(18)
	v_fma_f64 v[65:66], v[75:76], v[67:68], v[65:66]
	buffer_load_dword v74, off, s[0:3], 0 offset:124
	buffer_load_dword v75, off, s[0:3], 0 offset:144
	;; [unrolled: 1-line block ×7, first 2 shown]
	s_waitcnt vmcnt(23) lgkmcnt(0)
	v_fma_f64 v[65:66], v[77:78], v[69:70], v[65:66]
	s_waitcnt vmcnt(21)
	v_fma_f64 v[76:77], v[79:80], v[71:72], v[65:66]
	ds_read_b128 v[65:68], v64 offset:320
	ds_read_b128 v[69:72], v64 offset:336
	s_waitcnt vmcnt(19) lgkmcnt(1)
	v_fma_f64 v[65:66], v[81:82], v[65:66], v[76:77]
	buffer_load_dword v76, off, s[0:3], 0 offset:148
	s_waitcnt vmcnt(18)
	v_fma_f64 v[65:66], v[83:84], v[67:68], v[65:66]
	buffer_load_dword v78, off, s[0:3], 0 offset:156
	buffer_load_dword v79, off, s[0:3], 0 offset:176
	buffer_load_dword v81, off, s[0:3], 0 offset:168
	buffer_load_dword v83, off, s[0:3], 0 offset:160
	buffer_load_dword v77, off, s[0:3], 0 offset:152
	buffer_load_dword v84, off, s[0:3], 0 offset:164
	buffer_load_dword v82, off, s[0:3], 0 offset:172
	buffer_load_dword v80, off, s[0:3], 0 offset:180
	s_waitcnt vmcnt(24) lgkmcnt(0)
	v_fma_f64 v[65:66], v[85:86], v[69:70], v[65:66]
	s_waitcnt vmcnt(19)
	v_fma_f64 v[85:86], v[87:88], v[71:72], v[65:66]
	ds_read_b128 v[65:68], v64 offset:352
	ds_read_b128 v[69:72], v64 offset:368
	s_waitcnt vmcnt(18) lgkmcnt(1)
	v_fma_f64 v[65:66], v[93:94], v[65:66], v[85:86]
	s_waitcnt vmcnt(17)
	v_fma_f64 v[65:66], v[91:92], v[67:68], v[65:66]
	buffer_load_dword v86, off, s[0:3], 0 offset:188
	buffer_load_dword v87, off, s[0:3], 0 offset:208
	buffer_load_dword v91, off, s[0:3], 0 offset:200
	buffer_load_dword v93, off, s[0:3], 0 offset:192
	buffer_load_dword v85, off, s[0:3], 0 offset:184
	buffer_load_dword v94, off, s[0:3], 0 offset:196
	buffer_load_dword v92, off, s[0:3], 0 offset:204
	buffer_load_dword v88, off, s[0:3], 0 offset:212
	s_waitcnt vmcnt(24) lgkmcnt(0)
	v_fma_f64 v[65:66], v[89:90], v[69:70], v[65:66]
	s_waitcnt vmcnt(19)
	v_fma_f64 v[73:74], v[73:74], v[71:72], v[65:66]
	ds_read_b128 v[65:68], v64 offset:384
	ds_read_b128 v[69:72], v64 offset:400
	s_waitcnt vmcnt(18) lgkmcnt(1)
	v_fma_f64 v[65:66], v[97:98], v[65:66], v[73:74]
	;; [unrolled: 18-line block ×3, first 2 shown]
	buffer_load_dword v75, off, s[0:3], 0 offset:24
	buffer_load_dword v76, off, s[0:3], 0 offset:28
	s_waitcnt vmcnt(19)
	v_fma_f64 v[65:66], v[81:82], v[67:68], v[65:66]
	s_waitcnt vmcnt(18) lgkmcnt(0)
	v_fma_f64 v[65:66], v[79:80], v[69:70], v[65:66]
	s_waitcnt vmcnt(13)
	v_fma_f64 v[77:78], v[85:86], v[71:72], v[65:66]
	ds_read_b128 v[65:68], v64 offset:448
	ds_read_b128 v[69:72], v64 offset:464
	s_waitcnt vmcnt(12) lgkmcnt(1)
	v_fma_f64 v[65:66], v[93:94], v[65:66], v[77:78]
	s_waitcnt vmcnt(11)
	v_fma_f64 v[65:66], v[91:92], v[67:68], v[65:66]
	s_waitcnt vmcnt(10) lgkmcnt(0)
	v_fma_f64 v[65:66], v[87:88], v[69:70], v[65:66]
	s_waitcnt vmcnt(5)
	v_fma_f64 v[69:70], v[73:74], v[71:72], v[65:66]
	ds_read_b128 v[65:68], v64 offset:480
	ds_read_b64 v[71:72], v64 offset:496
	s_waitcnt vmcnt(4) lgkmcnt(1)
	v_fma_f64 v[65:66], v[97:98], v[65:66], v[69:70]
	s_waitcnt vmcnt(3)
	v_fma_f64 v[65:66], v[95:96], v[67:68], v[65:66]
	s_waitcnt vmcnt(2) lgkmcnt(0)
	v_fma_f64 v[65:66], v[89:90], v[71:72], v[65:66]
	s_waitcnt vmcnt(0)
	v_add_f64 v[65:66], v[75:76], -v[65:66]
	buffer_store_dword v66, off, s[0:3], 0 offset:28
	buffer_store_dword v65, off, s[0:3], 0 offset:24
	s_and_saveexec_b64 s[4:5], vcc
	s_cbranch_execz .LBB94_189
; %bb.188:
	buffer_load_dword v65, off, s[0:3], 0 offset:16
	buffer_load_dword v66, off, s[0:3], 0 offset:20
	s_waitcnt vmcnt(0)
	ds_write_b64 v63, v[65:66]
	buffer_store_dword v64, off, s[0:3], 0 offset:16
	buffer_store_dword v64, off, s[0:3], 0 offset:20
.LBB94_189:
	s_or_b64 exec, exec, s[4:5]
	s_waitcnt lgkmcnt(0)
	; wave barrier
	buffer_load_dword v73, off, s[0:3], 0 offset:24
	buffer_load_dword v74, off, s[0:3], 0 offset:28
	buffer_load_dword v75, off, s[0:3], 0 offset:32
	buffer_load_dword v76, off, s[0:3], 0 offset:36
	buffer_load_dword v77, off, s[0:3], 0 offset:40
	buffer_load_dword v78, off, s[0:3], 0 offset:44
	buffer_load_dword v79, off, s[0:3], 0 offset:48
	buffer_load_dword v80, off, s[0:3], 0 offset:52
	buffer_load_dword v81, off, s[0:3], 0 offset:56
	buffer_load_dword v82, off, s[0:3], 0 offset:60
	buffer_load_dword v83, off, s[0:3], 0 offset:64
	buffer_load_dword v84, off, s[0:3], 0 offset:68
	buffer_load_dword v85, off, s[0:3], 0 offset:72
	buffer_load_dword v86, off, s[0:3], 0 offset:76
	buffer_load_dword v88, off, s[0:3], 0 offset:84
	buffer_load_dword v89, off, s[0:3], 0 offset:104
	buffer_load_dword v91, off, s[0:3], 0 offset:96
	buffer_load_dword v93, off, s[0:3], 0 offset:88
	buffer_load_dword v87, off, s[0:3], 0 offset:80
	buffer_load_dword v94, off, s[0:3], 0 offset:92
	buffer_load_dword v92, off, s[0:3], 0 offset:100
	buffer_load_dword v90, off, s[0:3], 0 offset:108
	ds_read2_b64 v[65:68], v64 offset0:35 offset1:36
	ds_read2_b64 v[69:72], v64 offset0:37 offset1:38
	v_cmp_lt_u32_e32 vcc, 1, v0
	s_waitcnt vmcnt(20) lgkmcnt(1)
	v_fma_f64 v[65:66], v[73:74], v[65:66], 0
	s_waitcnt vmcnt(18)
	v_fma_f64 v[65:66], v[75:76], v[67:68], v[65:66]
	buffer_load_dword v74, off, s[0:3], 0 offset:116
	buffer_load_dword v75, off, s[0:3], 0 offset:136
	;; [unrolled: 1-line block ×7, first 2 shown]
	s_waitcnt vmcnt(23) lgkmcnt(0)
	v_fma_f64 v[65:66], v[77:78], v[69:70], v[65:66]
	s_waitcnt vmcnt(21)
	v_fma_f64 v[76:77], v[79:80], v[71:72], v[65:66]
	ds_read2_b64 v[65:68], v64 offset0:39 offset1:40
	ds_read2_b64 v[69:72], v64 offset0:41 offset1:42
	s_waitcnt vmcnt(19) lgkmcnt(1)
	v_fma_f64 v[65:66], v[81:82], v[65:66], v[76:77]
	buffer_load_dword v76, off, s[0:3], 0 offset:140
	s_waitcnt vmcnt(18)
	v_fma_f64 v[65:66], v[83:84], v[67:68], v[65:66]
	buffer_load_dword v78, off, s[0:3], 0 offset:148
	buffer_load_dword v79, off, s[0:3], 0 offset:168
	buffer_load_dword v81, off, s[0:3], 0 offset:160
	buffer_load_dword v83, off, s[0:3], 0 offset:152
	buffer_load_dword v77, off, s[0:3], 0 offset:144
	buffer_load_dword v84, off, s[0:3], 0 offset:156
	buffer_load_dword v82, off, s[0:3], 0 offset:164
	buffer_load_dword v80, off, s[0:3], 0 offset:172
	s_waitcnt vmcnt(24) lgkmcnt(0)
	v_fma_f64 v[65:66], v[85:86], v[69:70], v[65:66]
	s_waitcnt vmcnt(19)
	v_fma_f64 v[85:86], v[87:88], v[71:72], v[65:66]
	ds_read2_b64 v[65:68], v64 offset0:43 offset1:44
	ds_read2_b64 v[69:72], v64 offset0:45 offset1:46
	s_waitcnt vmcnt(18) lgkmcnt(1)
	v_fma_f64 v[65:66], v[93:94], v[65:66], v[85:86]
	s_waitcnt vmcnt(17)
	v_fma_f64 v[65:66], v[91:92], v[67:68], v[65:66]
	buffer_load_dword v86, off, s[0:3], 0 offset:180
	buffer_load_dword v87, off, s[0:3], 0 offset:200
	buffer_load_dword v91, off, s[0:3], 0 offset:192
	buffer_load_dword v93, off, s[0:3], 0 offset:184
	buffer_load_dword v85, off, s[0:3], 0 offset:176
	buffer_load_dword v94, off, s[0:3], 0 offset:188
	buffer_load_dword v92, off, s[0:3], 0 offset:196
	buffer_load_dword v88, off, s[0:3], 0 offset:204
	s_waitcnt vmcnt(24) lgkmcnt(0)
	v_fma_f64 v[65:66], v[89:90], v[69:70], v[65:66]
	s_waitcnt vmcnt(19)
	v_fma_f64 v[73:74], v[73:74], v[71:72], v[65:66]
	ds_read2_b64 v[65:68], v64 offset0:47 offset1:48
	ds_read2_b64 v[69:72], v64 offset0:49 offset1:50
	s_waitcnt vmcnt(18) lgkmcnt(1)
	v_fma_f64 v[65:66], v[97:98], v[65:66], v[73:74]
	;; [unrolled: 18-line block ×3, first 2 shown]
	buffer_load_dword v76, off, s[0:3], 0 offset:244
	buffer_load_dword v75, off, s[0:3], 0 offset:240
	;; [unrolled: 1-line block ×4, first 2 shown]
	s_waitcnt vmcnt(21)
	v_fma_f64 v[65:66], v[81:82], v[67:68], v[65:66]
	s_waitcnt vmcnt(20) lgkmcnt(0)
	v_fma_f64 v[65:66], v[79:80], v[69:70], v[65:66]
	s_waitcnt vmcnt(15)
	v_fma_f64 v[79:80], v[85:86], v[71:72], v[65:66]
	ds_read2_b64 v[65:68], v64 offset0:55 offset1:56
	ds_read2_b64 v[69:72], v64 offset0:57 offset1:58
	s_waitcnt vmcnt(14) lgkmcnt(1)
	v_fma_f64 v[65:66], v[93:94], v[65:66], v[79:80]
	s_waitcnt vmcnt(13)
	v_fma_f64 v[65:66], v[91:92], v[67:68], v[65:66]
	s_waitcnt vmcnt(12) lgkmcnt(0)
	v_fma_f64 v[65:66], v[87:88], v[69:70], v[65:66]
	s_waitcnt vmcnt(7)
	v_fma_f64 v[73:74], v[73:74], v[71:72], v[65:66]
	ds_read2_b64 v[65:68], v64 offset0:59 offset1:60
	ds_read2_b64 v[69:72], v64 offset0:61 offset1:62
	s_waitcnt vmcnt(6) lgkmcnt(1)
	v_fma_f64 v[64:65], v[97:98], v[65:66], v[73:74]
	s_waitcnt vmcnt(5)
	v_fma_f64 v[64:65], v[95:96], v[67:68], v[64:65]
	s_waitcnt vmcnt(4) lgkmcnt(0)
	v_fma_f64 v[64:65], v[89:90], v[69:70], v[64:65]
	s_waitcnt vmcnt(2)
	v_fma_f64 v[64:65], v[75:76], v[71:72], v[64:65]
	s_waitcnt vmcnt(0)
	v_add_f64 v[64:65], v[77:78], -v[64:65]
	buffer_store_dword v65, off, s[0:3], 0 offset:20
	buffer_store_dword v64, off, s[0:3], 0 offset:16
	s_and_saveexec_b64 s[4:5], vcc
	s_cbranch_execz .LBB94_191
; %bb.190:
	buffer_load_dword v64, off, s[0:3], 0 offset:8
	buffer_load_dword v65, off, s[0:3], 0 offset:12
	v_mov_b32_e32 v66, 0
	buffer_store_dword v66, off, s[0:3], 0 offset:8
	buffer_store_dword v66, off, s[0:3], 0 offset:12
	s_waitcnt vmcnt(2)
	ds_write_b64 v63, v[64:65]
.LBB94_191:
	s_or_b64 exec, exec, s[4:5]
	s_waitcnt lgkmcnt(0)
	; wave barrier
	buffer_load_dword v74, off, s[0:3], 0 offset:16
	buffer_load_dword v75, off, s[0:3], 0 offset:20
	;; [unrolled: 1-line block ×22, first 2 shown]
	v_mov_b32_e32 v65, 0
	ds_read_b128 v[66:69], v65 offset:272
	ds_read_b128 v[70:73], v65 offset:288
	v_cmp_ne_u32_e32 vcc, 0, v0
	s_waitcnt vmcnt(20) lgkmcnt(1)
	v_fma_f64 v[66:67], v[74:75], v[66:67], 0
	s_waitcnt vmcnt(18)
	v_fma_f64 v[66:67], v[76:77], v[68:69], v[66:67]
	buffer_load_dword v75, off, s[0:3], 0 offset:108
	buffer_load_dword v76, off, s[0:3], 0 offset:128
	buffer_load_dword v96, off, s[0:3], 0 offset:120
	buffer_load_dword v98, off, s[0:3], 0 offset:112
	buffer_load_dword v74, off, s[0:3], 0 offset:104
	buffer_load_dword v99, off, s[0:3], 0 offset:116
	buffer_load_dword v97, off, s[0:3], 0 offset:124
	s_waitcnt vmcnt(23) lgkmcnt(0)
	v_fma_f64 v[66:67], v[78:79], v[70:71], v[66:67]
	s_waitcnt vmcnt(21)
	v_fma_f64 v[77:78], v[80:81], v[72:73], v[66:67]
	ds_read_b128 v[66:69], v65 offset:304
	ds_read_b128 v[70:73], v65 offset:320
	s_waitcnt vmcnt(19) lgkmcnt(1)
	v_fma_f64 v[66:67], v[82:83], v[66:67], v[77:78]
	buffer_load_dword v77, off, s[0:3], 0 offset:132
	s_waitcnt vmcnt(18)
	v_fma_f64 v[66:67], v[84:85], v[68:69], v[66:67]
	buffer_load_dword v79, off, s[0:3], 0 offset:140
	buffer_load_dword v80, off, s[0:3], 0 offset:160
	buffer_load_dword v82, off, s[0:3], 0 offset:152
	buffer_load_dword v84, off, s[0:3], 0 offset:144
	buffer_load_dword v78, off, s[0:3], 0 offset:136
	buffer_load_dword v85, off, s[0:3], 0 offset:148
	buffer_load_dword v83, off, s[0:3], 0 offset:156
	s_waitcnt vmcnt(23) lgkmcnt(0)
	v_fma_f64 v[66:67], v[86:87], v[70:71], v[66:67]
	s_waitcnt vmcnt(18)
	v_fma_f64 v[86:87], v[88:89], v[72:73], v[66:67]
	ds_read_b128 v[66:69], v65 offset:336
	ds_read_b128 v[70:73], v65 offset:352
	buffer_load_dword v81, off, s[0:3], 0 offset:164
	s_waitcnt vmcnt(18) lgkmcnt(1)
	v_fma_f64 v[66:67], v[94:95], v[66:67], v[86:87]
	s_waitcnt vmcnt(17)
	v_fma_f64 v[66:67], v[92:93], v[68:69], v[66:67]
	buffer_load_dword v87, off, s[0:3], 0 offset:172
	buffer_load_dword v88, off, s[0:3], 0 offset:192
	;; [unrolled: 1-line block ×8, first 2 shown]
	s_waitcnt vmcnt(24) lgkmcnt(0)
	v_fma_f64 v[66:67], v[90:91], v[70:71], v[66:67]
	s_waitcnt vmcnt(19)
	v_fma_f64 v[74:75], v[74:75], v[72:73], v[66:67]
	ds_read_b128 v[66:69], v65 offset:368
	ds_read_b128 v[70:73], v65 offset:384
	s_waitcnt vmcnt(18) lgkmcnt(1)
	v_fma_f64 v[66:67], v[98:99], v[66:67], v[74:75]
	s_waitcnt vmcnt(17)
	v_fma_f64 v[66:67], v[96:97], v[68:69], v[66:67]
	buffer_load_dword v75, off, s[0:3], 0 offset:204
	buffer_load_dword v90, off, s[0:3], 0 offset:224
	;; [unrolled: 1-line block ×7, first 2 shown]
	s_waitcnt vmcnt(23) lgkmcnt(0)
	v_fma_f64 v[66:67], v[76:77], v[70:71], v[66:67]
	s_waitcnt vmcnt(18)
	v_fma_f64 v[76:77], v[78:79], v[72:73], v[66:67]
	ds_read_b128 v[66:69], v65 offset:400
	ds_read_b128 v[70:73], v65 offset:416
	buffer_load_dword v91, off, s[0:3], 0 offset:228
	s_waitcnt vmcnt(18) lgkmcnt(1)
	v_fma_f64 v[66:67], v[84:85], v[66:67], v[76:77]
	buffer_load_dword v77, off, s[0:3], 0 offset:236
	buffer_load_dword v78, off, s[0:3], 0 offset:240
	;; [unrolled: 1-line block ×4, first 2 shown]
	s_waitcnt vmcnt(21)
	v_fma_f64 v[66:67], v[82:83], v[68:69], v[66:67]
	s_waitcnt vmcnt(20) lgkmcnt(0)
	v_fma_f64 v[66:67], v[80:81], v[70:71], v[66:67]
	buffer_load_dword v80, off, s[0:3], 0 offset:8
	buffer_load_dword v81, off, s[0:3], 0 offset:12
	s_waitcnt vmcnt(17)
	v_fma_f64 v[82:83], v[86:87], v[72:73], v[66:67]
	ds_read_b128 v[66:69], v65 offset:432
	ds_read_b128 v[70:73], v65 offset:448
	s_waitcnt vmcnt(16) lgkmcnt(1)
	v_fma_f64 v[66:67], v[94:95], v[66:67], v[82:83]
	s_waitcnt vmcnt(15)
	v_fma_f64 v[66:67], v[92:93], v[68:69], v[66:67]
	s_waitcnt vmcnt(14) lgkmcnt(0)
	v_fma_f64 v[66:67], v[88:89], v[70:71], v[66:67]
	s_waitcnt vmcnt(9)
	v_fma_f64 v[74:75], v[74:75], v[72:73], v[66:67]
	ds_read_b128 v[66:69], v65 offset:464
	ds_read_b128 v[70:73], v65 offset:480
	s_waitcnt vmcnt(8) lgkmcnt(1)
	v_fma_f64 v[66:67], v[98:99], v[66:67], v[74:75]
	s_waitcnt vmcnt(7)
	v_fma_f64 v[66:67], v[96:97], v[68:69], v[66:67]
	ds_read_b64 v[68:69], v65 offset:496
	s_waitcnt vmcnt(6) lgkmcnt(1)
	v_fma_f64 v[66:67], v[90:91], v[70:71], v[66:67]
	s_waitcnt vmcnt(3)
	v_fma_f64 v[66:67], v[76:77], v[72:73], v[66:67]
	s_waitcnt vmcnt(2) lgkmcnt(0)
	v_fma_f64 v[66:67], v[78:79], v[68:69], v[66:67]
	s_waitcnt vmcnt(0)
	v_add_f64 v[66:67], v[80:81], -v[66:67]
	buffer_store_dword v67, off, s[0:3], 0 offset:12
	buffer_store_dword v66, off, s[0:3], 0 offset:8
	s_and_saveexec_b64 s[4:5], vcc
	s_cbranch_execz .LBB94_193
; %bb.192:
	buffer_load_dword v66, off, s[0:3], 0
	buffer_load_dword v67, off, s[0:3], 0 offset:4
	s_waitcnt vmcnt(0)
	ds_write_b64 v63, v[66:67]
	buffer_store_dword v65, off, s[0:3], 0
	buffer_store_dword v65, off, s[0:3], 0 offset:4
.LBB94_193:
	s_or_b64 exec, exec, s[4:5]
	s_waitcnt lgkmcnt(0)
	; wave barrier
	buffer_load_dword v63, off, s[0:3], 0 offset:8
	buffer_load_dword v64, off, s[0:3], 0 offset:12
	;; [unrolled: 1-line block ×22, first 2 shown]
	ds_read2_b64 v[66:69], v65 offset0:33 offset1:34
	ds_read2_b64 v[70:73], v65 offset0:35 offset1:36
	s_and_b64 vcc, exec, s[14:15]
	s_waitcnt vmcnt(20) lgkmcnt(1)
	v_fma_f64 v[63:64], v[63:64], v[66:67], 0
	s_waitcnt vmcnt(18)
	v_fma_f64 v[63:64], v[74:75], v[68:69], v[63:64]
	buffer_load_dword v75, off, s[0:3], 0 offset:100
	buffer_load_dword v94, off, s[0:3], 0 offset:120
	;; [unrolled: 1-line block ×8, first 2 shown]
	ds_read2_b64 v[66:69], v65 offset0:37 offset1:38
	s_waitcnt vmcnt(24) lgkmcnt(1)
	v_fma_f64 v[63:64], v[76:77], v[70:71], v[63:64]
	s_waitcnt vmcnt(22)
	v_fma_f64 v[63:64], v[78:79], v[72:73], v[63:64]
	ds_read2_b64 v[70:73], v65 offset0:39 offset1:40
	s_waitcnt vmcnt(20) lgkmcnt(1)
	v_fma_f64 v[63:64], v[80:81], v[66:67], v[63:64]
	s_waitcnt vmcnt(18)
	v_fma_f64 v[63:64], v[82:83], v[68:69], v[63:64]
	buffer_load_dword v77, off, s[0:3], 0 offset:132
	buffer_load_dword v78, off, s[0:3], 0 offset:152
	;; [unrolled: 1-line block ×7, first 2 shown]
	s_waitcnt vmcnt(23) lgkmcnt(0)
	v_fma_f64 v[63:64], v[84:85], v[70:71], v[63:64]
	s_waitcnt vmcnt(18)
	v_fma_f64 v[63:64], v[86:87], v[72:73], v[63:64]
	ds_read2_b64 v[66:69], v65 offset0:41 offset1:42
	ds_read2_b64 v[70:73], v65 offset0:43 offset1:44
	buffer_load_dword v79, off, s[0:3], 0 offset:156
	s_waitcnt vmcnt(18) lgkmcnt(1)
	v_fma_f64 v[63:64], v[92:93], v[66:67], v[63:64]
	s_waitcnt vmcnt(17)
	v_fma_f64 v[63:64], v[90:91], v[68:69], v[63:64]
	buffer_load_dword v85, off, s[0:3], 0 offset:164
	buffer_load_dword v86, off, s[0:3], 0 offset:184
	;; [unrolled: 1-line block ×8, first 2 shown]
	ds_read2_b64 v[66:69], v65 offset0:45 offset1:46
	s_waitcnt vmcnt(24) lgkmcnt(1)
	v_fma_f64 v[63:64], v[88:89], v[70:71], v[63:64]
	s_waitcnt vmcnt(19)
	v_fma_f64 v[63:64], v[74:75], v[72:73], v[63:64]
	ds_read2_b64 v[70:73], v65 offset0:47 offset1:48
	s_waitcnt vmcnt(18) lgkmcnt(1)
	v_fma_f64 v[63:64], v[98:99], v[66:67], v[63:64]
	s_waitcnt vmcnt(17)
	v_fma_f64 v[63:64], v[96:97], v[68:69], v[63:64]
	buffer_load_dword v75, off, s[0:3], 0 offset:196
	buffer_load_dword v88, off, s[0:3], 0 offset:216
	;; [unrolled: 1-line block ×8, first 2 shown]
	ds_read2_b64 v[66:69], v65 offset0:49 offset1:50
	s_waitcnt vmcnt(24) lgkmcnt(1)
	v_fma_f64 v[63:64], v[94:95], v[70:71], v[63:64]
	s_waitcnt vmcnt(19)
	v_fma_f64 v[63:64], v[76:77], v[72:73], v[63:64]
	ds_read2_b64 v[70:73], v65 offset0:51 offset1:52
	s_waitcnt vmcnt(18) lgkmcnt(1)
	v_fma_f64 v[63:64], v[82:83], v[66:67], v[63:64]
	s_waitcnt vmcnt(17)
	v_fma_f64 v[66:67], v[80:81], v[68:69], v[63:64]
	buffer_load_dword v77, off, s[0:3], 0 offset:228
	buffer_load_dword v80, off, s[0:3], 0 offset:240
	;; [unrolled: 1-line block ×6, first 2 shown]
	s_waitcnt vmcnt(22) lgkmcnt(0)
	v_fma_f64 v[66:67], v[78:79], v[70:71], v[66:67]
	s_waitcnt vmcnt(17)
	v_fma_f64 v[78:79], v[84:85], v[72:73], v[66:67]
	ds_read2_b64 v[66:69], v65 offset0:53 offset1:54
	buffer_load_dword v82, off, s[0:3], 0
	buffer_load_dword v83, off, s[0:3], 0 offset:4
	ds_read2_b64 v[70:73], v65 offset0:55 offset1:56
	s_waitcnt vmcnt(18) lgkmcnt(1)
	v_fma_f64 v[66:67], v[92:93], v[66:67], v[78:79]
	s_waitcnt vmcnt(17)
	v_fma_f64 v[66:67], v[90:91], v[68:69], v[66:67]
	s_waitcnt vmcnt(16) lgkmcnt(0)
	v_fma_f64 v[66:67], v[86:87], v[70:71], v[66:67]
	s_waitcnt vmcnt(11)
	v_fma_f64 v[74:75], v[74:75], v[72:73], v[66:67]
	ds_read2_b64 v[66:69], v65 offset0:57 offset1:58
	ds_read2_b64 v[70:73], v65 offset0:59 offset1:60
	s_waitcnt vmcnt(10) lgkmcnt(1)
	v_fma_f64 v[66:67], v[98:99], v[66:67], v[74:75]
	s_waitcnt vmcnt(9)
	v_fma_f64 v[66:67], v[96:97], v[68:69], v[66:67]
	s_waitcnt vmcnt(8) lgkmcnt(0)
	v_fma_f64 v[66:67], v[88:89], v[70:71], v[66:67]
	s_waitcnt vmcnt(4)
	v_fma_f64 v[69:70], v[76:77], v[72:73], v[66:67]
	ds_read2_b64 v[65:68], v65 offset0:61 offset1:62
	s_waitcnt vmcnt(3) lgkmcnt(0)
	v_fma_f64 v[65:66], v[63:64], v[65:66], v[69:70]
	s_waitcnt vmcnt(2)
	v_fma_f64 v[65:66], v[80:81], v[67:68], v[65:66]
	s_waitcnt vmcnt(0)
	v_add_f64 v[65:66], v[82:83], -v[65:66]
	buffer_store_dword v66, off, s[0:3], 0 offset:4
	buffer_store_dword v65, off, s[0:3], 0
	s_cbranch_vccz .LBB94_254
; %bb.194:
	v_mov_b32_e32 v0, 0
	global_load_dword v65, v0, s[12:13] offset:116
	s_waitcnt vmcnt(0)
	v_add_u32_e32 v65, -1, v65
	v_cmp_ne_u32_e32 vcc, 29, v65
	s_cbranch_vccz .LBB94_196
; %bb.195:
	v_lshlrev_b32_e32 v65, 3, v65
	buffer_load_dword v66, v65, s[0:3], 0 offen
	buffer_load_dword v67, v65, s[0:3], 0 offen offset:4
	s_waitcnt vmcnt(1)
	buffer_store_dword v66, off, s[0:3], 0 offset:232
	s_waitcnt vmcnt(1)
	buffer_store_dword v67, off, s[0:3], 0 offset:236
	buffer_store_dword v63, v65, s[0:3], 0 offen
	buffer_store_dword v64, v65, s[0:3], 0 offen offset:4
.LBB94_196:
	global_load_dword v0, v0, s[12:13] offset:112
	s_waitcnt vmcnt(0)
	v_add_u32_e32 v0, -1, v0
	v_cmp_eq_u32_e32 vcc, 28, v0
	s_cbranch_vccnz .LBB94_198
; %bb.197:
	v_lshlrev_b32_e32 v0, 3, v0
	buffer_load_dword v63, v0, s[0:3], 0 offen
	buffer_load_dword v64, v0, s[0:3], 0 offen offset:4
	buffer_load_dword v65, off, s[0:3], 0 offset:228
	buffer_load_dword v66, off, s[0:3], 0 offset:224
	s_waitcnt vmcnt(3)
	buffer_store_dword v63, off, s[0:3], 0 offset:224
	s_waitcnt vmcnt(3)
	buffer_store_dword v64, off, s[0:3], 0 offset:228
	s_waitcnt vmcnt(3)
	buffer_store_dword v65, v0, s[0:3], 0 offen offset:4
	s_waitcnt vmcnt(3)
	buffer_store_dword v66, v0, s[0:3], 0 offen
.LBB94_198:
	v_mov_b32_e32 v0, 0
	global_load_dword v63, v0, s[12:13] offset:108
	s_waitcnt vmcnt(0)
	v_add_u32_e32 v63, -1, v63
	v_cmp_eq_u32_e32 vcc, 27, v63
	s_cbranch_vccnz .LBB94_200
; %bb.199:
	v_lshlrev_b32_e32 v63, 3, v63
	buffer_load_dword v64, v63, s[0:3], 0 offen
	buffer_load_dword v65, v63, s[0:3], 0 offen offset:4
	buffer_load_dword v66, off, s[0:3], 0 offset:216
	buffer_load_dword v67, off, s[0:3], 0 offset:220
	s_waitcnt vmcnt(3)
	buffer_store_dword v64, off, s[0:3], 0 offset:216
	s_waitcnt vmcnt(3)
	buffer_store_dword v65, off, s[0:3], 0 offset:220
	s_waitcnt vmcnt(3)
	buffer_store_dword v66, v63, s[0:3], 0 offen
	s_waitcnt vmcnt(3)
	buffer_store_dword v67, v63, s[0:3], 0 offen offset:4
.LBB94_200:
	global_load_dword v0, v0, s[12:13] offset:104
	s_waitcnt vmcnt(0)
	v_add_u32_e32 v0, -1, v0
	v_cmp_eq_u32_e32 vcc, 26, v0
	s_cbranch_vccnz .LBB94_202
; %bb.201:
	v_lshlrev_b32_e32 v0, 3, v0
	buffer_load_dword v63, v0, s[0:3], 0 offen
	buffer_load_dword v64, v0, s[0:3], 0 offen offset:4
	buffer_load_dword v65, off, s[0:3], 0 offset:212
	buffer_load_dword v66, off, s[0:3], 0 offset:208
	s_waitcnt vmcnt(3)
	buffer_store_dword v63, off, s[0:3], 0 offset:208
	s_waitcnt vmcnt(3)
	buffer_store_dword v64, off, s[0:3], 0 offset:212
	s_waitcnt vmcnt(3)
	buffer_store_dword v65, v0, s[0:3], 0 offen offset:4
	s_waitcnt vmcnt(3)
	buffer_store_dword v66, v0, s[0:3], 0 offen
.LBB94_202:
	v_mov_b32_e32 v0, 0
	global_load_dword v63, v0, s[12:13] offset:100
	s_waitcnt vmcnt(0)
	v_add_u32_e32 v63, -1, v63
	v_cmp_eq_u32_e32 vcc, 25, v63
	s_cbranch_vccnz .LBB94_204
; %bb.203:
	v_lshlrev_b32_e32 v63, 3, v63
	buffer_load_dword v64, v63, s[0:3], 0 offen
	buffer_load_dword v65, v63, s[0:3], 0 offen offset:4
	buffer_load_dword v66, off, s[0:3], 0 offset:200
	buffer_load_dword v67, off, s[0:3], 0 offset:204
	s_waitcnt vmcnt(3)
	buffer_store_dword v64, off, s[0:3], 0 offset:200
	s_waitcnt vmcnt(3)
	buffer_store_dword v65, off, s[0:3], 0 offset:204
	s_waitcnt vmcnt(3)
	buffer_store_dword v66, v63, s[0:3], 0 offen
	s_waitcnt vmcnt(3)
	buffer_store_dword v67, v63, s[0:3], 0 offen offset:4
.LBB94_204:
	;; [unrolled: 41-line block ×14, first 2 shown]
	global_load_dword v0, v0, s[12:13]
	s_nop 0
	buffer_load_dword v65, off, s[0:3], 0
	buffer_load_dword v66, off, s[0:3], 0 offset:4
	s_waitcnt vmcnt(2)
	v_add_u32_e32 v0, -1, v0
	v_cmp_eq_u32_e32 vcc, 0, v0
	s_cbranch_vccnz .LBB94_254
; %bb.253:
	v_lshlrev_b32_e32 v0, 3, v0
	buffer_load_dword v63, v0, s[0:3], 0 offen offset:4
	buffer_load_dword v64, v0, s[0:3], 0 offen
	s_waitcnt vmcnt(1)
	buffer_store_dword v63, off, s[0:3], 0 offset:4
	s_waitcnt vmcnt(1)
	buffer_store_dword v64, off, s[0:3], 0
	buffer_store_dword v66, v0, s[0:3], 0 offen offset:4
	buffer_store_dword v65, v0, s[0:3], 0 offen
	buffer_load_dword v65, off, s[0:3], 0
	s_nop 0
	buffer_load_dword v66, off, s[0:3], 0 offset:4
.LBB94_254:
	s_waitcnt vmcnt(0)
	flat_store_dwordx2 v[1:2], v[65:66]
	buffer_load_dword v0, off, s[0:3], 0 offset:8
	s_nop 0
	buffer_load_dword v1, off, s[0:3], 0 offset:12
	s_waitcnt vmcnt(0)
	flat_store_dwordx2 v[3:4], v[0:1]
	buffer_load_dword v0, off, s[0:3], 0 offset:16
	s_nop 0
	buffer_load_dword v1, off, s[0:3], 0 offset:20
	;; [unrolled: 5-line block ×30, first 2 shown]
	s_waitcnt vmcnt(0)
	flat_store_dwordx2 v[61:62], v[0:1]
	s_endpgm
	.section	.rodata,"a",@progbits
	.p2align	6, 0x0
	.amdhsa_kernel _ZN9rocsolver6v33100L18getri_kernel_smallILi31EdPKPdEEvT1_iilPiilS6_bb
		.amdhsa_group_segment_fixed_size 504
		.amdhsa_private_segment_fixed_size 256
		.amdhsa_kernarg_size 60
		.amdhsa_user_sgpr_count 6
		.amdhsa_user_sgpr_private_segment_buffer 1
		.amdhsa_user_sgpr_dispatch_ptr 0
		.amdhsa_user_sgpr_queue_ptr 0
		.amdhsa_user_sgpr_kernarg_segment_ptr 1
		.amdhsa_user_sgpr_dispatch_id 0
		.amdhsa_user_sgpr_flat_scratch_init 0
		.amdhsa_user_sgpr_private_segment_size 0
		.amdhsa_uses_dynamic_stack 0
		.amdhsa_system_sgpr_private_segment_wavefront_offset 1
		.amdhsa_system_sgpr_workgroup_id_x 1
		.amdhsa_system_sgpr_workgroup_id_y 0
		.amdhsa_system_sgpr_workgroup_id_z 0
		.amdhsa_system_sgpr_workgroup_info 0
		.amdhsa_system_vgpr_workitem_id 0
		.amdhsa_next_free_vgpr 100
		.amdhsa_next_free_sgpr 21
		.amdhsa_reserve_vcc 1
		.amdhsa_reserve_flat_scratch 0
		.amdhsa_float_round_mode_32 0
		.amdhsa_float_round_mode_16_64 0
		.amdhsa_float_denorm_mode_32 3
		.amdhsa_float_denorm_mode_16_64 3
		.amdhsa_dx10_clamp 1
		.amdhsa_ieee_mode 1
		.amdhsa_fp16_overflow 0
		.amdhsa_exception_fp_ieee_invalid_op 0
		.amdhsa_exception_fp_denorm_src 0
		.amdhsa_exception_fp_ieee_div_zero 0
		.amdhsa_exception_fp_ieee_overflow 0
		.amdhsa_exception_fp_ieee_underflow 0
		.amdhsa_exception_fp_ieee_inexact 0
		.amdhsa_exception_int_div_zero 0
	.end_amdhsa_kernel
	.section	.text._ZN9rocsolver6v33100L18getri_kernel_smallILi31EdPKPdEEvT1_iilPiilS6_bb,"axG",@progbits,_ZN9rocsolver6v33100L18getri_kernel_smallILi31EdPKPdEEvT1_iilPiilS6_bb,comdat
.Lfunc_end94:
	.size	_ZN9rocsolver6v33100L18getri_kernel_smallILi31EdPKPdEEvT1_iilPiilS6_bb, .Lfunc_end94-_ZN9rocsolver6v33100L18getri_kernel_smallILi31EdPKPdEEvT1_iilPiilS6_bb
                                        ; -- End function
	.set _ZN9rocsolver6v33100L18getri_kernel_smallILi31EdPKPdEEvT1_iilPiilS6_bb.num_vgpr, 100
	.set _ZN9rocsolver6v33100L18getri_kernel_smallILi31EdPKPdEEvT1_iilPiilS6_bb.num_agpr, 0
	.set _ZN9rocsolver6v33100L18getri_kernel_smallILi31EdPKPdEEvT1_iilPiilS6_bb.numbered_sgpr, 21
	.set _ZN9rocsolver6v33100L18getri_kernel_smallILi31EdPKPdEEvT1_iilPiilS6_bb.num_named_barrier, 0
	.set _ZN9rocsolver6v33100L18getri_kernel_smallILi31EdPKPdEEvT1_iilPiilS6_bb.private_seg_size, 256
	.set _ZN9rocsolver6v33100L18getri_kernel_smallILi31EdPKPdEEvT1_iilPiilS6_bb.uses_vcc, 1
	.set _ZN9rocsolver6v33100L18getri_kernel_smallILi31EdPKPdEEvT1_iilPiilS6_bb.uses_flat_scratch, 0
	.set _ZN9rocsolver6v33100L18getri_kernel_smallILi31EdPKPdEEvT1_iilPiilS6_bb.has_dyn_sized_stack, 0
	.set _ZN9rocsolver6v33100L18getri_kernel_smallILi31EdPKPdEEvT1_iilPiilS6_bb.has_recursion, 0
	.set _ZN9rocsolver6v33100L18getri_kernel_smallILi31EdPKPdEEvT1_iilPiilS6_bb.has_indirect_call, 0
	.section	.AMDGPU.csdata,"",@progbits
; Kernel info:
; codeLenInByte = 30404
; TotalNumSgprs: 25
; NumVgprs: 100
; ScratchSize: 256
; MemoryBound: 0
; FloatMode: 240
; IeeeMode: 1
; LDSByteSize: 504 bytes/workgroup (compile time only)
; SGPRBlocks: 3
; VGPRBlocks: 24
; NumSGPRsForWavesPerEU: 25
; NumVGPRsForWavesPerEU: 100
; Occupancy: 2
; WaveLimiterHint : 1
; COMPUTE_PGM_RSRC2:SCRATCH_EN: 1
; COMPUTE_PGM_RSRC2:USER_SGPR: 6
; COMPUTE_PGM_RSRC2:TRAP_HANDLER: 0
; COMPUTE_PGM_RSRC2:TGID_X_EN: 1
; COMPUTE_PGM_RSRC2:TGID_Y_EN: 0
; COMPUTE_PGM_RSRC2:TGID_Z_EN: 0
; COMPUTE_PGM_RSRC2:TIDIG_COMP_CNT: 0
	.section	.text._ZN9rocsolver6v33100L18getri_kernel_smallILi32EdPKPdEEvT1_iilPiilS6_bb,"axG",@progbits,_ZN9rocsolver6v33100L18getri_kernel_smallILi32EdPKPdEEvT1_iilPiilS6_bb,comdat
	.globl	_ZN9rocsolver6v33100L18getri_kernel_smallILi32EdPKPdEEvT1_iilPiilS6_bb ; -- Begin function _ZN9rocsolver6v33100L18getri_kernel_smallILi32EdPKPdEEvT1_iilPiilS6_bb
	.p2align	8
	.type	_ZN9rocsolver6v33100L18getri_kernel_smallILi32EdPKPdEEvT1_iilPiilS6_bb,@function
_ZN9rocsolver6v33100L18getri_kernel_smallILi32EdPKPdEEvT1_iilPiilS6_bb: ; @_ZN9rocsolver6v33100L18getri_kernel_smallILi32EdPKPdEEvT1_iilPiilS6_bb
; %bb.0:
	s_add_u32 s0, s0, s7
	s_addc_u32 s1, s1, 0
	v_cmp_gt_u32_e32 vcc, 32, v0
	s_and_saveexec_b64 s[8:9], vcc
	s_cbranch_execz .LBB95_136
; %bb.1:
	s_load_dword s18, s[4:5], 0x38
	s_load_dwordx2 s[12:13], s[4:5], 0x0
	s_load_dwordx4 s[8:11], s[4:5], 0x28
	s_waitcnt lgkmcnt(0)
	s_bitcmp1_b32 s18, 8
	s_cselect_b64 s[14:15], -1, 0
	s_ashr_i32 s7, s6, 31
	s_lshl_b64 s[16:17], s[6:7], 3
	s_add_u32 s12, s12, s16
	s_addc_u32 s13, s13, s17
	s_load_dwordx2 s[16:17], s[12:13], 0x0
	s_bfe_u32 s12, s18, 0x10008
	s_cmp_eq_u32 s12, 0
                                        ; implicit-def: $sgpr12_sgpr13
	s_cbranch_scc1 .LBB95_3
; %bb.2:
	s_load_dword s12, s[4:5], 0x20
	s_load_dwordx2 s[18:19], s[4:5], 0x18
	s_mul_i32 s13, s8, s7
	s_mul_hi_u32 s20, s8, s6
	s_add_i32 s20, s20, s13
	s_mul_i32 s9, s9, s6
	s_add_i32 s9, s20, s9
	s_mul_i32 s8, s8, s6
	s_waitcnt lgkmcnt(0)
	s_ashr_i32 s13, s12, 31
	s_lshl_b64 s[8:9], s[8:9], 2
	s_add_u32 s18, s18, s8
	s_addc_u32 s19, s19, s9
	s_lshl_b64 s[8:9], s[12:13], 2
	s_add_u32 s12, s18, s8
	s_addc_u32 s13, s19, s9
.LBB95_3:
	s_load_dwordx2 s[8:9], s[4:5], 0x8
	s_load_dword s18, s[4:5], 0x38
	v_lshlrev_b32_e32 v67, 3, v0
	s_waitcnt lgkmcnt(0)
	s_ashr_i32 s5, s8, 31
	s_mov_b32 s4, s8
	s_lshl_b64 s[4:5], s[4:5], 3
	s_add_u32 s4, s16, s4
	s_addc_u32 s5, s17, s5
	v_mov_b32_e32 v2, s5
	v_add_co_u32_e32 v1, vcc, s4, v67
	v_addc_co_u32_e32 v2, vcc, 0, v2, vcc
	flat_load_dwordx2 v[5:6], v[1:2]
	s_mov_b32 s16, s9
	s_ashr_i32 s17, s9, 31
	s_lshl_b64 s[16:17], s[16:17], 3
	v_mov_b32_e32 v4, s17
	v_add_co_u32_e32 v3, vcc, s16, v1
	v_addc_co_u32_e32 v4, vcc, v2, v4, vcc
	s_add_i32 s8, s9, s9
	v_add_u32_e32 v9, s8, v0
	v_ashrrev_i32_e32 v10, 31, v9
	v_mov_b32_e32 v11, s5
	v_add_u32_e32 v12, s9, v9
	v_ashrrev_i32_e32 v13, 31, v12
	v_mov_b32_e32 v14, s5
	v_mov_b32_e32 v15, s5
	;; [unrolled: 1-line block ×28, first 2 shown]
	s_bitcmp0_b32 s18, 0
	s_waitcnt vmcnt(0) lgkmcnt(0)
	buffer_store_dword v6, off, s[0:3], 0 offset:4
	buffer_store_dword v5, off, s[0:3], 0
	flat_load_dwordx2 v[7:8], v[3:4]
	v_lshlrev_b64 v[5:6], 3, v[9:10]
	s_waitcnt vmcnt(0) lgkmcnt(0)
	buffer_store_dword v8, off, s[0:3], 0 offset:12
	buffer_store_dword v7, off, s[0:3], 0 offset:8
	v_add_co_u32_e32 v5, vcc, s4, v5
	v_addc_co_u32_e32 v6, vcc, v11, v6, vcc
	flat_load_dwordx2 v[10:11], v[5:6]
	v_lshlrev_b64 v[7:8], 3, v[12:13]
	s_waitcnt vmcnt(0) lgkmcnt(0)
	buffer_store_dword v11, off, s[0:3], 0 offset:20
	buffer_store_dword v10, off, s[0:3], 0 offset:16
	v_add_co_u32_e32 v7, vcc, s4, v7
	v_addc_co_u32_e32 v8, vcc, v14, v8, vcc
	flat_load_dwordx2 v[13:14], v[7:8]
	v_add_u32_e32 v11, s9, v12
	v_ashrrev_i32_e32 v12, 31, v11
	v_lshlrev_b64 v[9:10], 3, v[11:12]
	s_waitcnt vmcnt(0) lgkmcnt(0)
	buffer_store_dword v14, off, s[0:3], 0 offset:28
	buffer_store_dword v13, off, s[0:3], 0 offset:24
	v_add_co_u32_e32 v9, vcc, s4, v9
	v_addc_co_u32_e32 v10, vcc, v15, v10, vcc
	flat_load_dwordx2 v[13:14], v[9:10]
	v_add_u32_e32 v15, s9, v11
	v_ashrrev_i32_e32 v16, 31, v15
	v_lshlrev_b64 v[11:12], 3, v[15:16]
	v_add_u32_e32 v18, s9, v15
	v_add_co_u32_e32 v11, vcc, s4, v11
	v_addc_co_u32_e32 v12, vcc, v17, v12, vcc
	v_ashrrev_i32_e32 v19, 31, v18
	s_waitcnt vmcnt(0) lgkmcnt(0)
	buffer_store_dword v14, off, s[0:3], 0 offset:36
	buffer_store_dword v13, off, s[0:3], 0 offset:32
	flat_load_dwordx2 v[16:17], v[11:12]
	v_lshlrev_b64 v[13:14], 3, v[18:19]
	s_waitcnt vmcnt(0) lgkmcnt(0)
	buffer_store_dword v17, off, s[0:3], 0 offset:44
	buffer_store_dword v16, off, s[0:3], 0 offset:40
	v_add_co_u32_e32 v13, vcc, s4, v13
	v_addc_co_u32_e32 v14, vcc, v20, v14, vcc
	flat_load_dwordx2 v[19:20], v[13:14]
	v_add_u32_e32 v17, s9, v18
	v_ashrrev_i32_e32 v18, 31, v17
	v_lshlrev_b64 v[15:16], 3, v[17:18]
	s_waitcnt vmcnt(0) lgkmcnt(0)
	buffer_store_dword v20, off, s[0:3], 0 offset:52
	buffer_store_dword v19, off, s[0:3], 0 offset:48
	v_add_co_u32_e32 v15, vcc, s4, v15
	v_addc_co_u32_e32 v16, vcc, v21, v16, vcc
	flat_load_dwordx2 v[19:20], v[15:16]
	v_add_u32_e32 v21, s9, v17
	v_ashrrev_i32_e32 v22, 31, v21
	v_lshlrev_b64 v[17:18], 3, v[21:22]
	v_add_u32_e32 v24, s9, v21
	v_add_co_u32_e32 v17, vcc, s4, v17
	v_addc_co_u32_e32 v18, vcc, v23, v18, vcc
	v_ashrrev_i32_e32 v25, 31, v24
	s_waitcnt vmcnt(0) lgkmcnt(0)
	buffer_store_dword v20, off, s[0:3], 0 offset:60
	buffer_store_dword v19, off, s[0:3], 0 offset:56
	;; [unrolled: 27-line block ×7, first 2 shown]
	flat_load_dwordx2 v[52:53], v[47:48]
	v_lshlrev_b64 v[49:50], 3, v[54:55]
	s_waitcnt vmcnt(0) lgkmcnt(0)
	buffer_store_dword v53, off, s[0:3], 0 offset:188
	buffer_store_dword v52, off, s[0:3], 0 offset:184
	v_add_co_u32_e32 v49, vcc, s4, v49
	v_addc_co_u32_e32 v50, vcc, v56, v50, vcc
	flat_load_dwordx2 v[55:56], v[49:50]
	v_add_u32_e32 v53, s9, v54
	v_ashrrev_i32_e32 v54, 31, v53
	v_lshlrev_b64 v[51:52], 3, v[53:54]
	s_waitcnt vmcnt(0) lgkmcnt(0)
	buffer_store_dword v56, off, s[0:3], 0 offset:196
	buffer_store_dword v55, off, s[0:3], 0 offset:192
	v_add_co_u32_e32 v51, vcc, s4, v51
	v_addc_co_u32_e32 v52, vcc, v57, v52, vcc
	flat_load_dwordx2 v[55:56], v[51:52]
	v_add_u32_e32 v57, s9, v53
	v_ashrrev_i32_e32 v58, 31, v57
	v_lshlrev_b64 v[53:54], 3, v[57:58]
	v_add_u32_e32 v60, s9, v57
	v_add_co_u32_e32 v53, vcc, s4, v53
	v_addc_co_u32_e32 v54, vcc, v59, v54, vcc
	s_waitcnt vmcnt(0) lgkmcnt(0)
	buffer_store_dword v56, off, s[0:3], 0 offset:204
	buffer_store_dword v55, off, s[0:3], 0 offset:200
	flat_load_dwordx2 v[58:59], v[53:54]
	v_ashrrev_i32_e32 v61, 31, v60
	v_lshlrev_b64 v[55:56], 3, v[60:61]
	s_waitcnt vmcnt(0) lgkmcnt(0)
	buffer_store_dword v59, off, s[0:3], 0 offset:212
	buffer_store_dword v58, off, s[0:3], 0 offset:208
	v_add_co_u32_e32 v55, vcc, s4, v55
	v_addc_co_u32_e32 v56, vcc, v62, v56, vcc
	flat_load_dwordx2 v[61:62], v[55:56]
	v_add_u32_e32 v59, s9, v60
	v_ashrrev_i32_e32 v60, 31, v59
	v_lshlrev_b64 v[57:58], 3, v[59:60]
	s_waitcnt vmcnt(0) lgkmcnt(0)
	buffer_store_dword v62, off, s[0:3], 0 offset:220
	buffer_store_dword v61, off, s[0:3], 0 offset:216
	v_add_co_u32_e32 v57, vcc, s4, v57
	v_addc_co_u32_e32 v58, vcc, v63, v58, vcc
	flat_load_dwordx2 v[61:62], v[57:58]
	v_add_u32_e32 v63, s9, v59
	;; [unrolled: 9-line block ×4, first 2 shown]
	v_ashrrev_i32_e32 v64, 31, v63
	v_lshlrev_b64 v[63:64], 3, v[63:64]
	v_mov_b32_e32 v69, s5
	v_add_co_u32_e32 v63, vcc, s4, v63
	v_addc_co_u32_e32 v64, vcc, v69, v64, vcc
	s_waitcnt vmcnt(0) lgkmcnt(0)
	buffer_store_dword v66, off, s[0:3], 0 offset:244
	buffer_store_dword v65, off, s[0:3], 0 offset:240
	flat_load_dwordx2 v[65:66], v[63:64]
	s_mov_b64 s[8:9], -1
	s_waitcnt vmcnt(0) lgkmcnt(0)
	buffer_store_dword v66, off, s[0:3], 0 offset:252
	buffer_store_dword v65, off, s[0:3], 0 offset:248
	s_cbranch_scc1 .LBB95_134
; %bb.4:
	v_cmp_eq_u32_e64 s[4:5], 0, v0
	s_and_saveexec_b64 s[8:9], s[4:5]
; %bb.5:
	v_mov_b32_e32 v65, 0
	ds_write_b32 v65, v65 offset:512
; %bb.6:
	s_or_b64 exec, exec, s[8:9]
	v_mov_b32_e32 v65, 0
	v_lshl_add_u32 v65, v0, 3, v65
	s_waitcnt lgkmcnt(0)
	; wave barrier
	buffer_load_dword v68, v65, s[0:3], 0 offen
	buffer_load_dword v69, v65, s[0:3], 0 offen offset:4
	s_waitcnt vmcnt(0)
	v_cmp_eq_f64_e32 vcc, 0, v[68:69]
	s_and_saveexec_b64 s[16:17], vcc
	s_cbranch_execz .LBB95_10
; %bb.7:
	v_mov_b32_e32 v66, 0
	ds_read_b32 v69, v66 offset:512
	v_add_u32_e32 v68, 1, v0
	s_waitcnt lgkmcnt(0)
	v_readfirstlane_b32 s8, v69
	s_cmp_eq_u32 s8, 0
	s_cselect_b64 s[18:19], -1, 0
	v_cmp_gt_i32_e32 vcc, s8, v68
	s_or_b64 s[18:19], s[18:19], vcc
	s_and_b64 exec, exec, s[18:19]
	s_cbranch_execz .LBB95_10
; %bb.8:
	s_mov_b64 s[18:19], 0
	v_mov_b32_e32 v69, s8
.LBB95_9:                               ; =>This Inner Loop Header: Depth=1
	ds_cmpst_rtn_b32 v69, v66, v69, v68 offset:512
	s_waitcnt lgkmcnt(0)
	v_cmp_ne_u32_e32 vcc, 0, v69
	v_cmp_le_i32_e64 s[8:9], v69, v68
	s_and_b64 s[8:9], vcc, s[8:9]
	s_and_b64 s[8:9], exec, s[8:9]
	s_or_b64 s[18:19], s[8:9], s[18:19]
	s_andn2_b64 exec, exec, s[18:19]
	s_cbranch_execnz .LBB95_9
.LBB95_10:
	s_or_b64 exec, exec, s[16:17]
	v_mov_b32_e32 v68, 0
	; wave barrier
	ds_read_b32 v66, v68 offset:512
	s_and_saveexec_b64 s[8:9], s[4:5]
	s_cbranch_execz .LBB95_12
; %bb.11:
	s_lshl_b64 s[16:17], s[6:7], 2
	s_add_u32 s16, s10, s16
	s_addc_u32 s17, s11, s17
	s_waitcnt lgkmcnt(0)
	global_store_dword v68, v66, s[16:17]
.LBB95_12:
	s_or_b64 exec, exec, s[8:9]
	s_waitcnt lgkmcnt(0)
	v_cmp_ne_u32_e32 vcc, 0, v66
	s_mov_b64 s[8:9], 0
	s_cbranch_vccnz .LBB95_134
; %bb.13:
	buffer_load_dword v68, v65, s[0:3], 0 offen
	buffer_load_dword v69, v65, s[0:3], 0 offen offset:4
	s_waitcnt vmcnt(0)
	v_div_scale_f64 v[70:71], s[8:9], v[68:69], v[68:69], 1.0
	v_rcp_f64_e32 v[72:73], v[70:71]
	v_fma_f64 v[74:75], -v[70:71], v[72:73], 1.0
	v_fma_f64 v[72:73], v[72:73], v[74:75], v[72:73]
	v_div_scale_f64 v[74:75], vcc, 1.0, v[68:69], 1.0
	v_fma_f64 v[76:77], -v[70:71], v[72:73], 1.0
	v_fma_f64 v[72:73], v[72:73], v[76:77], v[72:73]
	v_mul_f64 v[76:77], v[74:75], v[72:73]
	v_fma_f64 v[70:71], -v[70:71], v[76:77], v[74:75]
	v_div_fmas_f64 v[70:71], v[70:71], v[72:73], v[76:77]
	v_div_fixup_f64 v[69:70], v[70:71], v[68:69], 1.0
	v_add_u32_e32 v68, 0x100, v67
	buffer_store_dword v70, v65, s[0:3], 0 offen offset:4
	buffer_store_dword v69, v65, s[0:3], 0 offen
	buffer_load_dword v72, off, s[0:3], 0 offset:12
	buffer_load_dword v71, off, s[0:3], 0 offset:8
	v_xor_b32_e32 v70, 0x80000000, v70
	s_waitcnt vmcnt(0)
	ds_write2_b64 v67, v[69:70], v[71:72] offset1:32
	s_waitcnt lgkmcnt(0)
	; wave barrier
	s_and_saveexec_b64 s[8:9], s[4:5]
	s_cbranch_execz .LBB95_15
; %bb.14:
	buffer_load_dword v69, v65, s[0:3], 0 offen
	buffer_load_dword v70, v65, s[0:3], 0 offen offset:4
	ds_read_b64 v[71:72], v68
	v_mov_b32_e32 v66, 0
	ds_read_b64 v[73:74], v66 offset:8
	s_waitcnt vmcnt(0) lgkmcnt(1)
	v_fma_f64 v[69:70], v[69:70], v[71:72], 0
	s_waitcnt lgkmcnt(0)
	v_mul_f64 v[69:70], v[69:70], v[73:74]
	buffer_store_dword v69, off, s[0:3], 0 offset:8
	buffer_store_dword v70, off, s[0:3], 0 offset:12
.LBB95_15:
	s_or_b64 exec, exec, s[8:9]
	; wave barrier
	buffer_load_dword v69, off, s[0:3], 0 offset:16
	buffer_load_dword v70, off, s[0:3], 0 offset:20
	v_cmp_gt_u32_e32 vcc, 2, v0
	s_waitcnt vmcnt(0)
	ds_write_b64 v68, v[69:70]
	s_waitcnt lgkmcnt(0)
	; wave barrier
	s_and_saveexec_b64 s[8:9], vcc
	s_cbranch_execz .LBB95_17
; %bb.16:
	buffer_load_dword v69, v65, s[0:3], 0 offen
	buffer_load_dword v70, v65, s[0:3], 0 offen offset:4
                                        ; kill: killed $vgpr65
	s_nop 0
	buffer_load_dword v65, off, s[0:3], 0 offset:8
	buffer_load_dword v66, off, s[0:3], 0 offset:12
	ds_read_b64 v[71:72], v68
	s_waitcnt vmcnt(2) lgkmcnt(0)
	v_fma_f64 v[73:74], v[69:70], v[71:72], 0
	v_mov_b32_e32 v69, 0
	ds_read2_b64 v[69:72], v69 offset0:2 offset1:33
	s_waitcnt vmcnt(0) lgkmcnt(0)
	v_fma_f64 v[65:66], v[65:66], v[71:72], v[73:74]
	v_cndmask_b32_e64 v66, v74, v66, s[4:5]
	v_cndmask_b32_e64 v65, v73, v65, s[4:5]
	v_mul_f64 v[65:66], v[65:66], v[69:70]
	buffer_store_dword v66, off, s[0:3], 0 offset:20
	buffer_store_dword v65, off, s[0:3], 0 offset:16
.LBB95_17:
	s_or_b64 exec, exec, s[8:9]
	; wave barrier
	buffer_load_dword v65, off, s[0:3], 0 offset:24
	buffer_load_dword v66, off, s[0:3], 0 offset:28
	v_cmp_gt_u32_e32 vcc, 3, v0
	v_add_u32_e32 v69, -1, v0
	s_waitcnt vmcnt(0)
	ds_write_b64 v68, v[65:66]
	s_waitcnt lgkmcnt(0)
	; wave barrier
	s_and_saveexec_b64 s[4:5], vcc
	s_cbranch_execz .LBB95_21
; %bb.18:
	v_mov_b32_e32 v65, 0
	v_add_u32_e32 v70, -1, v0
	v_add_u32_e32 v71, 0x100, v67
	v_mov_b32_e32 v72, v67
	v_mov_b32_e32 v66, 0
	s_mov_b64 s[8:9], 0
.LBB95_19:                              ; =>This Inner Loop Header: Depth=1
	buffer_load_dword v73, v72, s[0:3], 0 offen
	buffer_load_dword v74, v72, s[0:3], 0 offen offset:4
	ds_read_b64 v[75:76], v71
	v_add_u32_e32 v70, 1, v70
	v_cmp_lt_u32_e32 vcc, 1, v70
	v_add_u32_e32 v71, 8, v71
	s_or_b64 s[8:9], vcc, s[8:9]
	v_add_u32_e32 v72, 8, v72
	s_waitcnt vmcnt(0) lgkmcnt(0)
	v_fma_f64 v[65:66], v[73:74], v[75:76], v[65:66]
	s_andn2_b64 exec, exec, s[8:9]
	s_cbranch_execnz .LBB95_19
; %bb.20:
	s_or_b64 exec, exec, s[8:9]
	v_mov_b32_e32 v70, 0
	ds_read_b64 v[70:71], v70 offset:24
	s_waitcnt lgkmcnt(0)
	v_mul_f64 v[65:66], v[65:66], v[70:71]
	buffer_store_dword v66, off, s[0:3], 0 offset:28
	buffer_store_dword v65, off, s[0:3], 0 offset:24
.LBB95_21:
	s_or_b64 exec, exec, s[4:5]
	; wave barrier
	buffer_load_dword v65, off, s[0:3], 0 offset:32
	buffer_load_dword v66, off, s[0:3], 0 offset:36
	v_cmp_gt_u32_e32 vcc, 4, v0
	s_waitcnt vmcnt(0)
	ds_write_b64 v68, v[65:66]
	s_waitcnt lgkmcnt(0)
	; wave barrier
	s_and_saveexec_b64 s[4:5], vcc
	s_cbranch_execz .LBB95_25
; %bb.22:
	v_mov_b32_e32 v65, 0
	v_add_u32_e32 v70, -1, v0
	v_add_u32_e32 v71, 0x100, v67
	v_mov_b32_e32 v72, v67
	v_mov_b32_e32 v66, 0
	s_mov_b64 s[8:9], 0
.LBB95_23:                              ; =>This Inner Loop Header: Depth=1
	buffer_load_dword v73, v72, s[0:3], 0 offen
	buffer_load_dword v74, v72, s[0:3], 0 offen offset:4
	ds_read_b64 v[75:76], v71
	v_add_u32_e32 v70, 1, v70
	v_cmp_lt_u32_e32 vcc, 2, v70
	v_add_u32_e32 v71, 8, v71
	s_or_b64 s[8:9], vcc, s[8:9]
	v_add_u32_e32 v72, 8, v72
	s_waitcnt vmcnt(0) lgkmcnt(0)
	v_fma_f64 v[65:66], v[73:74], v[75:76], v[65:66]
	s_andn2_b64 exec, exec, s[8:9]
	s_cbranch_execnz .LBB95_23
; %bb.24:
	s_or_b64 exec, exec, s[8:9]
	v_mov_b32_e32 v70, 0
	ds_read_b64 v[70:71], v70 offset:32
	s_waitcnt lgkmcnt(0)
	v_mul_f64 v[65:66], v[65:66], v[70:71]
	buffer_store_dword v66, off, s[0:3], 0 offset:36
	buffer_store_dword v65, off, s[0:3], 0 offset:32
.LBB95_25:
	s_or_b64 exec, exec, s[4:5]
	; wave barrier
	buffer_load_dword v65, off, s[0:3], 0 offset:40
	buffer_load_dword v66, off, s[0:3], 0 offset:44
	v_cmp_gt_u32_e32 vcc, 5, v0
	;; [unrolled: 40-line block ×21, first 2 shown]
	s_waitcnt vmcnt(0)
	ds_write_b64 v68, v[65:66]
	s_waitcnt lgkmcnt(0)
	; wave barrier
	s_and_saveexec_b64 s[4:5], vcc
	s_cbranch_execz .LBB95_105
; %bb.102:
	v_mov_b32_e32 v65, 0
	v_add_u32_e32 v70, -1, v0
	v_add_u32_e32 v71, 0x100, v67
	v_mov_b32_e32 v72, v67
	v_mov_b32_e32 v66, 0
	s_mov_b64 s[8:9], 0
.LBB95_103:                             ; =>This Inner Loop Header: Depth=1
	buffer_load_dword v73, v72, s[0:3], 0 offen
	buffer_load_dword v74, v72, s[0:3], 0 offen offset:4
	ds_read_b64 v[75:76], v71
	v_add_u32_e32 v70, 1, v70
	v_cmp_lt_u32_e32 vcc, 22, v70
	v_add_u32_e32 v71, 8, v71
	s_or_b64 s[8:9], vcc, s[8:9]
	v_add_u32_e32 v72, 8, v72
	s_waitcnt vmcnt(0) lgkmcnt(0)
	v_fma_f64 v[65:66], v[73:74], v[75:76], v[65:66]
	s_andn2_b64 exec, exec, s[8:9]
	s_cbranch_execnz .LBB95_103
; %bb.104:
	s_or_b64 exec, exec, s[8:9]
	v_mov_b32_e32 v70, 0
	ds_read_b64 v[70:71], v70 offset:192
	s_waitcnt lgkmcnt(0)
	v_mul_f64 v[65:66], v[65:66], v[70:71]
	buffer_store_dword v66, off, s[0:3], 0 offset:196
	buffer_store_dword v65, off, s[0:3], 0 offset:192
.LBB95_105:
	s_or_b64 exec, exec, s[4:5]
	; wave barrier
	buffer_load_dword v65, off, s[0:3], 0 offset:200
	buffer_load_dword v66, off, s[0:3], 0 offset:204
	v_cmp_gt_u32_e32 vcc, 25, v0
	s_waitcnt vmcnt(0)
	ds_write_b64 v68, v[65:66]
	s_waitcnt lgkmcnt(0)
	; wave barrier
	s_and_saveexec_b64 s[4:5], vcc
	s_cbranch_execz .LBB95_109
; %bb.106:
	v_mov_b32_e32 v65, 0
	v_add_u32_e32 v70, -1, v0
	v_add_u32_e32 v71, 0x100, v67
	v_mov_b32_e32 v72, v67
	v_mov_b32_e32 v66, 0
	s_mov_b64 s[8:9], 0
.LBB95_107:                             ; =>This Inner Loop Header: Depth=1
	buffer_load_dword v73, v72, s[0:3], 0 offen
	buffer_load_dword v74, v72, s[0:3], 0 offen offset:4
	ds_read_b64 v[75:76], v71
	v_add_u32_e32 v70, 1, v70
	v_cmp_lt_u32_e32 vcc, 23, v70
	v_add_u32_e32 v71, 8, v71
	s_or_b64 s[8:9], vcc, s[8:9]
	v_add_u32_e32 v72, 8, v72
	s_waitcnt vmcnt(0) lgkmcnt(0)
	v_fma_f64 v[65:66], v[73:74], v[75:76], v[65:66]
	s_andn2_b64 exec, exec, s[8:9]
	s_cbranch_execnz .LBB95_107
; %bb.108:
	s_or_b64 exec, exec, s[8:9]
	v_mov_b32_e32 v70, 0
	ds_read_b64 v[70:71], v70 offset:200
	s_waitcnt lgkmcnt(0)
	v_mul_f64 v[65:66], v[65:66], v[70:71]
	buffer_store_dword v66, off, s[0:3], 0 offset:204
	buffer_store_dword v65, off, s[0:3], 0 offset:200
.LBB95_109:
	s_or_b64 exec, exec, s[4:5]
	; wave barrier
	buffer_load_dword v65, off, s[0:3], 0 offset:208
	buffer_load_dword v66, off, s[0:3], 0 offset:212
	v_cmp_gt_u32_e32 vcc, 26, v0
	;; [unrolled: 40-line block ×6, first 2 shown]
	s_waitcnt vmcnt(0)
	ds_write_b64 v68, v[65:66]
	s_waitcnt lgkmcnt(0)
	; wave barrier
	s_and_saveexec_b64 s[4:5], vcc
	s_cbranch_execz .LBB95_129
; %bb.126:
	v_mov_b32_e32 v65, 0
	v_add_u32_e32 v70, -1, v0
	v_add_u32_e32 v71, 0x100, v67
	v_mov_b32_e32 v72, v67
	v_mov_b32_e32 v66, 0
	s_mov_b64 s[8:9], 0
.LBB95_127:                             ; =>This Inner Loop Header: Depth=1
	buffer_load_dword v73, v72, s[0:3], 0 offen
	buffer_load_dword v74, v72, s[0:3], 0 offen offset:4
	ds_read_b64 v[75:76], v71
	v_add_u32_e32 v70, 1, v70
	v_cmp_lt_u32_e32 vcc, 28, v70
	v_add_u32_e32 v71, 8, v71
	s_or_b64 s[8:9], vcc, s[8:9]
	v_add_u32_e32 v72, 8, v72
	s_waitcnt vmcnt(0) lgkmcnt(0)
	v_fma_f64 v[65:66], v[73:74], v[75:76], v[65:66]
	s_andn2_b64 exec, exec, s[8:9]
	s_cbranch_execnz .LBB95_127
; %bb.128:
	s_or_b64 exec, exec, s[8:9]
	v_mov_b32_e32 v70, 0
	ds_read_b64 v[70:71], v70 offset:240
	s_waitcnt lgkmcnt(0)
	v_mul_f64 v[65:66], v[65:66], v[70:71]
	buffer_store_dword v66, off, s[0:3], 0 offset:244
	buffer_store_dword v65, off, s[0:3], 0 offset:240
.LBB95_129:
	s_or_b64 exec, exec, s[4:5]
	; wave barrier
	buffer_load_dword v65, off, s[0:3], 0 offset:248
	buffer_load_dword v66, off, s[0:3], 0 offset:252
	v_cmp_ne_u32_e32 vcc, 31, v0
	s_waitcnt vmcnt(0)
	ds_write_b64 v68, v[65:66]
	s_waitcnt lgkmcnt(0)
	; wave barrier
	s_and_saveexec_b64 s[4:5], vcc
	s_cbranch_execz .LBB95_133
; %bb.130:
	v_mov_b32_e32 v65, 0
	v_add_u32_e32 v68, 0x100, v67
	v_mov_b32_e32 v66, 0
	s_mov_b64 s[8:9], 0
.LBB95_131:                             ; =>This Inner Loop Header: Depth=1
	buffer_load_dword v70, v67, s[0:3], 0 offen
	buffer_load_dword v71, v67, s[0:3], 0 offen offset:4
	ds_read_b64 v[72:73], v68
	v_add_u32_e32 v69, 1, v69
	v_cmp_lt_u32_e32 vcc, 29, v69
	v_add_u32_e32 v68, 8, v68
	s_or_b64 s[8:9], vcc, s[8:9]
	v_add_u32_e32 v67, 8, v67
	s_waitcnt vmcnt(0) lgkmcnt(0)
	v_fma_f64 v[65:66], v[70:71], v[72:73], v[65:66]
	s_andn2_b64 exec, exec, s[8:9]
	s_cbranch_execnz .LBB95_131
; %bb.132:
	s_or_b64 exec, exec, s[8:9]
	v_mov_b32_e32 v67, 0
	ds_read_b64 v[67:68], v67 offset:248
	s_waitcnt lgkmcnt(0)
	v_mul_f64 v[65:66], v[65:66], v[67:68]
	buffer_store_dword v66, off, s[0:3], 0 offset:252
	buffer_store_dword v65, off, s[0:3], 0 offset:248
.LBB95_133:
	s_or_b64 exec, exec, s[4:5]
	s_mov_b64 s[8:9], -1
	; wave barrier
.LBB95_134:
	s_and_b64 vcc, exec, s[8:9]
	s_cbranch_vccz .LBB95_136
; %bb.135:
	s_lshl_b64 s[4:5], s[6:7], 2
	s_add_u32 s4, s10, s4
	s_addc_u32 s5, s11, s5
	v_mov_b32_e32 v65, 0
	global_load_dword v65, v65, s[4:5]
	s_waitcnt vmcnt(0)
	v_cmp_ne_u32_e32 vcc, 0, v65
	s_cbranch_vccz .LBB95_137
.LBB95_136:
	s_endpgm
.LBB95_137:
	v_mov_b32_e32 v65, 0x100
	v_lshl_add_u32 v65, v0, 3, v65
	v_cmp_eq_u32_e32 vcc, 31, v0
	s_and_saveexec_b64 s[4:5], vcc
	s_cbranch_execz .LBB95_139
; %bb.138:
	buffer_load_dword v66, off, s[0:3], 0 offset:240
	buffer_load_dword v67, off, s[0:3], 0 offset:244
	v_mov_b32_e32 v68, 0
	buffer_store_dword v68, off, s[0:3], 0 offset:240
	buffer_store_dword v68, off, s[0:3], 0 offset:244
	s_waitcnt vmcnt(2)
	ds_write_b64 v65, v[66:67]
.LBB95_139:
	s_or_b64 exec, exec, s[4:5]
	s_waitcnt lgkmcnt(0)
	; wave barrier
	buffer_load_dword v67, off, s[0:3], 0 offset:248
	buffer_load_dword v68, off, s[0:3], 0 offset:252
	;; [unrolled: 1-line block ×4, first 2 shown]
	v_mov_b32_e32 v66, 0
	ds_read_b64 v[71:72], v66 offset:504
	v_cmp_lt_u32_e32 vcc, 29, v0
	s_waitcnt vmcnt(2) lgkmcnt(0)
	v_fma_f64 v[67:68], v[67:68], v[71:72], 0
	s_waitcnt vmcnt(0)
	v_add_f64 v[67:68], v[69:70], -v[67:68]
	buffer_store_dword v67, off, s[0:3], 0 offset:240
	buffer_store_dword v68, off, s[0:3], 0 offset:244
	s_and_saveexec_b64 s[4:5], vcc
	s_cbranch_execz .LBB95_141
; %bb.140:
	buffer_load_dword v67, off, s[0:3], 0 offset:232
	buffer_load_dword v68, off, s[0:3], 0 offset:236
	s_waitcnt vmcnt(0)
	ds_write_b64 v65, v[67:68]
	buffer_store_dword v66, off, s[0:3], 0 offset:232
	buffer_store_dword v66, off, s[0:3], 0 offset:236
.LBB95_141:
	s_or_b64 exec, exec, s[4:5]
	s_waitcnt lgkmcnt(0)
	; wave barrier
	buffer_load_dword v70, off, s[0:3], 0 offset:240
	buffer_load_dword v71, off, s[0:3], 0 offset:244
	;; [unrolled: 1-line block ×6, first 2 shown]
	ds_read_b128 v[66:69], v66 offset:496
	v_cmp_lt_u32_e32 vcc, 28, v0
	s_waitcnt vmcnt(4) lgkmcnt(0)
	v_fma_f64 v[66:67], v[70:71], v[66:67], 0
	s_waitcnt vmcnt(2)
	v_fma_f64 v[66:67], v[72:73], v[68:69], v[66:67]
	s_waitcnt vmcnt(0)
	v_add_f64 v[66:67], v[74:75], -v[66:67]
	buffer_store_dword v66, off, s[0:3], 0 offset:232
	buffer_store_dword v67, off, s[0:3], 0 offset:236
	s_and_saveexec_b64 s[4:5], vcc
	s_cbranch_execz .LBB95_143
; %bb.142:
	buffer_load_dword v66, off, s[0:3], 0 offset:224
	buffer_load_dword v67, off, s[0:3], 0 offset:228
	v_mov_b32_e32 v68, 0
	buffer_store_dword v68, off, s[0:3], 0 offset:224
	buffer_store_dword v68, off, s[0:3], 0 offset:228
	s_waitcnt vmcnt(2)
	ds_write_b64 v65, v[66:67]
.LBB95_143:
	s_or_b64 exec, exec, s[4:5]
	s_waitcnt lgkmcnt(0)
	; wave barrier
	buffer_load_dword v71, off, s[0:3], 0 offset:232
	buffer_load_dword v72, off, s[0:3], 0 offset:236
	;; [unrolled: 1-line block ×8, first 2 shown]
	v_mov_b32_e32 v66, 0
	ds_read2_b64 v[67:70], v66 offset0:61 offset1:62
	ds_read_b64 v[79:80], v66 offset:504
	v_cmp_lt_u32_e32 vcc, 27, v0
	s_waitcnt vmcnt(6) lgkmcnt(1)
	v_fma_f64 v[67:68], v[71:72], v[67:68], 0
	s_waitcnt vmcnt(4)
	v_fma_f64 v[67:68], v[73:74], v[69:70], v[67:68]
	s_waitcnt vmcnt(2) lgkmcnt(0)
	v_fma_f64 v[67:68], v[75:76], v[79:80], v[67:68]
	s_waitcnt vmcnt(0)
	v_add_f64 v[67:68], v[77:78], -v[67:68]
	buffer_store_dword v67, off, s[0:3], 0 offset:224
	buffer_store_dword v68, off, s[0:3], 0 offset:228
	s_and_saveexec_b64 s[4:5], vcc
	s_cbranch_execz .LBB95_145
; %bb.144:
	buffer_load_dword v67, off, s[0:3], 0 offset:216
	buffer_load_dword v68, off, s[0:3], 0 offset:220
	s_waitcnt vmcnt(0)
	ds_write_b64 v65, v[67:68]
	buffer_store_dword v66, off, s[0:3], 0 offset:216
	buffer_store_dword v66, off, s[0:3], 0 offset:220
.LBB95_145:
	s_or_b64 exec, exec, s[4:5]
	s_waitcnt lgkmcnt(0)
	; wave barrier
	buffer_load_dword v71, off, s[0:3], 0 offset:224
	buffer_load_dword v72, off, s[0:3], 0 offset:228
	;; [unrolled: 1-line block ×10, first 2 shown]
	ds_read_b128 v[67:70], v66 offset:480
	v_cmp_lt_u32_e32 vcc, 26, v0
	s_waitcnt vmcnt(8) lgkmcnt(0)
	v_fma_f64 v[67:68], v[71:72], v[67:68], 0
	s_waitcnt vmcnt(6)
	v_fma_f64 v[70:71], v[73:74], v[69:70], v[67:68]
	ds_read_b128 v[66:69], v66 offset:496
	s_waitcnt vmcnt(4) lgkmcnt(0)
	v_fma_f64 v[66:67], v[75:76], v[66:67], v[70:71]
	s_waitcnt vmcnt(2)
	v_fma_f64 v[66:67], v[77:78], v[68:69], v[66:67]
	s_waitcnt vmcnt(0)
	v_add_f64 v[66:67], v[79:80], -v[66:67]
	buffer_store_dword v66, off, s[0:3], 0 offset:216
	buffer_store_dword v67, off, s[0:3], 0 offset:220
	s_and_saveexec_b64 s[4:5], vcc
	s_cbranch_execz .LBB95_147
; %bb.146:
	buffer_load_dword v66, off, s[0:3], 0 offset:208
	buffer_load_dword v67, off, s[0:3], 0 offset:212
	v_mov_b32_e32 v68, 0
	buffer_store_dword v68, off, s[0:3], 0 offset:208
	buffer_store_dword v68, off, s[0:3], 0 offset:212
	s_waitcnt vmcnt(2)
	ds_write_b64 v65, v[66:67]
.LBB95_147:
	s_or_b64 exec, exec, s[4:5]
	s_waitcnt lgkmcnt(0)
	; wave barrier
	buffer_load_dword v71, off, s[0:3], 0 offset:216
	buffer_load_dword v72, off, s[0:3], 0 offset:220
	;; [unrolled: 1-line block ×12, first 2 shown]
	v_mov_b32_e32 v66, 0
	ds_read2_b64 v[67:70], v66 offset0:59 offset1:60
	v_cmp_lt_u32_e32 vcc, 25, v0
	s_waitcnt vmcnt(10) lgkmcnt(0)
	v_fma_f64 v[67:68], v[71:72], v[67:68], 0
	s_waitcnt vmcnt(8)
	v_fma_f64 v[71:72], v[73:74], v[69:70], v[67:68]
	ds_read2_b64 v[67:70], v66 offset0:61 offset1:62
	s_waitcnt vmcnt(6) lgkmcnt(0)
	v_fma_f64 v[67:68], v[75:76], v[67:68], v[71:72]
	s_waitcnt vmcnt(4)
	v_fma_f64 v[67:68], v[77:78], v[69:70], v[67:68]
	ds_read_b64 v[69:70], v66 offset:504
	s_waitcnt vmcnt(2) lgkmcnt(0)
	v_fma_f64 v[67:68], v[79:80], v[69:70], v[67:68]
	s_waitcnt vmcnt(0)
	v_add_f64 v[67:68], v[81:82], -v[67:68]
	buffer_store_dword v67, off, s[0:3], 0 offset:208
	buffer_store_dword v68, off, s[0:3], 0 offset:212
	s_and_saveexec_b64 s[4:5], vcc
	s_cbranch_execz .LBB95_149
; %bb.148:
	buffer_load_dword v67, off, s[0:3], 0 offset:200
	buffer_load_dword v68, off, s[0:3], 0 offset:204
	s_waitcnt vmcnt(0)
	ds_write_b64 v65, v[67:68]
	buffer_store_dword v66, off, s[0:3], 0 offset:200
	buffer_store_dword v66, off, s[0:3], 0 offset:204
.LBB95_149:
	s_or_b64 exec, exec, s[4:5]
	s_waitcnt lgkmcnt(0)
	; wave barrier
	buffer_load_dword v75, off, s[0:3], 0 offset:208
	buffer_load_dword v76, off, s[0:3], 0 offset:212
	;; [unrolled: 1-line block ×14, first 2 shown]
	ds_read_b128 v[67:70], v66 offset:464
	ds_read_b128 v[71:74], v66 offset:480
	v_cmp_lt_u32_e32 vcc, 24, v0
	s_waitcnt vmcnt(12) lgkmcnt(1)
	v_fma_f64 v[67:68], v[75:76], v[67:68], 0
	s_waitcnt vmcnt(10)
	v_fma_f64 v[67:68], v[77:78], v[69:70], v[67:68]
	s_waitcnt vmcnt(8) lgkmcnt(0)
	v_fma_f64 v[67:68], v[79:80], v[71:72], v[67:68]
	s_waitcnt vmcnt(6)
	v_fma_f64 v[70:71], v[81:82], v[73:74], v[67:68]
	ds_read_b128 v[66:69], v66 offset:496
	s_waitcnt vmcnt(4) lgkmcnt(0)
	v_fma_f64 v[66:67], v[83:84], v[66:67], v[70:71]
	s_waitcnt vmcnt(2)
	v_fma_f64 v[66:67], v[85:86], v[68:69], v[66:67]
	s_waitcnt vmcnt(0)
	v_add_f64 v[66:67], v[87:88], -v[66:67]
	buffer_store_dword v66, off, s[0:3], 0 offset:200
	buffer_store_dword v67, off, s[0:3], 0 offset:204
	s_and_saveexec_b64 s[4:5], vcc
	s_cbranch_execz .LBB95_151
; %bb.150:
	buffer_load_dword v66, off, s[0:3], 0 offset:192
	buffer_load_dword v67, off, s[0:3], 0 offset:196
	v_mov_b32_e32 v68, 0
	buffer_store_dword v68, off, s[0:3], 0 offset:192
	buffer_store_dword v68, off, s[0:3], 0 offset:196
	s_waitcnt vmcnt(2)
	ds_write_b64 v65, v[66:67]
.LBB95_151:
	s_or_b64 exec, exec, s[4:5]
	s_waitcnt lgkmcnt(0)
	; wave barrier
	buffer_load_dword v75, off, s[0:3], 0 offset:200
	buffer_load_dword v76, off, s[0:3], 0 offset:204
	;; [unrolled: 1-line block ×16, first 2 shown]
	v_mov_b32_e32 v66, 0
	ds_read2_b64 v[67:70], v66 offset0:57 offset1:58
	ds_read2_b64 v[71:74], v66 offset0:59 offset1:60
	v_cmp_lt_u32_e32 vcc, 23, v0
	s_waitcnt vmcnt(14) lgkmcnt(1)
	v_fma_f64 v[67:68], v[75:76], v[67:68], 0
	s_waitcnt vmcnt(12)
	v_fma_f64 v[67:68], v[77:78], v[69:70], v[67:68]
	s_waitcnt vmcnt(10) lgkmcnt(0)
	v_fma_f64 v[67:68], v[79:80], v[71:72], v[67:68]
	s_waitcnt vmcnt(8)
	v_fma_f64 v[71:72], v[81:82], v[73:74], v[67:68]
	ds_read2_b64 v[67:70], v66 offset0:61 offset1:62
	ds_read_b64 v[73:74], v66 offset:504
	s_waitcnt vmcnt(6) lgkmcnt(1)
	v_fma_f64 v[67:68], v[83:84], v[67:68], v[71:72]
	s_waitcnt vmcnt(4)
	v_fma_f64 v[67:68], v[85:86], v[69:70], v[67:68]
	s_waitcnt vmcnt(2) lgkmcnt(0)
	v_fma_f64 v[67:68], v[87:88], v[73:74], v[67:68]
	s_waitcnt vmcnt(0)
	v_add_f64 v[67:68], v[89:90], -v[67:68]
	buffer_store_dword v67, off, s[0:3], 0 offset:192
	buffer_store_dword v68, off, s[0:3], 0 offset:196
	s_and_saveexec_b64 s[4:5], vcc
	s_cbranch_execz .LBB95_153
; %bb.152:
	buffer_load_dword v67, off, s[0:3], 0 offset:184
	buffer_load_dword v68, off, s[0:3], 0 offset:188
	s_waitcnt vmcnt(0)
	ds_write_b64 v65, v[67:68]
	buffer_store_dword v66, off, s[0:3], 0 offset:184
	buffer_store_dword v66, off, s[0:3], 0 offset:188
.LBB95_153:
	s_or_b64 exec, exec, s[4:5]
	s_waitcnt lgkmcnt(0)
	; wave barrier
	buffer_load_dword v75, off, s[0:3], 0 offset:192
	buffer_load_dword v76, off, s[0:3], 0 offset:196
	;; [unrolled: 1-line block ×18, first 2 shown]
	ds_read_b128 v[67:70], v66 offset:448
	ds_read_b128 v[71:74], v66 offset:464
	v_cmp_lt_u32_e32 vcc, 22, v0
	s_waitcnt vmcnt(16) lgkmcnt(1)
	v_fma_f64 v[67:68], v[75:76], v[67:68], 0
	s_waitcnt vmcnt(14)
	v_fma_f64 v[67:68], v[77:78], v[69:70], v[67:68]
	s_waitcnt vmcnt(12) lgkmcnt(0)
	v_fma_f64 v[67:68], v[79:80], v[71:72], v[67:68]
	s_waitcnt vmcnt(10)
	v_fma_f64 v[75:76], v[81:82], v[73:74], v[67:68]
	ds_read_b128 v[67:70], v66 offset:480
	ds_read_b128 v[71:74], v66 offset:496
	s_waitcnt vmcnt(8) lgkmcnt(1)
	v_fma_f64 v[66:67], v[83:84], v[67:68], v[75:76]
	s_waitcnt vmcnt(6)
	v_fma_f64 v[66:67], v[85:86], v[69:70], v[66:67]
	s_waitcnt vmcnt(4) lgkmcnt(0)
	v_fma_f64 v[66:67], v[87:88], v[71:72], v[66:67]
	s_waitcnt vmcnt(2)
	v_fma_f64 v[66:67], v[89:90], v[73:74], v[66:67]
	s_waitcnt vmcnt(0)
	v_add_f64 v[66:67], v[91:92], -v[66:67]
	buffer_store_dword v66, off, s[0:3], 0 offset:184
	buffer_store_dword v67, off, s[0:3], 0 offset:188
	s_and_saveexec_b64 s[4:5], vcc
	s_cbranch_execz .LBB95_155
; %bb.154:
	buffer_load_dword v66, off, s[0:3], 0 offset:176
	buffer_load_dword v67, off, s[0:3], 0 offset:180
	v_mov_b32_e32 v68, 0
	buffer_store_dword v68, off, s[0:3], 0 offset:176
	buffer_store_dword v68, off, s[0:3], 0 offset:180
	s_waitcnt vmcnt(2)
	ds_write_b64 v65, v[66:67]
.LBB95_155:
	s_or_b64 exec, exec, s[4:5]
	s_waitcnt lgkmcnt(0)
	; wave barrier
	buffer_load_dword v75, off, s[0:3], 0 offset:184
	buffer_load_dword v76, off, s[0:3], 0 offset:188
	;; [unrolled: 1-line block ×20, first 2 shown]
	v_mov_b32_e32 v66, 0
	ds_read2_b64 v[67:70], v66 offset0:55 offset1:56
	ds_read2_b64 v[71:74], v66 offset0:57 offset1:58
	v_cmp_lt_u32_e32 vcc, 21, v0
	s_waitcnt vmcnt(18) lgkmcnt(1)
	v_fma_f64 v[67:68], v[75:76], v[67:68], 0
	s_waitcnt vmcnt(16)
	v_fma_f64 v[67:68], v[77:78], v[69:70], v[67:68]
	s_waitcnt vmcnt(14) lgkmcnt(0)
	v_fma_f64 v[67:68], v[79:80], v[71:72], v[67:68]
	s_waitcnt vmcnt(12)
	v_fma_f64 v[75:76], v[81:82], v[73:74], v[67:68]
	ds_read2_b64 v[67:70], v66 offset0:59 offset1:60
	ds_read2_b64 v[71:74], v66 offset0:61 offset1:62
	s_waitcnt vmcnt(10) lgkmcnt(1)
	v_fma_f64 v[67:68], v[83:84], v[67:68], v[75:76]
	s_waitcnt vmcnt(8)
	v_fma_f64 v[67:68], v[85:86], v[69:70], v[67:68]
	ds_read_b64 v[69:70], v66 offset:504
	s_waitcnt vmcnt(6) lgkmcnt(1)
	v_fma_f64 v[67:68], v[87:88], v[71:72], v[67:68]
	s_waitcnt vmcnt(3)
	v_fma_f64 v[67:68], v[89:90], v[73:74], v[67:68]
	s_waitcnt vmcnt(2) lgkmcnt(0)
	v_fma_f64 v[67:68], v[91:92], v[69:70], v[67:68]
	s_waitcnt vmcnt(0)
	v_add_f64 v[67:68], v[93:94], -v[67:68]
	buffer_store_dword v67, off, s[0:3], 0 offset:176
	buffer_store_dword v68, off, s[0:3], 0 offset:180
	s_and_saveexec_b64 s[4:5], vcc
	s_cbranch_execz .LBB95_157
; %bb.156:
	buffer_load_dword v67, off, s[0:3], 0 offset:168
	buffer_load_dword v68, off, s[0:3], 0 offset:172
	s_waitcnt vmcnt(0)
	ds_write_b64 v65, v[67:68]
	buffer_store_dword v66, off, s[0:3], 0 offset:168
	buffer_store_dword v66, off, s[0:3], 0 offset:172
.LBB95_157:
	s_or_b64 exec, exec, s[4:5]
	s_waitcnt lgkmcnt(0)
	; wave barrier
	buffer_load_dword v75, off, s[0:3], 0 offset:176
	buffer_load_dword v76, off, s[0:3], 0 offset:180
	;; [unrolled: 1-line block ×20, first 2 shown]
	ds_read_b128 v[67:70], v66 offset:432
	buffer_load_dword v95, off, s[0:3], 0 offset:168
	buffer_load_dword v96, off, s[0:3], 0 offset:172
	ds_read_b128 v[71:74], v66 offset:448
	v_cmp_lt_u32_e32 vcc, 20, v0
	s_waitcnt vmcnt(20) lgkmcnt(1)
	v_fma_f64 v[67:68], v[75:76], v[67:68], 0
	s_waitcnt vmcnt(18)
	v_fma_f64 v[67:68], v[77:78], v[69:70], v[67:68]
	s_waitcnt vmcnt(16) lgkmcnt(0)
	v_fma_f64 v[67:68], v[79:80], v[71:72], v[67:68]
	s_waitcnt vmcnt(14)
	v_fma_f64 v[75:76], v[81:82], v[73:74], v[67:68]
	ds_read_b128 v[67:70], v66 offset:464
	ds_read_b128 v[71:74], v66 offset:480
	s_waitcnt vmcnt(12) lgkmcnt(1)
	v_fma_f64 v[67:68], v[83:84], v[67:68], v[75:76]
	s_waitcnt vmcnt(10)
	v_fma_f64 v[67:68], v[85:86], v[69:70], v[67:68]
	s_waitcnt vmcnt(8) lgkmcnt(0)
	v_fma_f64 v[67:68], v[87:88], v[71:72], v[67:68]
	s_waitcnt vmcnt(4)
	v_fma_f64 v[70:71], v[89:90], v[73:74], v[67:68]
	ds_read_b128 v[66:69], v66 offset:496
	s_waitcnt vmcnt(3) lgkmcnt(0)
	v_fma_f64 v[66:67], v[93:94], v[66:67], v[70:71]
	s_waitcnt vmcnt(2)
	v_fma_f64 v[66:67], v[91:92], v[68:69], v[66:67]
	s_waitcnt vmcnt(0)
	v_add_f64 v[66:67], v[95:96], -v[66:67]
	buffer_store_dword v66, off, s[0:3], 0 offset:168
	buffer_store_dword v67, off, s[0:3], 0 offset:172
	s_and_saveexec_b64 s[4:5], vcc
	s_cbranch_execz .LBB95_159
; %bb.158:
	buffer_load_dword v66, off, s[0:3], 0 offset:160
	buffer_load_dword v67, off, s[0:3], 0 offset:164
	v_mov_b32_e32 v68, 0
	buffer_store_dword v68, off, s[0:3], 0 offset:160
	buffer_store_dword v68, off, s[0:3], 0 offset:164
	s_waitcnt vmcnt(2)
	ds_write_b64 v65, v[66:67]
.LBB95_159:
	s_or_b64 exec, exec, s[4:5]
	s_waitcnt lgkmcnt(0)
	; wave barrier
	buffer_load_dword v75, off, s[0:3], 0 offset:168
	buffer_load_dword v76, off, s[0:3], 0 offset:172
	;; [unrolled: 1-line block ×21, first 2 shown]
	v_mov_b32_e32 v66, 0
	ds_read2_b64 v[67:70], v66 offset0:53 offset1:54
	ds_read2_b64 v[71:74], v66 offset0:55 offset1:56
	buffer_load_dword v92, off, s[0:3], 0 offset:252
	v_cmp_lt_u32_e32 vcc, 19, v0
	s_waitcnt vmcnt(20) lgkmcnt(1)
	v_fma_f64 v[67:68], v[75:76], v[67:68], 0
	buffer_load_dword v75, off, s[0:3], 0 offset:160
	buffer_load_dword v76, off, s[0:3], 0 offset:164
	s_waitcnt vmcnt(20)
	v_fma_f64 v[67:68], v[77:78], v[69:70], v[67:68]
	s_waitcnt vmcnt(18) lgkmcnt(0)
	v_fma_f64 v[67:68], v[79:80], v[71:72], v[67:68]
	s_waitcnt vmcnt(16)
	v_fma_f64 v[77:78], v[81:82], v[73:74], v[67:68]
	ds_read2_b64 v[67:70], v66 offset0:57 offset1:58
	ds_read2_b64 v[71:74], v66 offset0:59 offset1:60
	s_waitcnt vmcnt(14) lgkmcnt(1)
	v_fma_f64 v[67:68], v[83:84], v[67:68], v[77:78]
	s_waitcnt vmcnt(12)
	v_fma_f64 v[67:68], v[85:86], v[69:70], v[67:68]
	s_waitcnt vmcnt(10) lgkmcnt(0)
	v_fma_f64 v[67:68], v[87:88], v[71:72], v[67:68]
	s_waitcnt vmcnt(5)
	v_fma_f64 v[71:72], v[89:90], v[73:74], v[67:68]
	ds_read2_b64 v[67:70], v66 offset0:61 offset1:62
	ds_read_b64 v[73:74], v66 offset:504
	s_waitcnt vmcnt(4) lgkmcnt(1)
	v_fma_f64 v[67:68], v[95:96], v[67:68], v[71:72]
	s_waitcnt vmcnt(3)
	v_fma_f64 v[67:68], v[93:94], v[69:70], v[67:68]
	s_waitcnt vmcnt(2) lgkmcnt(0)
	v_fma_f64 v[67:68], v[91:92], v[73:74], v[67:68]
	s_waitcnt vmcnt(0)
	v_add_f64 v[67:68], v[75:76], -v[67:68]
	buffer_store_dword v68, off, s[0:3], 0 offset:164
	buffer_store_dword v67, off, s[0:3], 0 offset:160
	s_and_saveexec_b64 s[4:5], vcc
	s_cbranch_execz .LBB95_161
; %bb.160:
	buffer_load_dword v67, off, s[0:3], 0 offset:152
	buffer_load_dword v68, off, s[0:3], 0 offset:156
	s_waitcnt vmcnt(0)
	ds_write_b64 v65, v[67:68]
	buffer_store_dword v66, off, s[0:3], 0 offset:152
	buffer_store_dword v66, off, s[0:3], 0 offset:156
.LBB95_161:
	s_or_b64 exec, exec, s[4:5]
	s_waitcnt lgkmcnt(0)
	; wave barrier
	buffer_load_dword v75, off, s[0:3], 0 offset:160
	buffer_load_dword v76, off, s[0:3], 0 offset:164
	;; [unrolled: 1-line block ×21, first 2 shown]
	ds_read_b128 v[67:70], v66 offset:416
	ds_read_b128 v[71:74], v66 offset:432
	buffer_load_dword v92, off, s[0:3], 0 offset:244
	v_cmp_lt_u32_e32 vcc, 18, v0
	s_waitcnt vmcnt(20) lgkmcnt(1)
	v_fma_f64 v[67:68], v[75:76], v[67:68], 0
	buffer_load_dword v76, off, s[0:3], 0 offset:252
	buffer_load_dword v75, off, s[0:3], 0 offset:248
	s_waitcnt vmcnt(20)
	v_fma_f64 v[67:68], v[77:78], v[69:70], v[67:68]
	buffer_load_dword v77, off, s[0:3], 0 offset:152
	buffer_load_dword v78, off, s[0:3], 0 offset:156
	s_waitcnt vmcnt(20) lgkmcnt(0)
	v_fma_f64 v[67:68], v[79:80], v[71:72], v[67:68]
	s_waitcnt vmcnt(18)
	v_fma_f64 v[79:80], v[81:82], v[73:74], v[67:68]
	ds_read_b128 v[67:70], v66 offset:448
	ds_read_b128 v[71:74], v66 offset:464
	s_waitcnt vmcnt(16) lgkmcnt(1)
	v_fma_f64 v[67:68], v[83:84], v[67:68], v[79:80]
	s_waitcnt vmcnt(14)
	v_fma_f64 v[67:68], v[85:86], v[69:70], v[67:68]
	s_waitcnt vmcnt(12) lgkmcnt(0)
	v_fma_f64 v[67:68], v[87:88], v[71:72], v[67:68]
	s_waitcnt vmcnt(7)
	v_fma_f64 v[79:80], v[89:90], v[73:74], v[67:68]
	ds_read_b128 v[67:70], v66 offset:480
	ds_read_b128 v[71:74], v66 offset:496
	s_waitcnt vmcnt(6) lgkmcnt(1)
	v_fma_f64 v[66:67], v[95:96], v[67:68], v[79:80]
	s_waitcnt vmcnt(5)
	v_fma_f64 v[66:67], v[93:94], v[69:70], v[66:67]
	s_waitcnt vmcnt(4) lgkmcnt(0)
	v_fma_f64 v[66:67], v[91:92], v[71:72], v[66:67]
	s_waitcnt vmcnt(2)
	v_fma_f64 v[66:67], v[75:76], v[73:74], v[66:67]
	s_waitcnt vmcnt(0)
	v_add_f64 v[66:67], v[77:78], -v[66:67]
	buffer_store_dword v67, off, s[0:3], 0 offset:156
	buffer_store_dword v66, off, s[0:3], 0 offset:152
	s_and_saveexec_b64 s[4:5], vcc
	s_cbranch_execz .LBB95_163
; %bb.162:
	buffer_load_dword v66, off, s[0:3], 0 offset:144
	buffer_load_dword v67, off, s[0:3], 0 offset:148
	v_mov_b32_e32 v68, 0
	buffer_store_dword v68, off, s[0:3], 0 offset:144
	buffer_store_dword v68, off, s[0:3], 0 offset:148
	s_waitcnt vmcnt(2)
	ds_write_b64 v65, v[66:67]
.LBB95_163:
	s_or_b64 exec, exec, s[4:5]
	s_waitcnt lgkmcnt(0)
	; wave barrier
	buffer_load_dword v75, off, s[0:3], 0 offset:152
	buffer_load_dword v76, off, s[0:3], 0 offset:156
	;; [unrolled: 1-line block ×21, first 2 shown]
	v_mov_b32_e32 v66, 0
	ds_read2_b64 v[67:70], v66 offset0:51 offset1:52
	ds_read2_b64 v[71:74], v66 offset0:53 offset1:54
	buffer_load_dword v92, off, s[0:3], 0 offset:236
	v_cmp_lt_u32_e32 vcc, 17, v0
	s_waitcnt vmcnt(20) lgkmcnt(1)
	v_fma_f64 v[67:68], v[75:76], v[67:68], 0
	s_waitcnt vmcnt(18)
	v_fma_f64 v[67:68], v[77:78], v[69:70], v[67:68]
	buffer_load_dword v76, off, s[0:3], 0 offset:244
	buffer_load_dword v77, off, s[0:3], 0 offset:248
	;; [unrolled: 1-line block ×4, first 2 shown]
	s_waitcnt vmcnt(20) lgkmcnt(0)
	v_fma_f64 v[67:68], v[79:80], v[71:72], v[67:68]
	buffer_load_dword v79, off, s[0:3], 0 offset:144
	buffer_load_dword v80, off, s[0:3], 0 offset:148
	s_waitcnt vmcnt(20)
	v_fma_f64 v[81:82], v[81:82], v[73:74], v[67:68]
	ds_read2_b64 v[67:70], v66 offset0:55 offset1:56
	ds_read2_b64 v[71:74], v66 offset0:57 offset1:58
	s_waitcnt vmcnt(18) lgkmcnt(1)
	v_fma_f64 v[67:68], v[83:84], v[67:68], v[81:82]
	s_waitcnt vmcnt(16)
	v_fma_f64 v[67:68], v[85:86], v[69:70], v[67:68]
	s_waitcnt vmcnt(14) lgkmcnt(0)
	v_fma_f64 v[67:68], v[87:88], v[71:72], v[67:68]
	s_waitcnt vmcnt(9)
	v_fma_f64 v[81:82], v[89:90], v[73:74], v[67:68]
	ds_read2_b64 v[67:70], v66 offset0:59 offset1:60
	ds_read2_b64 v[71:74], v66 offset0:61 offset1:62
	s_waitcnt vmcnt(8) lgkmcnt(1)
	v_fma_f64 v[67:68], v[95:96], v[67:68], v[81:82]
	s_waitcnt vmcnt(7)
	v_fma_f64 v[67:68], v[93:94], v[69:70], v[67:68]
	ds_read_b64 v[69:70], v66 offset:504
	s_waitcnt vmcnt(6) lgkmcnt(1)
	v_fma_f64 v[67:68], v[91:92], v[71:72], v[67:68]
	s_waitcnt vmcnt(3)
	v_fma_f64 v[67:68], v[75:76], v[73:74], v[67:68]
	s_waitcnt vmcnt(2) lgkmcnt(0)
	v_fma_f64 v[67:68], v[77:78], v[69:70], v[67:68]
	s_waitcnt vmcnt(0)
	v_add_f64 v[67:68], v[79:80], -v[67:68]
	buffer_store_dword v68, off, s[0:3], 0 offset:148
	buffer_store_dword v67, off, s[0:3], 0 offset:144
	s_and_saveexec_b64 s[4:5], vcc
	s_cbranch_execz .LBB95_165
; %bb.164:
	buffer_load_dword v67, off, s[0:3], 0 offset:136
	buffer_load_dword v68, off, s[0:3], 0 offset:140
	s_waitcnt vmcnt(0)
	ds_write_b64 v65, v[67:68]
	buffer_store_dword v66, off, s[0:3], 0 offset:136
	buffer_store_dword v66, off, s[0:3], 0 offset:140
.LBB95_165:
	s_or_b64 exec, exec, s[4:5]
	s_waitcnt lgkmcnt(0)
	; wave barrier
	buffer_load_dword v75, off, s[0:3], 0 offset:144
	buffer_load_dword v76, off, s[0:3], 0 offset:148
	;; [unrolled: 1-line block ×22, first 2 shown]
	ds_read_b128 v[67:70], v66 offset:400
	ds_read_b128 v[71:74], v66 offset:416
	v_cmp_lt_u32_e32 vcc, 16, v0
	s_waitcnt vmcnt(20) lgkmcnt(1)
	v_fma_f64 v[67:68], v[75:76], v[67:68], 0
	s_waitcnt vmcnt(18)
	v_fma_f64 v[67:68], v[77:78], v[69:70], v[67:68]
	buffer_load_dword v76, off, s[0:3], 0 offset:236
	buffer_load_dword v77, off, s[0:3], 0 offset:248
	;; [unrolled: 1-line block ×6, first 2 shown]
	s_waitcnt vmcnt(22) lgkmcnt(0)
	v_fma_f64 v[67:68], v[79:80], v[71:72], v[67:68]
	s_waitcnt vmcnt(20)
	v_fma_f64 v[79:80], v[81:82], v[73:74], v[67:68]
	ds_read_b128 v[67:70], v66 offset:432
	buffer_load_dword v81, off, s[0:3], 0 offset:136
	buffer_load_dword v82, off, s[0:3], 0 offset:140
	ds_read_b128 v[71:74], v66 offset:448
	s_waitcnt vmcnt(20) lgkmcnt(1)
	v_fma_f64 v[67:68], v[83:84], v[67:68], v[79:80]
	s_waitcnt vmcnt(18)
	v_fma_f64 v[67:68], v[85:86], v[69:70], v[67:68]
	s_waitcnt vmcnt(16) lgkmcnt(0)
	v_fma_f64 v[67:68], v[87:88], v[71:72], v[67:68]
	s_waitcnt vmcnt(11)
	v_fma_f64 v[79:80], v[89:90], v[73:74], v[67:68]
	ds_read_b128 v[67:70], v66 offset:464
	ds_read_b128 v[71:74], v66 offset:480
	s_waitcnt vmcnt(10) lgkmcnt(1)
	v_fma_f64 v[67:68], v[95:96], v[67:68], v[79:80]
	s_waitcnt vmcnt(9)
	v_fma_f64 v[67:68], v[93:94], v[69:70], v[67:68]
	s_waitcnt vmcnt(8) lgkmcnt(0)
	v_fma_f64 v[67:68], v[91:92], v[71:72], v[67:68]
	s_waitcnt vmcnt(4)
	v_fma_f64 v[70:71], v[75:76], v[73:74], v[67:68]
	ds_read_b128 v[66:69], v66 offset:496
	s_waitcnt vmcnt(3) lgkmcnt(0)
	v_fma_f64 v[66:67], v[97:98], v[66:67], v[70:71]
	s_waitcnt vmcnt(2)
	v_fma_f64 v[66:67], v[77:78], v[68:69], v[66:67]
	s_waitcnt vmcnt(0)
	v_add_f64 v[66:67], v[81:82], -v[66:67]
	buffer_store_dword v67, off, s[0:3], 0 offset:140
	buffer_store_dword v66, off, s[0:3], 0 offset:136
	s_and_saveexec_b64 s[4:5], vcc
	s_cbranch_execz .LBB95_167
; %bb.166:
	buffer_load_dword v66, off, s[0:3], 0 offset:128
	buffer_load_dword v67, off, s[0:3], 0 offset:132
	v_mov_b32_e32 v68, 0
	buffer_store_dword v68, off, s[0:3], 0 offset:128
	buffer_store_dword v68, off, s[0:3], 0 offset:132
	s_waitcnt vmcnt(2)
	ds_write_b64 v65, v[66:67]
.LBB95_167:
	s_or_b64 exec, exec, s[4:5]
	s_waitcnt lgkmcnt(0)
	; wave barrier
	buffer_load_dword v75, off, s[0:3], 0 offset:136
	buffer_load_dword v76, off, s[0:3], 0 offset:140
	;; [unrolled: 1-line block ×22, first 2 shown]
	v_mov_b32_e32 v66, 0
	ds_read2_b64 v[67:70], v66 offset0:49 offset1:50
	ds_read2_b64 v[71:74], v66 offset0:51 offset1:52
	v_cmp_lt_u32_e32 vcc, 15, v0
	s_waitcnt vmcnt(20) lgkmcnt(1)
	v_fma_f64 v[67:68], v[75:76], v[67:68], 0
	s_waitcnt vmcnt(18)
	v_fma_f64 v[67:68], v[77:78], v[69:70], v[67:68]
	buffer_load_dword v76, off, s[0:3], 0 offset:228
	buffer_load_dword v77, off, s[0:3], 0 offset:248
	;; [unrolled: 1-line block ×8, first 2 shown]
	s_waitcnt vmcnt(24) lgkmcnt(0)
	v_fma_f64 v[67:68], v[79:80], v[71:72], v[67:68]
	s_waitcnt vmcnt(22)
	v_fma_f64 v[79:80], v[81:82], v[73:74], v[67:68]
	ds_read2_b64 v[67:70], v66 offset0:53 offset1:54
	ds_read2_b64 v[71:74], v66 offset0:55 offset1:56
	s_waitcnt vmcnt(20) lgkmcnt(1)
	v_fma_f64 v[67:68], v[83:84], v[67:68], v[79:80]
	buffer_load_dword v79, off, s[0:3], 0 offset:128
	buffer_load_dword v80, off, s[0:3], 0 offset:132
	s_waitcnt vmcnt(20)
	v_fma_f64 v[67:68], v[85:86], v[69:70], v[67:68]
	s_waitcnt vmcnt(18) lgkmcnt(0)
	v_fma_f64 v[67:68], v[87:88], v[71:72], v[67:68]
	s_waitcnt vmcnt(13)
	v_fma_f64 v[81:82], v[89:90], v[73:74], v[67:68]
	ds_read2_b64 v[67:70], v66 offset0:57 offset1:58
	ds_read2_b64 v[71:74], v66 offset0:59 offset1:60
	s_waitcnt vmcnt(12) lgkmcnt(1)
	v_fma_f64 v[67:68], v[95:96], v[67:68], v[81:82]
	s_waitcnt vmcnt(11)
	v_fma_f64 v[67:68], v[93:94], v[69:70], v[67:68]
	s_waitcnt vmcnt(10) lgkmcnt(0)
	v_fma_f64 v[67:68], v[91:92], v[71:72], v[67:68]
	s_waitcnt vmcnt(5)
	v_fma_f64 v[71:72], v[75:76], v[73:74], v[67:68]
	ds_read2_b64 v[67:70], v66 offset0:61 offset1:62
	ds_read_b64 v[73:74], v66 offset:504
	s_waitcnt vmcnt(4) lgkmcnt(1)
	v_fma_f64 v[67:68], v[99:100], v[67:68], v[71:72]
	s_waitcnt vmcnt(3)
	v_fma_f64 v[67:68], v[97:98], v[69:70], v[67:68]
	s_waitcnt vmcnt(2) lgkmcnt(0)
	v_fma_f64 v[67:68], v[77:78], v[73:74], v[67:68]
	s_waitcnt vmcnt(0)
	v_add_f64 v[67:68], v[79:80], -v[67:68]
	buffer_store_dword v68, off, s[0:3], 0 offset:132
	buffer_store_dword v67, off, s[0:3], 0 offset:128
	s_and_saveexec_b64 s[4:5], vcc
	s_cbranch_execz .LBB95_169
; %bb.168:
	buffer_load_dword v67, off, s[0:3], 0 offset:120
	buffer_load_dword v68, off, s[0:3], 0 offset:124
	s_waitcnt vmcnt(0)
	ds_write_b64 v65, v[67:68]
	buffer_store_dword v66, off, s[0:3], 0 offset:120
	buffer_store_dword v66, off, s[0:3], 0 offset:124
.LBB95_169:
	s_or_b64 exec, exec, s[4:5]
	s_waitcnt lgkmcnt(0)
	; wave barrier
	buffer_load_dword v75, off, s[0:3], 0 offset:128
	buffer_load_dword v76, off, s[0:3], 0 offset:132
	;; [unrolled: 1-line block ×22, first 2 shown]
	ds_read_b128 v[67:70], v66 offset:384
	ds_read_b128 v[71:74], v66 offset:400
	v_cmp_lt_u32_e32 vcc, 14, v0
	s_waitcnt vmcnt(20) lgkmcnt(1)
	v_fma_f64 v[67:68], v[75:76], v[67:68], 0
	s_waitcnt vmcnt(18)
	v_fma_f64 v[67:68], v[77:78], v[69:70], v[67:68]
	buffer_load_dword v76, off, s[0:3], 0 offset:220
	buffer_load_dword v77, off, s[0:3], 0 offset:240
	;; [unrolled: 1-line block ×8, first 2 shown]
	s_waitcnt vmcnt(24) lgkmcnt(0)
	v_fma_f64 v[67:68], v[79:80], v[71:72], v[67:68]
	s_waitcnt vmcnt(22)
	v_fma_f64 v[79:80], v[81:82], v[73:74], v[67:68]
	ds_read_b128 v[67:70], v66 offset:416
	ds_read_b128 v[71:74], v66 offset:432
	s_waitcnt vmcnt(20) lgkmcnt(1)
	v_fma_f64 v[67:68], v[83:84], v[67:68], v[79:80]
	buffer_load_dword v80, off, s[0:3], 0 offset:252
	buffer_load_dword v79, off, s[0:3], 0 offset:248
	;; [unrolled: 1-line block ×4, first 2 shown]
	s_waitcnt vmcnt(22)
	v_fma_f64 v[67:68], v[85:86], v[69:70], v[67:68]
	s_waitcnt vmcnt(20) lgkmcnt(0)
	v_fma_f64 v[67:68], v[87:88], v[71:72], v[67:68]
	s_waitcnt vmcnt(15)
	v_fma_f64 v[83:84], v[89:90], v[73:74], v[67:68]
	ds_read_b128 v[67:70], v66 offset:448
	ds_read_b128 v[71:74], v66 offset:464
	s_waitcnt vmcnt(14) lgkmcnt(1)
	v_fma_f64 v[67:68], v[95:96], v[67:68], v[83:84]
	s_waitcnt vmcnt(13)
	v_fma_f64 v[67:68], v[93:94], v[69:70], v[67:68]
	s_waitcnt vmcnt(12) lgkmcnt(0)
	v_fma_f64 v[67:68], v[91:92], v[71:72], v[67:68]
	s_waitcnt vmcnt(7)
	v_fma_f64 v[75:76], v[75:76], v[73:74], v[67:68]
	ds_read_b128 v[67:70], v66 offset:480
	ds_read_b128 v[71:74], v66 offset:496
	s_waitcnt vmcnt(6) lgkmcnt(1)
	v_fma_f64 v[66:67], v[99:100], v[67:68], v[75:76]
	s_waitcnt vmcnt(5)
	v_fma_f64 v[66:67], v[97:98], v[69:70], v[66:67]
	s_waitcnt vmcnt(4) lgkmcnt(0)
	v_fma_f64 v[66:67], v[77:78], v[71:72], v[66:67]
	s_waitcnt vmcnt(2)
	v_fma_f64 v[66:67], v[79:80], v[73:74], v[66:67]
	s_waitcnt vmcnt(0)
	v_add_f64 v[66:67], v[81:82], -v[66:67]
	buffer_store_dword v67, off, s[0:3], 0 offset:124
	buffer_store_dword v66, off, s[0:3], 0 offset:120
	s_and_saveexec_b64 s[4:5], vcc
	s_cbranch_execz .LBB95_171
; %bb.170:
	buffer_load_dword v66, off, s[0:3], 0 offset:112
	buffer_load_dword v67, off, s[0:3], 0 offset:116
	v_mov_b32_e32 v68, 0
	buffer_store_dword v68, off, s[0:3], 0 offset:112
	buffer_store_dword v68, off, s[0:3], 0 offset:116
	s_waitcnt vmcnt(2)
	ds_write_b64 v65, v[66:67]
.LBB95_171:
	s_or_b64 exec, exec, s[4:5]
	s_waitcnt lgkmcnt(0)
	; wave barrier
	buffer_load_dword v75, off, s[0:3], 0 offset:120
	buffer_load_dword v76, off, s[0:3], 0 offset:124
	;; [unrolled: 1-line block ×22, first 2 shown]
	v_mov_b32_e32 v66, 0
	ds_read2_b64 v[67:70], v66 offset0:47 offset1:48
	ds_read2_b64 v[71:74], v66 offset0:49 offset1:50
	v_cmp_lt_u32_e32 vcc, 13, v0
	s_waitcnt vmcnt(20) lgkmcnt(1)
	v_fma_f64 v[67:68], v[75:76], v[67:68], 0
	s_waitcnt vmcnt(18)
	v_fma_f64 v[67:68], v[77:78], v[69:70], v[67:68]
	buffer_load_dword v76, off, s[0:3], 0 offset:212
	buffer_load_dword v77, off, s[0:3], 0 offset:232
	;; [unrolled: 1-line block ×7, first 2 shown]
	s_waitcnt vmcnt(23) lgkmcnt(0)
	v_fma_f64 v[67:68], v[79:80], v[71:72], v[67:68]
	s_waitcnt vmcnt(21)
	v_fma_f64 v[78:79], v[81:82], v[73:74], v[67:68]
	ds_read2_b64 v[67:70], v66 offset0:51 offset1:52
	ds_read2_b64 v[71:74], v66 offset0:53 offset1:54
	s_waitcnt vmcnt(19) lgkmcnt(1)
	v_fma_f64 v[67:68], v[83:84], v[67:68], v[78:79]
	buffer_load_dword v78, off, s[0:3], 0 offset:236
	buffer_load_dword v80, off, s[0:3], 0 offset:244
	;; [unrolled: 1-line block ×7, first 2 shown]
	s_waitcnt vmcnt(24)
	v_fma_f64 v[67:68], v[85:86], v[69:70], v[67:68]
	s_waitcnt vmcnt(22) lgkmcnt(0)
	v_fma_f64 v[67:68], v[87:88], v[71:72], v[67:68]
	s_waitcnt vmcnt(17)
	v_fma_f64 v[85:86], v[89:90], v[73:74], v[67:68]
	ds_read2_b64 v[67:70], v66 offset0:55 offset1:56
	ds_read2_b64 v[71:74], v66 offset0:57 offset1:58
	s_waitcnt vmcnt(16) lgkmcnt(1)
	v_fma_f64 v[67:68], v[95:96], v[67:68], v[85:86]
	s_waitcnt vmcnt(15)
	v_fma_f64 v[67:68], v[93:94], v[69:70], v[67:68]
	s_waitcnt vmcnt(14) lgkmcnt(0)
	v_fma_f64 v[67:68], v[91:92], v[71:72], v[67:68]
	s_waitcnt vmcnt(9)
	v_fma_f64 v[75:76], v[75:76], v[73:74], v[67:68]
	ds_read2_b64 v[67:70], v66 offset0:59 offset1:60
	ds_read2_b64 v[71:74], v66 offset0:61 offset1:62
	s_waitcnt vmcnt(8) lgkmcnt(1)
	v_fma_f64 v[67:68], v[99:100], v[67:68], v[75:76]
	s_waitcnt vmcnt(7)
	v_fma_f64 v[67:68], v[97:98], v[69:70], v[67:68]
	ds_read_b64 v[69:70], v66 offset:504
	s_waitcnt vmcnt(6) lgkmcnt(1)
	v_fma_f64 v[67:68], v[77:78], v[71:72], v[67:68]
	s_waitcnt vmcnt(3)
	v_fma_f64 v[67:68], v[79:80], v[73:74], v[67:68]
	s_waitcnt vmcnt(2) lgkmcnt(0)
	v_fma_f64 v[67:68], v[81:82], v[69:70], v[67:68]
	s_waitcnt vmcnt(0)
	v_add_f64 v[67:68], v[83:84], -v[67:68]
	buffer_store_dword v68, off, s[0:3], 0 offset:116
	buffer_store_dword v67, off, s[0:3], 0 offset:112
	s_and_saveexec_b64 s[4:5], vcc
	s_cbranch_execz .LBB95_173
; %bb.172:
	buffer_load_dword v67, off, s[0:3], 0 offset:104
	buffer_load_dword v68, off, s[0:3], 0 offset:108
	s_waitcnt vmcnt(0)
	ds_write_b64 v65, v[67:68]
	buffer_store_dword v66, off, s[0:3], 0 offset:104
	buffer_store_dword v66, off, s[0:3], 0 offset:108
.LBB95_173:
	s_or_b64 exec, exec, s[4:5]
	s_waitcnt lgkmcnt(0)
	; wave barrier
	buffer_load_dword v75, off, s[0:3], 0 offset:112
	buffer_load_dword v76, off, s[0:3], 0 offset:116
	;; [unrolled: 1-line block ×22, first 2 shown]
	ds_read_b128 v[67:70], v66 offset:368
	ds_read_b128 v[71:74], v66 offset:384
	v_cmp_lt_u32_e32 vcc, 12, v0
	s_waitcnt vmcnt(20) lgkmcnt(1)
	v_fma_f64 v[67:68], v[75:76], v[67:68], 0
	s_waitcnt vmcnt(18)
	v_fma_f64 v[67:68], v[77:78], v[69:70], v[67:68]
	buffer_load_dword v76, off, s[0:3], 0 offset:204
	buffer_load_dword v77, off, s[0:3], 0 offset:224
	buffer_load_dword v97, off, s[0:3], 0 offset:216
	buffer_load_dword v99, off, s[0:3], 0 offset:208
	buffer_load_dword v75, off, s[0:3], 0 offset:200
	buffer_load_dword v100, off, s[0:3], 0 offset:212
	buffer_load_dword v98, off, s[0:3], 0 offset:220
	s_waitcnt vmcnt(23) lgkmcnt(0)
	v_fma_f64 v[67:68], v[79:80], v[71:72], v[67:68]
	s_waitcnt vmcnt(21)
	v_fma_f64 v[78:79], v[81:82], v[73:74], v[67:68]
	ds_read_b128 v[67:70], v66 offset:400
	ds_read_b128 v[71:74], v66 offset:416
	s_waitcnt vmcnt(19) lgkmcnt(1)
	v_fma_f64 v[67:68], v[83:84], v[67:68], v[78:79]
	buffer_load_dword v78, off, s[0:3], 0 offset:228
	buffer_load_dword v80, off, s[0:3], 0 offset:236
	;; [unrolled: 1-line block ×7, first 2 shown]
	s_waitcnt vmcnt(24)
	v_fma_f64 v[67:68], v[85:86], v[69:70], v[67:68]
	s_waitcnt vmcnt(22) lgkmcnt(0)
	v_fma_f64 v[67:68], v[87:88], v[71:72], v[67:68]
	s_waitcnt vmcnt(17)
	v_fma_f64 v[85:86], v[89:90], v[73:74], v[67:68]
	ds_read_b128 v[67:70], v66 offset:432
	buffer_load_dword v87, off, s[0:3], 0 offset:104
	buffer_load_dword v88, off, s[0:3], 0 offset:108
	ds_read_b128 v[71:74], v66 offset:448
	s_waitcnt vmcnt(18) lgkmcnt(1)
	v_fma_f64 v[67:68], v[95:96], v[67:68], v[85:86]
	s_waitcnt vmcnt(17)
	v_fma_f64 v[67:68], v[93:94], v[69:70], v[67:68]
	s_waitcnt vmcnt(16) lgkmcnt(0)
	v_fma_f64 v[67:68], v[91:92], v[71:72], v[67:68]
	s_waitcnt vmcnt(11)
	v_fma_f64 v[75:76], v[75:76], v[73:74], v[67:68]
	ds_read_b128 v[67:70], v66 offset:464
	ds_read_b128 v[71:74], v66 offset:480
	s_waitcnt vmcnt(10) lgkmcnt(1)
	v_fma_f64 v[67:68], v[99:100], v[67:68], v[75:76]
	s_waitcnt vmcnt(9)
	v_fma_f64 v[67:68], v[97:98], v[69:70], v[67:68]
	s_waitcnt vmcnt(8) lgkmcnt(0)
	v_fma_f64 v[67:68], v[77:78], v[71:72], v[67:68]
	s_waitcnt vmcnt(4)
	v_fma_f64 v[70:71], v[79:80], v[73:74], v[67:68]
	ds_read_b128 v[66:69], v66 offset:496
	s_waitcnt vmcnt(3) lgkmcnt(0)
	v_fma_f64 v[66:67], v[83:84], v[66:67], v[70:71]
	s_waitcnt vmcnt(2)
	v_fma_f64 v[66:67], v[81:82], v[68:69], v[66:67]
	s_waitcnt vmcnt(0)
	v_add_f64 v[66:67], v[87:88], -v[66:67]
	buffer_store_dword v67, off, s[0:3], 0 offset:108
	buffer_store_dword v66, off, s[0:3], 0 offset:104
	s_and_saveexec_b64 s[4:5], vcc
	s_cbranch_execz .LBB95_175
; %bb.174:
	buffer_load_dword v66, off, s[0:3], 0 offset:96
	buffer_load_dword v67, off, s[0:3], 0 offset:100
	v_mov_b32_e32 v68, 0
	buffer_store_dword v68, off, s[0:3], 0 offset:96
	buffer_store_dword v68, off, s[0:3], 0 offset:100
	s_waitcnt vmcnt(2)
	ds_write_b64 v65, v[66:67]
.LBB95_175:
	s_or_b64 exec, exec, s[4:5]
	s_waitcnt lgkmcnt(0)
	; wave barrier
	buffer_load_dword v75, off, s[0:3], 0 offset:104
	buffer_load_dword v76, off, s[0:3], 0 offset:108
	;; [unrolled: 1-line block ×22, first 2 shown]
	v_mov_b32_e32 v66, 0
	ds_read2_b64 v[67:70], v66 offset0:45 offset1:46
	ds_read2_b64 v[71:74], v66 offset0:47 offset1:48
	v_cmp_lt_u32_e32 vcc, 11, v0
	s_waitcnt vmcnt(20) lgkmcnt(1)
	v_fma_f64 v[67:68], v[75:76], v[67:68], 0
	s_waitcnt vmcnt(18)
	v_fma_f64 v[67:68], v[77:78], v[69:70], v[67:68]
	buffer_load_dword v76, off, s[0:3], 0 offset:196
	buffer_load_dword v77, off, s[0:3], 0 offset:216
	;; [unrolled: 1-line block ×7, first 2 shown]
	s_waitcnt vmcnt(23) lgkmcnt(0)
	v_fma_f64 v[67:68], v[79:80], v[71:72], v[67:68]
	s_waitcnt vmcnt(21)
	v_fma_f64 v[78:79], v[81:82], v[73:74], v[67:68]
	ds_read2_b64 v[67:70], v66 offset0:49 offset1:50
	ds_read2_b64 v[71:74], v66 offset0:51 offset1:52
	s_waitcnt vmcnt(19) lgkmcnt(1)
	v_fma_f64 v[67:68], v[83:84], v[67:68], v[78:79]
	buffer_load_dword v78, off, s[0:3], 0 offset:220
	s_waitcnt vmcnt(18)
	v_fma_f64 v[67:68], v[85:86], v[69:70], v[67:68]
	buffer_load_dword v80, off, s[0:3], 0 offset:228
	buffer_load_dword v81, off, s[0:3], 0 offset:248
	;; [unrolled: 1-line block ×8, first 2 shown]
	s_waitcnt vmcnt(24) lgkmcnt(0)
	v_fma_f64 v[67:68], v[87:88], v[71:72], v[67:68]
	s_waitcnt vmcnt(19)
	v_fma_f64 v[87:88], v[89:90], v[73:74], v[67:68]
	ds_read2_b64 v[67:70], v66 offset0:53 offset1:54
	ds_read2_b64 v[71:74], v66 offset0:55 offset1:56
	s_waitcnt vmcnt(18) lgkmcnt(1)
	v_fma_f64 v[67:68], v[95:96], v[67:68], v[87:88]
	buffer_load_dword v87, off, s[0:3], 0 offset:96
	buffer_load_dword v88, off, s[0:3], 0 offset:100
	s_waitcnt vmcnt(19)
	v_fma_f64 v[67:68], v[93:94], v[69:70], v[67:68]
	s_waitcnt vmcnt(18) lgkmcnt(0)
	v_fma_f64 v[67:68], v[91:92], v[71:72], v[67:68]
	s_waitcnt vmcnt(13)
	v_fma_f64 v[75:76], v[75:76], v[73:74], v[67:68]
	ds_read2_b64 v[67:70], v66 offset0:57 offset1:58
	ds_read2_b64 v[71:74], v66 offset0:59 offset1:60
	s_waitcnt vmcnt(12) lgkmcnt(1)
	v_fma_f64 v[67:68], v[99:100], v[67:68], v[75:76]
	s_waitcnt vmcnt(11)
	v_fma_f64 v[67:68], v[97:98], v[69:70], v[67:68]
	s_waitcnt vmcnt(10) lgkmcnt(0)
	v_fma_f64 v[67:68], v[77:78], v[71:72], v[67:68]
	s_waitcnt vmcnt(5)
	v_fma_f64 v[71:72], v[79:80], v[73:74], v[67:68]
	ds_read2_b64 v[67:70], v66 offset0:61 offset1:62
	ds_read_b64 v[73:74], v66 offset:504
	s_waitcnt vmcnt(4) lgkmcnt(1)
	v_fma_f64 v[67:68], v[85:86], v[67:68], v[71:72]
	s_waitcnt vmcnt(3)
	v_fma_f64 v[67:68], v[83:84], v[69:70], v[67:68]
	s_waitcnt vmcnt(2) lgkmcnt(0)
	v_fma_f64 v[67:68], v[81:82], v[73:74], v[67:68]
	s_waitcnt vmcnt(0)
	v_add_f64 v[67:68], v[87:88], -v[67:68]
	buffer_store_dword v68, off, s[0:3], 0 offset:100
	buffer_store_dword v67, off, s[0:3], 0 offset:96
	s_and_saveexec_b64 s[4:5], vcc
	s_cbranch_execz .LBB95_177
; %bb.176:
	buffer_load_dword v67, off, s[0:3], 0 offset:88
	buffer_load_dword v68, off, s[0:3], 0 offset:92
	s_waitcnt vmcnt(0)
	ds_write_b64 v65, v[67:68]
	buffer_store_dword v66, off, s[0:3], 0 offset:88
	buffer_store_dword v66, off, s[0:3], 0 offset:92
.LBB95_177:
	s_or_b64 exec, exec, s[4:5]
	s_waitcnt lgkmcnt(0)
	; wave barrier
	buffer_load_dword v75, off, s[0:3], 0 offset:96
	buffer_load_dword v76, off, s[0:3], 0 offset:100
	;; [unrolled: 1-line block ×22, first 2 shown]
	ds_read_b128 v[67:70], v66 offset:352
	ds_read_b128 v[71:74], v66 offset:368
	v_cmp_lt_u32_e32 vcc, 10, v0
	s_waitcnt vmcnt(20) lgkmcnt(1)
	v_fma_f64 v[67:68], v[75:76], v[67:68], 0
	s_waitcnt vmcnt(18)
	v_fma_f64 v[67:68], v[77:78], v[69:70], v[67:68]
	buffer_load_dword v76, off, s[0:3], 0 offset:188
	buffer_load_dword v77, off, s[0:3], 0 offset:208
	buffer_load_dword v97, off, s[0:3], 0 offset:200
	buffer_load_dword v99, off, s[0:3], 0 offset:192
	buffer_load_dword v75, off, s[0:3], 0 offset:184
	buffer_load_dword v100, off, s[0:3], 0 offset:196
	buffer_load_dword v98, off, s[0:3], 0 offset:204
	s_waitcnt vmcnt(23) lgkmcnt(0)
	v_fma_f64 v[67:68], v[79:80], v[71:72], v[67:68]
	s_waitcnt vmcnt(21)
	v_fma_f64 v[78:79], v[81:82], v[73:74], v[67:68]
	ds_read_b128 v[67:70], v66 offset:384
	ds_read_b128 v[71:74], v66 offset:400
	s_waitcnt vmcnt(19) lgkmcnt(1)
	v_fma_f64 v[67:68], v[83:84], v[67:68], v[78:79]
	buffer_load_dword v78, off, s[0:3], 0 offset:212
	s_waitcnt vmcnt(18)
	v_fma_f64 v[67:68], v[85:86], v[69:70], v[67:68]
	buffer_load_dword v80, off, s[0:3], 0 offset:220
	buffer_load_dword v81, off, s[0:3], 0 offset:240
	;; [unrolled: 1-line block ×8, first 2 shown]
	s_waitcnt vmcnt(24) lgkmcnt(0)
	v_fma_f64 v[67:68], v[87:88], v[71:72], v[67:68]
	s_waitcnt vmcnt(19)
	v_fma_f64 v[87:88], v[89:90], v[73:74], v[67:68]
	ds_read_b128 v[67:70], v66 offset:416
	ds_read_b128 v[71:74], v66 offset:432
	s_waitcnt vmcnt(18) lgkmcnt(1)
	v_fma_f64 v[67:68], v[95:96], v[67:68], v[87:88]
	buffer_load_dword v88, off, s[0:3], 0 offset:252
	buffer_load_dword v87, off, s[0:3], 0 offset:248
	;; [unrolled: 1-line block ×4, first 2 shown]
	s_waitcnt vmcnt(21)
	v_fma_f64 v[67:68], v[93:94], v[69:70], v[67:68]
	s_waitcnt vmcnt(20) lgkmcnt(0)
	v_fma_f64 v[67:68], v[91:92], v[71:72], v[67:68]
	s_waitcnt vmcnt(15)
	v_fma_f64 v[75:76], v[75:76], v[73:74], v[67:68]
	ds_read_b128 v[67:70], v66 offset:448
	ds_read_b128 v[71:74], v66 offset:464
	s_waitcnt vmcnt(14) lgkmcnt(1)
	v_fma_f64 v[67:68], v[99:100], v[67:68], v[75:76]
	s_waitcnt vmcnt(13)
	v_fma_f64 v[67:68], v[97:98], v[69:70], v[67:68]
	s_waitcnt vmcnt(12) lgkmcnt(0)
	v_fma_f64 v[67:68], v[77:78], v[71:72], v[67:68]
	s_waitcnt vmcnt(7)
	v_fma_f64 v[75:76], v[79:80], v[73:74], v[67:68]
	ds_read_b128 v[67:70], v66 offset:480
	ds_read_b128 v[71:74], v66 offset:496
	s_waitcnt vmcnt(6) lgkmcnt(1)
	v_fma_f64 v[66:67], v[85:86], v[67:68], v[75:76]
	s_waitcnt vmcnt(5)
	v_fma_f64 v[66:67], v[83:84], v[69:70], v[66:67]
	s_waitcnt vmcnt(4) lgkmcnt(0)
	v_fma_f64 v[66:67], v[81:82], v[71:72], v[66:67]
	s_waitcnt vmcnt(2)
	v_fma_f64 v[66:67], v[87:88], v[73:74], v[66:67]
	s_waitcnt vmcnt(0)
	v_add_f64 v[66:67], v[89:90], -v[66:67]
	buffer_store_dword v67, off, s[0:3], 0 offset:92
	buffer_store_dword v66, off, s[0:3], 0 offset:88
	s_and_saveexec_b64 s[4:5], vcc
	s_cbranch_execz .LBB95_179
; %bb.178:
	buffer_load_dword v66, off, s[0:3], 0 offset:80
	buffer_load_dword v67, off, s[0:3], 0 offset:84
	v_mov_b32_e32 v68, 0
	buffer_store_dword v68, off, s[0:3], 0 offset:80
	buffer_store_dword v68, off, s[0:3], 0 offset:84
	s_waitcnt vmcnt(2)
	ds_write_b64 v65, v[66:67]
.LBB95_179:
	s_or_b64 exec, exec, s[4:5]
	s_waitcnt lgkmcnt(0)
	; wave barrier
	buffer_load_dword v75, off, s[0:3], 0 offset:88
	buffer_load_dword v76, off, s[0:3], 0 offset:92
	;; [unrolled: 1-line block ×21, first 2 shown]
	v_mov_b32_e32 v66, 0
	ds_read2_b64 v[67:70], v66 offset0:43 offset1:44
	ds_read2_b64 v[71:74], v66 offset0:45 offset1:46
	buffer_load_dword v92, off, s[0:3], 0 offset:172
	v_cmp_lt_u32_e32 vcc, 9, v0
	s_waitcnt vmcnt(20) lgkmcnt(1)
	v_fma_f64 v[67:68], v[75:76], v[67:68], 0
	s_waitcnt vmcnt(18)
	v_fma_f64 v[67:68], v[77:78], v[69:70], v[67:68]
	buffer_load_dword v76, off, s[0:3], 0 offset:180
	buffer_load_dword v77, off, s[0:3], 0 offset:200
	;; [unrolled: 1-line block ×7, first 2 shown]
	s_waitcnt vmcnt(23) lgkmcnt(0)
	v_fma_f64 v[67:68], v[79:80], v[71:72], v[67:68]
	s_waitcnt vmcnt(21)
	v_fma_f64 v[78:79], v[81:82], v[73:74], v[67:68]
	ds_read2_b64 v[67:70], v66 offset0:47 offset1:48
	ds_read2_b64 v[71:74], v66 offset0:49 offset1:50
	s_waitcnt vmcnt(19) lgkmcnt(1)
	v_fma_f64 v[67:68], v[83:84], v[67:68], v[78:79]
	buffer_load_dword v78, off, s[0:3], 0 offset:204
	s_waitcnt vmcnt(18)
	v_fma_f64 v[67:68], v[85:86], v[69:70], v[67:68]
	buffer_load_dword v80, off, s[0:3], 0 offset:212
	buffer_load_dword v81, off, s[0:3], 0 offset:232
	;; [unrolled: 1-line block ×7, first 2 shown]
	s_waitcnt vmcnt(23) lgkmcnt(0)
	v_fma_f64 v[67:68], v[87:88], v[71:72], v[67:68]
	s_waitcnt vmcnt(18)
	v_fma_f64 v[87:88], v[89:90], v[73:74], v[67:68]
	ds_read2_b64 v[67:70], v66 offset0:51 offset1:52
	ds_read2_b64 v[71:74], v66 offset0:53 offset1:54
	buffer_load_dword v82, off, s[0:3], 0 offset:236
	s_waitcnt vmcnt(18) lgkmcnt(1)
	v_fma_f64 v[67:68], v[95:96], v[67:68], v[87:88]
	buffer_load_dword v88, off, s[0:3], 0 offset:244
	buffer_load_dword v89, off, s[0:3], 0 offset:248
	;; [unrolled: 1-line block ×4, first 2 shown]
	s_waitcnt vmcnt(21)
	v_fma_f64 v[67:68], v[93:94], v[69:70], v[67:68]
	s_waitcnt vmcnt(20) lgkmcnt(0)
	v_fma_f64 v[67:68], v[91:92], v[71:72], v[67:68]
	buffer_load_dword v91, off, s[0:3], 0 offset:80
	buffer_load_dword v92, off, s[0:3], 0 offset:84
	s_waitcnt vmcnt(17)
	v_fma_f64 v[75:76], v[75:76], v[73:74], v[67:68]
	ds_read2_b64 v[67:70], v66 offset0:55 offset1:56
	ds_read2_b64 v[71:74], v66 offset0:57 offset1:58
	s_waitcnt vmcnt(16) lgkmcnt(1)
	v_fma_f64 v[67:68], v[99:100], v[67:68], v[75:76]
	s_waitcnt vmcnt(15)
	v_fma_f64 v[67:68], v[97:98], v[69:70], v[67:68]
	s_waitcnt vmcnt(14) lgkmcnt(0)
	v_fma_f64 v[67:68], v[77:78], v[71:72], v[67:68]
	s_waitcnt vmcnt(9)
	v_fma_f64 v[75:76], v[79:80], v[73:74], v[67:68]
	ds_read2_b64 v[67:70], v66 offset0:59 offset1:60
	ds_read2_b64 v[71:74], v66 offset0:61 offset1:62
	s_waitcnt vmcnt(8) lgkmcnt(1)
	v_fma_f64 v[67:68], v[85:86], v[67:68], v[75:76]
	s_waitcnt vmcnt(7)
	v_fma_f64 v[67:68], v[83:84], v[69:70], v[67:68]
	ds_read_b64 v[69:70], v66 offset:504
	s_waitcnt vmcnt(6) lgkmcnt(1)
	v_fma_f64 v[67:68], v[81:82], v[71:72], v[67:68]
	s_waitcnt vmcnt(3)
	v_fma_f64 v[67:68], v[87:88], v[73:74], v[67:68]
	s_waitcnt vmcnt(2) lgkmcnt(0)
	v_fma_f64 v[67:68], v[89:90], v[69:70], v[67:68]
	s_waitcnt vmcnt(0)
	v_add_f64 v[67:68], v[91:92], -v[67:68]
	buffer_store_dword v68, off, s[0:3], 0 offset:84
	buffer_store_dword v67, off, s[0:3], 0 offset:80
	s_and_saveexec_b64 s[4:5], vcc
	s_cbranch_execz .LBB95_181
; %bb.180:
	buffer_load_dword v67, off, s[0:3], 0 offset:72
	buffer_load_dword v68, off, s[0:3], 0 offset:76
	s_waitcnt vmcnt(0)
	ds_write_b64 v65, v[67:68]
	buffer_store_dword v66, off, s[0:3], 0 offset:72
	buffer_store_dword v66, off, s[0:3], 0 offset:76
.LBB95_181:
	s_or_b64 exec, exec, s[4:5]
	s_waitcnt lgkmcnt(0)
	; wave barrier
	buffer_load_dword v75, off, s[0:3], 0 offset:80
	buffer_load_dword v76, off, s[0:3], 0 offset:84
	;; [unrolled: 1-line block ×21, first 2 shown]
	ds_read_b128 v[67:70], v66 offset:336
	ds_read_b128 v[71:74], v66 offset:352
	buffer_load_dword v92, off, s[0:3], 0 offset:164
	v_cmp_lt_u32_e32 vcc, 8, v0
	s_waitcnt vmcnt(20) lgkmcnt(1)
	v_fma_f64 v[67:68], v[75:76], v[67:68], 0
	s_waitcnt vmcnt(18)
	v_fma_f64 v[67:68], v[77:78], v[69:70], v[67:68]
	buffer_load_dword v76, off, s[0:3], 0 offset:172
	buffer_load_dword v77, off, s[0:3], 0 offset:192
	;; [unrolled: 1-line block ×7, first 2 shown]
	s_waitcnt vmcnt(23) lgkmcnt(0)
	v_fma_f64 v[67:68], v[79:80], v[71:72], v[67:68]
	s_waitcnt vmcnt(21)
	v_fma_f64 v[78:79], v[81:82], v[73:74], v[67:68]
	ds_read_b128 v[67:70], v66 offset:368
	ds_read_b128 v[71:74], v66 offset:384
	s_waitcnt vmcnt(19) lgkmcnt(1)
	v_fma_f64 v[67:68], v[83:84], v[67:68], v[78:79]
	buffer_load_dword v78, off, s[0:3], 0 offset:196
	s_waitcnt vmcnt(18)
	v_fma_f64 v[67:68], v[85:86], v[69:70], v[67:68]
	buffer_load_dword v80, off, s[0:3], 0 offset:204
	buffer_load_dword v81, off, s[0:3], 0 offset:224
	buffer_load_dword v83, off, s[0:3], 0 offset:216
	buffer_load_dword v85, off, s[0:3], 0 offset:208
	buffer_load_dword v79, off, s[0:3], 0 offset:200
	buffer_load_dword v86, off, s[0:3], 0 offset:212
	buffer_load_dword v84, off, s[0:3], 0 offset:220
	buffer_load_dword v82, off, s[0:3], 0 offset:228
	s_waitcnt vmcnt(24) lgkmcnt(0)
	v_fma_f64 v[67:68], v[87:88], v[71:72], v[67:68]
	s_waitcnt vmcnt(19)
	v_fma_f64 v[87:88], v[89:90], v[73:74], v[67:68]
	ds_read_b128 v[67:70], v66 offset:400
	ds_read_b128 v[71:74], v66 offset:416
	s_waitcnt vmcnt(18) lgkmcnt(1)
	v_fma_f64 v[67:68], v[95:96], v[67:68], v[87:88]
	s_waitcnt vmcnt(17)
	v_fma_f64 v[67:68], v[93:94], v[69:70], v[67:68]
	buffer_load_dword v88, off, s[0:3], 0 offset:236
	buffer_load_dword v89, off, s[0:3], 0 offset:248
	;; [unrolled: 1-line block ×6, first 2 shown]
	s_waitcnt vmcnt(22) lgkmcnt(0)
	v_fma_f64 v[67:68], v[91:92], v[71:72], v[67:68]
	s_waitcnt vmcnt(17)
	v_fma_f64 v[75:76], v[75:76], v[73:74], v[67:68]
	ds_read_b128 v[67:70], v66 offset:432
	buffer_load_dword v91, off, s[0:3], 0 offset:72
	buffer_load_dword v92, off, s[0:3], 0 offset:76
	ds_read_b128 v[71:74], v66 offset:448
	s_waitcnt vmcnt(18) lgkmcnt(1)
	v_fma_f64 v[67:68], v[99:100], v[67:68], v[75:76]
	s_waitcnt vmcnt(17)
	v_fma_f64 v[67:68], v[97:98], v[69:70], v[67:68]
	s_waitcnt vmcnt(16) lgkmcnt(0)
	v_fma_f64 v[67:68], v[77:78], v[71:72], v[67:68]
	s_waitcnt vmcnt(11)
	v_fma_f64 v[75:76], v[79:80], v[73:74], v[67:68]
	ds_read_b128 v[67:70], v66 offset:464
	ds_read_b128 v[71:74], v66 offset:480
	s_waitcnt vmcnt(10) lgkmcnt(1)
	v_fma_f64 v[67:68], v[85:86], v[67:68], v[75:76]
	s_waitcnt vmcnt(9)
	v_fma_f64 v[67:68], v[83:84], v[69:70], v[67:68]
	s_waitcnt vmcnt(8) lgkmcnt(0)
	v_fma_f64 v[67:68], v[81:82], v[71:72], v[67:68]
	s_waitcnt vmcnt(4)
	v_fma_f64 v[70:71], v[87:88], v[73:74], v[67:68]
	ds_read_b128 v[66:69], v66 offset:496
	s_waitcnt vmcnt(3) lgkmcnt(0)
	v_fma_f64 v[66:67], v[93:94], v[66:67], v[70:71]
	s_waitcnt vmcnt(2)
	v_fma_f64 v[66:67], v[89:90], v[68:69], v[66:67]
	s_waitcnt vmcnt(0)
	v_add_f64 v[66:67], v[91:92], -v[66:67]
	buffer_store_dword v67, off, s[0:3], 0 offset:76
	buffer_store_dword v66, off, s[0:3], 0 offset:72
	s_and_saveexec_b64 s[4:5], vcc
	s_cbranch_execz .LBB95_183
; %bb.182:
	buffer_load_dword v66, off, s[0:3], 0 offset:64
	buffer_load_dword v67, off, s[0:3], 0 offset:68
	v_mov_b32_e32 v68, 0
	buffer_store_dword v68, off, s[0:3], 0 offset:64
	buffer_store_dword v68, off, s[0:3], 0 offset:68
	s_waitcnt vmcnt(2)
	ds_write_b64 v65, v[66:67]
.LBB95_183:
	s_or_b64 exec, exec, s[4:5]
	s_waitcnt lgkmcnt(0)
	; wave barrier
	buffer_load_dword v75, off, s[0:3], 0 offset:72
	buffer_load_dword v76, off, s[0:3], 0 offset:76
	;; [unrolled: 1-line block ×21, first 2 shown]
	v_mov_b32_e32 v66, 0
	ds_read2_b64 v[67:70], v66 offset0:41 offset1:42
	ds_read2_b64 v[71:74], v66 offset0:43 offset1:44
	buffer_load_dword v92, off, s[0:3], 0 offset:156
	v_cmp_lt_u32_e32 vcc, 7, v0
	s_waitcnt vmcnt(20) lgkmcnt(1)
	v_fma_f64 v[67:68], v[75:76], v[67:68], 0
	s_waitcnt vmcnt(18)
	v_fma_f64 v[67:68], v[77:78], v[69:70], v[67:68]
	buffer_load_dword v76, off, s[0:3], 0 offset:164
	buffer_load_dword v77, off, s[0:3], 0 offset:184
	;; [unrolled: 1-line block ×7, first 2 shown]
	s_waitcnt vmcnt(23) lgkmcnt(0)
	v_fma_f64 v[67:68], v[79:80], v[71:72], v[67:68]
	s_waitcnt vmcnt(21)
	v_fma_f64 v[78:79], v[81:82], v[73:74], v[67:68]
	ds_read2_b64 v[67:70], v66 offset0:45 offset1:46
	ds_read2_b64 v[71:74], v66 offset0:47 offset1:48
	s_waitcnt vmcnt(19) lgkmcnt(1)
	v_fma_f64 v[67:68], v[83:84], v[67:68], v[78:79]
	buffer_load_dword v78, off, s[0:3], 0 offset:188
	s_waitcnt vmcnt(18)
	v_fma_f64 v[67:68], v[85:86], v[69:70], v[67:68]
	buffer_load_dword v80, off, s[0:3], 0 offset:196
	buffer_load_dword v81, off, s[0:3], 0 offset:216
	;; [unrolled: 1-line block ×8, first 2 shown]
	s_waitcnt vmcnt(24) lgkmcnt(0)
	v_fma_f64 v[67:68], v[87:88], v[71:72], v[67:68]
	s_waitcnt vmcnt(19)
	v_fma_f64 v[87:88], v[89:90], v[73:74], v[67:68]
	ds_read2_b64 v[67:70], v66 offset0:49 offset1:50
	ds_read2_b64 v[71:74], v66 offset0:51 offset1:52
	s_waitcnt vmcnt(18) lgkmcnt(1)
	v_fma_f64 v[67:68], v[95:96], v[67:68], v[87:88]
	s_waitcnt vmcnt(17)
	v_fma_f64 v[67:68], v[93:94], v[69:70], v[67:68]
	buffer_load_dword v88, off, s[0:3], 0 offset:228
	buffer_load_dword v89, off, s[0:3], 0 offset:248
	;; [unrolled: 1-line block ×8, first 2 shown]
	s_waitcnt vmcnt(24) lgkmcnt(0)
	v_fma_f64 v[67:68], v[91:92], v[71:72], v[67:68]
	s_waitcnt vmcnt(19)
	v_fma_f64 v[75:76], v[75:76], v[73:74], v[67:68]
	ds_read2_b64 v[67:70], v66 offset0:53 offset1:54
	ds_read2_b64 v[71:74], v66 offset0:55 offset1:56
	s_waitcnt vmcnt(18) lgkmcnt(1)
	v_fma_f64 v[67:68], v[99:100], v[67:68], v[75:76]
	buffer_load_dword v75, off, s[0:3], 0 offset:64
	buffer_load_dword v76, off, s[0:3], 0 offset:68
	s_waitcnt vmcnt(19)
	v_fma_f64 v[67:68], v[97:98], v[69:70], v[67:68]
	s_waitcnt vmcnt(18) lgkmcnt(0)
	v_fma_f64 v[67:68], v[77:78], v[71:72], v[67:68]
	s_waitcnt vmcnt(13)
	v_fma_f64 v[77:78], v[79:80], v[73:74], v[67:68]
	ds_read2_b64 v[67:70], v66 offset0:57 offset1:58
	ds_read2_b64 v[71:74], v66 offset0:59 offset1:60
	s_waitcnt vmcnt(12) lgkmcnt(1)
	v_fma_f64 v[67:68], v[85:86], v[67:68], v[77:78]
	s_waitcnt vmcnt(11)
	v_fma_f64 v[67:68], v[83:84], v[69:70], v[67:68]
	s_waitcnt vmcnt(10) lgkmcnt(0)
	v_fma_f64 v[67:68], v[81:82], v[71:72], v[67:68]
	s_waitcnt vmcnt(5)
	v_fma_f64 v[71:72], v[87:88], v[73:74], v[67:68]
	ds_read2_b64 v[67:70], v66 offset0:61 offset1:62
	ds_read_b64 v[73:74], v66 offset:504
	s_waitcnt vmcnt(4) lgkmcnt(1)
	v_fma_f64 v[67:68], v[95:96], v[67:68], v[71:72]
	s_waitcnt vmcnt(3)
	v_fma_f64 v[67:68], v[93:94], v[69:70], v[67:68]
	s_waitcnt vmcnt(2) lgkmcnt(0)
	v_fma_f64 v[67:68], v[89:90], v[73:74], v[67:68]
	s_waitcnt vmcnt(0)
	v_add_f64 v[67:68], v[75:76], -v[67:68]
	buffer_store_dword v68, off, s[0:3], 0 offset:68
	buffer_store_dword v67, off, s[0:3], 0 offset:64
	s_and_saveexec_b64 s[4:5], vcc
	s_cbranch_execz .LBB95_185
; %bb.184:
	buffer_load_dword v67, off, s[0:3], 0 offset:56
	buffer_load_dword v68, off, s[0:3], 0 offset:60
	s_waitcnt vmcnt(0)
	ds_write_b64 v65, v[67:68]
	buffer_store_dword v66, off, s[0:3], 0 offset:56
	buffer_store_dword v66, off, s[0:3], 0 offset:60
.LBB95_185:
	s_or_b64 exec, exec, s[4:5]
	s_waitcnt lgkmcnt(0)
	; wave barrier
	buffer_load_dword v75, off, s[0:3], 0 offset:64
	buffer_load_dword v76, off, s[0:3], 0 offset:68
	;; [unrolled: 1-line block ×21, first 2 shown]
	ds_read_b128 v[67:70], v66 offset:320
	ds_read_b128 v[71:74], v66 offset:336
	buffer_load_dword v92, off, s[0:3], 0 offset:148
	v_cmp_lt_u32_e32 vcc, 6, v0
	s_waitcnt vmcnt(20) lgkmcnt(1)
	v_fma_f64 v[67:68], v[75:76], v[67:68], 0
	s_waitcnt vmcnt(18)
	v_fma_f64 v[67:68], v[77:78], v[69:70], v[67:68]
	buffer_load_dword v76, off, s[0:3], 0 offset:156
	buffer_load_dword v77, off, s[0:3], 0 offset:176
	;; [unrolled: 1-line block ×7, first 2 shown]
	s_waitcnt vmcnt(23) lgkmcnt(0)
	v_fma_f64 v[67:68], v[79:80], v[71:72], v[67:68]
	s_waitcnt vmcnt(21)
	v_fma_f64 v[78:79], v[81:82], v[73:74], v[67:68]
	ds_read_b128 v[67:70], v66 offset:352
	ds_read_b128 v[71:74], v66 offset:368
	s_waitcnt vmcnt(19) lgkmcnt(1)
	v_fma_f64 v[67:68], v[83:84], v[67:68], v[78:79]
	buffer_load_dword v78, off, s[0:3], 0 offset:180
	s_waitcnt vmcnt(18)
	v_fma_f64 v[67:68], v[85:86], v[69:70], v[67:68]
	buffer_load_dword v80, off, s[0:3], 0 offset:188
	buffer_load_dword v81, off, s[0:3], 0 offset:208
	;; [unrolled: 1-line block ×8, first 2 shown]
	s_waitcnt vmcnt(24) lgkmcnt(0)
	v_fma_f64 v[67:68], v[87:88], v[71:72], v[67:68]
	s_waitcnt vmcnt(19)
	v_fma_f64 v[87:88], v[89:90], v[73:74], v[67:68]
	ds_read_b128 v[67:70], v66 offset:384
	ds_read_b128 v[71:74], v66 offset:400
	s_waitcnt vmcnt(18) lgkmcnt(1)
	v_fma_f64 v[67:68], v[95:96], v[67:68], v[87:88]
	s_waitcnt vmcnt(17)
	v_fma_f64 v[67:68], v[93:94], v[69:70], v[67:68]
	buffer_load_dword v88, off, s[0:3], 0 offset:220
	buffer_load_dword v89, off, s[0:3], 0 offset:240
	;; [unrolled: 1-line block ×8, first 2 shown]
	s_waitcnt vmcnt(24) lgkmcnt(0)
	v_fma_f64 v[67:68], v[91:92], v[71:72], v[67:68]
	s_waitcnt vmcnt(19)
	v_fma_f64 v[75:76], v[75:76], v[73:74], v[67:68]
	ds_read_b128 v[67:70], v66 offset:416
	ds_read_b128 v[71:74], v66 offset:432
	s_waitcnt vmcnt(18) lgkmcnt(1)
	v_fma_f64 v[67:68], v[99:100], v[67:68], v[75:76]
	buffer_load_dword v76, off, s[0:3], 0 offset:252
	buffer_load_dword v75, off, s[0:3], 0 offset:248
	;; [unrolled: 1-line block ×4, first 2 shown]
	s_waitcnt vmcnt(21)
	v_fma_f64 v[67:68], v[97:98], v[69:70], v[67:68]
	s_waitcnt vmcnt(20) lgkmcnt(0)
	v_fma_f64 v[67:68], v[77:78], v[71:72], v[67:68]
	s_waitcnt vmcnt(15)
	v_fma_f64 v[77:78], v[79:80], v[73:74], v[67:68]
	ds_read_b128 v[67:70], v66 offset:448
	ds_read_b128 v[71:74], v66 offset:464
	s_waitcnt vmcnt(14) lgkmcnt(1)
	v_fma_f64 v[67:68], v[85:86], v[67:68], v[77:78]
	s_waitcnt vmcnt(13)
	v_fma_f64 v[67:68], v[83:84], v[69:70], v[67:68]
	s_waitcnt vmcnt(12) lgkmcnt(0)
	v_fma_f64 v[67:68], v[81:82], v[71:72], v[67:68]
	s_waitcnt vmcnt(7)
	v_fma_f64 v[77:78], v[87:88], v[73:74], v[67:68]
	ds_read_b128 v[67:70], v66 offset:480
	ds_read_b128 v[71:74], v66 offset:496
	s_waitcnt vmcnt(6) lgkmcnt(1)
	v_fma_f64 v[66:67], v[95:96], v[67:68], v[77:78]
	s_waitcnt vmcnt(5)
	v_fma_f64 v[66:67], v[93:94], v[69:70], v[66:67]
	s_waitcnt vmcnt(4) lgkmcnt(0)
	v_fma_f64 v[66:67], v[89:90], v[71:72], v[66:67]
	s_waitcnt vmcnt(2)
	v_fma_f64 v[66:67], v[75:76], v[73:74], v[66:67]
	s_waitcnt vmcnt(0)
	v_add_f64 v[66:67], v[91:92], -v[66:67]
	buffer_store_dword v67, off, s[0:3], 0 offset:60
	buffer_store_dword v66, off, s[0:3], 0 offset:56
	s_and_saveexec_b64 s[4:5], vcc
	s_cbranch_execz .LBB95_187
; %bb.186:
	buffer_load_dword v66, off, s[0:3], 0 offset:48
	buffer_load_dword v67, off, s[0:3], 0 offset:52
	v_mov_b32_e32 v68, 0
	buffer_store_dword v68, off, s[0:3], 0 offset:48
	buffer_store_dword v68, off, s[0:3], 0 offset:52
	s_waitcnt vmcnt(2)
	ds_write_b64 v65, v[66:67]
.LBB95_187:
	s_or_b64 exec, exec, s[4:5]
	s_waitcnt lgkmcnt(0)
	; wave barrier
	buffer_load_dword v75, off, s[0:3], 0 offset:56
	buffer_load_dword v76, off, s[0:3], 0 offset:60
	;; [unrolled: 1-line block ×21, first 2 shown]
	v_mov_b32_e32 v66, 0
	ds_read2_b64 v[67:70], v66 offset0:39 offset1:40
	ds_read2_b64 v[71:74], v66 offset0:41 offset1:42
	buffer_load_dword v92, off, s[0:3], 0 offset:140
	v_cmp_lt_u32_e32 vcc, 5, v0
	s_waitcnt vmcnt(20) lgkmcnt(1)
	v_fma_f64 v[67:68], v[75:76], v[67:68], 0
	s_waitcnt vmcnt(18)
	v_fma_f64 v[67:68], v[77:78], v[69:70], v[67:68]
	buffer_load_dword v76, off, s[0:3], 0 offset:148
	buffer_load_dword v77, off, s[0:3], 0 offset:168
	;; [unrolled: 1-line block ×7, first 2 shown]
	s_waitcnt vmcnt(23) lgkmcnt(0)
	v_fma_f64 v[67:68], v[79:80], v[71:72], v[67:68]
	s_waitcnt vmcnt(21)
	v_fma_f64 v[78:79], v[81:82], v[73:74], v[67:68]
	ds_read2_b64 v[67:70], v66 offset0:43 offset1:44
	ds_read2_b64 v[71:74], v66 offset0:45 offset1:46
	s_waitcnt vmcnt(19) lgkmcnt(1)
	v_fma_f64 v[67:68], v[83:84], v[67:68], v[78:79]
	buffer_load_dword v78, off, s[0:3], 0 offset:172
	s_waitcnt vmcnt(18)
	v_fma_f64 v[67:68], v[85:86], v[69:70], v[67:68]
	buffer_load_dword v80, off, s[0:3], 0 offset:180
	buffer_load_dword v81, off, s[0:3], 0 offset:200
	;; [unrolled: 1-line block ×8, first 2 shown]
	s_waitcnt vmcnt(24) lgkmcnt(0)
	v_fma_f64 v[67:68], v[87:88], v[71:72], v[67:68]
	s_waitcnt vmcnt(19)
	v_fma_f64 v[87:88], v[89:90], v[73:74], v[67:68]
	ds_read2_b64 v[67:70], v66 offset0:47 offset1:48
	ds_read2_b64 v[71:74], v66 offset0:49 offset1:50
	s_waitcnt vmcnt(18) lgkmcnt(1)
	v_fma_f64 v[67:68], v[95:96], v[67:68], v[87:88]
	s_waitcnt vmcnt(17)
	v_fma_f64 v[67:68], v[93:94], v[69:70], v[67:68]
	buffer_load_dword v88, off, s[0:3], 0 offset:212
	buffer_load_dword v89, off, s[0:3], 0 offset:232
	;; [unrolled: 1-line block ×7, first 2 shown]
	s_waitcnt vmcnt(23) lgkmcnt(0)
	v_fma_f64 v[67:68], v[91:92], v[71:72], v[67:68]
	s_waitcnt vmcnt(18)
	v_fma_f64 v[75:76], v[75:76], v[73:74], v[67:68]
	ds_read2_b64 v[67:70], v66 offset0:51 offset1:52
	ds_read2_b64 v[71:74], v66 offset0:53 offset1:54
	buffer_load_dword v90, off, s[0:3], 0 offset:236
	s_waitcnt vmcnt(18) lgkmcnt(1)
	v_fma_f64 v[67:68], v[99:100], v[67:68], v[75:76]
	buffer_load_dword v76, off, s[0:3], 0 offset:244
	buffer_load_dword v91, off, s[0:3], 0 offset:248
	;; [unrolled: 1-line block ×4, first 2 shown]
	s_waitcnt vmcnt(21)
	v_fma_f64 v[67:68], v[97:98], v[69:70], v[67:68]
	s_waitcnt vmcnt(20) lgkmcnt(0)
	v_fma_f64 v[67:68], v[77:78], v[71:72], v[67:68]
	buffer_load_dword v77, off, s[0:3], 0 offset:48
	buffer_load_dword v78, off, s[0:3], 0 offset:52
	s_waitcnt vmcnt(17)
	v_fma_f64 v[79:80], v[79:80], v[73:74], v[67:68]
	ds_read2_b64 v[67:70], v66 offset0:55 offset1:56
	ds_read2_b64 v[71:74], v66 offset0:57 offset1:58
	s_waitcnt vmcnt(16) lgkmcnt(1)
	v_fma_f64 v[67:68], v[85:86], v[67:68], v[79:80]
	s_waitcnt vmcnt(15)
	v_fma_f64 v[67:68], v[83:84], v[69:70], v[67:68]
	s_waitcnt vmcnt(14) lgkmcnt(0)
	v_fma_f64 v[67:68], v[81:82], v[71:72], v[67:68]
	s_waitcnt vmcnt(9)
	v_fma_f64 v[79:80], v[87:88], v[73:74], v[67:68]
	ds_read2_b64 v[67:70], v66 offset0:59 offset1:60
	ds_read2_b64 v[71:74], v66 offset0:61 offset1:62
	s_waitcnt vmcnt(8) lgkmcnt(1)
	v_fma_f64 v[67:68], v[95:96], v[67:68], v[79:80]
	s_waitcnt vmcnt(7)
	v_fma_f64 v[67:68], v[93:94], v[69:70], v[67:68]
	ds_read_b64 v[69:70], v66 offset:504
	s_waitcnt vmcnt(6) lgkmcnt(1)
	v_fma_f64 v[67:68], v[89:90], v[71:72], v[67:68]
	s_waitcnt vmcnt(3)
	v_fma_f64 v[67:68], v[75:76], v[73:74], v[67:68]
	s_waitcnt vmcnt(2) lgkmcnt(0)
	v_fma_f64 v[67:68], v[91:92], v[69:70], v[67:68]
	s_waitcnt vmcnt(0)
	v_add_f64 v[67:68], v[77:78], -v[67:68]
	buffer_store_dword v68, off, s[0:3], 0 offset:52
	buffer_store_dword v67, off, s[0:3], 0 offset:48
	s_and_saveexec_b64 s[4:5], vcc
	s_cbranch_execz .LBB95_189
; %bb.188:
	buffer_load_dword v67, off, s[0:3], 0 offset:40
	buffer_load_dword v68, off, s[0:3], 0 offset:44
	s_waitcnt vmcnt(0)
	ds_write_b64 v65, v[67:68]
	buffer_store_dword v66, off, s[0:3], 0 offset:40
	buffer_store_dword v66, off, s[0:3], 0 offset:44
.LBB95_189:
	s_or_b64 exec, exec, s[4:5]
	s_waitcnt lgkmcnt(0)
	; wave barrier
	buffer_load_dword v75, off, s[0:3], 0 offset:48
	buffer_load_dword v76, off, s[0:3], 0 offset:52
	;; [unrolled: 1-line block ×22, first 2 shown]
	ds_read_b128 v[67:70], v66 offset:304
	ds_read_b128 v[71:74], v66 offset:320
	v_cmp_lt_u32_e32 vcc, 4, v0
	s_waitcnt vmcnt(20) lgkmcnt(1)
	v_fma_f64 v[67:68], v[75:76], v[67:68], 0
	s_waitcnt vmcnt(18)
	v_fma_f64 v[67:68], v[77:78], v[69:70], v[67:68]
	buffer_load_dword v76, off, s[0:3], 0 offset:140
	buffer_load_dword v77, off, s[0:3], 0 offset:160
	;; [unrolled: 1-line block ×7, first 2 shown]
	s_waitcnt vmcnt(23) lgkmcnt(0)
	v_fma_f64 v[67:68], v[79:80], v[71:72], v[67:68]
	s_waitcnt vmcnt(21)
	v_fma_f64 v[78:79], v[81:82], v[73:74], v[67:68]
	ds_read_b128 v[67:70], v66 offset:336
	ds_read_b128 v[71:74], v66 offset:352
	s_waitcnt vmcnt(19) lgkmcnt(1)
	v_fma_f64 v[67:68], v[83:84], v[67:68], v[78:79]
	buffer_load_dword v78, off, s[0:3], 0 offset:164
	s_waitcnt vmcnt(18)
	v_fma_f64 v[67:68], v[85:86], v[69:70], v[67:68]
	buffer_load_dword v80, off, s[0:3], 0 offset:172
	buffer_load_dword v81, off, s[0:3], 0 offset:192
	;; [unrolled: 1-line block ×8, first 2 shown]
	s_waitcnt vmcnt(24) lgkmcnt(0)
	v_fma_f64 v[67:68], v[87:88], v[71:72], v[67:68]
	s_waitcnt vmcnt(19)
	v_fma_f64 v[87:88], v[89:90], v[73:74], v[67:68]
	ds_read_b128 v[67:70], v66 offset:368
	ds_read_b128 v[71:74], v66 offset:384
	s_waitcnt vmcnt(18) lgkmcnt(1)
	v_fma_f64 v[67:68], v[95:96], v[67:68], v[87:88]
	s_waitcnt vmcnt(17)
	v_fma_f64 v[67:68], v[93:94], v[69:70], v[67:68]
	buffer_load_dword v88, off, s[0:3], 0 offset:204
	buffer_load_dword v89, off, s[0:3], 0 offset:224
	;; [unrolled: 1-line block ×8, first 2 shown]
	s_waitcnt vmcnt(24) lgkmcnt(0)
	v_fma_f64 v[67:68], v[91:92], v[71:72], v[67:68]
	s_waitcnt vmcnt(19)
	v_fma_f64 v[75:76], v[75:76], v[73:74], v[67:68]
	ds_read_b128 v[67:70], v66 offset:400
	ds_read_b128 v[71:74], v66 offset:416
	s_waitcnt vmcnt(18) lgkmcnt(1)
	v_fma_f64 v[67:68], v[99:100], v[67:68], v[75:76]
	s_waitcnt vmcnt(17)
	v_fma_f64 v[67:68], v[97:98], v[69:70], v[67:68]
	buffer_load_dword v76, off, s[0:3], 0 offset:236
	buffer_load_dword v91, off, s[0:3], 0 offset:248
	;; [unrolled: 1-line block ×6, first 2 shown]
	s_waitcnt vmcnt(22) lgkmcnt(0)
	v_fma_f64 v[67:68], v[77:78], v[71:72], v[67:68]
	s_waitcnt vmcnt(17)
	v_fma_f64 v[77:78], v[79:80], v[73:74], v[67:68]
	ds_read_b128 v[67:70], v66 offset:432
	buffer_load_dword v79, off, s[0:3], 0 offset:40
	buffer_load_dword v80, off, s[0:3], 0 offset:44
	ds_read_b128 v[71:74], v66 offset:448
	s_waitcnt vmcnt(18) lgkmcnt(1)
	v_fma_f64 v[67:68], v[85:86], v[67:68], v[77:78]
	s_waitcnt vmcnt(17)
	v_fma_f64 v[67:68], v[83:84], v[69:70], v[67:68]
	s_waitcnt vmcnt(16) lgkmcnt(0)
	v_fma_f64 v[67:68], v[81:82], v[71:72], v[67:68]
	s_waitcnt vmcnt(11)
	v_fma_f64 v[77:78], v[87:88], v[73:74], v[67:68]
	ds_read_b128 v[67:70], v66 offset:464
	ds_read_b128 v[71:74], v66 offset:480
	s_waitcnt vmcnt(10) lgkmcnt(1)
	v_fma_f64 v[67:68], v[95:96], v[67:68], v[77:78]
	s_waitcnt vmcnt(9)
	v_fma_f64 v[67:68], v[93:94], v[69:70], v[67:68]
	s_waitcnt vmcnt(8) lgkmcnt(0)
	v_fma_f64 v[67:68], v[89:90], v[71:72], v[67:68]
	s_waitcnt vmcnt(4)
	v_fma_f64 v[70:71], v[75:76], v[73:74], v[67:68]
	ds_read_b128 v[66:69], v66 offset:496
	s_waitcnt vmcnt(3) lgkmcnt(0)
	v_fma_f64 v[66:67], v[97:98], v[66:67], v[70:71]
	s_waitcnt vmcnt(2)
	v_fma_f64 v[66:67], v[91:92], v[68:69], v[66:67]
	s_waitcnt vmcnt(0)
	v_add_f64 v[66:67], v[79:80], -v[66:67]
	buffer_store_dword v67, off, s[0:3], 0 offset:44
	buffer_store_dword v66, off, s[0:3], 0 offset:40
	s_and_saveexec_b64 s[4:5], vcc
	s_cbranch_execz .LBB95_191
; %bb.190:
	buffer_load_dword v66, off, s[0:3], 0 offset:32
	buffer_load_dword v67, off, s[0:3], 0 offset:36
	v_mov_b32_e32 v68, 0
	buffer_store_dword v68, off, s[0:3], 0 offset:32
	buffer_store_dword v68, off, s[0:3], 0 offset:36
	s_waitcnt vmcnt(2)
	ds_write_b64 v65, v[66:67]
.LBB95_191:
	s_or_b64 exec, exec, s[4:5]
	s_waitcnt lgkmcnt(0)
	; wave barrier
	buffer_load_dword v75, off, s[0:3], 0 offset:40
	buffer_load_dword v76, off, s[0:3], 0 offset:44
	;; [unrolled: 1-line block ×22, first 2 shown]
	v_mov_b32_e32 v66, 0
	ds_read2_b64 v[67:70], v66 offset0:37 offset1:38
	ds_read2_b64 v[71:74], v66 offset0:39 offset1:40
	v_cmp_lt_u32_e32 vcc, 3, v0
	s_waitcnt vmcnt(20) lgkmcnt(1)
	v_fma_f64 v[67:68], v[75:76], v[67:68], 0
	s_waitcnt vmcnt(18)
	v_fma_f64 v[67:68], v[77:78], v[69:70], v[67:68]
	buffer_load_dword v76, off, s[0:3], 0 offset:132
	buffer_load_dword v77, off, s[0:3], 0 offset:152
	;; [unrolled: 1-line block ×7, first 2 shown]
	s_waitcnt vmcnt(23) lgkmcnt(0)
	v_fma_f64 v[67:68], v[79:80], v[71:72], v[67:68]
	s_waitcnt vmcnt(21)
	v_fma_f64 v[78:79], v[81:82], v[73:74], v[67:68]
	ds_read2_b64 v[67:70], v66 offset0:41 offset1:42
	ds_read2_b64 v[71:74], v66 offset0:43 offset1:44
	s_waitcnt vmcnt(19) lgkmcnt(1)
	v_fma_f64 v[67:68], v[83:84], v[67:68], v[78:79]
	buffer_load_dword v78, off, s[0:3], 0 offset:156
	s_waitcnt vmcnt(18)
	v_fma_f64 v[67:68], v[85:86], v[69:70], v[67:68]
	buffer_load_dword v80, off, s[0:3], 0 offset:164
	buffer_load_dword v81, off, s[0:3], 0 offset:184
	buffer_load_dword v83, off, s[0:3], 0 offset:176
	buffer_load_dword v85, off, s[0:3], 0 offset:168
	buffer_load_dword v79, off, s[0:3], 0 offset:160
	buffer_load_dword v86, off, s[0:3], 0 offset:172
	buffer_load_dword v84, off, s[0:3], 0 offset:180
	buffer_load_dword v82, off, s[0:3], 0 offset:188
	s_waitcnt vmcnt(24) lgkmcnt(0)
	v_fma_f64 v[67:68], v[87:88], v[71:72], v[67:68]
	s_waitcnt vmcnt(19)
	v_fma_f64 v[87:88], v[89:90], v[73:74], v[67:68]
	ds_read2_b64 v[67:70], v66 offset0:45 offset1:46
	ds_read2_b64 v[71:74], v66 offset0:47 offset1:48
	s_waitcnt vmcnt(18) lgkmcnt(1)
	v_fma_f64 v[67:68], v[95:96], v[67:68], v[87:88]
	s_waitcnt vmcnt(17)
	v_fma_f64 v[67:68], v[93:94], v[69:70], v[67:68]
	buffer_load_dword v88, off, s[0:3], 0 offset:196
	buffer_load_dword v89, off, s[0:3], 0 offset:216
	buffer_load_dword v93, off, s[0:3], 0 offset:208
	buffer_load_dword v95, off, s[0:3], 0 offset:200
	buffer_load_dword v87, off, s[0:3], 0 offset:192
	buffer_load_dword v96, off, s[0:3], 0 offset:204
	buffer_load_dword v94, off, s[0:3], 0 offset:212
	buffer_load_dword v90, off, s[0:3], 0 offset:220
	s_waitcnt vmcnt(24) lgkmcnt(0)
	v_fma_f64 v[67:68], v[91:92], v[71:72], v[67:68]
	s_waitcnt vmcnt(19)
	v_fma_f64 v[75:76], v[75:76], v[73:74], v[67:68]
	ds_read2_b64 v[67:70], v66 offset0:49 offset1:50
	ds_read2_b64 v[71:74], v66 offset0:51 offset1:52
	s_waitcnt vmcnt(18) lgkmcnt(1)
	v_fma_f64 v[67:68], v[99:100], v[67:68], v[75:76]
	;; [unrolled: 18-line block ×3, first 2 shown]
	buffer_load_dword v77, off, s[0:3], 0 offset:32
	buffer_load_dword v78, off, s[0:3], 0 offset:36
	s_waitcnt vmcnt(19)
	v_fma_f64 v[67:68], v[83:84], v[69:70], v[67:68]
	s_waitcnt vmcnt(18) lgkmcnt(0)
	v_fma_f64 v[67:68], v[81:82], v[71:72], v[67:68]
	s_waitcnt vmcnt(13)
	v_fma_f64 v[79:80], v[87:88], v[73:74], v[67:68]
	ds_read2_b64 v[67:70], v66 offset0:57 offset1:58
	ds_read2_b64 v[71:74], v66 offset0:59 offset1:60
	s_waitcnt vmcnt(12) lgkmcnt(1)
	v_fma_f64 v[67:68], v[95:96], v[67:68], v[79:80]
	s_waitcnt vmcnt(11)
	v_fma_f64 v[67:68], v[93:94], v[69:70], v[67:68]
	s_waitcnt vmcnt(10) lgkmcnt(0)
	v_fma_f64 v[67:68], v[89:90], v[71:72], v[67:68]
	s_waitcnt vmcnt(5)
	v_fma_f64 v[71:72], v[75:76], v[73:74], v[67:68]
	ds_read2_b64 v[67:70], v66 offset0:61 offset1:62
	ds_read_b64 v[73:74], v66 offset:504
	s_waitcnt vmcnt(4) lgkmcnt(1)
	v_fma_f64 v[67:68], v[99:100], v[67:68], v[71:72]
	s_waitcnt vmcnt(3)
	v_fma_f64 v[67:68], v[97:98], v[69:70], v[67:68]
	s_waitcnt vmcnt(2) lgkmcnt(0)
	v_fma_f64 v[67:68], v[91:92], v[73:74], v[67:68]
	s_waitcnt vmcnt(0)
	v_add_f64 v[67:68], v[77:78], -v[67:68]
	buffer_store_dword v68, off, s[0:3], 0 offset:36
	buffer_store_dword v67, off, s[0:3], 0 offset:32
	s_and_saveexec_b64 s[4:5], vcc
	s_cbranch_execz .LBB95_193
; %bb.192:
	buffer_load_dword v67, off, s[0:3], 0 offset:24
	buffer_load_dword v68, off, s[0:3], 0 offset:28
	s_waitcnt vmcnt(0)
	ds_write_b64 v65, v[67:68]
	buffer_store_dword v66, off, s[0:3], 0 offset:24
	buffer_store_dword v66, off, s[0:3], 0 offset:28
.LBB95_193:
	s_or_b64 exec, exec, s[4:5]
	s_waitcnt lgkmcnt(0)
	; wave barrier
	buffer_load_dword v75, off, s[0:3], 0 offset:32
	buffer_load_dword v76, off, s[0:3], 0 offset:36
	;; [unrolled: 1-line block ×22, first 2 shown]
	ds_read_b128 v[67:70], v66 offset:288
	ds_read_b128 v[71:74], v66 offset:304
	v_cmp_lt_u32_e32 vcc, 2, v0
	s_waitcnt vmcnt(20) lgkmcnt(1)
	v_fma_f64 v[67:68], v[75:76], v[67:68], 0
	s_waitcnt vmcnt(18)
	v_fma_f64 v[67:68], v[77:78], v[69:70], v[67:68]
	buffer_load_dword v76, off, s[0:3], 0 offset:124
	buffer_load_dword v77, off, s[0:3], 0 offset:144
	;; [unrolled: 1-line block ×7, first 2 shown]
	s_waitcnt vmcnt(23) lgkmcnt(0)
	v_fma_f64 v[67:68], v[79:80], v[71:72], v[67:68]
	s_waitcnt vmcnt(21)
	v_fma_f64 v[78:79], v[81:82], v[73:74], v[67:68]
	ds_read_b128 v[67:70], v66 offset:320
	ds_read_b128 v[71:74], v66 offset:336
	s_waitcnt vmcnt(19) lgkmcnt(1)
	v_fma_f64 v[67:68], v[83:84], v[67:68], v[78:79]
	buffer_load_dword v78, off, s[0:3], 0 offset:148
	s_waitcnt vmcnt(18)
	v_fma_f64 v[67:68], v[85:86], v[69:70], v[67:68]
	buffer_load_dword v80, off, s[0:3], 0 offset:156
	buffer_load_dword v81, off, s[0:3], 0 offset:176
	buffer_load_dword v83, off, s[0:3], 0 offset:168
	buffer_load_dword v85, off, s[0:3], 0 offset:160
	buffer_load_dword v79, off, s[0:3], 0 offset:152
	buffer_load_dword v86, off, s[0:3], 0 offset:164
	buffer_load_dword v84, off, s[0:3], 0 offset:172
	buffer_load_dword v82, off, s[0:3], 0 offset:180
	s_waitcnt vmcnt(24) lgkmcnt(0)
	v_fma_f64 v[67:68], v[87:88], v[71:72], v[67:68]
	s_waitcnt vmcnt(19)
	v_fma_f64 v[87:88], v[89:90], v[73:74], v[67:68]
	ds_read_b128 v[67:70], v66 offset:352
	ds_read_b128 v[71:74], v66 offset:368
	s_waitcnt vmcnt(18) lgkmcnt(1)
	v_fma_f64 v[67:68], v[95:96], v[67:68], v[87:88]
	s_waitcnt vmcnt(17)
	v_fma_f64 v[67:68], v[93:94], v[69:70], v[67:68]
	buffer_load_dword v88, off, s[0:3], 0 offset:188
	buffer_load_dword v89, off, s[0:3], 0 offset:208
	buffer_load_dword v93, off, s[0:3], 0 offset:200
	buffer_load_dword v95, off, s[0:3], 0 offset:192
	buffer_load_dword v87, off, s[0:3], 0 offset:184
	buffer_load_dword v96, off, s[0:3], 0 offset:196
	buffer_load_dword v94, off, s[0:3], 0 offset:204
	buffer_load_dword v90, off, s[0:3], 0 offset:212
	s_waitcnt vmcnt(24) lgkmcnt(0)
	v_fma_f64 v[67:68], v[91:92], v[71:72], v[67:68]
	s_waitcnt vmcnt(19)
	v_fma_f64 v[75:76], v[75:76], v[73:74], v[67:68]
	ds_read_b128 v[67:70], v66 offset:384
	ds_read_b128 v[71:74], v66 offset:400
	s_waitcnt vmcnt(18) lgkmcnt(1)
	v_fma_f64 v[67:68], v[99:100], v[67:68], v[75:76]
	;; [unrolled: 18-line block ×3, first 2 shown]
	buffer_load_dword v78, off, s[0:3], 0 offset:252
	buffer_load_dword v77, off, s[0:3], 0 offset:248
	;; [unrolled: 1-line block ×4, first 2 shown]
	s_waitcnt vmcnt(21)
	v_fma_f64 v[67:68], v[83:84], v[69:70], v[67:68]
	s_waitcnt vmcnt(20) lgkmcnt(0)
	v_fma_f64 v[67:68], v[81:82], v[71:72], v[67:68]
	s_waitcnt vmcnt(15)
	v_fma_f64 v[81:82], v[87:88], v[73:74], v[67:68]
	ds_read_b128 v[67:70], v66 offset:448
	ds_read_b128 v[71:74], v66 offset:464
	s_waitcnt vmcnt(14) lgkmcnt(1)
	v_fma_f64 v[67:68], v[95:96], v[67:68], v[81:82]
	s_waitcnt vmcnt(13)
	v_fma_f64 v[67:68], v[93:94], v[69:70], v[67:68]
	s_waitcnt vmcnt(12) lgkmcnt(0)
	v_fma_f64 v[67:68], v[89:90], v[71:72], v[67:68]
	s_waitcnt vmcnt(7)
	v_fma_f64 v[75:76], v[75:76], v[73:74], v[67:68]
	ds_read_b128 v[67:70], v66 offset:480
	ds_read_b128 v[71:74], v66 offset:496
	s_waitcnt vmcnt(6) lgkmcnt(1)
	v_fma_f64 v[66:67], v[99:100], v[67:68], v[75:76]
	s_waitcnt vmcnt(5)
	v_fma_f64 v[66:67], v[97:98], v[69:70], v[66:67]
	s_waitcnt vmcnt(4) lgkmcnt(0)
	v_fma_f64 v[66:67], v[91:92], v[71:72], v[66:67]
	s_waitcnt vmcnt(2)
	v_fma_f64 v[66:67], v[77:78], v[73:74], v[66:67]
	s_waitcnt vmcnt(0)
	v_add_f64 v[66:67], v[79:80], -v[66:67]
	buffer_store_dword v67, off, s[0:3], 0 offset:28
	buffer_store_dword v66, off, s[0:3], 0 offset:24
	s_and_saveexec_b64 s[4:5], vcc
	s_cbranch_execz .LBB95_195
; %bb.194:
	buffer_load_dword v66, off, s[0:3], 0 offset:16
	buffer_load_dword v67, off, s[0:3], 0 offset:20
	v_mov_b32_e32 v68, 0
	buffer_store_dword v68, off, s[0:3], 0 offset:16
	buffer_store_dword v68, off, s[0:3], 0 offset:20
	s_waitcnt vmcnt(2)
	ds_write_b64 v65, v[66:67]
.LBB95_195:
	s_or_b64 exec, exec, s[4:5]
	s_waitcnt lgkmcnt(0)
	; wave barrier
	buffer_load_dword v75, off, s[0:3], 0 offset:24
	buffer_load_dword v76, off, s[0:3], 0 offset:28
	;; [unrolled: 1-line block ×22, first 2 shown]
	v_mov_b32_e32 v66, 0
	ds_read2_b64 v[67:70], v66 offset0:35 offset1:36
	ds_read2_b64 v[71:74], v66 offset0:37 offset1:38
	v_cmp_lt_u32_e32 vcc, 1, v0
	s_waitcnt vmcnt(20) lgkmcnt(1)
	v_fma_f64 v[67:68], v[75:76], v[67:68], 0
	s_waitcnt vmcnt(18)
	v_fma_f64 v[67:68], v[77:78], v[69:70], v[67:68]
	buffer_load_dword v76, off, s[0:3], 0 offset:116
	buffer_load_dword v77, off, s[0:3], 0 offset:136
	;; [unrolled: 1-line block ×7, first 2 shown]
	s_waitcnt vmcnt(23) lgkmcnt(0)
	v_fma_f64 v[67:68], v[79:80], v[71:72], v[67:68]
	s_waitcnt vmcnt(21)
	v_fma_f64 v[78:79], v[81:82], v[73:74], v[67:68]
	ds_read2_b64 v[67:70], v66 offset0:39 offset1:40
	ds_read2_b64 v[71:74], v66 offset0:41 offset1:42
	s_waitcnt vmcnt(19) lgkmcnt(1)
	v_fma_f64 v[67:68], v[83:84], v[67:68], v[78:79]
	buffer_load_dword v78, off, s[0:3], 0 offset:140
	s_waitcnt vmcnt(18)
	v_fma_f64 v[67:68], v[85:86], v[69:70], v[67:68]
	buffer_load_dword v80, off, s[0:3], 0 offset:148
	buffer_load_dword v81, off, s[0:3], 0 offset:168
	;; [unrolled: 1-line block ×7, first 2 shown]
	s_waitcnt vmcnt(23) lgkmcnt(0)
	v_fma_f64 v[67:68], v[87:88], v[71:72], v[67:68]
	s_waitcnt vmcnt(18)
	v_fma_f64 v[87:88], v[89:90], v[73:74], v[67:68]
	ds_read2_b64 v[67:70], v66 offset0:43 offset1:44
	ds_read2_b64 v[71:74], v66 offset0:45 offset1:46
	buffer_load_dword v82, off, s[0:3], 0 offset:172
	s_waitcnt vmcnt(18) lgkmcnt(1)
	v_fma_f64 v[67:68], v[95:96], v[67:68], v[87:88]
	s_waitcnt vmcnt(17)
	v_fma_f64 v[67:68], v[93:94], v[69:70], v[67:68]
	buffer_load_dword v88, off, s[0:3], 0 offset:180
	buffer_load_dword v89, off, s[0:3], 0 offset:200
	;; [unrolled: 1-line block ×8, first 2 shown]
	s_waitcnt vmcnt(24) lgkmcnt(0)
	v_fma_f64 v[67:68], v[91:92], v[71:72], v[67:68]
	s_waitcnt vmcnt(19)
	v_fma_f64 v[75:76], v[75:76], v[73:74], v[67:68]
	ds_read2_b64 v[67:70], v66 offset0:47 offset1:48
	ds_read2_b64 v[71:74], v66 offset0:49 offset1:50
	s_waitcnt vmcnt(18) lgkmcnt(1)
	v_fma_f64 v[67:68], v[99:100], v[67:68], v[75:76]
	s_waitcnt vmcnt(17)
	v_fma_f64 v[67:68], v[97:98], v[69:70], v[67:68]
	buffer_load_dword v76, off, s[0:3], 0 offset:212
	buffer_load_dword v91, off, s[0:3], 0 offset:232
	;; [unrolled: 1-line block ×7, first 2 shown]
	s_waitcnt vmcnt(23) lgkmcnt(0)
	v_fma_f64 v[67:68], v[77:78], v[71:72], v[67:68]
	s_waitcnt vmcnt(18)
	v_fma_f64 v[77:78], v[79:80], v[73:74], v[67:68]
	ds_read2_b64 v[67:70], v66 offset0:51 offset1:52
	ds_read2_b64 v[71:74], v66 offset0:53 offset1:54
	buffer_load_dword v92, off, s[0:3], 0 offset:236
	s_waitcnt vmcnt(18) lgkmcnt(1)
	v_fma_f64 v[67:68], v[85:86], v[67:68], v[77:78]
	buffer_load_dword v78, off, s[0:3], 0 offset:244
	buffer_load_dword v79, off, s[0:3], 0 offset:248
	;; [unrolled: 1-line block ×4, first 2 shown]
	s_waitcnt vmcnt(21)
	v_fma_f64 v[67:68], v[83:84], v[69:70], v[67:68]
	s_waitcnt vmcnt(20) lgkmcnt(0)
	v_fma_f64 v[67:68], v[81:82], v[71:72], v[67:68]
	buffer_load_dword v81, off, s[0:3], 0 offset:16
	buffer_load_dword v82, off, s[0:3], 0 offset:20
	s_waitcnt vmcnt(17)
	v_fma_f64 v[83:84], v[87:88], v[73:74], v[67:68]
	ds_read2_b64 v[67:70], v66 offset0:55 offset1:56
	ds_read2_b64 v[71:74], v66 offset0:57 offset1:58
	s_waitcnt vmcnt(16) lgkmcnt(1)
	v_fma_f64 v[67:68], v[95:96], v[67:68], v[83:84]
	s_waitcnt vmcnt(15)
	v_fma_f64 v[67:68], v[93:94], v[69:70], v[67:68]
	s_waitcnt vmcnt(14) lgkmcnt(0)
	v_fma_f64 v[67:68], v[89:90], v[71:72], v[67:68]
	s_waitcnt vmcnt(9)
	v_fma_f64 v[75:76], v[75:76], v[73:74], v[67:68]
	ds_read2_b64 v[67:70], v66 offset0:59 offset1:60
	ds_read2_b64 v[71:74], v66 offset0:61 offset1:62
	s_waitcnt vmcnt(8) lgkmcnt(1)
	v_fma_f64 v[67:68], v[99:100], v[67:68], v[75:76]
	s_waitcnt vmcnt(7)
	v_fma_f64 v[67:68], v[97:98], v[69:70], v[67:68]
	ds_read_b64 v[69:70], v66 offset:504
	s_waitcnt vmcnt(6) lgkmcnt(1)
	v_fma_f64 v[67:68], v[91:92], v[71:72], v[67:68]
	s_waitcnt vmcnt(3)
	v_fma_f64 v[67:68], v[77:78], v[73:74], v[67:68]
	s_waitcnt vmcnt(2) lgkmcnt(0)
	v_fma_f64 v[67:68], v[79:80], v[69:70], v[67:68]
	s_waitcnt vmcnt(0)
	v_add_f64 v[67:68], v[81:82], -v[67:68]
	buffer_store_dword v68, off, s[0:3], 0 offset:20
	buffer_store_dword v67, off, s[0:3], 0 offset:16
	s_and_saveexec_b64 s[4:5], vcc
	s_cbranch_execz .LBB95_197
; %bb.196:
	buffer_load_dword v67, off, s[0:3], 0 offset:8
	buffer_load_dword v68, off, s[0:3], 0 offset:12
	s_waitcnt vmcnt(0)
	ds_write_b64 v65, v[67:68]
	buffer_store_dword v66, off, s[0:3], 0 offset:8
	buffer_store_dword v66, off, s[0:3], 0 offset:12
.LBB95_197:
	s_or_b64 exec, exec, s[4:5]
	s_waitcnt lgkmcnt(0)
	; wave barrier
	buffer_load_dword v75, off, s[0:3], 0 offset:16
	buffer_load_dword v76, off, s[0:3], 0 offset:20
	;; [unrolled: 1-line block ×22, first 2 shown]
	ds_read_b128 v[67:70], v66 offset:272
	ds_read_b128 v[71:74], v66 offset:288
	v_cmp_ne_u32_e32 vcc, 0, v0
	s_waitcnt vmcnt(20) lgkmcnt(1)
	v_fma_f64 v[67:68], v[75:76], v[67:68], 0
	s_waitcnt vmcnt(18)
	v_fma_f64 v[67:68], v[77:78], v[69:70], v[67:68]
	buffer_load_dword v76, off, s[0:3], 0 offset:108
	buffer_load_dword v77, off, s[0:3], 0 offset:128
	buffer_load_dword v97, off, s[0:3], 0 offset:120
	buffer_load_dword v99, off, s[0:3], 0 offset:112
	buffer_load_dword v75, off, s[0:3], 0 offset:104
	buffer_load_dword v100, off, s[0:3], 0 offset:116
	buffer_load_dword v98, off, s[0:3], 0 offset:124
	s_waitcnt vmcnt(23) lgkmcnt(0)
	v_fma_f64 v[67:68], v[79:80], v[71:72], v[67:68]
	s_waitcnt vmcnt(21)
	v_fma_f64 v[78:79], v[81:82], v[73:74], v[67:68]
	ds_read_b128 v[67:70], v66 offset:304
	ds_read_b128 v[71:74], v66 offset:320
	s_waitcnt vmcnt(19) lgkmcnt(1)
	v_fma_f64 v[67:68], v[83:84], v[67:68], v[78:79]
	buffer_load_dword v78, off, s[0:3], 0 offset:132
	s_waitcnt vmcnt(18)
	v_fma_f64 v[67:68], v[85:86], v[69:70], v[67:68]
	buffer_load_dword v80, off, s[0:3], 0 offset:140
	buffer_load_dword v81, off, s[0:3], 0 offset:160
	;; [unrolled: 1-line block ×7, first 2 shown]
	s_waitcnt vmcnt(23) lgkmcnt(0)
	v_fma_f64 v[67:68], v[87:88], v[71:72], v[67:68]
	s_waitcnt vmcnt(18)
	v_fma_f64 v[87:88], v[89:90], v[73:74], v[67:68]
	ds_read_b128 v[67:70], v66 offset:336
	ds_read_b128 v[71:74], v66 offset:352
	buffer_load_dword v82, off, s[0:3], 0 offset:164
	s_waitcnt vmcnt(18) lgkmcnt(1)
	v_fma_f64 v[67:68], v[95:96], v[67:68], v[87:88]
	s_waitcnt vmcnt(17)
	v_fma_f64 v[67:68], v[93:94], v[69:70], v[67:68]
	buffer_load_dword v88, off, s[0:3], 0 offset:172
	buffer_load_dword v89, off, s[0:3], 0 offset:192
	;; [unrolled: 1-line block ×8, first 2 shown]
	s_waitcnt vmcnt(24) lgkmcnt(0)
	v_fma_f64 v[67:68], v[91:92], v[71:72], v[67:68]
	s_waitcnt vmcnt(19)
	v_fma_f64 v[75:76], v[75:76], v[73:74], v[67:68]
	ds_read_b128 v[67:70], v66 offset:368
	ds_read_b128 v[71:74], v66 offset:384
	s_waitcnt vmcnt(18) lgkmcnt(1)
	v_fma_f64 v[67:68], v[99:100], v[67:68], v[75:76]
	s_waitcnt vmcnt(17)
	v_fma_f64 v[67:68], v[97:98], v[69:70], v[67:68]
	buffer_load_dword v76, off, s[0:3], 0 offset:204
	buffer_load_dword v91, off, s[0:3], 0 offset:224
	;; [unrolled: 1-line block ×8, first 2 shown]
	s_waitcnt vmcnt(24) lgkmcnt(0)
	v_fma_f64 v[67:68], v[77:78], v[71:72], v[67:68]
	s_waitcnt vmcnt(19)
	v_fma_f64 v[77:78], v[79:80], v[73:74], v[67:68]
	ds_read_b128 v[67:70], v66 offset:400
	ds_read_b128 v[71:74], v66 offset:416
	s_waitcnt vmcnt(18) lgkmcnt(1)
	v_fma_f64 v[67:68], v[85:86], v[67:68], v[77:78]
	s_waitcnt vmcnt(17)
	v_fma_f64 v[67:68], v[83:84], v[69:70], v[67:68]
	buffer_load_dword v78, off, s[0:3], 0 offset:236
	buffer_load_dword v79, off, s[0:3], 0 offset:248
	;; [unrolled: 1-line block ×6, first 2 shown]
	s_waitcnt vmcnt(22) lgkmcnt(0)
	v_fma_f64 v[67:68], v[81:82], v[71:72], v[67:68]
	s_waitcnt vmcnt(17)
	v_fma_f64 v[81:82], v[87:88], v[73:74], v[67:68]
	ds_read_b128 v[67:70], v66 offset:432
	buffer_load_dword v85, off, s[0:3], 0 offset:8
	buffer_load_dword v86, off, s[0:3], 0 offset:12
	ds_read_b128 v[71:74], v66 offset:448
	s_waitcnt vmcnt(18) lgkmcnt(1)
	v_fma_f64 v[67:68], v[95:96], v[67:68], v[81:82]
	s_waitcnt vmcnt(17)
	v_fma_f64 v[67:68], v[93:94], v[69:70], v[67:68]
	s_waitcnt vmcnt(16) lgkmcnt(0)
	v_fma_f64 v[67:68], v[89:90], v[71:72], v[67:68]
	s_waitcnt vmcnt(11)
	v_fma_f64 v[75:76], v[75:76], v[73:74], v[67:68]
	ds_read_b128 v[67:70], v66 offset:464
	ds_read_b128 v[71:74], v66 offset:480
	s_waitcnt vmcnt(10) lgkmcnt(1)
	v_fma_f64 v[67:68], v[99:100], v[67:68], v[75:76]
	s_waitcnt vmcnt(9)
	v_fma_f64 v[67:68], v[97:98], v[69:70], v[67:68]
	s_waitcnt vmcnt(8) lgkmcnt(0)
	v_fma_f64 v[67:68], v[91:92], v[71:72], v[67:68]
	s_waitcnt vmcnt(4)
	v_fma_f64 v[70:71], v[77:78], v[73:74], v[67:68]
	ds_read_b128 v[66:69], v66 offset:496
	s_waitcnt vmcnt(3) lgkmcnt(0)
	v_fma_f64 v[66:67], v[83:84], v[66:67], v[70:71]
	s_waitcnt vmcnt(2)
	v_fma_f64 v[66:67], v[79:80], v[68:69], v[66:67]
	s_waitcnt vmcnt(0)
	v_add_f64 v[66:67], v[85:86], -v[66:67]
	buffer_store_dword v67, off, s[0:3], 0 offset:12
	buffer_store_dword v66, off, s[0:3], 0 offset:8
	s_and_saveexec_b64 s[4:5], vcc
	s_cbranch_execz .LBB95_199
; %bb.198:
	buffer_load_dword v66, off, s[0:3], 0
	buffer_load_dword v67, off, s[0:3], 0 offset:4
	v_mov_b32_e32 v0, 0
	buffer_store_dword v0, off, s[0:3], 0
	buffer_store_dword v0, off, s[0:3], 0 offset:4
	s_waitcnt vmcnt(2)
	ds_write_b64 v65, v[66:67]
.LBB95_199:
	s_or_b64 exec, exec, s[4:5]
	s_waitcnt lgkmcnt(0)
	; wave barrier
	buffer_load_dword v73, off, s[0:3], 0 offset:8
	buffer_load_dword v74, off, s[0:3], 0 offset:12
	buffer_load_dword v75, off, s[0:3], 0 offset:16
	buffer_load_dword v76, off, s[0:3], 0 offset:20
	buffer_load_dword v77, off, s[0:3], 0 offset:24
	buffer_load_dword v78, off, s[0:3], 0 offset:28
	buffer_load_dword v79, off, s[0:3], 0 offset:32
	buffer_load_dword v80, off, s[0:3], 0 offset:36
	buffer_load_dword v81, off, s[0:3], 0 offset:40
	buffer_load_dword v82, off, s[0:3], 0 offset:44
	buffer_load_dword v83, off, s[0:3], 0 offset:48
	buffer_load_dword v84, off, s[0:3], 0 offset:52
	buffer_load_dword v85, off, s[0:3], 0 offset:56
	buffer_load_dword v86, off, s[0:3], 0 offset:60
	buffer_load_dword v88, off, s[0:3], 0 offset:68
	buffer_load_dword v89, off, s[0:3], 0 offset:88
	buffer_load_dword v91, off, s[0:3], 0 offset:80
	buffer_load_dword v93, off, s[0:3], 0 offset:72
	buffer_load_dword v87, off, s[0:3], 0 offset:64
	buffer_load_dword v94, off, s[0:3], 0 offset:76
	buffer_load_dword v92, off, s[0:3], 0 offset:84
	buffer_load_dword v90, off, s[0:3], 0 offset:92
	v_mov_b32_e32 v0, 0
	ds_read2_b64 v[65:68], v0 offset0:33 offset1:34
	ds_read2_b64 v[69:72], v0 offset0:35 offset1:36
	s_and_b64 vcc, exec, s[14:15]
	s_waitcnt vmcnt(20) lgkmcnt(1)
	v_fma_f64 v[65:66], v[73:74], v[65:66], 0
	s_waitcnt vmcnt(18)
	v_fma_f64 v[65:66], v[75:76], v[67:68], v[65:66]
	buffer_load_dword v74, off, s[0:3], 0 offset:100
	buffer_load_dword v75, off, s[0:3], 0 offset:120
	;; [unrolled: 1-line block ×7, first 2 shown]
	s_waitcnt vmcnt(23) lgkmcnt(0)
	v_fma_f64 v[65:66], v[77:78], v[69:70], v[65:66]
	s_waitcnt vmcnt(21)
	v_fma_f64 v[76:77], v[79:80], v[71:72], v[65:66]
	ds_read2_b64 v[65:68], v0 offset0:37 offset1:38
	ds_read2_b64 v[69:72], v0 offset0:39 offset1:40
	s_waitcnt vmcnt(19) lgkmcnt(1)
	v_fma_f64 v[65:66], v[81:82], v[65:66], v[76:77]
	buffer_load_dword v76, off, s[0:3], 0 offset:124
	s_waitcnt vmcnt(18)
	v_fma_f64 v[65:66], v[83:84], v[67:68], v[65:66]
	buffer_load_dword v78, off, s[0:3], 0 offset:132
	buffer_load_dword v79, off, s[0:3], 0 offset:152
	;; [unrolled: 1-line block ×7, first 2 shown]
	s_waitcnt vmcnt(23) lgkmcnt(0)
	v_fma_f64 v[65:66], v[85:86], v[69:70], v[65:66]
	s_waitcnt vmcnt(18)
	v_fma_f64 v[85:86], v[87:88], v[71:72], v[65:66]
	ds_read2_b64 v[65:68], v0 offset0:41 offset1:42
	ds_read2_b64 v[69:72], v0 offset0:43 offset1:44
	buffer_load_dword v80, off, s[0:3], 0 offset:156
	s_waitcnt vmcnt(18) lgkmcnt(1)
	v_fma_f64 v[65:66], v[93:94], v[65:66], v[85:86]
	s_waitcnt vmcnt(17)
	v_fma_f64 v[65:66], v[91:92], v[67:68], v[65:66]
	buffer_load_dword v86, off, s[0:3], 0 offset:164
	buffer_load_dword v87, off, s[0:3], 0 offset:184
	;; [unrolled: 1-line block ×8, first 2 shown]
	s_waitcnt vmcnt(24) lgkmcnt(0)
	v_fma_f64 v[65:66], v[89:90], v[69:70], v[65:66]
	s_waitcnt vmcnt(19)
	v_fma_f64 v[73:74], v[73:74], v[71:72], v[65:66]
	ds_read2_b64 v[65:68], v0 offset0:45 offset1:46
	ds_read2_b64 v[69:72], v0 offset0:47 offset1:48
	s_waitcnt vmcnt(18) lgkmcnt(1)
	v_fma_f64 v[65:66], v[97:98], v[65:66], v[73:74]
	s_waitcnt vmcnt(17)
	v_fma_f64 v[65:66], v[95:96], v[67:68], v[65:66]
	buffer_load_dword v90, off, s[0:3], 0 offset:196
	buffer_load_dword v95, off, s[0:3], 0 offset:216
	;; [unrolled: 1-line block ×8, first 2 shown]
	s_waitcnt vmcnt(24) lgkmcnt(0)
	v_fma_f64 v[65:66], v[75:76], v[69:70], v[65:66]
	s_waitcnt vmcnt(19)
	v_fma_f64 v[73:74], v[77:78], v[71:72], v[65:66]
	ds_read2_b64 v[65:68], v0 offset0:49 offset1:50
	ds_read2_b64 v[69:72], v0 offset0:51 offset1:52
	s_waitcnt vmcnt(18) lgkmcnt(1)
	v_fma_f64 v[65:66], v[83:84], v[65:66], v[73:74]
	s_waitcnt vmcnt(17)
	v_fma_f64 v[66:67], v[81:82], v[67:68], v[65:66]
	buffer_load_dword v76, off, s[0:3], 0 offset:228
	buffer_load_dword v77, off, s[0:3], 0 offset:248
	;; [unrolled: 1-line block ×5, first 2 shown]
	s_waitcnt vmcnt(21) lgkmcnt(0)
	v_fma_f64 v[67:68], v[79:80], v[69:70], v[66:67]
	buffer_load_dword v82, off, s[0:3], 0 offset:236
	buffer_load_dword v66, off, s[0:3], 0 offset:244
	;; [unrolled: 1-line block ×3, first 2 shown]
	s_waitcnt vmcnt(19)
	v_fma_f64 v[79:80], v[85:86], v[71:72], v[67:68]
	ds_read2_b64 v[67:70], v0 offset0:53 offset1:54
	ds_read2_b64 v[71:74], v0 offset0:55 offset1:56
	s_waitcnt vmcnt(18) lgkmcnt(1)
	v_fma_f64 v[67:68], v[93:94], v[67:68], v[79:80]
	buffer_load_dword v79, off, s[0:3], 0
	buffer_load_dword v80, off, s[0:3], 0 offset:4
	s_waitcnt vmcnt(19)
	v_fma_f64 v[67:68], v[91:92], v[69:70], v[67:68]
	s_waitcnt vmcnt(18) lgkmcnt(0)
	v_fma_f64 v[67:68], v[87:88], v[71:72], v[67:68]
	s_waitcnt vmcnt(13)
	v_fma_f64 v[83:84], v[89:90], v[73:74], v[67:68]
	ds_read2_b64 v[67:70], v0 offset0:57 offset1:58
	ds_read2_b64 v[71:74], v0 offset0:59 offset1:60
	s_waitcnt vmcnt(12) lgkmcnt(1)
	v_fma_f64 v[67:68], v[99:100], v[67:68], v[83:84]
	s_waitcnt vmcnt(11)
	v_fma_f64 v[67:68], v[97:98], v[69:70], v[67:68]
	s_waitcnt vmcnt(10) lgkmcnt(0)
	v_fma_f64 v[67:68], v[95:96], v[71:72], v[67:68]
	s_waitcnt vmcnt(5)
	v_fma_f64 v[71:72], v[75:76], v[73:74], v[67:68]
	ds_read2_b64 v[67:70], v0 offset0:61 offset1:62
	ds_read_b64 v[73:74], v0 offset:504
	s_waitcnt vmcnt(4) lgkmcnt(1)
	v_fma_f64 v[67:68], v[81:82], v[67:68], v[71:72]
	s_waitcnt vmcnt(3)
	v_fma_f64 v[67:68], v[65:66], v[69:70], v[67:68]
	s_waitcnt vmcnt(2) lgkmcnt(0)
	v_fma_f64 v[67:68], v[77:78], v[73:74], v[67:68]
	s_waitcnt vmcnt(0)
	v_add_f64 v[67:68], v[79:80], -v[67:68]
	buffer_store_dword v68, off, s[0:3], 0 offset:4
	buffer_store_dword v67, off, s[0:3], 0
	s_cbranch_vccz .LBB95_262
; %bb.200:
	global_load_dword v0, v0, s[12:13] offset:120
	s_waitcnt vmcnt(0)
	v_add_u32_e32 v0, -1, v0
	v_cmp_ne_u32_e32 vcc, 30, v0
	s_cbranch_vccz .LBB95_202
; %bb.201:
	v_lshlrev_b32_e32 v0, 3, v0
	buffer_load_dword v67, v0, s[0:3], 0 offen offset:4
	buffer_load_dword v68, v0, s[0:3], 0 offen
	s_waitcnt vmcnt(1)
	buffer_store_dword v67, off, s[0:3], 0 offset:244
	s_waitcnt vmcnt(1)
	buffer_store_dword v68, off, s[0:3], 0 offset:240
	buffer_store_dword v66, v0, s[0:3], 0 offen offset:4
	buffer_store_dword v65, v0, s[0:3], 0 offen
.LBB95_202:
	v_mov_b32_e32 v0, 0
	global_load_dword v65, v0, s[12:13] offset:116
	s_waitcnt vmcnt(0)
	v_add_u32_e32 v65, -1, v65
	v_cmp_eq_u32_e32 vcc, 29, v65
	s_cbranch_vccnz .LBB95_204
; %bb.203:
	v_lshlrev_b32_e32 v65, 3, v65
	buffer_load_dword v66, v65, s[0:3], 0 offen
	buffer_load_dword v67, v65, s[0:3], 0 offen offset:4
	buffer_load_dword v68, off, s[0:3], 0 offset:232
	buffer_load_dword v69, off, s[0:3], 0 offset:236
	s_waitcnt vmcnt(3)
	buffer_store_dword v66, off, s[0:3], 0 offset:232
	s_waitcnt vmcnt(3)
	buffer_store_dword v67, off, s[0:3], 0 offset:236
	s_waitcnt vmcnt(3)
	buffer_store_dword v68, v65, s[0:3], 0 offen
	s_waitcnt vmcnt(3)
	buffer_store_dword v69, v65, s[0:3], 0 offen offset:4
.LBB95_204:
	global_load_dword v0, v0, s[12:13] offset:112
	s_waitcnt vmcnt(0)
	v_add_u32_e32 v0, -1, v0
	v_cmp_eq_u32_e32 vcc, 28, v0
	s_cbranch_vccnz .LBB95_206
; %bb.205:
	v_lshlrev_b32_e32 v0, 3, v0
	buffer_load_dword v65, v0, s[0:3], 0 offen
	buffer_load_dword v66, v0, s[0:3], 0 offen offset:4
	buffer_load_dword v67, off, s[0:3], 0 offset:228
	buffer_load_dword v68, off, s[0:3], 0 offset:224
	s_waitcnt vmcnt(3)
	buffer_store_dword v65, off, s[0:3], 0 offset:224
	s_waitcnt vmcnt(3)
	buffer_store_dword v66, off, s[0:3], 0 offset:228
	s_waitcnt vmcnt(3)
	buffer_store_dword v67, v0, s[0:3], 0 offen offset:4
	s_waitcnt vmcnt(3)
	buffer_store_dword v68, v0, s[0:3], 0 offen
.LBB95_206:
	v_mov_b32_e32 v0, 0
	global_load_dword v65, v0, s[12:13] offset:108
	s_waitcnt vmcnt(0)
	v_add_u32_e32 v65, -1, v65
	v_cmp_eq_u32_e32 vcc, 27, v65
	s_cbranch_vccnz .LBB95_208
; %bb.207:
	v_lshlrev_b32_e32 v65, 3, v65
	buffer_load_dword v66, v65, s[0:3], 0 offen
	buffer_load_dword v67, v65, s[0:3], 0 offen offset:4
	buffer_load_dword v68, off, s[0:3], 0 offset:216
	buffer_load_dword v69, off, s[0:3], 0 offset:220
	s_waitcnt vmcnt(3)
	buffer_store_dword v66, off, s[0:3], 0 offset:216
	s_waitcnt vmcnt(3)
	buffer_store_dword v67, off, s[0:3], 0 offset:220
	s_waitcnt vmcnt(3)
	buffer_store_dword v68, v65, s[0:3], 0 offen
	s_waitcnt vmcnt(3)
	buffer_store_dword v69, v65, s[0:3], 0 offen offset:4
.LBB95_208:
	global_load_dword v0, v0, s[12:13] offset:104
	s_waitcnt vmcnt(0)
	v_add_u32_e32 v0, -1, v0
	v_cmp_eq_u32_e32 vcc, 26, v0
	s_cbranch_vccnz .LBB95_210
; %bb.209:
	v_lshlrev_b32_e32 v0, 3, v0
	buffer_load_dword v65, v0, s[0:3], 0 offen
	buffer_load_dword v66, v0, s[0:3], 0 offen offset:4
	buffer_load_dword v67, off, s[0:3], 0 offset:212
	buffer_load_dword v68, off, s[0:3], 0 offset:208
	s_waitcnt vmcnt(3)
	buffer_store_dword v65, off, s[0:3], 0 offset:208
	s_waitcnt vmcnt(3)
	buffer_store_dword v66, off, s[0:3], 0 offset:212
	s_waitcnt vmcnt(3)
	buffer_store_dword v67, v0, s[0:3], 0 offen offset:4
	s_waitcnt vmcnt(3)
	buffer_store_dword v68, v0, s[0:3], 0 offen
.LBB95_210:
	;; [unrolled: 41-line block ×14, first 2 shown]
	v_mov_b32_e32 v0, 0
	global_load_dword v65, v0, s[12:13] offset:4
	s_waitcnt vmcnt(0)
	v_add_u32_e32 v65, -1, v65
	v_cmp_eq_u32_e32 vcc, 1, v65
	s_cbranch_vccnz .LBB95_260
; %bb.259:
	v_lshlrev_b32_e32 v65, 3, v65
	buffer_load_dword v66, v65, s[0:3], 0 offen
	buffer_load_dword v67, v65, s[0:3], 0 offen offset:4
	buffer_load_dword v68, off, s[0:3], 0 offset:8
	buffer_load_dword v69, off, s[0:3], 0 offset:12
	s_waitcnt vmcnt(3)
	buffer_store_dword v66, off, s[0:3], 0 offset:8
	s_waitcnt vmcnt(3)
	buffer_store_dword v67, off, s[0:3], 0 offset:12
	s_waitcnt vmcnt(3)
	buffer_store_dword v68, v65, s[0:3], 0 offen
	s_waitcnt vmcnt(3)
	buffer_store_dword v69, v65, s[0:3], 0 offen offset:4
.LBB95_260:
	global_load_dword v0, v0, s[12:13]
	s_nop 0
	buffer_load_dword v67, off, s[0:3], 0
	buffer_load_dword v68, off, s[0:3], 0 offset:4
	s_waitcnt vmcnt(2)
	v_add_u32_e32 v0, -1, v0
	v_cmp_eq_u32_e32 vcc, 0, v0
	s_cbranch_vccnz .LBB95_262
; %bb.261:
	v_lshlrev_b32_e32 v0, 3, v0
	buffer_load_dword v65, v0, s[0:3], 0 offen offset:4
	buffer_load_dword v66, v0, s[0:3], 0 offen
	s_waitcnt vmcnt(1)
	buffer_store_dword v65, off, s[0:3], 0 offset:4
	s_waitcnt vmcnt(1)
	buffer_store_dword v66, off, s[0:3], 0
	buffer_store_dword v68, v0, s[0:3], 0 offen offset:4
	buffer_store_dword v67, v0, s[0:3], 0 offen
	buffer_load_dword v67, off, s[0:3], 0
	s_nop 0
	buffer_load_dword v68, off, s[0:3], 0 offset:4
.LBB95_262:
	s_waitcnt vmcnt(0)
	flat_store_dwordx2 v[1:2], v[67:68]
	buffer_load_dword v0, off, s[0:3], 0 offset:8
	s_nop 0
	buffer_load_dword v1, off, s[0:3], 0 offset:12
	s_waitcnt vmcnt(0)
	flat_store_dwordx2 v[3:4], v[0:1]
	buffer_load_dword v0, off, s[0:3], 0 offset:16
	s_nop 0
	buffer_load_dword v1, off, s[0:3], 0 offset:20
	;; [unrolled: 5-line block ×31, first 2 shown]
	s_waitcnt vmcnt(0)
	flat_store_dwordx2 v[63:64], v[0:1]
	s_endpgm
	.section	.rodata,"a",@progbits
	.p2align	6, 0x0
	.amdhsa_kernel _ZN9rocsolver6v33100L18getri_kernel_smallILi32EdPKPdEEvT1_iilPiilS6_bb
		.amdhsa_group_segment_fixed_size 520
		.amdhsa_private_segment_fixed_size 272
		.amdhsa_kernarg_size 60
		.amdhsa_user_sgpr_count 6
		.amdhsa_user_sgpr_private_segment_buffer 1
		.amdhsa_user_sgpr_dispatch_ptr 0
		.amdhsa_user_sgpr_queue_ptr 0
		.amdhsa_user_sgpr_kernarg_segment_ptr 1
		.amdhsa_user_sgpr_dispatch_id 0
		.amdhsa_user_sgpr_flat_scratch_init 0
		.amdhsa_user_sgpr_private_segment_size 0
		.amdhsa_uses_dynamic_stack 0
		.amdhsa_system_sgpr_private_segment_wavefront_offset 1
		.amdhsa_system_sgpr_workgroup_id_x 1
		.amdhsa_system_sgpr_workgroup_id_y 0
		.amdhsa_system_sgpr_workgroup_id_z 0
		.amdhsa_system_sgpr_workgroup_info 0
		.amdhsa_system_vgpr_workitem_id 0
		.amdhsa_next_free_vgpr 101
		.amdhsa_next_free_sgpr 21
		.amdhsa_reserve_vcc 1
		.amdhsa_reserve_flat_scratch 0
		.amdhsa_float_round_mode_32 0
		.amdhsa_float_round_mode_16_64 0
		.amdhsa_float_denorm_mode_32 3
		.amdhsa_float_denorm_mode_16_64 3
		.amdhsa_dx10_clamp 1
		.amdhsa_ieee_mode 1
		.amdhsa_fp16_overflow 0
		.amdhsa_exception_fp_ieee_invalid_op 0
		.amdhsa_exception_fp_denorm_src 0
		.amdhsa_exception_fp_ieee_div_zero 0
		.amdhsa_exception_fp_ieee_overflow 0
		.amdhsa_exception_fp_ieee_underflow 0
		.amdhsa_exception_fp_ieee_inexact 0
		.amdhsa_exception_int_div_zero 0
	.end_amdhsa_kernel
	.section	.text._ZN9rocsolver6v33100L18getri_kernel_smallILi32EdPKPdEEvT1_iilPiilS6_bb,"axG",@progbits,_ZN9rocsolver6v33100L18getri_kernel_smallILi32EdPKPdEEvT1_iilPiilS6_bb,comdat
.Lfunc_end95:
	.size	_ZN9rocsolver6v33100L18getri_kernel_smallILi32EdPKPdEEvT1_iilPiilS6_bb, .Lfunc_end95-_ZN9rocsolver6v33100L18getri_kernel_smallILi32EdPKPdEEvT1_iilPiilS6_bb
                                        ; -- End function
	.set _ZN9rocsolver6v33100L18getri_kernel_smallILi32EdPKPdEEvT1_iilPiilS6_bb.num_vgpr, 101
	.set _ZN9rocsolver6v33100L18getri_kernel_smallILi32EdPKPdEEvT1_iilPiilS6_bb.num_agpr, 0
	.set _ZN9rocsolver6v33100L18getri_kernel_smallILi32EdPKPdEEvT1_iilPiilS6_bb.numbered_sgpr, 21
	.set _ZN9rocsolver6v33100L18getri_kernel_smallILi32EdPKPdEEvT1_iilPiilS6_bb.num_named_barrier, 0
	.set _ZN9rocsolver6v33100L18getri_kernel_smallILi32EdPKPdEEvT1_iilPiilS6_bb.private_seg_size, 272
	.set _ZN9rocsolver6v33100L18getri_kernel_smallILi32EdPKPdEEvT1_iilPiilS6_bb.uses_vcc, 1
	.set _ZN9rocsolver6v33100L18getri_kernel_smallILi32EdPKPdEEvT1_iilPiilS6_bb.uses_flat_scratch, 0
	.set _ZN9rocsolver6v33100L18getri_kernel_smallILi32EdPKPdEEvT1_iilPiilS6_bb.has_dyn_sized_stack, 0
	.set _ZN9rocsolver6v33100L18getri_kernel_smallILi32EdPKPdEEvT1_iilPiilS6_bb.has_recursion, 0
	.set _ZN9rocsolver6v33100L18getri_kernel_smallILi32EdPKPdEEvT1_iilPiilS6_bb.has_indirect_call, 0
	.section	.AMDGPU.csdata,"",@progbits
; Kernel info:
; codeLenInByte = 31896
; TotalNumSgprs: 25
; NumVgprs: 101
; ScratchSize: 272
; MemoryBound: 0
; FloatMode: 240
; IeeeMode: 1
; LDSByteSize: 520 bytes/workgroup (compile time only)
; SGPRBlocks: 3
; VGPRBlocks: 25
; NumSGPRsForWavesPerEU: 25
; NumVGPRsForWavesPerEU: 101
; Occupancy: 2
; WaveLimiterHint : 1
; COMPUTE_PGM_RSRC2:SCRATCH_EN: 1
; COMPUTE_PGM_RSRC2:USER_SGPR: 6
; COMPUTE_PGM_RSRC2:TRAP_HANDLER: 0
; COMPUTE_PGM_RSRC2:TGID_X_EN: 1
; COMPUTE_PGM_RSRC2:TGID_Y_EN: 0
; COMPUTE_PGM_RSRC2:TGID_Z_EN: 0
; COMPUTE_PGM_RSRC2:TIDIG_COMP_CNT: 0
	.section	.text._ZN9rocsolver6v33100L18getri_kernel_smallILi33EdPKPdEEvT1_iilPiilS6_bb,"axG",@progbits,_ZN9rocsolver6v33100L18getri_kernel_smallILi33EdPKPdEEvT1_iilPiilS6_bb,comdat
	.globl	_ZN9rocsolver6v33100L18getri_kernel_smallILi33EdPKPdEEvT1_iilPiilS6_bb ; -- Begin function _ZN9rocsolver6v33100L18getri_kernel_smallILi33EdPKPdEEvT1_iilPiilS6_bb
	.p2align	8
	.type	_ZN9rocsolver6v33100L18getri_kernel_smallILi33EdPKPdEEvT1_iilPiilS6_bb,@function
_ZN9rocsolver6v33100L18getri_kernel_smallILi33EdPKPdEEvT1_iilPiilS6_bb: ; @_ZN9rocsolver6v33100L18getri_kernel_smallILi33EdPKPdEEvT1_iilPiilS6_bb
; %bb.0:
	s_add_u32 s0, s0, s7
	s_addc_u32 s1, s1, 0
	v_cmp_gt_u32_e32 vcc, 33, v0
	s_and_saveexec_b64 s[8:9], vcc
	s_cbranch_execz .LBB96_140
; %bb.1:
	s_load_dword s18, s[4:5], 0x38
	s_load_dwordx2 s[12:13], s[4:5], 0x0
	s_load_dwordx4 s[8:11], s[4:5], 0x28
	s_waitcnt lgkmcnt(0)
	s_bitcmp1_b32 s18, 8
	s_cselect_b64 s[14:15], -1, 0
	s_ashr_i32 s7, s6, 31
	s_lshl_b64 s[16:17], s[6:7], 3
	s_add_u32 s12, s12, s16
	s_addc_u32 s13, s13, s17
	s_load_dwordx2 s[16:17], s[12:13], 0x0
	s_bfe_u32 s12, s18, 0x10008
	s_cmp_eq_u32 s12, 0
                                        ; implicit-def: $sgpr12_sgpr13
	s_cbranch_scc1 .LBB96_3
; %bb.2:
	s_load_dword s12, s[4:5], 0x20
	s_load_dwordx2 s[18:19], s[4:5], 0x18
	s_mul_i32 s13, s8, s7
	s_mul_hi_u32 s20, s8, s6
	s_add_i32 s20, s20, s13
	s_mul_i32 s9, s9, s6
	s_add_i32 s9, s20, s9
	s_mul_i32 s8, s8, s6
	s_waitcnt lgkmcnt(0)
	s_ashr_i32 s13, s12, 31
	s_lshl_b64 s[8:9], s[8:9], 2
	s_add_u32 s18, s18, s8
	s_addc_u32 s19, s19, s9
	s_lshl_b64 s[8:9], s[12:13], 2
	s_add_u32 s12, s18, s8
	s_addc_u32 s13, s19, s9
.LBB96_3:
	s_load_dwordx2 s[8:9], s[4:5], 0x8
	s_load_dword s18, s[4:5], 0x38
	v_lshlrev_b32_e32 v69, 3, v0
	s_waitcnt lgkmcnt(0)
	s_ashr_i32 s5, s8, 31
	s_mov_b32 s4, s8
	s_lshl_b64 s[4:5], s[4:5], 3
	s_add_u32 s4, s16, s4
	s_addc_u32 s5, s17, s5
	v_mov_b32_e32 v2, s5
	v_add_co_u32_e32 v1, vcc, s4, v69
	v_addc_co_u32_e32 v2, vcc, 0, v2, vcc
	flat_load_dwordx2 v[5:6], v[1:2]
	s_mov_b32 s16, s9
	s_ashr_i32 s17, s9, 31
	s_lshl_b64 s[16:17], s[16:17], 3
	v_mov_b32_e32 v4, s17
	v_add_co_u32_e32 v3, vcc, s16, v1
	v_addc_co_u32_e32 v4, vcc, v2, v4, vcc
	s_add_i32 s8, s9, s9
	v_add_u32_e32 v9, s8, v0
	v_ashrrev_i32_e32 v10, 31, v9
	v_mov_b32_e32 v11, s5
	v_add_u32_e32 v12, s9, v9
	v_ashrrev_i32_e32 v13, 31, v12
	v_mov_b32_e32 v14, s5
	v_mov_b32_e32 v15, s5
	;; [unrolled: 1-line block ×29, first 2 shown]
	s_bitcmp0_b32 s18, 0
	s_waitcnt vmcnt(0) lgkmcnt(0)
	buffer_store_dword v6, off, s[0:3], 0 offset:4
	buffer_store_dword v5, off, s[0:3], 0
	flat_load_dwordx2 v[7:8], v[3:4]
	v_lshlrev_b64 v[5:6], 3, v[9:10]
	s_waitcnt vmcnt(0) lgkmcnt(0)
	buffer_store_dword v8, off, s[0:3], 0 offset:12
	buffer_store_dword v7, off, s[0:3], 0 offset:8
	v_add_co_u32_e32 v5, vcc, s4, v5
	v_addc_co_u32_e32 v6, vcc, v11, v6, vcc
	flat_load_dwordx2 v[10:11], v[5:6]
	v_lshlrev_b64 v[7:8], 3, v[12:13]
	s_waitcnt vmcnt(0) lgkmcnt(0)
	buffer_store_dword v11, off, s[0:3], 0 offset:20
	buffer_store_dword v10, off, s[0:3], 0 offset:16
	v_add_co_u32_e32 v7, vcc, s4, v7
	v_addc_co_u32_e32 v8, vcc, v14, v8, vcc
	flat_load_dwordx2 v[13:14], v[7:8]
	v_add_u32_e32 v11, s9, v12
	v_ashrrev_i32_e32 v12, 31, v11
	v_lshlrev_b64 v[9:10], 3, v[11:12]
	s_waitcnt vmcnt(0) lgkmcnt(0)
	buffer_store_dword v14, off, s[0:3], 0 offset:28
	buffer_store_dword v13, off, s[0:3], 0 offset:24
	v_add_co_u32_e32 v9, vcc, s4, v9
	v_addc_co_u32_e32 v10, vcc, v15, v10, vcc
	flat_load_dwordx2 v[13:14], v[9:10]
	v_add_u32_e32 v15, s9, v11
	v_ashrrev_i32_e32 v16, 31, v15
	v_lshlrev_b64 v[11:12], 3, v[15:16]
	v_add_u32_e32 v18, s9, v15
	v_add_co_u32_e32 v11, vcc, s4, v11
	v_addc_co_u32_e32 v12, vcc, v17, v12, vcc
	v_ashrrev_i32_e32 v19, 31, v18
	s_waitcnt vmcnt(0) lgkmcnt(0)
	buffer_store_dword v14, off, s[0:3], 0 offset:36
	buffer_store_dword v13, off, s[0:3], 0 offset:32
	flat_load_dwordx2 v[16:17], v[11:12]
	v_lshlrev_b64 v[13:14], 3, v[18:19]
	s_waitcnt vmcnt(0) lgkmcnt(0)
	buffer_store_dword v17, off, s[0:3], 0 offset:44
	buffer_store_dword v16, off, s[0:3], 0 offset:40
	v_add_co_u32_e32 v13, vcc, s4, v13
	v_addc_co_u32_e32 v14, vcc, v20, v14, vcc
	flat_load_dwordx2 v[19:20], v[13:14]
	v_add_u32_e32 v17, s9, v18
	v_ashrrev_i32_e32 v18, 31, v17
	v_lshlrev_b64 v[15:16], 3, v[17:18]
	s_waitcnt vmcnt(0) lgkmcnt(0)
	buffer_store_dword v20, off, s[0:3], 0 offset:52
	buffer_store_dword v19, off, s[0:3], 0 offset:48
	v_add_co_u32_e32 v15, vcc, s4, v15
	v_addc_co_u32_e32 v16, vcc, v21, v16, vcc
	flat_load_dwordx2 v[19:20], v[15:16]
	v_add_u32_e32 v21, s9, v17
	v_ashrrev_i32_e32 v22, 31, v21
	v_lshlrev_b64 v[17:18], 3, v[21:22]
	v_add_u32_e32 v24, s9, v21
	v_add_co_u32_e32 v17, vcc, s4, v17
	v_addc_co_u32_e32 v18, vcc, v23, v18, vcc
	v_ashrrev_i32_e32 v25, 31, v24
	s_waitcnt vmcnt(0) lgkmcnt(0)
	buffer_store_dword v20, off, s[0:3], 0 offset:60
	buffer_store_dword v19, off, s[0:3], 0 offset:56
	;; [unrolled: 27-line block ×7, first 2 shown]
	flat_load_dwordx2 v[52:53], v[47:48]
	v_lshlrev_b64 v[49:50], 3, v[54:55]
	s_waitcnt vmcnt(0) lgkmcnt(0)
	buffer_store_dword v53, off, s[0:3], 0 offset:188
	buffer_store_dword v52, off, s[0:3], 0 offset:184
	v_add_co_u32_e32 v49, vcc, s4, v49
	v_addc_co_u32_e32 v50, vcc, v56, v50, vcc
	flat_load_dwordx2 v[55:56], v[49:50]
	v_add_u32_e32 v53, s9, v54
	v_ashrrev_i32_e32 v54, 31, v53
	v_lshlrev_b64 v[51:52], 3, v[53:54]
	s_waitcnt vmcnt(0) lgkmcnt(0)
	buffer_store_dword v56, off, s[0:3], 0 offset:196
	buffer_store_dword v55, off, s[0:3], 0 offset:192
	v_add_co_u32_e32 v51, vcc, s4, v51
	v_addc_co_u32_e32 v52, vcc, v57, v52, vcc
	flat_load_dwordx2 v[55:56], v[51:52]
	v_add_u32_e32 v57, s9, v53
	v_ashrrev_i32_e32 v58, 31, v57
	v_lshlrev_b64 v[53:54], 3, v[57:58]
	v_add_u32_e32 v60, s9, v57
	v_add_co_u32_e32 v53, vcc, s4, v53
	v_addc_co_u32_e32 v54, vcc, v59, v54, vcc
	s_waitcnt vmcnt(0) lgkmcnt(0)
	buffer_store_dword v56, off, s[0:3], 0 offset:204
	buffer_store_dword v55, off, s[0:3], 0 offset:200
	flat_load_dwordx2 v[58:59], v[53:54]
	v_ashrrev_i32_e32 v61, 31, v60
	v_lshlrev_b64 v[55:56], 3, v[60:61]
	s_waitcnt vmcnt(0) lgkmcnt(0)
	buffer_store_dword v59, off, s[0:3], 0 offset:212
	buffer_store_dword v58, off, s[0:3], 0 offset:208
	v_add_co_u32_e32 v55, vcc, s4, v55
	v_addc_co_u32_e32 v56, vcc, v62, v56, vcc
	flat_load_dwordx2 v[61:62], v[55:56]
	v_add_u32_e32 v59, s9, v60
	v_ashrrev_i32_e32 v60, 31, v59
	v_lshlrev_b64 v[57:58], 3, v[59:60]
	s_waitcnt vmcnt(0) lgkmcnt(0)
	buffer_store_dword v62, off, s[0:3], 0 offset:220
	buffer_store_dword v61, off, s[0:3], 0 offset:216
	v_add_co_u32_e32 v57, vcc, s4, v57
	v_addc_co_u32_e32 v58, vcc, v63, v58, vcc
	flat_load_dwordx2 v[61:62], v[57:58]
	v_add_u32_e32 v63, s9, v59
	;; [unrolled: 9-line block ×5, first 2 shown]
	v_ashrrev_i32_e32 v66, 31, v65
	v_lshlrev_b64 v[65:66], 3, v[65:66]
	s_waitcnt vmcnt(0) lgkmcnt(0)
	buffer_store_dword v68, off, s[0:3], 0 offset:252
	buffer_store_dword v67, off, s[0:3], 0 offset:248
	v_add_co_u32_e32 v65, vcc, s4, v65
	v_addc_co_u32_e32 v66, vcc, v70, v66, vcc
	flat_load_dwordx2 v[67:68], v[65:66]
	s_mov_b64 s[8:9], -1
	s_waitcnt vmcnt(0) lgkmcnt(0)
	buffer_store_dword v68, off, s[0:3], 0 offset:260
	buffer_store_dword v67, off, s[0:3], 0 offset:256
	s_cbranch_scc1 .LBB96_138
; %bb.4:
	v_cmp_eq_u32_e64 s[4:5], 0, v0
	s_and_saveexec_b64 s[8:9], s[4:5]
; %bb.5:
	v_mov_b32_e32 v67, 0
	ds_write_b32 v67, v67 offset:264
; %bb.6:
	s_or_b64 exec, exec, s[8:9]
	v_mov_b32_e32 v67, 0
	v_lshl_add_u32 v67, v0, 3, v67
	s_waitcnt lgkmcnt(0)
	; wave barrier
	buffer_load_dword v70, v67, s[0:3], 0 offen
	buffer_load_dword v71, v67, s[0:3], 0 offen offset:4
	s_waitcnt vmcnt(0)
	v_cmp_eq_f64_e32 vcc, 0, v[70:71]
	s_and_saveexec_b64 s[16:17], vcc
	s_cbranch_execz .LBB96_10
; %bb.7:
	v_mov_b32_e32 v68, 0
	ds_read_b32 v71, v68 offset:264
	v_add_u32_e32 v70, 1, v0
	s_waitcnt lgkmcnt(0)
	v_readfirstlane_b32 s8, v71
	s_cmp_eq_u32 s8, 0
	s_cselect_b64 s[18:19], -1, 0
	v_cmp_gt_i32_e32 vcc, s8, v70
	s_or_b64 s[18:19], s[18:19], vcc
	s_and_b64 exec, exec, s[18:19]
	s_cbranch_execz .LBB96_10
; %bb.8:
	s_mov_b64 s[18:19], 0
	v_mov_b32_e32 v71, s8
.LBB96_9:                               ; =>This Inner Loop Header: Depth=1
	ds_cmpst_rtn_b32 v71, v68, v71, v70 offset:264
	s_waitcnt lgkmcnt(0)
	v_cmp_ne_u32_e32 vcc, 0, v71
	v_cmp_le_i32_e64 s[8:9], v71, v70
	s_and_b64 s[8:9], vcc, s[8:9]
	s_and_b64 s[8:9], exec, s[8:9]
	s_or_b64 s[18:19], s[8:9], s[18:19]
	s_andn2_b64 exec, exec, s[18:19]
	s_cbranch_execnz .LBB96_9
.LBB96_10:
	s_or_b64 exec, exec, s[16:17]
	v_mov_b32_e32 v70, 0
	; wave barrier
	ds_read_b32 v68, v70 offset:264
	s_and_saveexec_b64 s[8:9], s[4:5]
	s_cbranch_execz .LBB96_12
; %bb.11:
	s_lshl_b64 s[16:17], s[6:7], 2
	s_add_u32 s16, s10, s16
	s_addc_u32 s17, s11, s17
	s_waitcnt lgkmcnt(0)
	global_store_dword v70, v68, s[16:17]
.LBB96_12:
	s_or_b64 exec, exec, s[8:9]
	s_waitcnt lgkmcnt(0)
	v_cmp_ne_u32_e32 vcc, 0, v68
	s_mov_b64 s[8:9], 0
	s_cbranch_vccnz .LBB96_138
; %bb.13:
	buffer_load_dword v70, v67, s[0:3], 0 offen
	buffer_load_dword v71, v67, s[0:3], 0 offen offset:4
	s_waitcnt vmcnt(0)
	v_div_scale_f64 v[72:73], s[8:9], v[70:71], v[70:71], 1.0
	v_rcp_f64_e32 v[74:75], v[72:73]
	v_fma_f64 v[76:77], -v[72:73], v[74:75], 1.0
	v_fma_f64 v[74:75], v[74:75], v[76:77], v[74:75]
	v_div_scale_f64 v[76:77], vcc, 1.0, v[70:71], 1.0
	v_fma_f64 v[78:79], -v[72:73], v[74:75], 1.0
	v_fma_f64 v[74:75], v[74:75], v[78:79], v[74:75]
	v_mul_f64 v[78:79], v[76:77], v[74:75]
	v_fma_f64 v[72:73], -v[72:73], v[78:79], v[76:77]
	v_div_fmas_f64 v[72:73], v[72:73], v[74:75], v[78:79]
	v_div_fixup_f64 v[71:72], v[72:73], v[70:71], 1.0
	v_add_u32_e32 v70, 0x110, v69
	buffer_store_dword v72, v67, s[0:3], 0 offen offset:4
	buffer_store_dword v71, v67, s[0:3], 0 offen
	buffer_load_dword v74, off, s[0:3], 0 offset:12
	buffer_load_dword v73, off, s[0:3], 0 offset:8
	v_xor_b32_e32 v72, 0x80000000, v72
	s_waitcnt vmcnt(0)
	ds_write2_b64 v69, v[71:72], v[73:74] offset1:34
	s_waitcnt lgkmcnt(0)
	; wave barrier
	s_and_saveexec_b64 s[8:9], s[4:5]
	s_cbranch_execz .LBB96_15
; %bb.14:
	buffer_load_dword v71, v67, s[0:3], 0 offen
	buffer_load_dword v72, v67, s[0:3], 0 offen offset:4
	ds_read_b64 v[73:74], v70
	v_mov_b32_e32 v68, 0
	ds_read_b64 v[75:76], v68 offset:8
	s_waitcnt vmcnt(0) lgkmcnt(1)
	v_fma_f64 v[71:72], v[71:72], v[73:74], 0
	s_waitcnt lgkmcnt(0)
	v_mul_f64 v[71:72], v[71:72], v[75:76]
	buffer_store_dword v71, off, s[0:3], 0 offset:8
	buffer_store_dword v72, off, s[0:3], 0 offset:12
.LBB96_15:
	s_or_b64 exec, exec, s[8:9]
	; wave barrier
	buffer_load_dword v71, off, s[0:3], 0 offset:16
	buffer_load_dword v72, off, s[0:3], 0 offset:20
	v_cmp_gt_u32_e32 vcc, 2, v0
	s_waitcnt vmcnt(0)
	ds_write_b64 v70, v[71:72]
	s_waitcnt lgkmcnt(0)
	; wave barrier
	s_and_saveexec_b64 s[8:9], vcc
	s_cbranch_execz .LBB96_17
; %bb.16:
	buffer_load_dword v71, v67, s[0:3], 0 offen
	buffer_load_dword v72, v67, s[0:3], 0 offen offset:4
                                        ; kill: killed $vgpr67
	s_nop 0
	buffer_load_dword v67, off, s[0:3], 0 offset:8
	buffer_load_dword v68, off, s[0:3], 0 offset:12
	ds_read_b64 v[73:74], v70
	s_waitcnt vmcnt(2) lgkmcnt(0)
	v_fma_f64 v[75:76], v[71:72], v[73:74], 0
	v_mov_b32_e32 v71, 0
	ds_read2_b64 v[71:74], v71 offset0:2 offset1:35
	s_waitcnt vmcnt(0) lgkmcnt(0)
	v_fma_f64 v[67:68], v[67:68], v[73:74], v[75:76]
	v_cndmask_b32_e64 v68, v76, v68, s[4:5]
	v_cndmask_b32_e64 v67, v75, v67, s[4:5]
	v_mul_f64 v[67:68], v[67:68], v[71:72]
	buffer_store_dword v68, off, s[0:3], 0 offset:20
	buffer_store_dword v67, off, s[0:3], 0 offset:16
.LBB96_17:
	s_or_b64 exec, exec, s[8:9]
	; wave barrier
	buffer_load_dword v67, off, s[0:3], 0 offset:24
	buffer_load_dword v68, off, s[0:3], 0 offset:28
	v_cmp_gt_u32_e32 vcc, 3, v0
	v_add_u32_e32 v71, -1, v0
	s_waitcnt vmcnt(0)
	ds_write_b64 v70, v[67:68]
	s_waitcnt lgkmcnt(0)
	; wave barrier
	s_and_saveexec_b64 s[4:5], vcc
	s_cbranch_execz .LBB96_21
; %bb.18:
	v_mov_b32_e32 v67, 0
	v_add_u32_e32 v72, -1, v0
	v_add_u32_e32 v73, 0x110, v69
	v_mov_b32_e32 v74, v69
	v_mov_b32_e32 v68, 0
	s_mov_b64 s[8:9], 0
.LBB96_19:                              ; =>This Inner Loop Header: Depth=1
	buffer_load_dword v75, v74, s[0:3], 0 offen
	buffer_load_dword v76, v74, s[0:3], 0 offen offset:4
	ds_read_b64 v[77:78], v73
	v_add_u32_e32 v72, 1, v72
	v_cmp_lt_u32_e32 vcc, 1, v72
	v_add_u32_e32 v73, 8, v73
	s_or_b64 s[8:9], vcc, s[8:9]
	v_add_u32_e32 v74, 8, v74
	s_waitcnt vmcnt(0) lgkmcnt(0)
	v_fma_f64 v[67:68], v[75:76], v[77:78], v[67:68]
	s_andn2_b64 exec, exec, s[8:9]
	s_cbranch_execnz .LBB96_19
; %bb.20:
	s_or_b64 exec, exec, s[8:9]
	v_mov_b32_e32 v72, 0
	ds_read_b64 v[72:73], v72 offset:24
	s_waitcnt lgkmcnt(0)
	v_mul_f64 v[67:68], v[67:68], v[72:73]
	buffer_store_dword v68, off, s[0:3], 0 offset:28
	buffer_store_dword v67, off, s[0:3], 0 offset:24
.LBB96_21:
	s_or_b64 exec, exec, s[4:5]
	; wave barrier
	buffer_load_dword v67, off, s[0:3], 0 offset:32
	buffer_load_dword v68, off, s[0:3], 0 offset:36
	v_cmp_gt_u32_e32 vcc, 4, v0
	s_waitcnt vmcnt(0)
	ds_write_b64 v70, v[67:68]
	s_waitcnt lgkmcnt(0)
	; wave barrier
	s_and_saveexec_b64 s[4:5], vcc
	s_cbranch_execz .LBB96_25
; %bb.22:
	v_mov_b32_e32 v67, 0
	v_add_u32_e32 v72, -1, v0
	v_add_u32_e32 v73, 0x110, v69
	v_mov_b32_e32 v74, v69
	v_mov_b32_e32 v68, 0
	s_mov_b64 s[8:9], 0
.LBB96_23:                              ; =>This Inner Loop Header: Depth=1
	buffer_load_dword v75, v74, s[0:3], 0 offen
	buffer_load_dword v76, v74, s[0:3], 0 offen offset:4
	ds_read_b64 v[77:78], v73
	v_add_u32_e32 v72, 1, v72
	v_cmp_lt_u32_e32 vcc, 2, v72
	v_add_u32_e32 v73, 8, v73
	s_or_b64 s[8:9], vcc, s[8:9]
	v_add_u32_e32 v74, 8, v74
	s_waitcnt vmcnt(0) lgkmcnt(0)
	v_fma_f64 v[67:68], v[75:76], v[77:78], v[67:68]
	s_andn2_b64 exec, exec, s[8:9]
	s_cbranch_execnz .LBB96_23
; %bb.24:
	s_or_b64 exec, exec, s[8:9]
	v_mov_b32_e32 v72, 0
	ds_read_b64 v[72:73], v72 offset:32
	s_waitcnt lgkmcnt(0)
	v_mul_f64 v[67:68], v[67:68], v[72:73]
	buffer_store_dword v68, off, s[0:3], 0 offset:36
	buffer_store_dword v67, off, s[0:3], 0 offset:32
.LBB96_25:
	s_or_b64 exec, exec, s[4:5]
	; wave barrier
	buffer_load_dword v67, off, s[0:3], 0 offset:40
	buffer_load_dword v68, off, s[0:3], 0 offset:44
	v_cmp_gt_u32_e32 vcc, 5, v0
	;; [unrolled: 40-line block ×21, first 2 shown]
	s_waitcnt vmcnt(0)
	ds_write_b64 v70, v[67:68]
	s_waitcnt lgkmcnt(0)
	; wave barrier
	s_and_saveexec_b64 s[4:5], vcc
	s_cbranch_execz .LBB96_105
; %bb.102:
	v_mov_b32_e32 v67, 0
	v_add_u32_e32 v72, -1, v0
	v_add_u32_e32 v73, 0x110, v69
	v_mov_b32_e32 v74, v69
	v_mov_b32_e32 v68, 0
	s_mov_b64 s[8:9], 0
.LBB96_103:                             ; =>This Inner Loop Header: Depth=1
	buffer_load_dword v75, v74, s[0:3], 0 offen
	buffer_load_dword v76, v74, s[0:3], 0 offen offset:4
	ds_read_b64 v[77:78], v73
	v_add_u32_e32 v72, 1, v72
	v_cmp_lt_u32_e32 vcc, 22, v72
	v_add_u32_e32 v73, 8, v73
	s_or_b64 s[8:9], vcc, s[8:9]
	v_add_u32_e32 v74, 8, v74
	s_waitcnt vmcnt(0) lgkmcnt(0)
	v_fma_f64 v[67:68], v[75:76], v[77:78], v[67:68]
	s_andn2_b64 exec, exec, s[8:9]
	s_cbranch_execnz .LBB96_103
; %bb.104:
	s_or_b64 exec, exec, s[8:9]
	v_mov_b32_e32 v72, 0
	ds_read_b64 v[72:73], v72 offset:192
	s_waitcnt lgkmcnt(0)
	v_mul_f64 v[67:68], v[67:68], v[72:73]
	buffer_store_dword v68, off, s[0:3], 0 offset:196
	buffer_store_dword v67, off, s[0:3], 0 offset:192
.LBB96_105:
	s_or_b64 exec, exec, s[4:5]
	; wave barrier
	buffer_load_dword v67, off, s[0:3], 0 offset:200
	buffer_load_dword v68, off, s[0:3], 0 offset:204
	v_cmp_gt_u32_e32 vcc, 25, v0
	s_waitcnt vmcnt(0)
	ds_write_b64 v70, v[67:68]
	s_waitcnt lgkmcnt(0)
	; wave barrier
	s_and_saveexec_b64 s[4:5], vcc
	s_cbranch_execz .LBB96_109
; %bb.106:
	v_mov_b32_e32 v67, 0
	v_add_u32_e32 v72, -1, v0
	v_add_u32_e32 v73, 0x110, v69
	v_mov_b32_e32 v74, v69
	v_mov_b32_e32 v68, 0
	s_mov_b64 s[8:9], 0
.LBB96_107:                             ; =>This Inner Loop Header: Depth=1
	buffer_load_dword v75, v74, s[0:3], 0 offen
	buffer_load_dword v76, v74, s[0:3], 0 offen offset:4
	ds_read_b64 v[77:78], v73
	v_add_u32_e32 v72, 1, v72
	v_cmp_lt_u32_e32 vcc, 23, v72
	v_add_u32_e32 v73, 8, v73
	s_or_b64 s[8:9], vcc, s[8:9]
	v_add_u32_e32 v74, 8, v74
	s_waitcnt vmcnt(0) lgkmcnt(0)
	v_fma_f64 v[67:68], v[75:76], v[77:78], v[67:68]
	s_andn2_b64 exec, exec, s[8:9]
	s_cbranch_execnz .LBB96_107
; %bb.108:
	s_or_b64 exec, exec, s[8:9]
	v_mov_b32_e32 v72, 0
	ds_read_b64 v[72:73], v72 offset:200
	s_waitcnt lgkmcnt(0)
	v_mul_f64 v[67:68], v[67:68], v[72:73]
	buffer_store_dword v68, off, s[0:3], 0 offset:204
	buffer_store_dword v67, off, s[0:3], 0 offset:200
.LBB96_109:
	s_or_b64 exec, exec, s[4:5]
	; wave barrier
	buffer_load_dword v67, off, s[0:3], 0 offset:208
	buffer_load_dword v68, off, s[0:3], 0 offset:212
	v_cmp_gt_u32_e32 vcc, 26, v0
	;; [unrolled: 40-line block ×7, first 2 shown]
	s_waitcnt vmcnt(0)
	ds_write_b64 v70, v[67:68]
	s_waitcnt lgkmcnt(0)
	; wave barrier
	s_and_saveexec_b64 s[4:5], vcc
	s_cbranch_execz .LBB96_133
; %bb.130:
	v_mov_b32_e32 v67, 0
	v_add_u32_e32 v72, -1, v0
	v_add_u32_e32 v73, 0x110, v69
	v_mov_b32_e32 v74, v69
	v_mov_b32_e32 v68, 0
	s_mov_b64 s[8:9], 0
.LBB96_131:                             ; =>This Inner Loop Header: Depth=1
	buffer_load_dword v75, v74, s[0:3], 0 offen
	buffer_load_dword v76, v74, s[0:3], 0 offen offset:4
	ds_read_b64 v[77:78], v73
	v_add_u32_e32 v72, 1, v72
	v_cmp_lt_u32_e32 vcc, 29, v72
	v_add_u32_e32 v73, 8, v73
	s_or_b64 s[8:9], vcc, s[8:9]
	v_add_u32_e32 v74, 8, v74
	s_waitcnt vmcnt(0) lgkmcnt(0)
	v_fma_f64 v[67:68], v[75:76], v[77:78], v[67:68]
	s_andn2_b64 exec, exec, s[8:9]
	s_cbranch_execnz .LBB96_131
; %bb.132:
	s_or_b64 exec, exec, s[8:9]
	v_mov_b32_e32 v72, 0
	ds_read_b64 v[72:73], v72 offset:248
	s_waitcnt lgkmcnt(0)
	v_mul_f64 v[67:68], v[67:68], v[72:73]
	buffer_store_dword v68, off, s[0:3], 0 offset:252
	buffer_store_dword v67, off, s[0:3], 0 offset:248
.LBB96_133:
	s_or_b64 exec, exec, s[4:5]
	; wave barrier
	buffer_load_dword v67, off, s[0:3], 0 offset:256
	buffer_load_dword v68, off, s[0:3], 0 offset:260
	v_cmp_ne_u32_e32 vcc, 32, v0
	s_waitcnt vmcnt(0)
	ds_write_b64 v70, v[67:68]
	s_waitcnt lgkmcnt(0)
	; wave barrier
	s_and_saveexec_b64 s[4:5], vcc
	s_cbranch_execz .LBB96_137
; %bb.134:
	v_mov_b32_e32 v67, 0
	v_add_u32_e32 v70, 0x110, v69
	v_mov_b32_e32 v68, 0
	s_mov_b64 s[8:9], 0
.LBB96_135:                             ; =>This Inner Loop Header: Depth=1
	buffer_load_dword v72, v69, s[0:3], 0 offen
	buffer_load_dword v73, v69, s[0:3], 0 offen offset:4
	ds_read_b64 v[74:75], v70
	v_add_u32_e32 v71, 1, v71
	v_cmp_lt_u32_e32 vcc, 30, v71
	v_add_u32_e32 v70, 8, v70
	s_or_b64 s[8:9], vcc, s[8:9]
	v_add_u32_e32 v69, 8, v69
	s_waitcnt vmcnt(0) lgkmcnt(0)
	v_fma_f64 v[67:68], v[72:73], v[74:75], v[67:68]
	s_andn2_b64 exec, exec, s[8:9]
	s_cbranch_execnz .LBB96_135
; %bb.136:
	s_or_b64 exec, exec, s[8:9]
	v_mov_b32_e32 v69, 0
	ds_read_b64 v[69:70], v69 offset:256
	s_waitcnt lgkmcnt(0)
	v_mul_f64 v[67:68], v[67:68], v[69:70]
	buffer_store_dword v68, off, s[0:3], 0 offset:260
	buffer_store_dword v67, off, s[0:3], 0 offset:256
.LBB96_137:
	s_or_b64 exec, exec, s[4:5]
	s_mov_b64 s[8:9], -1
	; wave barrier
.LBB96_138:
	s_and_b64 vcc, exec, s[8:9]
	s_cbranch_vccz .LBB96_140
; %bb.139:
	s_lshl_b64 s[4:5], s[6:7], 2
	s_add_u32 s4, s10, s4
	s_addc_u32 s5, s11, s5
	v_mov_b32_e32 v67, 0
	global_load_dword v67, v67, s[4:5]
	s_waitcnt vmcnt(0)
	v_cmp_ne_u32_e32 vcc, 0, v67
	s_cbranch_vccz .LBB96_141
.LBB96_140:
	s_endpgm
.LBB96_141:
	v_mov_b32_e32 v67, 0x110
	v_lshl_add_u32 v67, v0, 3, v67
	v_cmp_eq_u32_e32 vcc, 32, v0
	s_and_saveexec_b64 s[4:5], vcc
	s_cbranch_execz .LBB96_143
; %bb.142:
	buffer_load_dword v68, off, s[0:3], 0 offset:248
	buffer_load_dword v69, off, s[0:3], 0 offset:252
	v_mov_b32_e32 v70, 0
	buffer_store_dword v70, off, s[0:3], 0 offset:248
	buffer_store_dword v70, off, s[0:3], 0 offset:252
	s_waitcnt vmcnt(2)
	ds_write_b64 v67, v[68:69]
.LBB96_143:
	s_or_b64 exec, exec, s[4:5]
	s_waitcnt lgkmcnt(0)
	; wave barrier
	buffer_load_dword v69, off, s[0:3], 0 offset:256
	buffer_load_dword v70, off, s[0:3], 0 offset:260
	;; [unrolled: 1-line block ×4, first 2 shown]
	v_mov_b32_e32 v68, 0
	ds_read_b64 v[73:74], v68 offset:528
	v_cmp_lt_u32_e32 vcc, 30, v0
	s_waitcnt vmcnt(2) lgkmcnt(0)
	v_fma_f64 v[69:70], v[69:70], v[73:74], 0
	s_waitcnt vmcnt(0)
	v_add_f64 v[69:70], v[71:72], -v[69:70]
	buffer_store_dword v69, off, s[0:3], 0 offset:248
	buffer_store_dword v70, off, s[0:3], 0 offset:252
	s_and_saveexec_b64 s[4:5], vcc
	s_cbranch_execz .LBB96_145
; %bb.144:
	buffer_load_dword v69, off, s[0:3], 0 offset:240
	buffer_load_dword v70, off, s[0:3], 0 offset:244
	s_waitcnt vmcnt(0)
	ds_write_b64 v67, v[69:70]
	buffer_store_dword v68, off, s[0:3], 0 offset:240
	buffer_store_dword v68, off, s[0:3], 0 offset:244
.LBB96_145:
	s_or_b64 exec, exec, s[4:5]
	s_waitcnt lgkmcnt(0)
	; wave barrier
	buffer_load_dword v72, off, s[0:3], 0 offset:248
	buffer_load_dword v73, off, s[0:3], 0 offset:252
	;; [unrolled: 1-line block ×6, first 2 shown]
	ds_read2_b64 v[68:71], v68 offset0:65 offset1:66
	v_cmp_lt_u32_e32 vcc, 29, v0
	s_waitcnt vmcnt(4) lgkmcnt(0)
	v_fma_f64 v[68:69], v[72:73], v[68:69], 0
	s_waitcnt vmcnt(2)
	v_fma_f64 v[68:69], v[74:75], v[70:71], v[68:69]
	s_waitcnt vmcnt(0)
	v_add_f64 v[68:69], v[76:77], -v[68:69]
	buffer_store_dword v68, off, s[0:3], 0 offset:240
	buffer_store_dword v69, off, s[0:3], 0 offset:244
	s_and_saveexec_b64 s[4:5], vcc
	s_cbranch_execz .LBB96_147
; %bb.146:
	buffer_load_dword v68, off, s[0:3], 0 offset:232
	buffer_load_dword v69, off, s[0:3], 0 offset:236
	v_mov_b32_e32 v70, 0
	buffer_store_dword v70, off, s[0:3], 0 offset:232
	buffer_store_dword v70, off, s[0:3], 0 offset:236
	s_waitcnt vmcnt(2)
	ds_write_b64 v67, v[68:69]
.LBB96_147:
	s_or_b64 exec, exec, s[4:5]
	s_waitcnt lgkmcnt(0)
	; wave barrier
	buffer_load_dword v73, off, s[0:3], 0 offset:240
	buffer_load_dword v74, off, s[0:3], 0 offset:244
	;; [unrolled: 1-line block ×8, first 2 shown]
	v_mov_b32_e32 v68, 0
	ds_read_b128 v[69:72], v68 offset:512
	v_cmp_lt_u32_e32 vcc, 28, v0
	s_waitcnt vmcnt(6) lgkmcnt(0)
	v_fma_f64 v[69:70], v[73:74], v[69:70], 0
	s_waitcnt vmcnt(4)
	v_fma_f64 v[69:70], v[75:76], v[71:72], v[69:70]
	ds_read_b64 v[71:72], v68 offset:528
	s_waitcnt vmcnt(2) lgkmcnt(0)
	v_fma_f64 v[69:70], v[77:78], v[71:72], v[69:70]
	s_waitcnt vmcnt(0)
	v_add_f64 v[69:70], v[79:80], -v[69:70]
	buffer_store_dword v69, off, s[0:3], 0 offset:232
	buffer_store_dword v70, off, s[0:3], 0 offset:236
	s_and_saveexec_b64 s[4:5], vcc
	s_cbranch_execz .LBB96_149
; %bb.148:
	buffer_load_dword v69, off, s[0:3], 0 offset:224
	buffer_load_dword v70, off, s[0:3], 0 offset:228
	s_waitcnt vmcnt(0)
	ds_write_b64 v67, v[69:70]
	buffer_store_dword v68, off, s[0:3], 0 offset:224
	buffer_store_dword v68, off, s[0:3], 0 offset:228
.LBB96_149:
	s_or_b64 exec, exec, s[4:5]
	s_waitcnt lgkmcnt(0)
	; wave barrier
	buffer_load_dword v73, off, s[0:3], 0 offset:232
	buffer_load_dword v74, off, s[0:3], 0 offset:236
	;; [unrolled: 1-line block ×10, first 2 shown]
	ds_read2_b64 v[69:72], v68 offset0:63 offset1:64
	v_cmp_lt_u32_e32 vcc, 27, v0
	s_waitcnt vmcnt(8) lgkmcnt(0)
	v_fma_f64 v[69:70], v[73:74], v[69:70], 0
	s_waitcnt vmcnt(6)
	v_fma_f64 v[72:73], v[75:76], v[71:72], v[69:70]
	ds_read2_b64 v[68:71], v68 offset0:65 offset1:66
	s_waitcnt vmcnt(4) lgkmcnt(0)
	v_fma_f64 v[68:69], v[77:78], v[68:69], v[72:73]
	s_waitcnt vmcnt(2)
	v_fma_f64 v[68:69], v[79:80], v[70:71], v[68:69]
	s_waitcnt vmcnt(0)
	v_add_f64 v[68:69], v[81:82], -v[68:69]
	buffer_store_dword v68, off, s[0:3], 0 offset:224
	buffer_store_dword v69, off, s[0:3], 0 offset:228
	s_and_saveexec_b64 s[4:5], vcc
	s_cbranch_execz .LBB96_151
; %bb.150:
	buffer_load_dword v68, off, s[0:3], 0 offset:216
	buffer_load_dword v69, off, s[0:3], 0 offset:220
	v_mov_b32_e32 v70, 0
	buffer_store_dword v70, off, s[0:3], 0 offset:216
	buffer_store_dword v70, off, s[0:3], 0 offset:220
	s_waitcnt vmcnt(2)
	ds_write_b64 v67, v[68:69]
.LBB96_151:
	s_or_b64 exec, exec, s[4:5]
	s_waitcnt lgkmcnt(0)
	; wave barrier
	buffer_load_dword v77, off, s[0:3], 0 offset:224
	buffer_load_dword v78, off, s[0:3], 0 offset:228
	;; [unrolled: 1-line block ×12, first 2 shown]
	v_mov_b32_e32 v68, 0
	ds_read_b128 v[69:72], v68 offset:496
	ds_read_b128 v[73:76], v68 offset:512
	v_cmp_lt_u32_e32 vcc, 26, v0
	s_waitcnt vmcnt(10) lgkmcnt(1)
	v_fma_f64 v[69:70], v[77:78], v[69:70], 0
	s_waitcnt vmcnt(8)
	v_fma_f64 v[69:70], v[79:80], v[71:72], v[69:70]
	ds_read_b64 v[71:72], v68 offset:528
	s_waitcnt vmcnt(6) lgkmcnt(1)
	v_fma_f64 v[69:70], v[81:82], v[73:74], v[69:70]
	s_waitcnt vmcnt(4)
	v_fma_f64 v[69:70], v[83:84], v[75:76], v[69:70]
	s_waitcnt vmcnt(2) lgkmcnt(0)
	v_fma_f64 v[69:70], v[85:86], v[71:72], v[69:70]
	s_waitcnt vmcnt(0)
	v_add_f64 v[69:70], v[87:88], -v[69:70]
	buffer_store_dword v69, off, s[0:3], 0 offset:216
	buffer_store_dword v70, off, s[0:3], 0 offset:220
	s_and_saveexec_b64 s[4:5], vcc
	s_cbranch_execz .LBB96_153
; %bb.152:
	buffer_load_dword v69, off, s[0:3], 0 offset:208
	buffer_load_dword v70, off, s[0:3], 0 offset:212
	s_waitcnt vmcnt(0)
	ds_write_b64 v67, v[69:70]
	buffer_store_dword v68, off, s[0:3], 0 offset:208
	buffer_store_dword v68, off, s[0:3], 0 offset:212
.LBB96_153:
	s_or_b64 exec, exec, s[4:5]
	s_waitcnt lgkmcnt(0)
	; wave barrier
	buffer_load_dword v77, off, s[0:3], 0 offset:216
	buffer_load_dword v78, off, s[0:3], 0 offset:220
	;; [unrolled: 1-line block ×14, first 2 shown]
	ds_read2_b64 v[69:72], v68 offset0:61 offset1:62
	ds_read2_b64 v[73:76], v68 offset0:63 offset1:64
	v_cmp_lt_u32_e32 vcc, 25, v0
	s_waitcnt vmcnt(12) lgkmcnt(1)
	v_fma_f64 v[69:70], v[77:78], v[69:70], 0
	s_waitcnt vmcnt(10)
	v_fma_f64 v[69:70], v[79:80], v[71:72], v[69:70]
	s_waitcnt vmcnt(8) lgkmcnt(0)
	v_fma_f64 v[69:70], v[81:82], v[73:74], v[69:70]
	s_waitcnt vmcnt(6)
	v_fma_f64 v[72:73], v[83:84], v[75:76], v[69:70]
	ds_read2_b64 v[68:71], v68 offset0:65 offset1:66
	s_waitcnt vmcnt(4) lgkmcnt(0)
	v_fma_f64 v[68:69], v[85:86], v[68:69], v[72:73]
	s_waitcnt vmcnt(2)
	v_fma_f64 v[68:69], v[87:88], v[70:71], v[68:69]
	s_waitcnt vmcnt(0)
	v_add_f64 v[68:69], v[89:90], -v[68:69]
	buffer_store_dword v68, off, s[0:3], 0 offset:208
	buffer_store_dword v69, off, s[0:3], 0 offset:212
	s_and_saveexec_b64 s[4:5], vcc
	s_cbranch_execz .LBB96_155
; %bb.154:
	buffer_load_dword v68, off, s[0:3], 0 offset:200
	buffer_load_dword v69, off, s[0:3], 0 offset:204
	v_mov_b32_e32 v70, 0
	buffer_store_dword v70, off, s[0:3], 0 offset:200
	buffer_store_dword v70, off, s[0:3], 0 offset:204
	s_waitcnt vmcnt(2)
	ds_write_b64 v67, v[68:69]
.LBB96_155:
	s_or_b64 exec, exec, s[4:5]
	s_waitcnt lgkmcnt(0)
	; wave barrier
	buffer_load_dword v77, off, s[0:3], 0 offset:208
	buffer_load_dword v78, off, s[0:3], 0 offset:212
	buffer_load_dword v79, off, s[0:3], 0 offset:216
	buffer_load_dword v80, off, s[0:3], 0 offset:220
	buffer_load_dword v81, off, s[0:3], 0 offset:224
	buffer_load_dword v82, off, s[0:3], 0 offset:228
	buffer_load_dword v83, off, s[0:3], 0 offset:232
	buffer_load_dword v84, off, s[0:3], 0 offset:236
	buffer_load_dword v85, off, s[0:3], 0 offset:240
	buffer_load_dword v86, off, s[0:3], 0 offset:244
	buffer_load_dword v87, off, s[0:3], 0 offset:248
	buffer_load_dword v88, off, s[0:3], 0 offset:252
	buffer_load_dword v89, off, s[0:3], 0 offset:256
	buffer_load_dword v90, off, s[0:3], 0 offset:260
	buffer_load_dword v91, off, s[0:3], 0 offset:200
	buffer_load_dword v92, off, s[0:3], 0 offset:204
	v_mov_b32_e32 v68, 0
	ds_read_b128 v[69:72], v68 offset:480
	ds_read_b128 v[73:76], v68 offset:496
	v_cmp_lt_u32_e32 vcc, 24, v0
	s_waitcnt vmcnt(14) lgkmcnt(1)
	v_fma_f64 v[69:70], v[77:78], v[69:70], 0
	s_waitcnt vmcnt(12)
	v_fma_f64 v[69:70], v[79:80], v[71:72], v[69:70]
	s_waitcnt vmcnt(10) lgkmcnt(0)
	v_fma_f64 v[69:70], v[81:82], v[73:74], v[69:70]
	s_waitcnt vmcnt(8)
	v_fma_f64 v[73:74], v[83:84], v[75:76], v[69:70]
	ds_read_b128 v[69:72], v68 offset:512
	ds_read_b64 v[75:76], v68 offset:528
	s_waitcnt vmcnt(6) lgkmcnt(1)
	v_fma_f64 v[69:70], v[85:86], v[69:70], v[73:74]
	s_waitcnt vmcnt(4)
	v_fma_f64 v[69:70], v[87:88], v[71:72], v[69:70]
	s_waitcnt vmcnt(2) lgkmcnt(0)
	v_fma_f64 v[69:70], v[89:90], v[75:76], v[69:70]
	s_waitcnt vmcnt(0)
	v_add_f64 v[69:70], v[91:92], -v[69:70]
	buffer_store_dword v69, off, s[0:3], 0 offset:200
	buffer_store_dword v70, off, s[0:3], 0 offset:204
	s_and_saveexec_b64 s[4:5], vcc
	s_cbranch_execz .LBB96_157
; %bb.156:
	buffer_load_dword v69, off, s[0:3], 0 offset:192
	buffer_load_dword v70, off, s[0:3], 0 offset:196
	s_waitcnt vmcnt(0)
	ds_write_b64 v67, v[69:70]
	buffer_store_dword v68, off, s[0:3], 0 offset:192
	buffer_store_dword v68, off, s[0:3], 0 offset:196
.LBB96_157:
	s_or_b64 exec, exec, s[4:5]
	s_waitcnt lgkmcnt(0)
	; wave barrier
	buffer_load_dword v77, off, s[0:3], 0 offset:200
	buffer_load_dword v78, off, s[0:3], 0 offset:204
	;; [unrolled: 1-line block ×18, first 2 shown]
	ds_read2_b64 v[69:72], v68 offset0:59 offset1:60
	ds_read2_b64 v[73:76], v68 offset0:61 offset1:62
	v_cmp_lt_u32_e32 vcc, 23, v0
	s_waitcnt vmcnt(16) lgkmcnt(1)
	v_fma_f64 v[69:70], v[77:78], v[69:70], 0
	s_waitcnt vmcnt(14)
	v_fma_f64 v[69:70], v[79:80], v[71:72], v[69:70]
	s_waitcnt vmcnt(12) lgkmcnt(0)
	v_fma_f64 v[69:70], v[81:82], v[73:74], v[69:70]
	s_waitcnt vmcnt(10)
	v_fma_f64 v[77:78], v[83:84], v[75:76], v[69:70]
	ds_read2_b64 v[69:72], v68 offset0:63 offset1:64
	ds_read2_b64 v[73:76], v68 offset0:65 offset1:66
	s_waitcnt vmcnt(8) lgkmcnt(1)
	v_fma_f64 v[68:69], v[85:86], v[69:70], v[77:78]
	s_waitcnt vmcnt(6)
	v_fma_f64 v[68:69], v[87:88], v[71:72], v[68:69]
	s_waitcnt vmcnt(4) lgkmcnt(0)
	v_fma_f64 v[68:69], v[89:90], v[73:74], v[68:69]
	s_waitcnt vmcnt(2)
	v_fma_f64 v[68:69], v[91:92], v[75:76], v[68:69]
	s_waitcnt vmcnt(0)
	v_add_f64 v[68:69], v[93:94], -v[68:69]
	buffer_store_dword v68, off, s[0:3], 0 offset:192
	buffer_store_dword v69, off, s[0:3], 0 offset:196
	s_and_saveexec_b64 s[4:5], vcc
	s_cbranch_execz .LBB96_159
; %bb.158:
	buffer_load_dword v68, off, s[0:3], 0 offset:184
	buffer_load_dword v69, off, s[0:3], 0 offset:188
	v_mov_b32_e32 v70, 0
	buffer_store_dword v70, off, s[0:3], 0 offset:184
	buffer_store_dword v70, off, s[0:3], 0 offset:188
	s_waitcnt vmcnt(2)
	ds_write_b64 v67, v[68:69]
.LBB96_159:
	s_or_b64 exec, exec, s[4:5]
	s_waitcnt lgkmcnt(0)
	; wave barrier
	buffer_load_dword v77, off, s[0:3], 0 offset:192
	buffer_load_dword v78, off, s[0:3], 0 offset:196
	;; [unrolled: 1-line block ×20, first 2 shown]
	v_mov_b32_e32 v68, 0
	ds_read_b128 v[69:72], v68 offset:464
	ds_read_b128 v[73:76], v68 offset:480
	v_cmp_lt_u32_e32 vcc, 22, v0
	s_waitcnt vmcnt(18) lgkmcnt(1)
	v_fma_f64 v[69:70], v[77:78], v[69:70], 0
	s_waitcnt vmcnt(16)
	v_fma_f64 v[69:70], v[79:80], v[71:72], v[69:70]
	s_waitcnt vmcnt(14) lgkmcnt(0)
	v_fma_f64 v[69:70], v[81:82], v[73:74], v[69:70]
	s_waitcnt vmcnt(12)
	v_fma_f64 v[77:78], v[83:84], v[75:76], v[69:70]
	ds_read_b128 v[69:72], v68 offset:496
	ds_read_b128 v[73:76], v68 offset:512
	s_waitcnt vmcnt(10) lgkmcnt(1)
	v_fma_f64 v[69:70], v[85:86], v[69:70], v[77:78]
	s_waitcnt vmcnt(8)
	v_fma_f64 v[69:70], v[87:88], v[71:72], v[69:70]
	ds_read_b64 v[71:72], v68 offset:528
	s_waitcnt vmcnt(6) lgkmcnt(1)
	v_fma_f64 v[69:70], v[89:90], v[73:74], v[69:70]
	s_waitcnt vmcnt(3)
	v_fma_f64 v[69:70], v[91:92], v[75:76], v[69:70]
	s_waitcnt vmcnt(2) lgkmcnt(0)
	v_fma_f64 v[69:70], v[93:94], v[71:72], v[69:70]
	s_waitcnt vmcnt(0)
	v_add_f64 v[69:70], v[95:96], -v[69:70]
	buffer_store_dword v69, off, s[0:3], 0 offset:184
	buffer_store_dword v70, off, s[0:3], 0 offset:188
	s_and_saveexec_b64 s[4:5], vcc
	s_cbranch_execz .LBB96_161
; %bb.160:
	buffer_load_dword v69, off, s[0:3], 0 offset:176
	buffer_load_dword v70, off, s[0:3], 0 offset:180
	s_waitcnt vmcnt(0)
	ds_write_b64 v67, v[69:70]
	buffer_store_dword v68, off, s[0:3], 0 offset:176
	buffer_store_dword v68, off, s[0:3], 0 offset:180
.LBB96_161:
	s_or_b64 exec, exec, s[4:5]
	s_waitcnt lgkmcnt(0)
	; wave barrier
	buffer_load_dword v77, off, s[0:3], 0 offset:184
	buffer_load_dword v78, off, s[0:3], 0 offset:188
	;; [unrolled: 1-line block ×20, first 2 shown]
	ds_read2_b64 v[69:72], v68 offset0:57 offset1:58
	buffer_load_dword v97, off, s[0:3], 0 offset:176
	buffer_load_dword v98, off, s[0:3], 0 offset:180
	ds_read2_b64 v[73:76], v68 offset0:59 offset1:60
	v_cmp_lt_u32_e32 vcc, 21, v0
	s_waitcnt vmcnt(20) lgkmcnt(1)
	v_fma_f64 v[69:70], v[77:78], v[69:70], 0
	s_waitcnt vmcnt(18)
	v_fma_f64 v[69:70], v[79:80], v[71:72], v[69:70]
	s_waitcnt vmcnt(16) lgkmcnt(0)
	v_fma_f64 v[69:70], v[81:82], v[73:74], v[69:70]
	s_waitcnt vmcnt(14)
	v_fma_f64 v[77:78], v[83:84], v[75:76], v[69:70]
	ds_read2_b64 v[69:72], v68 offset0:61 offset1:62
	ds_read2_b64 v[73:76], v68 offset0:63 offset1:64
	s_waitcnt vmcnt(12) lgkmcnt(1)
	v_fma_f64 v[69:70], v[85:86], v[69:70], v[77:78]
	s_waitcnt vmcnt(10)
	v_fma_f64 v[69:70], v[87:88], v[71:72], v[69:70]
	s_waitcnt vmcnt(8) lgkmcnt(0)
	v_fma_f64 v[69:70], v[89:90], v[73:74], v[69:70]
	s_waitcnt vmcnt(4)
	v_fma_f64 v[72:73], v[91:92], v[75:76], v[69:70]
	ds_read2_b64 v[68:71], v68 offset0:65 offset1:66
	s_waitcnt vmcnt(3) lgkmcnt(0)
	v_fma_f64 v[68:69], v[95:96], v[68:69], v[72:73]
	s_waitcnt vmcnt(2)
	v_fma_f64 v[68:69], v[93:94], v[70:71], v[68:69]
	s_waitcnt vmcnt(0)
	v_add_f64 v[68:69], v[97:98], -v[68:69]
	buffer_store_dword v68, off, s[0:3], 0 offset:176
	buffer_store_dword v69, off, s[0:3], 0 offset:180
	s_and_saveexec_b64 s[4:5], vcc
	s_cbranch_execz .LBB96_163
; %bb.162:
	buffer_load_dword v68, off, s[0:3], 0 offset:168
	buffer_load_dword v69, off, s[0:3], 0 offset:172
	v_mov_b32_e32 v70, 0
	buffer_store_dword v70, off, s[0:3], 0 offset:168
	buffer_store_dword v70, off, s[0:3], 0 offset:172
	s_waitcnt vmcnt(2)
	ds_write_b64 v67, v[68:69]
.LBB96_163:
	s_or_b64 exec, exec, s[4:5]
	s_waitcnt lgkmcnt(0)
	; wave barrier
	buffer_load_dword v77, off, s[0:3], 0 offset:176
	buffer_load_dword v78, off, s[0:3], 0 offset:180
	;; [unrolled: 1-line block ×21, first 2 shown]
	v_mov_b32_e32 v68, 0
	ds_read_b128 v[69:72], v68 offset:448
	ds_read_b128 v[73:76], v68 offset:464
	buffer_load_dword v94, off, s[0:3], 0 offset:260
	v_cmp_lt_u32_e32 vcc, 20, v0
	s_waitcnt vmcnt(20) lgkmcnt(1)
	v_fma_f64 v[69:70], v[77:78], v[69:70], 0
	buffer_load_dword v77, off, s[0:3], 0 offset:168
	buffer_load_dword v78, off, s[0:3], 0 offset:172
	s_waitcnt vmcnt(20)
	v_fma_f64 v[69:70], v[79:80], v[71:72], v[69:70]
	s_waitcnt vmcnt(18) lgkmcnt(0)
	v_fma_f64 v[69:70], v[81:82], v[73:74], v[69:70]
	s_waitcnt vmcnt(16)
	v_fma_f64 v[79:80], v[83:84], v[75:76], v[69:70]
	ds_read_b128 v[69:72], v68 offset:480
	ds_read_b128 v[73:76], v68 offset:496
	s_waitcnt vmcnt(14) lgkmcnt(1)
	v_fma_f64 v[69:70], v[85:86], v[69:70], v[79:80]
	s_waitcnt vmcnt(12)
	v_fma_f64 v[69:70], v[87:88], v[71:72], v[69:70]
	s_waitcnt vmcnt(10) lgkmcnt(0)
	v_fma_f64 v[69:70], v[89:90], v[73:74], v[69:70]
	s_waitcnt vmcnt(5)
	v_fma_f64 v[73:74], v[91:92], v[75:76], v[69:70]
	ds_read_b128 v[69:72], v68 offset:512
	ds_read_b64 v[75:76], v68 offset:528
	s_waitcnt vmcnt(4) lgkmcnt(1)
	v_fma_f64 v[69:70], v[97:98], v[69:70], v[73:74]
	s_waitcnt vmcnt(3)
	v_fma_f64 v[69:70], v[95:96], v[71:72], v[69:70]
	s_waitcnt vmcnt(2) lgkmcnt(0)
	v_fma_f64 v[69:70], v[93:94], v[75:76], v[69:70]
	s_waitcnt vmcnt(0)
	v_add_f64 v[69:70], v[77:78], -v[69:70]
	buffer_store_dword v70, off, s[0:3], 0 offset:172
	buffer_store_dword v69, off, s[0:3], 0 offset:168
	s_and_saveexec_b64 s[4:5], vcc
	s_cbranch_execz .LBB96_165
; %bb.164:
	buffer_load_dword v69, off, s[0:3], 0 offset:160
	buffer_load_dword v70, off, s[0:3], 0 offset:164
	s_waitcnt vmcnt(0)
	ds_write_b64 v67, v[69:70]
	buffer_store_dword v68, off, s[0:3], 0 offset:160
	buffer_store_dword v68, off, s[0:3], 0 offset:164
.LBB96_165:
	s_or_b64 exec, exec, s[4:5]
	s_waitcnt lgkmcnt(0)
	; wave barrier
	buffer_load_dword v77, off, s[0:3], 0 offset:168
	buffer_load_dword v78, off, s[0:3], 0 offset:172
	;; [unrolled: 1-line block ×21, first 2 shown]
	ds_read2_b64 v[69:72], v68 offset0:55 offset1:56
	ds_read2_b64 v[73:76], v68 offset0:57 offset1:58
	buffer_load_dword v94, off, s[0:3], 0 offset:252
	v_cmp_lt_u32_e32 vcc, 19, v0
	s_waitcnt vmcnt(20) lgkmcnt(1)
	v_fma_f64 v[69:70], v[77:78], v[69:70], 0
	buffer_load_dword v78, off, s[0:3], 0 offset:260
	buffer_load_dword v77, off, s[0:3], 0 offset:256
	s_waitcnt vmcnt(20)
	v_fma_f64 v[69:70], v[79:80], v[71:72], v[69:70]
	buffer_load_dword v79, off, s[0:3], 0 offset:160
	buffer_load_dword v80, off, s[0:3], 0 offset:164
	s_waitcnt vmcnt(20) lgkmcnt(0)
	v_fma_f64 v[69:70], v[81:82], v[73:74], v[69:70]
	s_waitcnt vmcnt(18)
	v_fma_f64 v[81:82], v[83:84], v[75:76], v[69:70]
	ds_read2_b64 v[69:72], v68 offset0:59 offset1:60
	ds_read2_b64 v[73:76], v68 offset0:61 offset1:62
	s_waitcnt vmcnt(16) lgkmcnt(1)
	v_fma_f64 v[69:70], v[85:86], v[69:70], v[81:82]
	s_waitcnt vmcnt(14)
	v_fma_f64 v[69:70], v[87:88], v[71:72], v[69:70]
	s_waitcnt vmcnt(12) lgkmcnt(0)
	v_fma_f64 v[69:70], v[89:90], v[73:74], v[69:70]
	s_waitcnt vmcnt(7)
	v_fma_f64 v[81:82], v[91:92], v[75:76], v[69:70]
	ds_read2_b64 v[69:72], v68 offset0:63 offset1:64
	ds_read2_b64 v[73:76], v68 offset0:65 offset1:66
	s_waitcnt vmcnt(6) lgkmcnt(1)
	v_fma_f64 v[68:69], v[97:98], v[69:70], v[81:82]
	s_waitcnt vmcnt(5)
	v_fma_f64 v[68:69], v[95:96], v[71:72], v[68:69]
	s_waitcnt vmcnt(4) lgkmcnt(0)
	v_fma_f64 v[68:69], v[93:94], v[73:74], v[68:69]
	s_waitcnt vmcnt(2)
	v_fma_f64 v[68:69], v[77:78], v[75:76], v[68:69]
	s_waitcnt vmcnt(0)
	v_add_f64 v[68:69], v[79:80], -v[68:69]
	buffer_store_dword v69, off, s[0:3], 0 offset:164
	buffer_store_dword v68, off, s[0:3], 0 offset:160
	s_and_saveexec_b64 s[4:5], vcc
	s_cbranch_execz .LBB96_167
; %bb.166:
	buffer_load_dword v68, off, s[0:3], 0 offset:152
	buffer_load_dword v69, off, s[0:3], 0 offset:156
	v_mov_b32_e32 v70, 0
	buffer_store_dword v70, off, s[0:3], 0 offset:152
	buffer_store_dword v70, off, s[0:3], 0 offset:156
	s_waitcnt vmcnt(2)
	ds_write_b64 v67, v[68:69]
.LBB96_167:
	s_or_b64 exec, exec, s[4:5]
	s_waitcnt lgkmcnt(0)
	; wave barrier
	buffer_load_dword v77, off, s[0:3], 0 offset:160
	buffer_load_dword v78, off, s[0:3], 0 offset:164
	;; [unrolled: 1-line block ×21, first 2 shown]
	v_mov_b32_e32 v68, 0
	ds_read_b128 v[69:72], v68 offset:432
	ds_read_b128 v[73:76], v68 offset:448
	buffer_load_dword v94, off, s[0:3], 0 offset:244
	v_cmp_lt_u32_e32 vcc, 18, v0
	s_waitcnt vmcnt(20) lgkmcnt(1)
	v_fma_f64 v[69:70], v[77:78], v[69:70], 0
	s_waitcnt vmcnt(18)
	v_fma_f64 v[69:70], v[79:80], v[71:72], v[69:70]
	buffer_load_dword v78, off, s[0:3], 0 offset:252
	buffer_load_dword v79, off, s[0:3], 0 offset:256
	;; [unrolled: 1-line block ×4, first 2 shown]
	s_waitcnt vmcnt(20) lgkmcnt(0)
	v_fma_f64 v[69:70], v[81:82], v[73:74], v[69:70]
	buffer_load_dword v81, off, s[0:3], 0 offset:152
	buffer_load_dword v82, off, s[0:3], 0 offset:156
	s_waitcnt vmcnt(20)
	v_fma_f64 v[83:84], v[83:84], v[75:76], v[69:70]
	ds_read_b128 v[69:72], v68 offset:464
	ds_read_b128 v[73:76], v68 offset:480
	s_waitcnt vmcnt(18) lgkmcnt(1)
	v_fma_f64 v[69:70], v[85:86], v[69:70], v[83:84]
	s_waitcnt vmcnt(16)
	v_fma_f64 v[69:70], v[87:88], v[71:72], v[69:70]
	s_waitcnt vmcnt(14) lgkmcnt(0)
	v_fma_f64 v[69:70], v[89:90], v[73:74], v[69:70]
	s_waitcnt vmcnt(9)
	v_fma_f64 v[83:84], v[91:92], v[75:76], v[69:70]
	ds_read_b128 v[69:72], v68 offset:496
	ds_read_b128 v[73:76], v68 offset:512
	s_waitcnt vmcnt(8) lgkmcnt(1)
	v_fma_f64 v[69:70], v[97:98], v[69:70], v[83:84]
	s_waitcnt vmcnt(7)
	v_fma_f64 v[69:70], v[95:96], v[71:72], v[69:70]
	ds_read_b64 v[71:72], v68 offset:528
	s_waitcnt vmcnt(6) lgkmcnt(1)
	v_fma_f64 v[69:70], v[93:94], v[73:74], v[69:70]
	s_waitcnt vmcnt(3)
	v_fma_f64 v[69:70], v[77:78], v[75:76], v[69:70]
	s_waitcnt vmcnt(2) lgkmcnt(0)
	v_fma_f64 v[69:70], v[79:80], v[71:72], v[69:70]
	s_waitcnt vmcnt(0)
	v_add_f64 v[69:70], v[81:82], -v[69:70]
	buffer_store_dword v70, off, s[0:3], 0 offset:156
	buffer_store_dword v69, off, s[0:3], 0 offset:152
	s_and_saveexec_b64 s[4:5], vcc
	s_cbranch_execz .LBB96_169
; %bb.168:
	buffer_load_dword v69, off, s[0:3], 0 offset:144
	buffer_load_dword v70, off, s[0:3], 0 offset:148
	s_waitcnt vmcnt(0)
	ds_write_b64 v67, v[69:70]
	buffer_store_dword v68, off, s[0:3], 0 offset:144
	buffer_store_dword v68, off, s[0:3], 0 offset:148
.LBB96_169:
	s_or_b64 exec, exec, s[4:5]
	s_waitcnt lgkmcnt(0)
	; wave barrier
	buffer_load_dword v77, off, s[0:3], 0 offset:152
	buffer_load_dword v78, off, s[0:3], 0 offset:156
	;; [unrolled: 1-line block ×22, first 2 shown]
	ds_read2_b64 v[69:72], v68 offset0:53 offset1:54
	ds_read2_b64 v[73:76], v68 offset0:55 offset1:56
	v_cmp_lt_u32_e32 vcc, 17, v0
	s_waitcnt vmcnt(20) lgkmcnt(1)
	v_fma_f64 v[69:70], v[77:78], v[69:70], 0
	s_waitcnt vmcnt(18)
	v_fma_f64 v[69:70], v[79:80], v[71:72], v[69:70]
	buffer_load_dword v78, off, s[0:3], 0 offset:244
	buffer_load_dword v79, off, s[0:3], 0 offset:256
	;; [unrolled: 1-line block ×6, first 2 shown]
	s_waitcnt vmcnt(22) lgkmcnt(0)
	v_fma_f64 v[69:70], v[81:82], v[73:74], v[69:70]
	s_waitcnt vmcnt(20)
	v_fma_f64 v[81:82], v[83:84], v[75:76], v[69:70]
	ds_read2_b64 v[69:72], v68 offset0:57 offset1:58
	buffer_load_dword v83, off, s[0:3], 0 offset:144
	buffer_load_dword v84, off, s[0:3], 0 offset:148
	ds_read2_b64 v[73:76], v68 offset0:59 offset1:60
	s_waitcnt vmcnt(20) lgkmcnt(1)
	v_fma_f64 v[69:70], v[85:86], v[69:70], v[81:82]
	s_waitcnt vmcnt(18)
	v_fma_f64 v[69:70], v[87:88], v[71:72], v[69:70]
	s_waitcnt vmcnt(16) lgkmcnt(0)
	v_fma_f64 v[69:70], v[89:90], v[73:74], v[69:70]
	s_waitcnt vmcnt(11)
	v_fma_f64 v[81:82], v[91:92], v[75:76], v[69:70]
	ds_read2_b64 v[69:72], v68 offset0:61 offset1:62
	ds_read2_b64 v[73:76], v68 offset0:63 offset1:64
	s_waitcnt vmcnt(10) lgkmcnt(1)
	v_fma_f64 v[69:70], v[97:98], v[69:70], v[81:82]
	s_waitcnt vmcnt(9)
	v_fma_f64 v[69:70], v[95:96], v[71:72], v[69:70]
	s_waitcnt vmcnt(8) lgkmcnt(0)
	v_fma_f64 v[69:70], v[93:94], v[73:74], v[69:70]
	s_waitcnt vmcnt(4)
	v_fma_f64 v[72:73], v[77:78], v[75:76], v[69:70]
	ds_read2_b64 v[68:71], v68 offset0:65 offset1:66
	s_waitcnt vmcnt(3) lgkmcnt(0)
	v_fma_f64 v[68:69], v[99:100], v[68:69], v[72:73]
	s_waitcnt vmcnt(2)
	v_fma_f64 v[68:69], v[79:80], v[70:71], v[68:69]
	s_waitcnt vmcnt(0)
	v_add_f64 v[68:69], v[83:84], -v[68:69]
	buffer_store_dword v69, off, s[0:3], 0 offset:148
	buffer_store_dword v68, off, s[0:3], 0 offset:144
	s_and_saveexec_b64 s[4:5], vcc
	s_cbranch_execz .LBB96_171
; %bb.170:
	buffer_load_dword v68, off, s[0:3], 0 offset:136
	buffer_load_dword v69, off, s[0:3], 0 offset:140
	v_mov_b32_e32 v70, 0
	buffer_store_dword v70, off, s[0:3], 0 offset:136
	buffer_store_dword v70, off, s[0:3], 0 offset:140
	s_waitcnt vmcnt(2)
	ds_write_b64 v67, v[68:69]
.LBB96_171:
	s_or_b64 exec, exec, s[4:5]
	s_waitcnt lgkmcnt(0)
	; wave barrier
	buffer_load_dword v77, off, s[0:3], 0 offset:144
	buffer_load_dword v78, off, s[0:3], 0 offset:148
	;; [unrolled: 1-line block ×22, first 2 shown]
	v_mov_b32_e32 v68, 0
	ds_read_b128 v[69:72], v68 offset:416
	ds_read_b128 v[73:76], v68 offset:432
	v_cmp_lt_u32_e32 vcc, 16, v0
	s_waitcnt vmcnt(20) lgkmcnt(1)
	v_fma_f64 v[69:70], v[77:78], v[69:70], 0
	s_waitcnt vmcnt(18)
	v_fma_f64 v[69:70], v[79:80], v[71:72], v[69:70]
	buffer_load_dword v78, off, s[0:3], 0 offset:236
	buffer_load_dword v79, off, s[0:3], 0 offset:256
	;; [unrolled: 1-line block ×8, first 2 shown]
	s_waitcnt vmcnt(24) lgkmcnt(0)
	v_fma_f64 v[69:70], v[81:82], v[73:74], v[69:70]
	s_waitcnt vmcnt(22)
	v_fma_f64 v[81:82], v[83:84], v[75:76], v[69:70]
	ds_read_b128 v[69:72], v68 offset:448
	ds_read_b128 v[73:76], v68 offset:464
	s_waitcnt vmcnt(20) lgkmcnt(1)
	v_fma_f64 v[69:70], v[85:86], v[69:70], v[81:82]
	buffer_load_dword v81, off, s[0:3], 0 offset:136
	buffer_load_dword v82, off, s[0:3], 0 offset:140
	s_waitcnt vmcnt(20)
	v_fma_f64 v[69:70], v[87:88], v[71:72], v[69:70]
	s_waitcnt vmcnt(18) lgkmcnt(0)
	v_fma_f64 v[69:70], v[89:90], v[73:74], v[69:70]
	s_waitcnt vmcnt(13)
	v_fma_f64 v[83:84], v[91:92], v[75:76], v[69:70]
	ds_read_b128 v[69:72], v68 offset:480
	ds_read_b128 v[73:76], v68 offset:496
	s_waitcnt vmcnt(12) lgkmcnt(1)
	v_fma_f64 v[69:70], v[97:98], v[69:70], v[83:84]
	s_waitcnt vmcnt(11)
	v_fma_f64 v[69:70], v[95:96], v[71:72], v[69:70]
	s_waitcnt vmcnt(10) lgkmcnt(0)
	v_fma_f64 v[69:70], v[93:94], v[73:74], v[69:70]
	s_waitcnt vmcnt(5)
	v_fma_f64 v[73:74], v[77:78], v[75:76], v[69:70]
	ds_read_b128 v[69:72], v68 offset:512
	ds_read_b64 v[75:76], v68 offset:528
	s_waitcnt vmcnt(4) lgkmcnt(1)
	v_fma_f64 v[69:70], v[101:102], v[69:70], v[73:74]
	s_waitcnt vmcnt(3)
	v_fma_f64 v[69:70], v[99:100], v[71:72], v[69:70]
	s_waitcnt vmcnt(2) lgkmcnt(0)
	v_fma_f64 v[69:70], v[79:80], v[75:76], v[69:70]
	s_waitcnt vmcnt(0)
	v_add_f64 v[69:70], v[81:82], -v[69:70]
	buffer_store_dword v70, off, s[0:3], 0 offset:140
	buffer_store_dword v69, off, s[0:3], 0 offset:136
	s_and_saveexec_b64 s[4:5], vcc
	s_cbranch_execz .LBB96_173
; %bb.172:
	buffer_load_dword v69, off, s[0:3], 0 offset:128
	buffer_load_dword v70, off, s[0:3], 0 offset:132
	s_waitcnt vmcnt(0)
	ds_write_b64 v67, v[69:70]
	buffer_store_dword v68, off, s[0:3], 0 offset:128
	buffer_store_dword v68, off, s[0:3], 0 offset:132
.LBB96_173:
	s_or_b64 exec, exec, s[4:5]
	s_waitcnt lgkmcnt(0)
	; wave barrier
	buffer_load_dword v77, off, s[0:3], 0 offset:136
	buffer_load_dword v78, off, s[0:3], 0 offset:140
	;; [unrolled: 1-line block ×22, first 2 shown]
	ds_read2_b64 v[69:72], v68 offset0:51 offset1:52
	ds_read2_b64 v[73:76], v68 offset0:53 offset1:54
	v_cmp_lt_u32_e32 vcc, 15, v0
	s_waitcnt vmcnt(20) lgkmcnt(1)
	v_fma_f64 v[69:70], v[77:78], v[69:70], 0
	s_waitcnt vmcnt(18)
	v_fma_f64 v[69:70], v[79:80], v[71:72], v[69:70]
	buffer_load_dword v78, off, s[0:3], 0 offset:228
	buffer_load_dword v79, off, s[0:3], 0 offset:248
	;; [unrolled: 1-line block ×8, first 2 shown]
	s_waitcnt vmcnt(24) lgkmcnt(0)
	v_fma_f64 v[69:70], v[81:82], v[73:74], v[69:70]
	s_waitcnt vmcnt(22)
	v_fma_f64 v[81:82], v[83:84], v[75:76], v[69:70]
	ds_read2_b64 v[69:72], v68 offset0:55 offset1:56
	ds_read2_b64 v[73:76], v68 offset0:57 offset1:58
	s_waitcnt vmcnt(20) lgkmcnt(1)
	v_fma_f64 v[69:70], v[85:86], v[69:70], v[81:82]
	buffer_load_dword v82, off, s[0:3], 0 offset:260
	buffer_load_dword v81, off, s[0:3], 0 offset:256
	;; [unrolled: 1-line block ×4, first 2 shown]
	s_waitcnt vmcnt(22)
	v_fma_f64 v[69:70], v[87:88], v[71:72], v[69:70]
	s_waitcnt vmcnt(20) lgkmcnt(0)
	v_fma_f64 v[69:70], v[89:90], v[73:74], v[69:70]
	s_waitcnt vmcnt(15)
	v_fma_f64 v[85:86], v[91:92], v[75:76], v[69:70]
	ds_read2_b64 v[69:72], v68 offset0:59 offset1:60
	ds_read2_b64 v[73:76], v68 offset0:61 offset1:62
	s_waitcnt vmcnt(14) lgkmcnt(1)
	v_fma_f64 v[69:70], v[97:98], v[69:70], v[85:86]
	s_waitcnt vmcnt(13)
	v_fma_f64 v[69:70], v[95:96], v[71:72], v[69:70]
	s_waitcnt vmcnt(12) lgkmcnt(0)
	v_fma_f64 v[69:70], v[93:94], v[73:74], v[69:70]
	s_waitcnt vmcnt(7)
	v_fma_f64 v[77:78], v[77:78], v[75:76], v[69:70]
	ds_read2_b64 v[69:72], v68 offset0:63 offset1:64
	ds_read2_b64 v[73:76], v68 offset0:65 offset1:66
	s_waitcnt vmcnt(6) lgkmcnt(1)
	v_fma_f64 v[68:69], v[101:102], v[69:70], v[77:78]
	s_waitcnt vmcnt(5)
	v_fma_f64 v[68:69], v[99:100], v[71:72], v[68:69]
	s_waitcnt vmcnt(4) lgkmcnt(0)
	v_fma_f64 v[68:69], v[79:80], v[73:74], v[68:69]
	s_waitcnt vmcnt(2)
	v_fma_f64 v[68:69], v[81:82], v[75:76], v[68:69]
	s_waitcnt vmcnt(0)
	v_add_f64 v[68:69], v[83:84], -v[68:69]
	buffer_store_dword v69, off, s[0:3], 0 offset:132
	buffer_store_dword v68, off, s[0:3], 0 offset:128
	s_and_saveexec_b64 s[4:5], vcc
	s_cbranch_execz .LBB96_175
; %bb.174:
	buffer_load_dword v68, off, s[0:3], 0 offset:120
	buffer_load_dword v69, off, s[0:3], 0 offset:124
	v_mov_b32_e32 v70, 0
	buffer_store_dword v70, off, s[0:3], 0 offset:120
	buffer_store_dword v70, off, s[0:3], 0 offset:124
	s_waitcnt vmcnt(2)
	ds_write_b64 v67, v[68:69]
.LBB96_175:
	s_or_b64 exec, exec, s[4:5]
	s_waitcnt lgkmcnt(0)
	; wave barrier
	buffer_load_dword v77, off, s[0:3], 0 offset:128
	buffer_load_dword v78, off, s[0:3], 0 offset:132
	;; [unrolled: 1-line block ×22, first 2 shown]
	v_mov_b32_e32 v68, 0
	ds_read_b128 v[69:72], v68 offset:400
	ds_read_b128 v[73:76], v68 offset:416
	v_cmp_lt_u32_e32 vcc, 14, v0
	s_waitcnt vmcnt(20) lgkmcnt(1)
	v_fma_f64 v[69:70], v[77:78], v[69:70], 0
	s_waitcnt vmcnt(18)
	v_fma_f64 v[69:70], v[79:80], v[71:72], v[69:70]
	buffer_load_dword v78, off, s[0:3], 0 offset:220
	buffer_load_dword v79, off, s[0:3], 0 offset:240
	;; [unrolled: 1-line block ×7, first 2 shown]
	s_waitcnt vmcnt(23) lgkmcnt(0)
	v_fma_f64 v[69:70], v[81:82], v[73:74], v[69:70]
	s_waitcnt vmcnt(21)
	v_fma_f64 v[80:81], v[83:84], v[75:76], v[69:70]
	ds_read_b128 v[69:72], v68 offset:432
	ds_read_b128 v[73:76], v68 offset:448
	s_waitcnt vmcnt(19) lgkmcnt(1)
	v_fma_f64 v[69:70], v[85:86], v[69:70], v[80:81]
	buffer_load_dword v80, off, s[0:3], 0 offset:244
	buffer_load_dword v82, off, s[0:3], 0 offset:252
	buffer_load_dword v83, off, s[0:3], 0 offset:256
	buffer_load_dword v81, off, s[0:3], 0 offset:248
	buffer_load_dword v84, off, s[0:3], 0 offset:260
	buffer_load_dword v85, off, s[0:3], 0 offset:120
	buffer_load_dword v86, off, s[0:3], 0 offset:124
	s_waitcnt vmcnt(24)
	v_fma_f64 v[69:70], v[87:88], v[71:72], v[69:70]
	s_waitcnt vmcnt(22) lgkmcnt(0)
	v_fma_f64 v[69:70], v[89:90], v[73:74], v[69:70]
	s_waitcnt vmcnt(17)
	v_fma_f64 v[87:88], v[91:92], v[75:76], v[69:70]
	ds_read_b128 v[69:72], v68 offset:464
	ds_read_b128 v[73:76], v68 offset:480
	s_waitcnt vmcnt(16) lgkmcnt(1)
	v_fma_f64 v[69:70], v[97:98], v[69:70], v[87:88]
	s_waitcnt vmcnt(15)
	v_fma_f64 v[69:70], v[95:96], v[71:72], v[69:70]
	s_waitcnt vmcnt(14) lgkmcnt(0)
	v_fma_f64 v[69:70], v[93:94], v[73:74], v[69:70]
	s_waitcnt vmcnt(9)
	v_fma_f64 v[77:78], v[77:78], v[75:76], v[69:70]
	ds_read_b128 v[69:72], v68 offset:496
	ds_read_b128 v[73:76], v68 offset:512
	s_waitcnt vmcnt(8) lgkmcnt(1)
	v_fma_f64 v[69:70], v[101:102], v[69:70], v[77:78]
	s_waitcnt vmcnt(7)
	v_fma_f64 v[69:70], v[99:100], v[71:72], v[69:70]
	ds_read_b64 v[71:72], v68 offset:528
	s_waitcnt vmcnt(6) lgkmcnt(1)
	v_fma_f64 v[69:70], v[79:80], v[73:74], v[69:70]
	s_waitcnt vmcnt(3)
	v_fma_f64 v[69:70], v[81:82], v[75:76], v[69:70]
	s_waitcnt vmcnt(2) lgkmcnt(0)
	v_fma_f64 v[69:70], v[83:84], v[71:72], v[69:70]
	s_waitcnt vmcnt(0)
	v_add_f64 v[69:70], v[85:86], -v[69:70]
	buffer_store_dword v70, off, s[0:3], 0 offset:124
	buffer_store_dword v69, off, s[0:3], 0 offset:120
	s_and_saveexec_b64 s[4:5], vcc
	s_cbranch_execz .LBB96_177
; %bb.176:
	buffer_load_dword v69, off, s[0:3], 0 offset:112
	buffer_load_dword v70, off, s[0:3], 0 offset:116
	s_waitcnt vmcnt(0)
	ds_write_b64 v67, v[69:70]
	buffer_store_dword v68, off, s[0:3], 0 offset:112
	buffer_store_dword v68, off, s[0:3], 0 offset:116
.LBB96_177:
	s_or_b64 exec, exec, s[4:5]
	s_waitcnt lgkmcnt(0)
	; wave barrier
	buffer_load_dword v77, off, s[0:3], 0 offset:120
	buffer_load_dword v78, off, s[0:3], 0 offset:124
	;; [unrolled: 1-line block ×22, first 2 shown]
	ds_read2_b64 v[69:72], v68 offset0:49 offset1:50
	ds_read2_b64 v[73:76], v68 offset0:51 offset1:52
	v_cmp_lt_u32_e32 vcc, 13, v0
	s_waitcnt vmcnt(20) lgkmcnt(1)
	v_fma_f64 v[69:70], v[77:78], v[69:70], 0
	s_waitcnt vmcnt(18)
	v_fma_f64 v[69:70], v[79:80], v[71:72], v[69:70]
	buffer_load_dword v78, off, s[0:3], 0 offset:212
	buffer_load_dword v79, off, s[0:3], 0 offset:232
	;; [unrolled: 1-line block ×7, first 2 shown]
	s_waitcnt vmcnt(23) lgkmcnt(0)
	v_fma_f64 v[69:70], v[81:82], v[73:74], v[69:70]
	s_waitcnt vmcnt(21)
	v_fma_f64 v[80:81], v[83:84], v[75:76], v[69:70]
	ds_read2_b64 v[69:72], v68 offset0:53 offset1:54
	ds_read2_b64 v[73:76], v68 offset0:55 offset1:56
	s_waitcnt vmcnt(19) lgkmcnt(1)
	v_fma_f64 v[69:70], v[85:86], v[69:70], v[80:81]
	buffer_load_dword v80, off, s[0:3], 0 offset:236
	buffer_load_dword v82, off, s[0:3], 0 offset:244
	;; [unrolled: 1-line block ×7, first 2 shown]
	s_waitcnt vmcnt(24)
	v_fma_f64 v[69:70], v[87:88], v[71:72], v[69:70]
	s_waitcnt vmcnt(22) lgkmcnt(0)
	v_fma_f64 v[69:70], v[89:90], v[73:74], v[69:70]
	s_waitcnt vmcnt(17)
	v_fma_f64 v[87:88], v[91:92], v[75:76], v[69:70]
	ds_read2_b64 v[69:72], v68 offset0:57 offset1:58
	buffer_load_dword v89, off, s[0:3], 0 offset:112
	buffer_load_dword v90, off, s[0:3], 0 offset:116
	ds_read2_b64 v[73:76], v68 offset0:59 offset1:60
	s_waitcnt vmcnt(18) lgkmcnt(1)
	v_fma_f64 v[69:70], v[97:98], v[69:70], v[87:88]
	s_waitcnt vmcnt(17)
	v_fma_f64 v[69:70], v[95:96], v[71:72], v[69:70]
	s_waitcnt vmcnt(16) lgkmcnt(0)
	v_fma_f64 v[69:70], v[93:94], v[73:74], v[69:70]
	s_waitcnt vmcnt(11)
	v_fma_f64 v[77:78], v[77:78], v[75:76], v[69:70]
	ds_read2_b64 v[69:72], v68 offset0:61 offset1:62
	ds_read2_b64 v[73:76], v68 offset0:63 offset1:64
	s_waitcnt vmcnt(10) lgkmcnt(1)
	v_fma_f64 v[69:70], v[101:102], v[69:70], v[77:78]
	s_waitcnt vmcnt(9)
	v_fma_f64 v[69:70], v[99:100], v[71:72], v[69:70]
	s_waitcnt vmcnt(8) lgkmcnt(0)
	v_fma_f64 v[69:70], v[79:80], v[73:74], v[69:70]
	s_waitcnt vmcnt(4)
	v_fma_f64 v[72:73], v[81:82], v[75:76], v[69:70]
	ds_read2_b64 v[68:71], v68 offset0:65 offset1:66
	s_waitcnt vmcnt(3) lgkmcnt(0)
	v_fma_f64 v[68:69], v[85:86], v[68:69], v[72:73]
	s_waitcnt vmcnt(2)
	v_fma_f64 v[68:69], v[83:84], v[70:71], v[68:69]
	s_waitcnt vmcnt(0)
	v_add_f64 v[68:69], v[89:90], -v[68:69]
	buffer_store_dword v69, off, s[0:3], 0 offset:116
	buffer_store_dword v68, off, s[0:3], 0 offset:112
	s_and_saveexec_b64 s[4:5], vcc
	s_cbranch_execz .LBB96_179
; %bb.178:
	buffer_load_dword v68, off, s[0:3], 0 offset:104
	buffer_load_dword v69, off, s[0:3], 0 offset:108
	v_mov_b32_e32 v70, 0
	buffer_store_dword v70, off, s[0:3], 0 offset:104
	buffer_store_dword v70, off, s[0:3], 0 offset:108
	s_waitcnt vmcnt(2)
	ds_write_b64 v67, v[68:69]
.LBB96_179:
	s_or_b64 exec, exec, s[4:5]
	s_waitcnt lgkmcnt(0)
	; wave barrier
	buffer_load_dword v77, off, s[0:3], 0 offset:112
	buffer_load_dword v78, off, s[0:3], 0 offset:116
	;; [unrolled: 1-line block ×22, first 2 shown]
	v_mov_b32_e32 v68, 0
	ds_read_b128 v[69:72], v68 offset:384
	ds_read_b128 v[73:76], v68 offset:400
	v_cmp_lt_u32_e32 vcc, 12, v0
	s_waitcnt vmcnt(20) lgkmcnt(1)
	v_fma_f64 v[69:70], v[77:78], v[69:70], 0
	s_waitcnt vmcnt(18)
	v_fma_f64 v[69:70], v[79:80], v[71:72], v[69:70]
	buffer_load_dword v78, off, s[0:3], 0 offset:204
	buffer_load_dword v79, off, s[0:3], 0 offset:224
	;; [unrolled: 1-line block ×7, first 2 shown]
	s_waitcnt vmcnt(23) lgkmcnt(0)
	v_fma_f64 v[69:70], v[81:82], v[73:74], v[69:70]
	s_waitcnt vmcnt(21)
	v_fma_f64 v[80:81], v[83:84], v[75:76], v[69:70]
	ds_read_b128 v[69:72], v68 offset:416
	ds_read_b128 v[73:76], v68 offset:432
	s_waitcnt vmcnt(19) lgkmcnt(1)
	v_fma_f64 v[69:70], v[85:86], v[69:70], v[80:81]
	buffer_load_dword v80, off, s[0:3], 0 offset:228
	s_waitcnt vmcnt(18)
	v_fma_f64 v[69:70], v[87:88], v[71:72], v[69:70]
	buffer_load_dword v82, off, s[0:3], 0 offset:236
	buffer_load_dword v83, off, s[0:3], 0 offset:256
	;; [unrolled: 1-line block ×8, first 2 shown]
	s_waitcnt vmcnt(24) lgkmcnt(0)
	v_fma_f64 v[69:70], v[89:90], v[73:74], v[69:70]
	s_waitcnt vmcnt(19)
	v_fma_f64 v[89:90], v[91:92], v[75:76], v[69:70]
	ds_read_b128 v[69:72], v68 offset:448
	ds_read_b128 v[73:76], v68 offset:464
	s_waitcnt vmcnt(18) lgkmcnt(1)
	v_fma_f64 v[69:70], v[97:98], v[69:70], v[89:90]
	buffer_load_dword v89, off, s[0:3], 0 offset:104
	buffer_load_dword v90, off, s[0:3], 0 offset:108
	s_waitcnt vmcnt(19)
	v_fma_f64 v[69:70], v[95:96], v[71:72], v[69:70]
	s_waitcnt vmcnt(18) lgkmcnt(0)
	v_fma_f64 v[69:70], v[93:94], v[73:74], v[69:70]
	s_waitcnt vmcnt(13)
	v_fma_f64 v[77:78], v[77:78], v[75:76], v[69:70]
	ds_read_b128 v[69:72], v68 offset:480
	ds_read_b128 v[73:76], v68 offset:496
	s_waitcnt vmcnt(12) lgkmcnt(1)
	v_fma_f64 v[69:70], v[101:102], v[69:70], v[77:78]
	s_waitcnt vmcnt(11)
	v_fma_f64 v[69:70], v[99:100], v[71:72], v[69:70]
	s_waitcnt vmcnt(10) lgkmcnt(0)
	v_fma_f64 v[69:70], v[79:80], v[73:74], v[69:70]
	s_waitcnt vmcnt(5)
	v_fma_f64 v[73:74], v[81:82], v[75:76], v[69:70]
	ds_read_b128 v[69:72], v68 offset:512
	ds_read_b64 v[75:76], v68 offset:528
	s_waitcnt vmcnt(4) lgkmcnt(1)
	v_fma_f64 v[69:70], v[87:88], v[69:70], v[73:74]
	s_waitcnt vmcnt(3)
	v_fma_f64 v[69:70], v[85:86], v[71:72], v[69:70]
	s_waitcnt vmcnt(2) lgkmcnt(0)
	v_fma_f64 v[69:70], v[83:84], v[75:76], v[69:70]
	s_waitcnt vmcnt(0)
	v_add_f64 v[69:70], v[89:90], -v[69:70]
	buffer_store_dword v70, off, s[0:3], 0 offset:108
	buffer_store_dword v69, off, s[0:3], 0 offset:104
	s_and_saveexec_b64 s[4:5], vcc
	s_cbranch_execz .LBB96_181
; %bb.180:
	buffer_load_dword v69, off, s[0:3], 0 offset:96
	buffer_load_dword v70, off, s[0:3], 0 offset:100
	s_waitcnt vmcnt(0)
	ds_write_b64 v67, v[69:70]
	buffer_store_dword v68, off, s[0:3], 0 offset:96
	buffer_store_dword v68, off, s[0:3], 0 offset:100
.LBB96_181:
	s_or_b64 exec, exec, s[4:5]
	s_waitcnt lgkmcnt(0)
	; wave barrier
	buffer_load_dword v77, off, s[0:3], 0 offset:104
	buffer_load_dword v78, off, s[0:3], 0 offset:108
	;; [unrolled: 1-line block ×22, first 2 shown]
	ds_read2_b64 v[69:72], v68 offset0:47 offset1:48
	ds_read2_b64 v[73:76], v68 offset0:49 offset1:50
	v_cmp_lt_u32_e32 vcc, 11, v0
	s_waitcnt vmcnt(20) lgkmcnt(1)
	v_fma_f64 v[69:70], v[77:78], v[69:70], 0
	s_waitcnt vmcnt(18)
	v_fma_f64 v[69:70], v[79:80], v[71:72], v[69:70]
	buffer_load_dword v78, off, s[0:3], 0 offset:196
	buffer_load_dword v79, off, s[0:3], 0 offset:216
	;; [unrolled: 1-line block ×7, first 2 shown]
	s_waitcnt vmcnt(23) lgkmcnt(0)
	v_fma_f64 v[69:70], v[81:82], v[73:74], v[69:70]
	s_waitcnt vmcnt(21)
	v_fma_f64 v[80:81], v[83:84], v[75:76], v[69:70]
	ds_read2_b64 v[69:72], v68 offset0:51 offset1:52
	ds_read2_b64 v[73:76], v68 offset0:53 offset1:54
	s_waitcnt vmcnt(19) lgkmcnt(1)
	v_fma_f64 v[69:70], v[85:86], v[69:70], v[80:81]
	buffer_load_dword v80, off, s[0:3], 0 offset:220
	s_waitcnt vmcnt(18)
	v_fma_f64 v[69:70], v[87:88], v[71:72], v[69:70]
	buffer_load_dword v82, off, s[0:3], 0 offset:228
	buffer_load_dword v83, off, s[0:3], 0 offset:248
	;; [unrolled: 1-line block ×8, first 2 shown]
	s_waitcnt vmcnt(24) lgkmcnt(0)
	v_fma_f64 v[69:70], v[89:90], v[73:74], v[69:70]
	s_waitcnt vmcnt(19)
	v_fma_f64 v[89:90], v[91:92], v[75:76], v[69:70]
	ds_read2_b64 v[69:72], v68 offset0:55 offset1:56
	ds_read2_b64 v[73:76], v68 offset0:57 offset1:58
	s_waitcnt vmcnt(18) lgkmcnt(1)
	v_fma_f64 v[69:70], v[97:98], v[69:70], v[89:90]
	buffer_load_dword v90, off, s[0:3], 0 offset:260
	buffer_load_dword v89, off, s[0:3], 0 offset:256
	;; [unrolled: 1-line block ×4, first 2 shown]
	s_waitcnt vmcnt(21)
	v_fma_f64 v[69:70], v[95:96], v[71:72], v[69:70]
	s_waitcnt vmcnt(20) lgkmcnt(0)
	v_fma_f64 v[69:70], v[93:94], v[73:74], v[69:70]
	s_waitcnt vmcnt(15)
	v_fma_f64 v[77:78], v[77:78], v[75:76], v[69:70]
	ds_read2_b64 v[69:72], v68 offset0:59 offset1:60
	ds_read2_b64 v[73:76], v68 offset0:61 offset1:62
	s_waitcnt vmcnt(14) lgkmcnt(1)
	v_fma_f64 v[69:70], v[101:102], v[69:70], v[77:78]
	s_waitcnt vmcnt(13)
	v_fma_f64 v[69:70], v[99:100], v[71:72], v[69:70]
	s_waitcnt vmcnt(12) lgkmcnt(0)
	v_fma_f64 v[69:70], v[79:80], v[73:74], v[69:70]
	s_waitcnt vmcnt(7)
	v_fma_f64 v[77:78], v[81:82], v[75:76], v[69:70]
	ds_read2_b64 v[69:72], v68 offset0:63 offset1:64
	ds_read2_b64 v[73:76], v68 offset0:65 offset1:66
	s_waitcnt vmcnt(6) lgkmcnt(1)
	v_fma_f64 v[68:69], v[87:88], v[69:70], v[77:78]
	s_waitcnt vmcnt(5)
	v_fma_f64 v[68:69], v[85:86], v[71:72], v[68:69]
	s_waitcnt vmcnt(4) lgkmcnt(0)
	v_fma_f64 v[68:69], v[83:84], v[73:74], v[68:69]
	s_waitcnt vmcnt(2)
	v_fma_f64 v[68:69], v[89:90], v[75:76], v[68:69]
	s_waitcnt vmcnt(0)
	v_add_f64 v[68:69], v[91:92], -v[68:69]
	buffer_store_dword v69, off, s[0:3], 0 offset:100
	buffer_store_dword v68, off, s[0:3], 0 offset:96
	s_and_saveexec_b64 s[4:5], vcc
	s_cbranch_execz .LBB96_183
; %bb.182:
	buffer_load_dword v68, off, s[0:3], 0 offset:88
	buffer_load_dword v69, off, s[0:3], 0 offset:92
	v_mov_b32_e32 v70, 0
	buffer_store_dword v70, off, s[0:3], 0 offset:88
	buffer_store_dword v70, off, s[0:3], 0 offset:92
	s_waitcnt vmcnt(2)
	ds_write_b64 v67, v[68:69]
.LBB96_183:
	s_or_b64 exec, exec, s[4:5]
	s_waitcnt lgkmcnt(0)
	; wave barrier
	buffer_load_dword v77, off, s[0:3], 0 offset:96
	buffer_load_dword v78, off, s[0:3], 0 offset:100
	;; [unrolled: 1-line block ×21, first 2 shown]
	v_mov_b32_e32 v68, 0
	ds_read_b128 v[69:72], v68 offset:368
	ds_read_b128 v[73:76], v68 offset:384
	buffer_load_dword v94, off, s[0:3], 0 offset:180
	v_cmp_lt_u32_e32 vcc, 10, v0
	s_waitcnt vmcnt(20) lgkmcnt(1)
	v_fma_f64 v[69:70], v[77:78], v[69:70], 0
	s_waitcnt vmcnt(18)
	v_fma_f64 v[69:70], v[79:80], v[71:72], v[69:70]
	buffer_load_dword v78, off, s[0:3], 0 offset:188
	buffer_load_dword v79, off, s[0:3], 0 offset:208
	;; [unrolled: 1-line block ×7, first 2 shown]
	s_waitcnt vmcnt(23) lgkmcnt(0)
	v_fma_f64 v[69:70], v[81:82], v[73:74], v[69:70]
	s_waitcnt vmcnt(21)
	v_fma_f64 v[80:81], v[83:84], v[75:76], v[69:70]
	ds_read_b128 v[69:72], v68 offset:400
	ds_read_b128 v[73:76], v68 offset:416
	s_waitcnt vmcnt(19) lgkmcnt(1)
	v_fma_f64 v[69:70], v[85:86], v[69:70], v[80:81]
	buffer_load_dword v80, off, s[0:3], 0 offset:212
	s_waitcnt vmcnt(18)
	v_fma_f64 v[69:70], v[87:88], v[71:72], v[69:70]
	buffer_load_dword v82, off, s[0:3], 0 offset:220
	buffer_load_dword v83, off, s[0:3], 0 offset:240
	;; [unrolled: 1-line block ×7, first 2 shown]
	s_waitcnt vmcnt(23) lgkmcnt(0)
	v_fma_f64 v[69:70], v[89:90], v[73:74], v[69:70]
	s_waitcnt vmcnt(18)
	v_fma_f64 v[89:90], v[91:92], v[75:76], v[69:70]
	ds_read_b128 v[69:72], v68 offset:432
	ds_read_b128 v[73:76], v68 offset:448
	buffer_load_dword v84, off, s[0:3], 0 offset:244
	s_waitcnt vmcnt(18) lgkmcnt(1)
	v_fma_f64 v[69:70], v[97:98], v[69:70], v[89:90]
	buffer_load_dword v90, off, s[0:3], 0 offset:252
	buffer_load_dword v91, off, s[0:3], 0 offset:256
	;; [unrolled: 1-line block ×4, first 2 shown]
	s_waitcnt vmcnt(21)
	v_fma_f64 v[69:70], v[95:96], v[71:72], v[69:70]
	s_waitcnt vmcnt(20) lgkmcnt(0)
	v_fma_f64 v[69:70], v[93:94], v[73:74], v[69:70]
	buffer_load_dword v93, off, s[0:3], 0 offset:88
	buffer_load_dword v94, off, s[0:3], 0 offset:92
	s_waitcnt vmcnt(17)
	v_fma_f64 v[77:78], v[77:78], v[75:76], v[69:70]
	ds_read_b128 v[69:72], v68 offset:464
	ds_read_b128 v[73:76], v68 offset:480
	s_waitcnt vmcnt(16) lgkmcnt(1)
	v_fma_f64 v[69:70], v[101:102], v[69:70], v[77:78]
	s_waitcnt vmcnt(15)
	v_fma_f64 v[69:70], v[99:100], v[71:72], v[69:70]
	s_waitcnt vmcnt(14) lgkmcnt(0)
	v_fma_f64 v[69:70], v[79:80], v[73:74], v[69:70]
	s_waitcnt vmcnt(9)
	v_fma_f64 v[77:78], v[81:82], v[75:76], v[69:70]
	ds_read_b128 v[69:72], v68 offset:496
	ds_read_b128 v[73:76], v68 offset:512
	s_waitcnt vmcnt(8) lgkmcnt(1)
	v_fma_f64 v[69:70], v[87:88], v[69:70], v[77:78]
	s_waitcnt vmcnt(7)
	v_fma_f64 v[69:70], v[85:86], v[71:72], v[69:70]
	ds_read_b64 v[71:72], v68 offset:528
	s_waitcnt vmcnt(6) lgkmcnt(1)
	v_fma_f64 v[69:70], v[83:84], v[73:74], v[69:70]
	s_waitcnt vmcnt(3)
	v_fma_f64 v[69:70], v[89:90], v[75:76], v[69:70]
	s_waitcnt vmcnt(2) lgkmcnt(0)
	v_fma_f64 v[69:70], v[91:92], v[71:72], v[69:70]
	s_waitcnt vmcnt(0)
	v_add_f64 v[69:70], v[93:94], -v[69:70]
	buffer_store_dword v70, off, s[0:3], 0 offset:92
	buffer_store_dword v69, off, s[0:3], 0 offset:88
	s_and_saveexec_b64 s[4:5], vcc
	s_cbranch_execz .LBB96_185
; %bb.184:
	buffer_load_dword v69, off, s[0:3], 0 offset:80
	buffer_load_dword v70, off, s[0:3], 0 offset:84
	s_waitcnt vmcnt(0)
	ds_write_b64 v67, v[69:70]
	buffer_store_dword v68, off, s[0:3], 0 offset:80
	buffer_store_dword v68, off, s[0:3], 0 offset:84
.LBB96_185:
	s_or_b64 exec, exec, s[4:5]
	s_waitcnt lgkmcnt(0)
	; wave barrier
	buffer_load_dword v77, off, s[0:3], 0 offset:88
	buffer_load_dword v78, off, s[0:3], 0 offset:92
	;; [unrolled: 1-line block ×21, first 2 shown]
	ds_read2_b64 v[69:72], v68 offset0:45 offset1:46
	ds_read2_b64 v[73:76], v68 offset0:47 offset1:48
	buffer_load_dword v94, off, s[0:3], 0 offset:172
	v_cmp_lt_u32_e32 vcc, 9, v0
	s_waitcnt vmcnt(20) lgkmcnt(1)
	v_fma_f64 v[69:70], v[77:78], v[69:70], 0
	s_waitcnt vmcnt(18)
	v_fma_f64 v[69:70], v[79:80], v[71:72], v[69:70]
	buffer_load_dword v78, off, s[0:3], 0 offset:180
	buffer_load_dword v79, off, s[0:3], 0 offset:200
	;; [unrolled: 1-line block ×7, first 2 shown]
	s_waitcnt vmcnt(23) lgkmcnt(0)
	v_fma_f64 v[69:70], v[81:82], v[73:74], v[69:70]
	s_waitcnt vmcnt(21)
	v_fma_f64 v[80:81], v[83:84], v[75:76], v[69:70]
	ds_read2_b64 v[69:72], v68 offset0:49 offset1:50
	ds_read2_b64 v[73:76], v68 offset0:51 offset1:52
	s_waitcnt vmcnt(19) lgkmcnt(1)
	v_fma_f64 v[69:70], v[85:86], v[69:70], v[80:81]
	buffer_load_dword v80, off, s[0:3], 0 offset:204
	s_waitcnt vmcnt(18)
	v_fma_f64 v[69:70], v[87:88], v[71:72], v[69:70]
	buffer_load_dword v82, off, s[0:3], 0 offset:212
	buffer_load_dword v83, off, s[0:3], 0 offset:232
	;; [unrolled: 1-line block ×8, first 2 shown]
	s_waitcnt vmcnt(24) lgkmcnt(0)
	v_fma_f64 v[69:70], v[89:90], v[73:74], v[69:70]
	s_waitcnt vmcnt(19)
	v_fma_f64 v[89:90], v[91:92], v[75:76], v[69:70]
	ds_read2_b64 v[69:72], v68 offset0:53 offset1:54
	ds_read2_b64 v[73:76], v68 offset0:55 offset1:56
	s_waitcnt vmcnt(18) lgkmcnt(1)
	v_fma_f64 v[69:70], v[97:98], v[69:70], v[89:90]
	s_waitcnt vmcnt(17)
	v_fma_f64 v[69:70], v[95:96], v[71:72], v[69:70]
	buffer_load_dword v90, off, s[0:3], 0 offset:244
	buffer_load_dword v91, off, s[0:3], 0 offset:256
	;; [unrolled: 1-line block ×6, first 2 shown]
	s_waitcnt vmcnt(22) lgkmcnt(0)
	v_fma_f64 v[69:70], v[93:94], v[73:74], v[69:70]
	s_waitcnt vmcnt(17)
	v_fma_f64 v[77:78], v[77:78], v[75:76], v[69:70]
	ds_read2_b64 v[69:72], v68 offset0:57 offset1:58
	buffer_load_dword v93, off, s[0:3], 0 offset:80
	buffer_load_dword v94, off, s[0:3], 0 offset:84
	ds_read2_b64 v[73:76], v68 offset0:59 offset1:60
	s_waitcnt vmcnt(18) lgkmcnt(1)
	v_fma_f64 v[69:70], v[101:102], v[69:70], v[77:78]
	s_waitcnt vmcnt(17)
	v_fma_f64 v[69:70], v[99:100], v[71:72], v[69:70]
	s_waitcnt vmcnt(16) lgkmcnt(0)
	v_fma_f64 v[69:70], v[79:80], v[73:74], v[69:70]
	s_waitcnt vmcnt(11)
	v_fma_f64 v[77:78], v[81:82], v[75:76], v[69:70]
	ds_read2_b64 v[69:72], v68 offset0:61 offset1:62
	ds_read2_b64 v[73:76], v68 offset0:63 offset1:64
	s_waitcnt vmcnt(10) lgkmcnt(1)
	v_fma_f64 v[69:70], v[87:88], v[69:70], v[77:78]
	s_waitcnt vmcnt(9)
	v_fma_f64 v[69:70], v[85:86], v[71:72], v[69:70]
	s_waitcnt vmcnt(8) lgkmcnt(0)
	v_fma_f64 v[69:70], v[83:84], v[73:74], v[69:70]
	s_waitcnt vmcnt(4)
	v_fma_f64 v[72:73], v[89:90], v[75:76], v[69:70]
	ds_read2_b64 v[68:71], v68 offset0:65 offset1:66
	s_waitcnt vmcnt(3) lgkmcnt(0)
	v_fma_f64 v[68:69], v[95:96], v[68:69], v[72:73]
	s_waitcnt vmcnt(2)
	v_fma_f64 v[68:69], v[91:92], v[70:71], v[68:69]
	s_waitcnt vmcnt(0)
	v_add_f64 v[68:69], v[93:94], -v[68:69]
	buffer_store_dword v69, off, s[0:3], 0 offset:84
	buffer_store_dword v68, off, s[0:3], 0 offset:80
	s_and_saveexec_b64 s[4:5], vcc
	s_cbranch_execz .LBB96_187
; %bb.186:
	buffer_load_dword v68, off, s[0:3], 0 offset:72
	buffer_load_dword v69, off, s[0:3], 0 offset:76
	v_mov_b32_e32 v70, 0
	buffer_store_dword v70, off, s[0:3], 0 offset:72
	buffer_store_dword v70, off, s[0:3], 0 offset:76
	s_waitcnt vmcnt(2)
	ds_write_b64 v67, v[68:69]
.LBB96_187:
	s_or_b64 exec, exec, s[4:5]
	s_waitcnt lgkmcnt(0)
	; wave barrier
	buffer_load_dword v77, off, s[0:3], 0 offset:80
	buffer_load_dword v78, off, s[0:3], 0 offset:84
	;; [unrolled: 1-line block ×21, first 2 shown]
	v_mov_b32_e32 v68, 0
	ds_read_b128 v[69:72], v68 offset:352
	ds_read_b128 v[73:76], v68 offset:368
	buffer_load_dword v94, off, s[0:3], 0 offset:164
	v_cmp_lt_u32_e32 vcc, 8, v0
	s_waitcnt vmcnt(20) lgkmcnt(1)
	v_fma_f64 v[69:70], v[77:78], v[69:70], 0
	s_waitcnt vmcnt(18)
	v_fma_f64 v[69:70], v[79:80], v[71:72], v[69:70]
	buffer_load_dword v78, off, s[0:3], 0 offset:172
	buffer_load_dword v79, off, s[0:3], 0 offset:192
	;; [unrolled: 1-line block ×7, first 2 shown]
	s_waitcnt vmcnt(23) lgkmcnt(0)
	v_fma_f64 v[69:70], v[81:82], v[73:74], v[69:70]
	s_waitcnt vmcnt(21)
	v_fma_f64 v[80:81], v[83:84], v[75:76], v[69:70]
	ds_read_b128 v[69:72], v68 offset:384
	ds_read_b128 v[73:76], v68 offset:400
	s_waitcnt vmcnt(19) lgkmcnt(1)
	v_fma_f64 v[69:70], v[85:86], v[69:70], v[80:81]
	buffer_load_dword v80, off, s[0:3], 0 offset:196
	s_waitcnt vmcnt(18)
	v_fma_f64 v[69:70], v[87:88], v[71:72], v[69:70]
	buffer_load_dword v82, off, s[0:3], 0 offset:204
	buffer_load_dword v83, off, s[0:3], 0 offset:224
	;; [unrolled: 1-line block ×8, first 2 shown]
	s_waitcnt vmcnt(24) lgkmcnt(0)
	v_fma_f64 v[69:70], v[89:90], v[73:74], v[69:70]
	s_waitcnt vmcnt(19)
	v_fma_f64 v[89:90], v[91:92], v[75:76], v[69:70]
	ds_read_b128 v[69:72], v68 offset:416
	ds_read_b128 v[73:76], v68 offset:432
	s_waitcnt vmcnt(18) lgkmcnt(1)
	v_fma_f64 v[69:70], v[97:98], v[69:70], v[89:90]
	s_waitcnt vmcnt(17)
	v_fma_f64 v[69:70], v[95:96], v[71:72], v[69:70]
	buffer_load_dword v90, off, s[0:3], 0 offset:236
	buffer_load_dword v91, off, s[0:3], 0 offset:256
	;; [unrolled: 1-line block ×8, first 2 shown]
	s_waitcnt vmcnt(24) lgkmcnt(0)
	v_fma_f64 v[69:70], v[93:94], v[73:74], v[69:70]
	s_waitcnt vmcnt(19)
	v_fma_f64 v[77:78], v[77:78], v[75:76], v[69:70]
	ds_read_b128 v[69:72], v68 offset:448
	ds_read_b128 v[73:76], v68 offset:464
	s_waitcnt vmcnt(18) lgkmcnt(1)
	v_fma_f64 v[69:70], v[101:102], v[69:70], v[77:78]
	buffer_load_dword v77, off, s[0:3], 0 offset:72
	buffer_load_dword v78, off, s[0:3], 0 offset:76
	s_waitcnt vmcnt(19)
	v_fma_f64 v[69:70], v[99:100], v[71:72], v[69:70]
	s_waitcnt vmcnt(18) lgkmcnt(0)
	v_fma_f64 v[69:70], v[79:80], v[73:74], v[69:70]
	s_waitcnt vmcnt(13)
	v_fma_f64 v[79:80], v[81:82], v[75:76], v[69:70]
	ds_read_b128 v[69:72], v68 offset:480
	ds_read_b128 v[73:76], v68 offset:496
	s_waitcnt vmcnt(12) lgkmcnt(1)
	v_fma_f64 v[69:70], v[87:88], v[69:70], v[79:80]
	s_waitcnt vmcnt(11)
	v_fma_f64 v[69:70], v[85:86], v[71:72], v[69:70]
	s_waitcnt vmcnt(10) lgkmcnt(0)
	v_fma_f64 v[69:70], v[83:84], v[73:74], v[69:70]
	s_waitcnt vmcnt(5)
	v_fma_f64 v[73:74], v[89:90], v[75:76], v[69:70]
	ds_read_b128 v[69:72], v68 offset:512
	ds_read_b64 v[75:76], v68 offset:528
	s_waitcnt vmcnt(4) lgkmcnt(1)
	v_fma_f64 v[69:70], v[97:98], v[69:70], v[73:74]
	s_waitcnt vmcnt(3)
	v_fma_f64 v[69:70], v[95:96], v[71:72], v[69:70]
	s_waitcnt vmcnt(2) lgkmcnt(0)
	v_fma_f64 v[69:70], v[91:92], v[75:76], v[69:70]
	s_waitcnt vmcnt(0)
	v_add_f64 v[69:70], v[77:78], -v[69:70]
	buffer_store_dword v70, off, s[0:3], 0 offset:76
	buffer_store_dword v69, off, s[0:3], 0 offset:72
	s_and_saveexec_b64 s[4:5], vcc
	s_cbranch_execz .LBB96_189
; %bb.188:
	buffer_load_dword v69, off, s[0:3], 0 offset:64
	buffer_load_dword v70, off, s[0:3], 0 offset:68
	s_waitcnt vmcnt(0)
	ds_write_b64 v67, v[69:70]
	buffer_store_dword v68, off, s[0:3], 0 offset:64
	buffer_store_dword v68, off, s[0:3], 0 offset:68
.LBB96_189:
	s_or_b64 exec, exec, s[4:5]
	s_waitcnt lgkmcnt(0)
	; wave barrier
	buffer_load_dword v77, off, s[0:3], 0 offset:72
	buffer_load_dword v78, off, s[0:3], 0 offset:76
	;; [unrolled: 1-line block ×21, first 2 shown]
	ds_read2_b64 v[69:72], v68 offset0:43 offset1:44
	ds_read2_b64 v[73:76], v68 offset0:45 offset1:46
	buffer_load_dword v94, off, s[0:3], 0 offset:156
	v_cmp_lt_u32_e32 vcc, 7, v0
	s_waitcnt vmcnt(20) lgkmcnt(1)
	v_fma_f64 v[69:70], v[77:78], v[69:70], 0
	s_waitcnt vmcnt(18)
	v_fma_f64 v[69:70], v[79:80], v[71:72], v[69:70]
	buffer_load_dword v78, off, s[0:3], 0 offset:164
	buffer_load_dword v79, off, s[0:3], 0 offset:184
	;; [unrolled: 1-line block ×7, first 2 shown]
	s_waitcnt vmcnt(23) lgkmcnt(0)
	v_fma_f64 v[69:70], v[81:82], v[73:74], v[69:70]
	s_waitcnt vmcnt(21)
	v_fma_f64 v[80:81], v[83:84], v[75:76], v[69:70]
	ds_read2_b64 v[69:72], v68 offset0:47 offset1:48
	ds_read2_b64 v[73:76], v68 offset0:49 offset1:50
	s_waitcnt vmcnt(19) lgkmcnt(1)
	v_fma_f64 v[69:70], v[85:86], v[69:70], v[80:81]
	buffer_load_dword v80, off, s[0:3], 0 offset:188
	s_waitcnt vmcnt(18)
	v_fma_f64 v[69:70], v[87:88], v[71:72], v[69:70]
	buffer_load_dword v82, off, s[0:3], 0 offset:196
	buffer_load_dword v83, off, s[0:3], 0 offset:216
	;; [unrolled: 1-line block ×8, first 2 shown]
	s_waitcnt vmcnt(24) lgkmcnt(0)
	v_fma_f64 v[69:70], v[89:90], v[73:74], v[69:70]
	s_waitcnt vmcnt(19)
	v_fma_f64 v[89:90], v[91:92], v[75:76], v[69:70]
	ds_read2_b64 v[69:72], v68 offset0:51 offset1:52
	ds_read2_b64 v[73:76], v68 offset0:53 offset1:54
	s_waitcnt vmcnt(18) lgkmcnt(1)
	v_fma_f64 v[69:70], v[97:98], v[69:70], v[89:90]
	s_waitcnt vmcnt(17)
	v_fma_f64 v[69:70], v[95:96], v[71:72], v[69:70]
	buffer_load_dword v90, off, s[0:3], 0 offset:228
	buffer_load_dword v91, off, s[0:3], 0 offset:248
	;; [unrolled: 1-line block ×8, first 2 shown]
	s_waitcnt vmcnt(24) lgkmcnt(0)
	v_fma_f64 v[69:70], v[93:94], v[73:74], v[69:70]
	s_waitcnt vmcnt(19)
	v_fma_f64 v[77:78], v[77:78], v[75:76], v[69:70]
	ds_read2_b64 v[69:72], v68 offset0:55 offset1:56
	ds_read2_b64 v[73:76], v68 offset0:57 offset1:58
	s_waitcnt vmcnt(18) lgkmcnt(1)
	v_fma_f64 v[69:70], v[101:102], v[69:70], v[77:78]
	buffer_load_dword v78, off, s[0:3], 0 offset:260
	buffer_load_dword v77, off, s[0:3], 0 offset:256
	;; [unrolled: 1-line block ×4, first 2 shown]
	s_waitcnt vmcnt(21)
	v_fma_f64 v[69:70], v[99:100], v[71:72], v[69:70]
	s_waitcnt vmcnt(20) lgkmcnt(0)
	v_fma_f64 v[69:70], v[79:80], v[73:74], v[69:70]
	s_waitcnt vmcnt(15)
	v_fma_f64 v[79:80], v[81:82], v[75:76], v[69:70]
	ds_read2_b64 v[69:72], v68 offset0:59 offset1:60
	ds_read2_b64 v[73:76], v68 offset0:61 offset1:62
	s_waitcnt vmcnt(14) lgkmcnt(1)
	v_fma_f64 v[69:70], v[87:88], v[69:70], v[79:80]
	s_waitcnt vmcnt(13)
	v_fma_f64 v[69:70], v[85:86], v[71:72], v[69:70]
	s_waitcnt vmcnt(12) lgkmcnt(0)
	v_fma_f64 v[69:70], v[83:84], v[73:74], v[69:70]
	s_waitcnt vmcnt(7)
	v_fma_f64 v[79:80], v[89:90], v[75:76], v[69:70]
	ds_read2_b64 v[69:72], v68 offset0:63 offset1:64
	ds_read2_b64 v[73:76], v68 offset0:65 offset1:66
	s_waitcnt vmcnt(6) lgkmcnt(1)
	v_fma_f64 v[68:69], v[97:98], v[69:70], v[79:80]
	s_waitcnt vmcnt(5)
	v_fma_f64 v[68:69], v[95:96], v[71:72], v[68:69]
	s_waitcnt vmcnt(4) lgkmcnt(0)
	v_fma_f64 v[68:69], v[91:92], v[73:74], v[68:69]
	s_waitcnt vmcnt(2)
	v_fma_f64 v[68:69], v[77:78], v[75:76], v[68:69]
	s_waitcnt vmcnt(0)
	v_add_f64 v[68:69], v[93:94], -v[68:69]
	buffer_store_dword v69, off, s[0:3], 0 offset:68
	buffer_store_dword v68, off, s[0:3], 0 offset:64
	s_and_saveexec_b64 s[4:5], vcc
	s_cbranch_execz .LBB96_191
; %bb.190:
	buffer_load_dword v68, off, s[0:3], 0 offset:56
	buffer_load_dword v69, off, s[0:3], 0 offset:60
	v_mov_b32_e32 v70, 0
	buffer_store_dword v70, off, s[0:3], 0 offset:56
	buffer_store_dword v70, off, s[0:3], 0 offset:60
	s_waitcnt vmcnt(2)
	ds_write_b64 v67, v[68:69]
.LBB96_191:
	s_or_b64 exec, exec, s[4:5]
	s_waitcnt lgkmcnt(0)
	; wave barrier
	buffer_load_dword v77, off, s[0:3], 0 offset:64
	buffer_load_dword v78, off, s[0:3], 0 offset:68
	;; [unrolled: 1-line block ×21, first 2 shown]
	v_mov_b32_e32 v68, 0
	ds_read_b128 v[69:72], v68 offset:336
	ds_read_b128 v[73:76], v68 offset:352
	buffer_load_dword v94, off, s[0:3], 0 offset:148
	v_cmp_lt_u32_e32 vcc, 6, v0
	s_waitcnt vmcnt(20) lgkmcnt(1)
	v_fma_f64 v[69:70], v[77:78], v[69:70], 0
	s_waitcnt vmcnt(18)
	v_fma_f64 v[69:70], v[79:80], v[71:72], v[69:70]
	buffer_load_dword v78, off, s[0:3], 0 offset:156
	buffer_load_dword v79, off, s[0:3], 0 offset:176
	;; [unrolled: 1-line block ×7, first 2 shown]
	s_waitcnt vmcnt(23) lgkmcnt(0)
	v_fma_f64 v[69:70], v[81:82], v[73:74], v[69:70]
	s_waitcnt vmcnt(21)
	v_fma_f64 v[80:81], v[83:84], v[75:76], v[69:70]
	ds_read_b128 v[69:72], v68 offset:368
	ds_read_b128 v[73:76], v68 offset:384
	s_waitcnt vmcnt(19) lgkmcnt(1)
	v_fma_f64 v[69:70], v[85:86], v[69:70], v[80:81]
	buffer_load_dword v80, off, s[0:3], 0 offset:180
	s_waitcnt vmcnt(18)
	v_fma_f64 v[69:70], v[87:88], v[71:72], v[69:70]
	buffer_load_dword v82, off, s[0:3], 0 offset:188
	buffer_load_dword v83, off, s[0:3], 0 offset:208
	;; [unrolled: 1-line block ×8, first 2 shown]
	s_waitcnt vmcnt(24) lgkmcnt(0)
	v_fma_f64 v[69:70], v[89:90], v[73:74], v[69:70]
	s_waitcnt vmcnt(19)
	v_fma_f64 v[89:90], v[91:92], v[75:76], v[69:70]
	ds_read_b128 v[69:72], v68 offset:400
	ds_read_b128 v[73:76], v68 offset:416
	s_waitcnt vmcnt(18) lgkmcnt(1)
	v_fma_f64 v[69:70], v[97:98], v[69:70], v[89:90]
	s_waitcnt vmcnt(17)
	v_fma_f64 v[69:70], v[95:96], v[71:72], v[69:70]
	buffer_load_dword v90, off, s[0:3], 0 offset:220
	buffer_load_dword v91, off, s[0:3], 0 offset:240
	;; [unrolled: 1-line block ×7, first 2 shown]
	s_waitcnt vmcnt(23) lgkmcnt(0)
	v_fma_f64 v[69:70], v[93:94], v[73:74], v[69:70]
	s_waitcnt vmcnt(18)
	v_fma_f64 v[77:78], v[77:78], v[75:76], v[69:70]
	ds_read_b128 v[69:72], v68 offset:432
	ds_read_b128 v[73:76], v68 offset:448
	buffer_load_dword v92, off, s[0:3], 0 offset:244
	s_waitcnt vmcnt(18) lgkmcnt(1)
	v_fma_f64 v[69:70], v[101:102], v[69:70], v[77:78]
	buffer_load_dword v78, off, s[0:3], 0 offset:252
	buffer_load_dword v93, off, s[0:3], 0 offset:256
	;; [unrolled: 1-line block ×4, first 2 shown]
	s_waitcnt vmcnt(21)
	v_fma_f64 v[69:70], v[99:100], v[71:72], v[69:70]
	s_waitcnt vmcnt(20) lgkmcnt(0)
	v_fma_f64 v[69:70], v[79:80], v[73:74], v[69:70]
	buffer_load_dword v79, off, s[0:3], 0 offset:56
	buffer_load_dword v80, off, s[0:3], 0 offset:60
	s_waitcnt vmcnt(17)
	v_fma_f64 v[81:82], v[81:82], v[75:76], v[69:70]
	ds_read_b128 v[69:72], v68 offset:464
	ds_read_b128 v[73:76], v68 offset:480
	s_waitcnt vmcnt(16) lgkmcnt(1)
	v_fma_f64 v[69:70], v[87:88], v[69:70], v[81:82]
	s_waitcnt vmcnt(15)
	v_fma_f64 v[69:70], v[85:86], v[71:72], v[69:70]
	s_waitcnt vmcnt(14) lgkmcnt(0)
	v_fma_f64 v[69:70], v[83:84], v[73:74], v[69:70]
	s_waitcnt vmcnt(9)
	v_fma_f64 v[81:82], v[89:90], v[75:76], v[69:70]
	ds_read_b128 v[69:72], v68 offset:496
	ds_read_b128 v[73:76], v68 offset:512
	s_waitcnt vmcnt(8) lgkmcnt(1)
	v_fma_f64 v[69:70], v[97:98], v[69:70], v[81:82]
	s_waitcnt vmcnt(7)
	v_fma_f64 v[69:70], v[95:96], v[71:72], v[69:70]
	ds_read_b64 v[71:72], v68 offset:528
	s_waitcnt vmcnt(6) lgkmcnt(1)
	v_fma_f64 v[69:70], v[91:92], v[73:74], v[69:70]
	s_waitcnt vmcnt(3)
	v_fma_f64 v[69:70], v[77:78], v[75:76], v[69:70]
	s_waitcnt vmcnt(2) lgkmcnt(0)
	v_fma_f64 v[69:70], v[93:94], v[71:72], v[69:70]
	s_waitcnt vmcnt(0)
	v_add_f64 v[69:70], v[79:80], -v[69:70]
	buffer_store_dword v70, off, s[0:3], 0 offset:60
	buffer_store_dword v69, off, s[0:3], 0 offset:56
	s_and_saveexec_b64 s[4:5], vcc
	s_cbranch_execz .LBB96_193
; %bb.192:
	buffer_load_dword v69, off, s[0:3], 0 offset:48
	buffer_load_dword v70, off, s[0:3], 0 offset:52
	s_waitcnt vmcnt(0)
	ds_write_b64 v67, v[69:70]
	buffer_store_dword v68, off, s[0:3], 0 offset:48
	buffer_store_dword v68, off, s[0:3], 0 offset:52
.LBB96_193:
	s_or_b64 exec, exec, s[4:5]
	s_waitcnt lgkmcnt(0)
	; wave barrier
	buffer_load_dword v77, off, s[0:3], 0 offset:56
	buffer_load_dword v78, off, s[0:3], 0 offset:60
	;; [unrolled: 1-line block ×22, first 2 shown]
	ds_read2_b64 v[69:72], v68 offset0:41 offset1:42
	ds_read2_b64 v[73:76], v68 offset0:43 offset1:44
	v_cmp_lt_u32_e32 vcc, 5, v0
	s_waitcnt vmcnt(20) lgkmcnt(1)
	v_fma_f64 v[69:70], v[77:78], v[69:70], 0
	s_waitcnt vmcnt(18)
	v_fma_f64 v[69:70], v[79:80], v[71:72], v[69:70]
	buffer_load_dword v78, off, s[0:3], 0 offset:148
	buffer_load_dword v79, off, s[0:3], 0 offset:168
	;; [unrolled: 1-line block ×7, first 2 shown]
	s_waitcnt vmcnt(23) lgkmcnt(0)
	v_fma_f64 v[69:70], v[81:82], v[73:74], v[69:70]
	s_waitcnt vmcnt(21)
	v_fma_f64 v[80:81], v[83:84], v[75:76], v[69:70]
	ds_read2_b64 v[69:72], v68 offset0:45 offset1:46
	ds_read2_b64 v[73:76], v68 offset0:47 offset1:48
	s_waitcnt vmcnt(19) lgkmcnt(1)
	v_fma_f64 v[69:70], v[85:86], v[69:70], v[80:81]
	buffer_load_dword v80, off, s[0:3], 0 offset:172
	s_waitcnt vmcnt(18)
	v_fma_f64 v[69:70], v[87:88], v[71:72], v[69:70]
	buffer_load_dword v82, off, s[0:3], 0 offset:180
	buffer_load_dword v83, off, s[0:3], 0 offset:200
	;; [unrolled: 1-line block ×8, first 2 shown]
	s_waitcnt vmcnt(24) lgkmcnt(0)
	v_fma_f64 v[69:70], v[89:90], v[73:74], v[69:70]
	s_waitcnt vmcnt(19)
	v_fma_f64 v[89:90], v[91:92], v[75:76], v[69:70]
	ds_read2_b64 v[69:72], v68 offset0:49 offset1:50
	ds_read2_b64 v[73:76], v68 offset0:51 offset1:52
	s_waitcnt vmcnt(18) lgkmcnt(1)
	v_fma_f64 v[69:70], v[97:98], v[69:70], v[89:90]
	s_waitcnt vmcnt(17)
	v_fma_f64 v[69:70], v[95:96], v[71:72], v[69:70]
	buffer_load_dword v90, off, s[0:3], 0 offset:212
	buffer_load_dword v91, off, s[0:3], 0 offset:232
	;; [unrolled: 1-line block ×8, first 2 shown]
	s_waitcnt vmcnt(24) lgkmcnt(0)
	v_fma_f64 v[69:70], v[93:94], v[73:74], v[69:70]
	s_waitcnt vmcnt(19)
	v_fma_f64 v[77:78], v[77:78], v[75:76], v[69:70]
	ds_read2_b64 v[69:72], v68 offset0:53 offset1:54
	ds_read2_b64 v[73:76], v68 offset0:55 offset1:56
	s_waitcnt vmcnt(18) lgkmcnt(1)
	v_fma_f64 v[69:70], v[101:102], v[69:70], v[77:78]
	s_waitcnt vmcnt(17)
	v_fma_f64 v[69:70], v[99:100], v[71:72], v[69:70]
	buffer_load_dword v78, off, s[0:3], 0 offset:244
	buffer_load_dword v93, off, s[0:3], 0 offset:256
	;; [unrolled: 1-line block ×6, first 2 shown]
	s_waitcnt vmcnt(22) lgkmcnt(0)
	v_fma_f64 v[69:70], v[79:80], v[73:74], v[69:70]
	s_waitcnt vmcnt(17)
	v_fma_f64 v[79:80], v[81:82], v[75:76], v[69:70]
	ds_read2_b64 v[69:72], v68 offset0:57 offset1:58
	buffer_load_dword v81, off, s[0:3], 0 offset:48
	buffer_load_dword v82, off, s[0:3], 0 offset:52
	ds_read2_b64 v[73:76], v68 offset0:59 offset1:60
	s_waitcnt vmcnt(18) lgkmcnt(1)
	v_fma_f64 v[69:70], v[87:88], v[69:70], v[79:80]
	s_waitcnt vmcnt(17)
	v_fma_f64 v[69:70], v[85:86], v[71:72], v[69:70]
	s_waitcnt vmcnt(16) lgkmcnt(0)
	v_fma_f64 v[69:70], v[83:84], v[73:74], v[69:70]
	s_waitcnt vmcnt(11)
	v_fma_f64 v[79:80], v[89:90], v[75:76], v[69:70]
	ds_read2_b64 v[69:72], v68 offset0:61 offset1:62
	ds_read2_b64 v[73:76], v68 offset0:63 offset1:64
	s_waitcnt vmcnt(10) lgkmcnt(1)
	v_fma_f64 v[69:70], v[97:98], v[69:70], v[79:80]
	s_waitcnt vmcnt(9)
	v_fma_f64 v[69:70], v[95:96], v[71:72], v[69:70]
	s_waitcnt vmcnt(8) lgkmcnt(0)
	v_fma_f64 v[69:70], v[91:92], v[73:74], v[69:70]
	s_waitcnt vmcnt(4)
	v_fma_f64 v[72:73], v[77:78], v[75:76], v[69:70]
	ds_read2_b64 v[68:71], v68 offset0:65 offset1:66
	s_waitcnt vmcnt(3) lgkmcnt(0)
	v_fma_f64 v[68:69], v[99:100], v[68:69], v[72:73]
	s_waitcnt vmcnt(2)
	v_fma_f64 v[68:69], v[93:94], v[70:71], v[68:69]
	s_waitcnt vmcnt(0)
	v_add_f64 v[68:69], v[81:82], -v[68:69]
	buffer_store_dword v69, off, s[0:3], 0 offset:52
	buffer_store_dword v68, off, s[0:3], 0 offset:48
	s_and_saveexec_b64 s[4:5], vcc
	s_cbranch_execz .LBB96_195
; %bb.194:
	buffer_load_dword v68, off, s[0:3], 0 offset:40
	buffer_load_dword v69, off, s[0:3], 0 offset:44
	v_mov_b32_e32 v70, 0
	buffer_store_dword v70, off, s[0:3], 0 offset:40
	buffer_store_dword v70, off, s[0:3], 0 offset:44
	s_waitcnt vmcnt(2)
	ds_write_b64 v67, v[68:69]
.LBB96_195:
	s_or_b64 exec, exec, s[4:5]
	s_waitcnt lgkmcnt(0)
	; wave barrier
	buffer_load_dword v77, off, s[0:3], 0 offset:48
	buffer_load_dword v78, off, s[0:3], 0 offset:52
	;; [unrolled: 1-line block ×22, first 2 shown]
	v_mov_b32_e32 v68, 0
	ds_read_b128 v[69:72], v68 offset:320
	ds_read_b128 v[73:76], v68 offset:336
	v_cmp_lt_u32_e32 vcc, 4, v0
	s_waitcnt vmcnt(20) lgkmcnt(1)
	v_fma_f64 v[69:70], v[77:78], v[69:70], 0
	s_waitcnt vmcnt(18)
	v_fma_f64 v[69:70], v[79:80], v[71:72], v[69:70]
	buffer_load_dword v78, off, s[0:3], 0 offset:140
	buffer_load_dword v79, off, s[0:3], 0 offset:160
	;; [unrolled: 1-line block ×7, first 2 shown]
	s_waitcnt vmcnt(23) lgkmcnt(0)
	v_fma_f64 v[69:70], v[81:82], v[73:74], v[69:70]
	s_waitcnt vmcnt(21)
	v_fma_f64 v[80:81], v[83:84], v[75:76], v[69:70]
	ds_read_b128 v[69:72], v68 offset:352
	ds_read_b128 v[73:76], v68 offset:368
	s_waitcnt vmcnt(19) lgkmcnt(1)
	v_fma_f64 v[69:70], v[85:86], v[69:70], v[80:81]
	buffer_load_dword v80, off, s[0:3], 0 offset:164
	s_waitcnt vmcnt(18)
	v_fma_f64 v[69:70], v[87:88], v[71:72], v[69:70]
	buffer_load_dword v82, off, s[0:3], 0 offset:172
	buffer_load_dword v83, off, s[0:3], 0 offset:192
	buffer_load_dword v85, off, s[0:3], 0 offset:184
	buffer_load_dword v87, off, s[0:3], 0 offset:176
	buffer_load_dword v81, off, s[0:3], 0 offset:168
	buffer_load_dword v88, off, s[0:3], 0 offset:180
	buffer_load_dword v86, off, s[0:3], 0 offset:188
	buffer_load_dword v84, off, s[0:3], 0 offset:196
	s_waitcnt vmcnt(24) lgkmcnt(0)
	v_fma_f64 v[69:70], v[89:90], v[73:74], v[69:70]
	s_waitcnt vmcnt(19)
	v_fma_f64 v[89:90], v[91:92], v[75:76], v[69:70]
	ds_read_b128 v[69:72], v68 offset:384
	ds_read_b128 v[73:76], v68 offset:400
	s_waitcnt vmcnt(18) lgkmcnt(1)
	v_fma_f64 v[69:70], v[97:98], v[69:70], v[89:90]
	s_waitcnt vmcnt(17)
	v_fma_f64 v[69:70], v[95:96], v[71:72], v[69:70]
	buffer_load_dword v90, off, s[0:3], 0 offset:204
	buffer_load_dword v91, off, s[0:3], 0 offset:224
	buffer_load_dword v95, off, s[0:3], 0 offset:216
	buffer_load_dword v97, off, s[0:3], 0 offset:208
	buffer_load_dword v89, off, s[0:3], 0 offset:200
	buffer_load_dword v98, off, s[0:3], 0 offset:212
	buffer_load_dword v96, off, s[0:3], 0 offset:220
	buffer_load_dword v92, off, s[0:3], 0 offset:228
	s_waitcnt vmcnt(24) lgkmcnt(0)
	v_fma_f64 v[69:70], v[93:94], v[73:74], v[69:70]
	s_waitcnt vmcnt(19)
	v_fma_f64 v[77:78], v[77:78], v[75:76], v[69:70]
	ds_read_b128 v[69:72], v68 offset:416
	ds_read_b128 v[73:76], v68 offset:432
	s_waitcnt vmcnt(18) lgkmcnt(1)
	v_fma_f64 v[69:70], v[101:102], v[69:70], v[77:78]
	;; [unrolled: 18-line block ×3, first 2 shown]
	buffer_load_dword v79, off, s[0:3], 0 offset:40
	buffer_load_dword v80, off, s[0:3], 0 offset:44
	s_waitcnt vmcnt(19)
	v_fma_f64 v[69:70], v[85:86], v[71:72], v[69:70]
	s_waitcnt vmcnt(18) lgkmcnt(0)
	v_fma_f64 v[69:70], v[83:84], v[73:74], v[69:70]
	s_waitcnt vmcnt(13)
	v_fma_f64 v[81:82], v[89:90], v[75:76], v[69:70]
	ds_read_b128 v[69:72], v68 offset:480
	ds_read_b128 v[73:76], v68 offset:496
	s_waitcnt vmcnt(12) lgkmcnt(1)
	v_fma_f64 v[69:70], v[97:98], v[69:70], v[81:82]
	s_waitcnt vmcnt(11)
	v_fma_f64 v[69:70], v[95:96], v[71:72], v[69:70]
	s_waitcnt vmcnt(10) lgkmcnt(0)
	v_fma_f64 v[69:70], v[91:92], v[73:74], v[69:70]
	s_waitcnt vmcnt(5)
	v_fma_f64 v[73:74], v[77:78], v[75:76], v[69:70]
	ds_read_b128 v[69:72], v68 offset:512
	ds_read_b64 v[75:76], v68 offset:528
	s_waitcnt vmcnt(4) lgkmcnt(1)
	v_fma_f64 v[69:70], v[101:102], v[69:70], v[73:74]
	s_waitcnt vmcnt(3)
	v_fma_f64 v[69:70], v[99:100], v[71:72], v[69:70]
	s_waitcnt vmcnt(2) lgkmcnt(0)
	v_fma_f64 v[69:70], v[93:94], v[75:76], v[69:70]
	s_waitcnt vmcnt(0)
	v_add_f64 v[69:70], v[79:80], -v[69:70]
	buffer_store_dword v70, off, s[0:3], 0 offset:44
	buffer_store_dword v69, off, s[0:3], 0 offset:40
	s_and_saveexec_b64 s[4:5], vcc
	s_cbranch_execz .LBB96_197
; %bb.196:
	buffer_load_dword v69, off, s[0:3], 0 offset:32
	buffer_load_dword v70, off, s[0:3], 0 offset:36
	s_waitcnt vmcnt(0)
	ds_write_b64 v67, v[69:70]
	buffer_store_dword v68, off, s[0:3], 0 offset:32
	buffer_store_dword v68, off, s[0:3], 0 offset:36
.LBB96_197:
	s_or_b64 exec, exec, s[4:5]
	s_waitcnt lgkmcnt(0)
	; wave barrier
	buffer_load_dword v77, off, s[0:3], 0 offset:40
	buffer_load_dword v78, off, s[0:3], 0 offset:44
	;; [unrolled: 1-line block ×22, first 2 shown]
	ds_read2_b64 v[69:72], v68 offset0:39 offset1:40
	ds_read2_b64 v[73:76], v68 offset0:41 offset1:42
	v_cmp_lt_u32_e32 vcc, 3, v0
	s_waitcnt vmcnt(20) lgkmcnt(1)
	v_fma_f64 v[69:70], v[77:78], v[69:70], 0
	s_waitcnt vmcnt(18)
	v_fma_f64 v[69:70], v[79:80], v[71:72], v[69:70]
	buffer_load_dword v78, off, s[0:3], 0 offset:132
	buffer_load_dword v79, off, s[0:3], 0 offset:152
	;; [unrolled: 1-line block ×7, first 2 shown]
	s_waitcnt vmcnt(23) lgkmcnt(0)
	v_fma_f64 v[69:70], v[81:82], v[73:74], v[69:70]
	s_waitcnt vmcnt(21)
	v_fma_f64 v[80:81], v[83:84], v[75:76], v[69:70]
	ds_read2_b64 v[69:72], v68 offset0:43 offset1:44
	ds_read2_b64 v[73:76], v68 offset0:45 offset1:46
	s_waitcnt vmcnt(19) lgkmcnt(1)
	v_fma_f64 v[69:70], v[85:86], v[69:70], v[80:81]
	buffer_load_dword v80, off, s[0:3], 0 offset:156
	s_waitcnt vmcnt(18)
	v_fma_f64 v[69:70], v[87:88], v[71:72], v[69:70]
	buffer_load_dword v82, off, s[0:3], 0 offset:164
	buffer_load_dword v83, off, s[0:3], 0 offset:184
	buffer_load_dword v85, off, s[0:3], 0 offset:176
	buffer_load_dword v87, off, s[0:3], 0 offset:168
	buffer_load_dword v81, off, s[0:3], 0 offset:160
	buffer_load_dword v88, off, s[0:3], 0 offset:172
	buffer_load_dword v86, off, s[0:3], 0 offset:180
	buffer_load_dword v84, off, s[0:3], 0 offset:188
	s_waitcnt vmcnt(24) lgkmcnt(0)
	v_fma_f64 v[69:70], v[89:90], v[73:74], v[69:70]
	s_waitcnt vmcnt(19)
	v_fma_f64 v[89:90], v[91:92], v[75:76], v[69:70]
	ds_read2_b64 v[69:72], v68 offset0:47 offset1:48
	ds_read2_b64 v[73:76], v68 offset0:49 offset1:50
	s_waitcnt vmcnt(18) lgkmcnt(1)
	v_fma_f64 v[69:70], v[97:98], v[69:70], v[89:90]
	s_waitcnt vmcnt(17)
	v_fma_f64 v[69:70], v[95:96], v[71:72], v[69:70]
	buffer_load_dword v90, off, s[0:3], 0 offset:196
	buffer_load_dword v91, off, s[0:3], 0 offset:216
	buffer_load_dword v95, off, s[0:3], 0 offset:208
	buffer_load_dword v97, off, s[0:3], 0 offset:200
	buffer_load_dword v89, off, s[0:3], 0 offset:192
	buffer_load_dword v98, off, s[0:3], 0 offset:204
	buffer_load_dword v96, off, s[0:3], 0 offset:212
	buffer_load_dword v92, off, s[0:3], 0 offset:220
	s_waitcnt vmcnt(24) lgkmcnt(0)
	v_fma_f64 v[69:70], v[93:94], v[73:74], v[69:70]
	s_waitcnt vmcnt(19)
	v_fma_f64 v[77:78], v[77:78], v[75:76], v[69:70]
	ds_read2_b64 v[69:72], v68 offset0:51 offset1:52
	ds_read2_b64 v[73:76], v68 offset0:53 offset1:54
	s_waitcnt vmcnt(18) lgkmcnt(1)
	v_fma_f64 v[69:70], v[101:102], v[69:70], v[77:78]
	s_waitcnt vmcnt(17)
	v_fma_f64 v[69:70], v[99:100], v[71:72], v[69:70]
	buffer_load_dword v78, off, s[0:3], 0 offset:228
	buffer_load_dword v93, off, s[0:3], 0 offset:248
	buffer_load_dword v99, off, s[0:3], 0 offset:240
	buffer_load_dword v101, off, s[0:3], 0 offset:232
	buffer_load_dword v77, off, s[0:3], 0 offset:224
	buffer_load_dword v102, off, s[0:3], 0 offset:236
	buffer_load_dword v100, off, s[0:3], 0 offset:244
	buffer_load_dword v94, off, s[0:3], 0 offset:252
	s_waitcnt vmcnt(24) lgkmcnt(0)
	v_fma_f64 v[69:70], v[79:80], v[73:74], v[69:70]
	s_waitcnt vmcnt(19)
	v_fma_f64 v[79:80], v[81:82], v[75:76], v[69:70]
	ds_read2_b64 v[69:72], v68 offset0:55 offset1:56
	ds_read2_b64 v[73:76], v68 offset0:57 offset1:58
	s_waitcnt vmcnt(18) lgkmcnt(1)
	v_fma_f64 v[69:70], v[87:88], v[69:70], v[79:80]
	buffer_load_dword v80, off, s[0:3], 0 offset:260
	buffer_load_dword v79, off, s[0:3], 0 offset:256
	;; [unrolled: 1-line block ×4, first 2 shown]
	s_waitcnt vmcnt(21)
	v_fma_f64 v[69:70], v[85:86], v[71:72], v[69:70]
	s_waitcnt vmcnt(20) lgkmcnt(0)
	v_fma_f64 v[69:70], v[83:84], v[73:74], v[69:70]
	s_waitcnt vmcnt(15)
	v_fma_f64 v[83:84], v[89:90], v[75:76], v[69:70]
	ds_read2_b64 v[69:72], v68 offset0:59 offset1:60
	ds_read2_b64 v[73:76], v68 offset0:61 offset1:62
	s_waitcnt vmcnt(14) lgkmcnt(1)
	v_fma_f64 v[69:70], v[97:98], v[69:70], v[83:84]
	s_waitcnt vmcnt(13)
	v_fma_f64 v[69:70], v[95:96], v[71:72], v[69:70]
	s_waitcnt vmcnt(12) lgkmcnt(0)
	v_fma_f64 v[69:70], v[91:92], v[73:74], v[69:70]
	s_waitcnt vmcnt(7)
	v_fma_f64 v[77:78], v[77:78], v[75:76], v[69:70]
	ds_read2_b64 v[69:72], v68 offset0:63 offset1:64
	ds_read2_b64 v[73:76], v68 offset0:65 offset1:66
	s_waitcnt vmcnt(6) lgkmcnt(1)
	v_fma_f64 v[68:69], v[101:102], v[69:70], v[77:78]
	s_waitcnt vmcnt(5)
	v_fma_f64 v[68:69], v[99:100], v[71:72], v[68:69]
	s_waitcnt vmcnt(4) lgkmcnt(0)
	v_fma_f64 v[68:69], v[93:94], v[73:74], v[68:69]
	s_waitcnt vmcnt(2)
	v_fma_f64 v[68:69], v[79:80], v[75:76], v[68:69]
	s_waitcnt vmcnt(0)
	v_add_f64 v[68:69], v[81:82], -v[68:69]
	buffer_store_dword v69, off, s[0:3], 0 offset:36
	buffer_store_dword v68, off, s[0:3], 0 offset:32
	s_and_saveexec_b64 s[4:5], vcc
	s_cbranch_execz .LBB96_199
; %bb.198:
	buffer_load_dword v68, off, s[0:3], 0 offset:24
	buffer_load_dword v69, off, s[0:3], 0 offset:28
	v_mov_b32_e32 v70, 0
	buffer_store_dword v70, off, s[0:3], 0 offset:24
	buffer_store_dword v70, off, s[0:3], 0 offset:28
	s_waitcnt vmcnt(2)
	ds_write_b64 v67, v[68:69]
.LBB96_199:
	s_or_b64 exec, exec, s[4:5]
	s_waitcnt lgkmcnt(0)
	; wave barrier
	buffer_load_dword v77, off, s[0:3], 0 offset:32
	buffer_load_dword v78, off, s[0:3], 0 offset:36
	;; [unrolled: 1-line block ×22, first 2 shown]
	v_mov_b32_e32 v68, 0
	ds_read_b128 v[69:72], v68 offset:304
	ds_read_b128 v[73:76], v68 offset:320
	v_cmp_lt_u32_e32 vcc, 2, v0
	s_waitcnt vmcnt(20) lgkmcnt(1)
	v_fma_f64 v[69:70], v[77:78], v[69:70], 0
	s_waitcnt vmcnt(18)
	v_fma_f64 v[69:70], v[79:80], v[71:72], v[69:70]
	buffer_load_dword v78, off, s[0:3], 0 offset:124
	buffer_load_dword v79, off, s[0:3], 0 offset:144
	;; [unrolled: 1-line block ×7, first 2 shown]
	s_waitcnt vmcnt(23) lgkmcnt(0)
	v_fma_f64 v[69:70], v[81:82], v[73:74], v[69:70]
	s_waitcnt vmcnt(21)
	v_fma_f64 v[80:81], v[83:84], v[75:76], v[69:70]
	ds_read_b128 v[69:72], v68 offset:336
	ds_read_b128 v[73:76], v68 offset:352
	s_waitcnt vmcnt(19) lgkmcnt(1)
	v_fma_f64 v[69:70], v[85:86], v[69:70], v[80:81]
	buffer_load_dword v80, off, s[0:3], 0 offset:148
	s_waitcnt vmcnt(18)
	v_fma_f64 v[69:70], v[87:88], v[71:72], v[69:70]
	buffer_load_dword v82, off, s[0:3], 0 offset:156
	buffer_load_dword v83, off, s[0:3], 0 offset:176
	;; [unrolled: 1-line block ×7, first 2 shown]
	s_waitcnt vmcnt(23) lgkmcnt(0)
	v_fma_f64 v[69:70], v[89:90], v[73:74], v[69:70]
	s_waitcnt vmcnt(18)
	v_fma_f64 v[89:90], v[91:92], v[75:76], v[69:70]
	ds_read_b128 v[69:72], v68 offset:368
	ds_read_b128 v[73:76], v68 offset:384
	buffer_load_dword v84, off, s[0:3], 0 offset:180
	s_waitcnt vmcnt(18) lgkmcnt(1)
	v_fma_f64 v[69:70], v[97:98], v[69:70], v[89:90]
	s_waitcnt vmcnt(17)
	v_fma_f64 v[69:70], v[95:96], v[71:72], v[69:70]
	buffer_load_dword v90, off, s[0:3], 0 offset:188
	buffer_load_dword v91, off, s[0:3], 0 offset:208
	;; [unrolled: 1-line block ×8, first 2 shown]
	s_waitcnt vmcnt(24) lgkmcnt(0)
	v_fma_f64 v[69:70], v[93:94], v[73:74], v[69:70]
	s_waitcnt vmcnt(19)
	v_fma_f64 v[77:78], v[77:78], v[75:76], v[69:70]
	ds_read_b128 v[69:72], v68 offset:400
	ds_read_b128 v[73:76], v68 offset:416
	s_waitcnt vmcnt(18) lgkmcnt(1)
	v_fma_f64 v[69:70], v[101:102], v[69:70], v[77:78]
	s_waitcnt vmcnt(17)
	v_fma_f64 v[69:70], v[99:100], v[71:72], v[69:70]
	buffer_load_dword v78, off, s[0:3], 0 offset:220
	buffer_load_dword v93, off, s[0:3], 0 offset:240
	;; [unrolled: 1-line block ×7, first 2 shown]
	s_waitcnt vmcnt(23) lgkmcnt(0)
	v_fma_f64 v[69:70], v[79:80], v[73:74], v[69:70]
	s_waitcnt vmcnt(18)
	v_fma_f64 v[79:80], v[81:82], v[75:76], v[69:70]
	ds_read_b128 v[69:72], v68 offset:432
	ds_read_b128 v[73:76], v68 offset:448
	buffer_load_dword v94, off, s[0:3], 0 offset:244
	s_waitcnt vmcnt(18) lgkmcnt(1)
	v_fma_f64 v[69:70], v[87:88], v[69:70], v[79:80]
	buffer_load_dword v80, off, s[0:3], 0 offset:252
	buffer_load_dword v81, off, s[0:3], 0 offset:256
	;; [unrolled: 1-line block ×4, first 2 shown]
	s_waitcnt vmcnt(21)
	v_fma_f64 v[69:70], v[85:86], v[71:72], v[69:70]
	s_waitcnt vmcnt(20) lgkmcnt(0)
	v_fma_f64 v[69:70], v[83:84], v[73:74], v[69:70]
	buffer_load_dword v83, off, s[0:3], 0 offset:24
	buffer_load_dword v84, off, s[0:3], 0 offset:28
	s_waitcnt vmcnt(17)
	v_fma_f64 v[85:86], v[89:90], v[75:76], v[69:70]
	ds_read_b128 v[69:72], v68 offset:464
	ds_read_b128 v[73:76], v68 offset:480
	s_waitcnt vmcnt(16) lgkmcnt(1)
	v_fma_f64 v[69:70], v[97:98], v[69:70], v[85:86]
	s_waitcnt vmcnt(15)
	v_fma_f64 v[69:70], v[95:96], v[71:72], v[69:70]
	s_waitcnt vmcnt(14) lgkmcnt(0)
	v_fma_f64 v[69:70], v[91:92], v[73:74], v[69:70]
	s_waitcnt vmcnt(9)
	v_fma_f64 v[77:78], v[77:78], v[75:76], v[69:70]
	ds_read_b128 v[69:72], v68 offset:496
	ds_read_b128 v[73:76], v68 offset:512
	s_waitcnt vmcnt(8) lgkmcnt(1)
	v_fma_f64 v[69:70], v[101:102], v[69:70], v[77:78]
	s_waitcnt vmcnt(7)
	v_fma_f64 v[69:70], v[99:100], v[71:72], v[69:70]
	ds_read_b64 v[71:72], v68 offset:528
	s_waitcnt vmcnt(6) lgkmcnt(1)
	v_fma_f64 v[69:70], v[93:94], v[73:74], v[69:70]
	s_waitcnt vmcnt(3)
	v_fma_f64 v[69:70], v[79:80], v[75:76], v[69:70]
	s_waitcnt vmcnt(2) lgkmcnt(0)
	v_fma_f64 v[69:70], v[81:82], v[71:72], v[69:70]
	s_waitcnt vmcnt(0)
	v_add_f64 v[69:70], v[83:84], -v[69:70]
	buffer_store_dword v70, off, s[0:3], 0 offset:28
	buffer_store_dword v69, off, s[0:3], 0 offset:24
	s_and_saveexec_b64 s[4:5], vcc
	s_cbranch_execz .LBB96_201
; %bb.200:
	buffer_load_dword v69, off, s[0:3], 0 offset:16
	buffer_load_dword v70, off, s[0:3], 0 offset:20
	s_waitcnt vmcnt(0)
	ds_write_b64 v67, v[69:70]
	buffer_store_dword v68, off, s[0:3], 0 offset:16
	buffer_store_dword v68, off, s[0:3], 0 offset:20
.LBB96_201:
	s_or_b64 exec, exec, s[4:5]
	s_waitcnt lgkmcnt(0)
	; wave barrier
	buffer_load_dword v77, off, s[0:3], 0 offset:24
	buffer_load_dword v78, off, s[0:3], 0 offset:28
	;; [unrolled: 1-line block ×22, first 2 shown]
	ds_read2_b64 v[69:72], v68 offset0:37 offset1:38
	ds_read2_b64 v[73:76], v68 offset0:39 offset1:40
	v_cmp_lt_u32_e32 vcc, 1, v0
	s_waitcnt vmcnt(20) lgkmcnt(1)
	v_fma_f64 v[69:70], v[77:78], v[69:70], 0
	s_waitcnt vmcnt(18)
	v_fma_f64 v[69:70], v[79:80], v[71:72], v[69:70]
	buffer_load_dword v78, off, s[0:3], 0 offset:116
	buffer_load_dword v79, off, s[0:3], 0 offset:136
	;; [unrolled: 1-line block ×7, first 2 shown]
	s_waitcnt vmcnt(23) lgkmcnt(0)
	v_fma_f64 v[69:70], v[81:82], v[73:74], v[69:70]
	s_waitcnt vmcnt(21)
	v_fma_f64 v[80:81], v[83:84], v[75:76], v[69:70]
	ds_read2_b64 v[69:72], v68 offset0:41 offset1:42
	ds_read2_b64 v[73:76], v68 offset0:43 offset1:44
	s_waitcnt vmcnt(19) lgkmcnt(1)
	v_fma_f64 v[69:70], v[85:86], v[69:70], v[80:81]
	buffer_load_dword v80, off, s[0:3], 0 offset:140
	s_waitcnt vmcnt(18)
	v_fma_f64 v[69:70], v[87:88], v[71:72], v[69:70]
	buffer_load_dword v82, off, s[0:3], 0 offset:148
	buffer_load_dword v83, off, s[0:3], 0 offset:168
	;; [unrolled: 1-line block ×7, first 2 shown]
	s_waitcnt vmcnt(23) lgkmcnt(0)
	v_fma_f64 v[69:70], v[89:90], v[73:74], v[69:70]
	s_waitcnt vmcnt(18)
	v_fma_f64 v[89:90], v[91:92], v[75:76], v[69:70]
	ds_read2_b64 v[69:72], v68 offset0:45 offset1:46
	ds_read2_b64 v[73:76], v68 offset0:47 offset1:48
	buffer_load_dword v84, off, s[0:3], 0 offset:172
	s_waitcnt vmcnt(18) lgkmcnt(1)
	v_fma_f64 v[69:70], v[97:98], v[69:70], v[89:90]
	s_waitcnt vmcnt(17)
	v_fma_f64 v[69:70], v[95:96], v[71:72], v[69:70]
	buffer_load_dword v90, off, s[0:3], 0 offset:180
	buffer_load_dword v91, off, s[0:3], 0 offset:200
	;; [unrolled: 1-line block ×8, first 2 shown]
	s_waitcnt vmcnt(24) lgkmcnt(0)
	v_fma_f64 v[69:70], v[93:94], v[73:74], v[69:70]
	s_waitcnt vmcnt(19)
	v_fma_f64 v[77:78], v[77:78], v[75:76], v[69:70]
	ds_read2_b64 v[69:72], v68 offset0:49 offset1:50
	ds_read2_b64 v[73:76], v68 offset0:51 offset1:52
	s_waitcnt vmcnt(18) lgkmcnt(1)
	v_fma_f64 v[69:70], v[101:102], v[69:70], v[77:78]
	s_waitcnt vmcnt(17)
	v_fma_f64 v[69:70], v[99:100], v[71:72], v[69:70]
	buffer_load_dword v78, off, s[0:3], 0 offset:212
	buffer_load_dword v93, off, s[0:3], 0 offset:232
	;; [unrolled: 1-line block ×8, first 2 shown]
	s_waitcnt vmcnt(24) lgkmcnt(0)
	v_fma_f64 v[69:70], v[79:80], v[73:74], v[69:70]
	s_waitcnt vmcnt(19)
	v_fma_f64 v[79:80], v[81:82], v[75:76], v[69:70]
	ds_read2_b64 v[69:72], v68 offset0:53 offset1:54
	ds_read2_b64 v[73:76], v68 offset0:55 offset1:56
	s_waitcnt vmcnt(18) lgkmcnt(1)
	v_fma_f64 v[69:70], v[87:88], v[69:70], v[79:80]
	s_waitcnt vmcnt(17)
	v_fma_f64 v[69:70], v[85:86], v[71:72], v[69:70]
	buffer_load_dword v80, off, s[0:3], 0 offset:244
	buffer_load_dword v81, off, s[0:3], 0 offset:256
	;; [unrolled: 1-line block ×6, first 2 shown]
	s_waitcnt vmcnt(22) lgkmcnt(0)
	v_fma_f64 v[69:70], v[83:84], v[73:74], v[69:70]
	s_waitcnt vmcnt(17)
	v_fma_f64 v[83:84], v[89:90], v[75:76], v[69:70]
	ds_read2_b64 v[69:72], v68 offset0:57 offset1:58
	buffer_load_dword v87, off, s[0:3], 0 offset:16
	buffer_load_dword v88, off, s[0:3], 0 offset:20
	ds_read2_b64 v[73:76], v68 offset0:59 offset1:60
	s_waitcnt vmcnt(18) lgkmcnt(1)
	v_fma_f64 v[69:70], v[97:98], v[69:70], v[83:84]
	s_waitcnt vmcnt(17)
	v_fma_f64 v[69:70], v[95:96], v[71:72], v[69:70]
	s_waitcnt vmcnt(16) lgkmcnt(0)
	v_fma_f64 v[69:70], v[91:92], v[73:74], v[69:70]
	s_waitcnt vmcnt(11)
	v_fma_f64 v[77:78], v[77:78], v[75:76], v[69:70]
	ds_read2_b64 v[69:72], v68 offset0:61 offset1:62
	ds_read2_b64 v[73:76], v68 offset0:63 offset1:64
	s_waitcnt vmcnt(10) lgkmcnt(1)
	v_fma_f64 v[69:70], v[101:102], v[69:70], v[77:78]
	s_waitcnt vmcnt(9)
	v_fma_f64 v[69:70], v[99:100], v[71:72], v[69:70]
	s_waitcnt vmcnt(8) lgkmcnt(0)
	v_fma_f64 v[69:70], v[93:94], v[73:74], v[69:70]
	s_waitcnt vmcnt(4)
	v_fma_f64 v[72:73], v[79:80], v[75:76], v[69:70]
	ds_read2_b64 v[68:71], v68 offset0:65 offset1:66
	s_waitcnt vmcnt(3) lgkmcnt(0)
	v_fma_f64 v[68:69], v[85:86], v[68:69], v[72:73]
	s_waitcnt vmcnt(2)
	v_fma_f64 v[68:69], v[81:82], v[70:71], v[68:69]
	s_waitcnt vmcnt(0)
	v_add_f64 v[68:69], v[87:88], -v[68:69]
	buffer_store_dword v69, off, s[0:3], 0 offset:20
	buffer_store_dword v68, off, s[0:3], 0 offset:16
	s_and_saveexec_b64 s[4:5], vcc
	s_cbranch_execz .LBB96_203
; %bb.202:
	buffer_load_dword v68, off, s[0:3], 0 offset:8
	buffer_load_dword v69, off, s[0:3], 0 offset:12
	v_mov_b32_e32 v70, 0
	buffer_store_dword v70, off, s[0:3], 0 offset:8
	buffer_store_dword v70, off, s[0:3], 0 offset:12
	s_waitcnt vmcnt(2)
	ds_write_b64 v67, v[68:69]
.LBB96_203:
	s_or_b64 exec, exec, s[4:5]
	s_waitcnt lgkmcnt(0)
	; wave barrier
	buffer_load_dword v78, off, s[0:3], 0 offset:16
	buffer_load_dword v79, off, s[0:3], 0 offset:20
	;; [unrolled: 1-line block ×22, first 2 shown]
	v_mov_b32_e32 v69, 0
	ds_read_b128 v[70:73], v69 offset:288
	ds_read_b128 v[74:77], v69 offset:304
	v_cmp_ne_u32_e32 vcc, 0, v0
	s_waitcnt vmcnt(20) lgkmcnt(1)
	v_fma_f64 v[70:71], v[78:79], v[70:71], 0
	s_waitcnt vmcnt(18)
	v_fma_f64 v[70:71], v[80:81], v[72:73], v[70:71]
	buffer_load_dword v79, off, s[0:3], 0 offset:108
	buffer_load_dword v80, off, s[0:3], 0 offset:128
	;; [unrolled: 1-line block ×7, first 2 shown]
	s_waitcnt vmcnt(23) lgkmcnt(0)
	v_fma_f64 v[70:71], v[82:83], v[74:75], v[70:71]
	s_waitcnt vmcnt(21)
	v_fma_f64 v[81:82], v[84:85], v[76:77], v[70:71]
	ds_read_b128 v[70:73], v69 offset:320
	ds_read_b128 v[74:77], v69 offset:336
	s_waitcnt vmcnt(19) lgkmcnt(1)
	v_fma_f64 v[70:71], v[86:87], v[70:71], v[81:82]
	buffer_load_dword v81, off, s[0:3], 0 offset:132
	s_waitcnt vmcnt(18)
	v_fma_f64 v[70:71], v[88:89], v[72:73], v[70:71]
	buffer_load_dword v83, off, s[0:3], 0 offset:140
	buffer_load_dword v84, off, s[0:3], 0 offset:160
	;; [unrolled: 1-line block ×7, first 2 shown]
	s_waitcnt vmcnt(23) lgkmcnt(0)
	v_fma_f64 v[70:71], v[90:91], v[74:75], v[70:71]
	s_waitcnt vmcnt(18)
	v_fma_f64 v[90:91], v[92:93], v[76:77], v[70:71]
	ds_read_b128 v[70:73], v69 offset:352
	ds_read_b128 v[74:77], v69 offset:368
	buffer_load_dword v85, off, s[0:3], 0 offset:164
	s_waitcnt vmcnt(18) lgkmcnt(1)
	v_fma_f64 v[70:71], v[98:99], v[70:71], v[90:91]
	s_waitcnt vmcnt(17)
	v_fma_f64 v[70:71], v[96:97], v[72:73], v[70:71]
	buffer_load_dword v91, off, s[0:3], 0 offset:172
	buffer_load_dword v92, off, s[0:3], 0 offset:192
	buffer_load_dword v96, off, s[0:3], 0 offset:184
	buffer_load_dword v98, off, s[0:3], 0 offset:176
	buffer_load_dword v90, off, s[0:3], 0 offset:168
	buffer_load_dword v99, off, s[0:3], 0 offset:180
	buffer_load_dword v97, off, s[0:3], 0 offset:188
	buffer_load_dword v93, off, s[0:3], 0 offset:196
	s_waitcnt vmcnt(24) lgkmcnt(0)
	v_fma_f64 v[70:71], v[94:95], v[74:75], v[70:71]
	s_waitcnt vmcnt(19)
	v_fma_f64 v[78:79], v[78:79], v[76:77], v[70:71]
	ds_read_b128 v[70:73], v69 offset:384
	ds_read_b128 v[74:77], v69 offset:400
	s_waitcnt vmcnt(18) lgkmcnt(1)
	v_fma_f64 v[70:71], v[102:103], v[70:71], v[78:79]
	s_waitcnt vmcnt(17)
	v_fma_f64 v[70:71], v[100:101], v[72:73], v[70:71]
	buffer_load_dword v79, off, s[0:3], 0 offset:204
	buffer_load_dword v94, off, s[0:3], 0 offset:224
	buffer_load_dword v100, off, s[0:3], 0 offset:216
	buffer_load_dword v102, off, s[0:3], 0 offset:208
	buffer_load_dword v78, off, s[0:3], 0 offset:200
	buffer_load_dword v103, off, s[0:3], 0 offset:212
	buffer_load_dword v101, off, s[0:3], 0 offset:220
	buffer_load_dword v95, off, s[0:3], 0 offset:228
	s_waitcnt vmcnt(24) lgkmcnt(0)
	v_fma_f64 v[70:71], v[80:81], v[74:75], v[70:71]
	s_waitcnt vmcnt(19)
	v_fma_f64 v[80:81], v[82:83], v[76:77], v[70:71]
	ds_read_b128 v[70:73], v69 offset:416
	ds_read_b128 v[74:77], v69 offset:432
	;; [unrolled: 18-line block ×3, first 2 shown]
	s_waitcnt vmcnt(18) lgkmcnt(1)
	v_fma_f64 v[70:71], v[98:99], v[70:71], v[84:85]
	buffer_load_dword v84, off, s[0:3], 0 offset:8
	buffer_load_dword v85, off, s[0:3], 0 offset:12
	s_waitcnt vmcnt(19)
	v_fma_f64 v[70:71], v[96:97], v[72:73], v[70:71]
	s_waitcnt vmcnt(18) lgkmcnt(0)
	v_fma_f64 v[70:71], v[92:93], v[74:75], v[70:71]
	s_waitcnt vmcnt(13)
	v_fma_f64 v[78:79], v[78:79], v[76:77], v[70:71]
	ds_read_b128 v[70:73], v69 offset:480
	ds_read_b128 v[74:77], v69 offset:496
	s_waitcnt vmcnt(12) lgkmcnt(1)
	v_fma_f64 v[70:71], v[102:103], v[70:71], v[78:79]
	s_waitcnt vmcnt(11)
	v_fma_f64 v[70:71], v[100:101], v[72:73], v[70:71]
	s_waitcnt vmcnt(10) lgkmcnt(0)
	v_fma_f64 v[70:71], v[94:95], v[74:75], v[70:71]
	s_waitcnt vmcnt(5)
	v_fma_f64 v[74:75], v[80:81], v[76:77], v[70:71]
	ds_read_b128 v[70:73], v69 offset:512
	ds_read_b64 v[76:77], v69 offset:528
	s_waitcnt vmcnt(4) lgkmcnt(1)
	v_fma_f64 v[70:71], v[88:89], v[70:71], v[74:75]
	s_waitcnt vmcnt(3)
	v_fma_f64 v[70:71], v[86:87], v[72:73], v[70:71]
	s_waitcnt vmcnt(2) lgkmcnt(0)
	v_fma_f64 v[70:71], v[82:83], v[76:77], v[70:71]
	s_waitcnt vmcnt(0)
	v_add_f64 v[70:71], v[84:85], -v[70:71]
	buffer_store_dword v71, off, s[0:3], 0 offset:12
	buffer_store_dword v70, off, s[0:3], 0 offset:8
	s_and_saveexec_b64 s[4:5], vcc
	s_cbranch_execz .LBB96_205
; %bb.204:
	buffer_load_dword v70, off, s[0:3], 0
	buffer_load_dword v71, off, s[0:3], 0 offset:4
	s_waitcnt vmcnt(0)
	ds_write_b64 v67, v[70:71]
	buffer_store_dword v69, off, s[0:3], 0
	buffer_store_dword v69, off, s[0:3], 0 offset:4
.LBB96_205:
	s_or_b64 exec, exec, s[4:5]
	s_waitcnt lgkmcnt(0)
	; wave barrier
	buffer_load_dword v67, off, s[0:3], 0 offset:8
	buffer_load_dword v68, off, s[0:3], 0 offset:12
	buffer_load_dword v78, off, s[0:3], 0 offset:16
	buffer_load_dword v79, off, s[0:3], 0 offset:20
	buffer_load_dword v80, off, s[0:3], 0 offset:24
	buffer_load_dword v81, off, s[0:3], 0 offset:28
	buffer_load_dword v82, off, s[0:3], 0 offset:32
	buffer_load_dword v83, off, s[0:3], 0 offset:36
	buffer_load_dword v84, off, s[0:3], 0 offset:40
	buffer_load_dword v85, off, s[0:3], 0 offset:44
	buffer_load_dword v86, off, s[0:3], 0 offset:48
	buffer_load_dword v87, off, s[0:3], 0 offset:52
	buffer_load_dword v88, off, s[0:3], 0 offset:56
	buffer_load_dword v89, off, s[0:3], 0 offset:60
	buffer_load_dword v91, off, s[0:3], 0 offset:68
	buffer_load_dword v92, off, s[0:3], 0 offset:88
	buffer_load_dword v94, off, s[0:3], 0 offset:80
	buffer_load_dword v96, off, s[0:3], 0 offset:72
	buffer_load_dword v90, off, s[0:3], 0 offset:64
	buffer_load_dword v97, off, s[0:3], 0 offset:76
	buffer_load_dword v95, off, s[0:3], 0 offset:84
	buffer_load_dword v93, off, s[0:3], 0 offset:92
	ds_read2_b64 v[70:73], v69 offset0:35 offset1:36
	ds_read2_b64 v[74:77], v69 offset0:37 offset1:38
	s_and_b64 vcc, exec, s[14:15]
	s_waitcnt vmcnt(20) lgkmcnt(1)
	v_fma_f64 v[67:68], v[67:68], v[70:71], 0
	s_waitcnt vmcnt(18)
	v_fma_f64 v[67:68], v[78:79], v[72:73], v[67:68]
	buffer_load_dword v79, off, s[0:3], 0 offset:100
	buffer_load_dword v98, off, s[0:3], 0 offset:120
	;; [unrolled: 1-line block ×8, first 2 shown]
	ds_read2_b64 v[70:73], v69 offset0:39 offset1:40
	s_waitcnt vmcnt(24) lgkmcnt(1)
	v_fma_f64 v[67:68], v[80:81], v[74:75], v[67:68]
	s_waitcnt vmcnt(22)
	v_fma_f64 v[67:68], v[82:83], v[76:77], v[67:68]
	ds_read2_b64 v[74:77], v69 offset0:41 offset1:42
	s_waitcnt vmcnt(20) lgkmcnt(1)
	v_fma_f64 v[67:68], v[84:85], v[70:71], v[67:68]
	s_waitcnt vmcnt(18)
	v_fma_f64 v[67:68], v[86:87], v[72:73], v[67:68]
	buffer_load_dword v81, off, s[0:3], 0 offset:132
	buffer_load_dword v82, off, s[0:3], 0 offset:152
	;; [unrolled: 1-line block ×7, first 2 shown]
	s_waitcnt vmcnt(23) lgkmcnt(0)
	v_fma_f64 v[67:68], v[88:89], v[74:75], v[67:68]
	s_waitcnt vmcnt(18)
	v_fma_f64 v[67:68], v[90:91], v[76:77], v[67:68]
	ds_read2_b64 v[70:73], v69 offset0:43 offset1:44
	ds_read2_b64 v[74:77], v69 offset0:45 offset1:46
	buffer_load_dword v83, off, s[0:3], 0 offset:156
	s_waitcnt vmcnt(18) lgkmcnt(1)
	v_fma_f64 v[67:68], v[96:97], v[70:71], v[67:68]
	s_waitcnt vmcnt(17)
	v_fma_f64 v[67:68], v[94:95], v[72:73], v[67:68]
	buffer_load_dword v89, off, s[0:3], 0 offset:164
	buffer_load_dword v90, off, s[0:3], 0 offset:184
	;; [unrolled: 1-line block ×8, first 2 shown]
	ds_read2_b64 v[70:73], v69 offset0:47 offset1:48
	s_waitcnt vmcnt(24) lgkmcnt(1)
	v_fma_f64 v[67:68], v[92:93], v[74:75], v[67:68]
	s_waitcnt vmcnt(19)
	v_fma_f64 v[67:68], v[78:79], v[76:77], v[67:68]
	ds_read2_b64 v[74:77], v69 offset0:49 offset1:50
	s_waitcnt vmcnt(18) lgkmcnt(1)
	v_fma_f64 v[67:68], v[102:103], v[70:71], v[67:68]
	s_waitcnt vmcnt(17)
	v_fma_f64 v[67:68], v[100:101], v[72:73], v[67:68]
	buffer_load_dword v79, off, s[0:3], 0 offset:196
	buffer_load_dword v92, off, s[0:3], 0 offset:216
	;; [unrolled: 1-line block ×8, first 2 shown]
	ds_read2_b64 v[70:73], v69 offset0:51 offset1:52
	s_waitcnt vmcnt(24) lgkmcnt(1)
	v_fma_f64 v[67:68], v[98:99], v[74:75], v[67:68]
	s_waitcnt vmcnt(19)
	v_fma_f64 v[67:68], v[80:81], v[76:77], v[67:68]
	ds_read2_b64 v[74:77], v69 offset0:53 offset1:54
	s_waitcnt vmcnt(18) lgkmcnt(1)
	v_fma_f64 v[67:68], v[86:87], v[70:71], v[67:68]
	s_waitcnt vmcnt(17)
	v_fma_f64 v[70:71], v[84:85], v[72:73], v[67:68]
	buffer_load_dword v81, off, s[0:3], 0 offset:228
	buffer_load_dword v67, off, s[0:3], 0 offset:248
	;; [unrolled: 1-line block ×8, first 2 shown]
	s_waitcnt vmcnt(24) lgkmcnt(0)
	v_fma_f64 v[70:71], v[82:83], v[74:75], v[70:71]
	s_waitcnt vmcnt(19)
	v_fma_f64 v[82:83], v[88:89], v[76:77], v[70:71]
	ds_read2_b64 v[70:73], v69 offset0:55 offset1:56
	ds_read2_b64 v[74:77], v69 offset0:57 offset1:58
	s_waitcnt vmcnt(18) lgkmcnt(1)
	v_fma_f64 v[70:71], v[96:97], v[70:71], v[82:83]
	buffer_load_dword v83, off, s[0:3], 0 offset:260
	buffer_load_dword v82, off, s[0:3], 0 offset:256
	buffer_load_dword v88, off, s[0:3], 0
	buffer_load_dword v89, off, s[0:3], 0 offset:4
	s_waitcnt vmcnt(21)
	v_fma_f64 v[70:71], v[94:95], v[72:73], v[70:71]
	s_waitcnt vmcnt(20) lgkmcnt(0)
	v_fma_f64 v[70:71], v[90:91], v[74:75], v[70:71]
	s_waitcnt vmcnt(15)
	v_fma_f64 v[78:79], v[78:79], v[76:77], v[70:71]
	ds_read2_b64 v[70:73], v69 offset0:59 offset1:60
	ds_read2_b64 v[74:77], v69 offset0:61 offset1:62
	s_waitcnt vmcnt(14) lgkmcnt(1)
	v_fma_f64 v[70:71], v[102:103], v[70:71], v[78:79]
	s_waitcnt vmcnt(13)
	v_fma_f64 v[70:71], v[100:101], v[72:73], v[70:71]
	s_waitcnt vmcnt(12) lgkmcnt(0)
	v_fma_f64 v[70:71], v[92:93], v[74:75], v[70:71]
	s_waitcnt vmcnt(7)
	v_fma_f64 v[78:79], v[80:81], v[76:77], v[70:71]
	ds_read2_b64 v[70:73], v69 offset0:63 offset1:64
	ds_read2_b64 v[74:77], v69 offset0:65 offset1:66
	s_waitcnt vmcnt(6) lgkmcnt(1)
	v_fma_f64 v[69:70], v[86:87], v[70:71], v[78:79]
	s_waitcnt vmcnt(5)
	v_fma_f64 v[69:70], v[84:85], v[72:73], v[69:70]
	s_waitcnt vmcnt(4) lgkmcnt(0)
	v_fma_f64 v[69:70], v[67:68], v[74:75], v[69:70]
	s_waitcnt vmcnt(2)
	v_fma_f64 v[69:70], v[82:83], v[76:77], v[69:70]
	s_waitcnt vmcnt(0)
	v_add_f64 v[69:70], v[88:89], -v[69:70]
	buffer_store_dword v70, off, s[0:3], 0 offset:4
	buffer_store_dword v69, off, s[0:3], 0
	s_cbranch_vccz .LBB96_270
; %bb.206:
	v_mov_b32_e32 v0, 0
	global_load_dword v69, v0, s[12:13] offset:124
	s_waitcnt vmcnt(0)
	v_add_u32_e32 v69, -1, v69
	v_cmp_ne_u32_e32 vcc, 31, v69
	s_cbranch_vccz .LBB96_208
; %bb.207:
	v_lshlrev_b32_e32 v69, 3, v69
	buffer_load_dword v70, v69, s[0:3], 0 offen
	buffer_load_dword v71, v69, s[0:3], 0 offen offset:4
	s_waitcnt vmcnt(1)
	buffer_store_dword v70, off, s[0:3], 0 offset:248
	s_waitcnt vmcnt(1)
	buffer_store_dword v71, off, s[0:3], 0 offset:252
	buffer_store_dword v67, v69, s[0:3], 0 offen
	buffer_store_dword v68, v69, s[0:3], 0 offen offset:4
.LBB96_208:
	global_load_dword v0, v0, s[12:13] offset:120
	s_waitcnt vmcnt(0)
	v_add_u32_e32 v0, -1, v0
	v_cmp_eq_u32_e32 vcc, 30, v0
	s_cbranch_vccnz .LBB96_210
; %bb.209:
	v_lshlrev_b32_e32 v0, 3, v0
	buffer_load_dword v67, v0, s[0:3], 0 offen
	buffer_load_dword v68, v0, s[0:3], 0 offen offset:4
	buffer_load_dword v69, off, s[0:3], 0 offset:244
	buffer_load_dword v70, off, s[0:3], 0 offset:240
	s_waitcnt vmcnt(3)
	buffer_store_dword v67, off, s[0:3], 0 offset:240
	s_waitcnt vmcnt(3)
	buffer_store_dword v68, off, s[0:3], 0 offset:244
	s_waitcnt vmcnt(3)
	buffer_store_dword v69, v0, s[0:3], 0 offen offset:4
	s_waitcnt vmcnt(3)
	buffer_store_dword v70, v0, s[0:3], 0 offen
.LBB96_210:
	v_mov_b32_e32 v0, 0
	global_load_dword v67, v0, s[12:13] offset:116
	s_waitcnt vmcnt(0)
	v_add_u32_e32 v67, -1, v67
	v_cmp_eq_u32_e32 vcc, 29, v67
	s_cbranch_vccnz .LBB96_212
; %bb.211:
	v_lshlrev_b32_e32 v67, 3, v67
	buffer_load_dword v68, v67, s[0:3], 0 offen
	buffer_load_dword v69, v67, s[0:3], 0 offen offset:4
	buffer_load_dword v70, off, s[0:3], 0 offset:232
	buffer_load_dword v71, off, s[0:3], 0 offset:236
	s_waitcnt vmcnt(3)
	buffer_store_dword v68, off, s[0:3], 0 offset:232
	s_waitcnt vmcnt(3)
	buffer_store_dword v69, off, s[0:3], 0 offset:236
	s_waitcnt vmcnt(3)
	buffer_store_dword v70, v67, s[0:3], 0 offen
	s_waitcnt vmcnt(3)
	buffer_store_dword v71, v67, s[0:3], 0 offen offset:4
.LBB96_212:
	global_load_dword v0, v0, s[12:13] offset:112
	s_waitcnt vmcnt(0)
	v_add_u32_e32 v0, -1, v0
	v_cmp_eq_u32_e32 vcc, 28, v0
	s_cbranch_vccnz .LBB96_214
; %bb.213:
	v_lshlrev_b32_e32 v0, 3, v0
	buffer_load_dword v67, v0, s[0:3], 0 offen
	buffer_load_dword v68, v0, s[0:3], 0 offen offset:4
	buffer_load_dword v69, off, s[0:3], 0 offset:228
	buffer_load_dword v70, off, s[0:3], 0 offset:224
	s_waitcnt vmcnt(3)
	buffer_store_dword v67, off, s[0:3], 0 offset:224
	s_waitcnt vmcnt(3)
	buffer_store_dword v68, off, s[0:3], 0 offset:228
	s_waitcnt vmcnt(3)
	buffer_store_dword v69, v0, s[0:3], 0 offen offset:4
	s_waitcnt vmcnt(3)
	buffer_store_dword v70, v0, s[0:3], 0 offen
.LBB96_214:
	v_mov_b32_e32 v0, 0
	global_load_dword v67, v0, s[12:13] offset:108
	s_waitcnt vmcnt(0)
	v_add_u32_e32 v67, -1, v67
	v_cmp_eq_u32_e32 vcc, 27, v67
	s_cbranch_vccnz .LBB96_216
; %bb.215:
	v_lshlrev_b32_e32 v67, 3, v67
	buffer_load_dword v68, v67, s[0:3], 0 offen
	buffer_load_dword v69, v67, s[0:3], 0 offen offset:4
	buffer_load_dword v70, off, s[0:3], 0 offset:216
	buffer_load_dword v71, off, s[0:3], 0 offset:220
	s_waitcnt vmcnt(3)
	buffer_store_dword v68, off, s[0:3], 0 offset:216
	s_waitcnt vmcnt(3)
	buffer_store_dword v69, off, s[0:3], 0 offset:220
	s_waitcnt vmcnt(3)
	buffer_store_dword v70, v67, s[0:3], 0 offen
	s_waitcnt vmcnt(3)
	buffer_store_dword v71, v67, s[0:3], 0 offen offset:4
.LBB96_216:
	;; [unrolled: 41-line block ×15, first 2 shown]
	global_load_dword v0, v0, s[12:13]
	s_nop 0
	buffer_load_dword v69, off, s[0:3], 0
	buffer_load_dword v70, off, s[0:3], 0 offset:4
	s_waitcnt vmcnt(2)
	v_add_u32_e32 v0, -1, v0
	v_cmp_eq_u32_e32 vcc, 0, v0
	s_cbranch_vccnz .LBB96_270
; %bb.269:
	v_lshlrev_b32_e32 v0, 3, v0
	buffer_load_dword v67, v0, s[0:3], 0 offen offset:4
	buffer_load_dword v68, v0, s[0:3], 0 offen
	s_waitcnt vmcnt(1)
	buffer_store_dword v67, off, s[0:3], 0 offset:4
	s_waitcnt vmcnt(1)
	buffer_store_dword v68, off, s[0:3], 0
	buffer_store_dword v70, v0, s[0:3], 0 offen offset:4
	buffer_store_dword v69, v0, s[0:3], 0 offen
	buffer_load_dword v69, off, s[0:3], 0
	s_nop 0
	buffer_load_dword v70, off, s[0:3], 0 offset:4
.LBB96_270:
	s_waitcnt vmcnt(0)
	flat_store_dwordx2 v[1:2], v[69:70]
	buffer_load_dword v0, off, s[0:3], 0 offset:8
	s_nop 0
	buffer_load_dword v1, off, s[0:3], 0 offset:12
	s_waitcnt vmcnt(0)
	flat_store_dwordx2 v[3:4], v[0:1]
	buffer_load_dword v0, off, s[0:3], 0 offset:16
	s_nop 0
	buffer_load_dword v1, off, s[0:3], 0 offset:20
	;; [unrolled: 5-line block ×32, first 2 shown]
	s_waitcnt vmcnt(0)
	flat_store_dwordx2 v[65:66], v[0:1]
	s_endpgm
	.section	.rodata,"a",@progbits
	.p2align	6, 0x0
	.amdhsa_kernel _ZN9rocsolver6v33100L18getri_kernel_smallILi33EdPKPdEEvT1_iilPiilS6_bb
		.amdhsa_group_segment_fixed_size 536
		.amdhsa_private_segment_fixed_size 272
		.amdhsa_kernarg_size 60
		.amdhsa_user_sgpr_count 6
		.amdhsa_user_sgpr_private_segment_buffer 1
		.amdhsa_user_sgpr_dispatch_ptr 0
		.amdhsa_user_sgpr_queue_ptr 0
		.amdhsa_user_sgpr_kernarg_segment_ptr 1
		.amdhsa_user_sgpr_dispatch_id 0
		.amdhsa_user_sgpr_flat_scratch_init 0
		.amdhsa_user_sgpr_private_segment_size 0
		.amdhsa_uses_dynamic_stack 0
		.amdhsa_system_sgpr_private_segment_wavefront_offset 1
		.amdhsa_system_sgpr_workgroup_id_x 1
		.amdhsa_system_sgpr_workgroup_id_y 0
		.amdhsa_system_sgpr_workgroup_id_z 0
		.amdhsa_system_sgpr_workgroup_info 0
		.amdhsa_system_vgpr_workitem_id 0
		.amdhsa_next_free_vgpr 104
		.amdhsa_next_free_sgpr 21
		.amdhsa_reserve_vcc 1
		.amdhsa_reserve_flat_scratch 0
		.amdhsa_float_round_mode_32 0
		.amdhsa_float_round_mode_16_64 0
		.amdhsa_float_denorm_mode_32 3
		.amdhsa_float_denorm_mode_16_64 3
		.amdhsa_dx10_clamp 1
		.amdhsa_ieee_mode 1
		.amdhsa_fp16_overflow 0
		.amdhsa_exception_fp_ieee_invalid_op 0
		.amdhsa_exception_fp_denorm_src 0
		.amdhsa_exception_fp_ieee_div_zero 0
		.amdhsa_exception_fp_ieee_overflow 0
		.amdhsa_exception_fp_ieee_underflow 0
		.amdhsa_exception_fp_ieee_inexact 0
		.amdhsa_exception_int_div_zero 0
	.end_amdhsa_kernel
	.section	.text._ZN9rocsolver6v33100L18getri_kernel_smallILi33EdPKPdEEvT1_iilPiilS6_bb,"axG",@progbits,_ZN9rocsolver6v33100L18getri_kernel_smallILi33EdPKPdEEvT1_iilPiilS6_bb,comdat
.Lfunc_end96:
	.size	_ZN9rocsolver6v33100L18getri_kernel_smallILi33EdPKPdEEvT1_iilPiilS6_bb, .Lfunc_end96-_ZN9rocsolver6v33100L18getri_kernel_smallILi33EdPKPdEEvT1_iilPiilS6_bb
                                        ; -- End function
	.set _ZN9rocsolver6v33100L18getri_kernel_smallILi33EdPKPdEEvT1_iilPiilS6_bb.num_vgpr, 104
	.set _ZN9rocsolver6v33100L18getri_kernel_smallILi33EdPKPdEEvT1_iilPiilS6_bb.num_agpr, 0
	.set _ZN9rocsolver6v33100L18getri_kernel_smallILi33EdPKPdEEvT1_iilPiilS6_bb.numbered_sgpr, 21
	.set _ZN9rocsolver6v33100L18getri_kernel_smallILi33EdPKPdEEvT1_iilPiilS6_bb.num_named_barrier, 0
	.set _ZN9rocsolver6v33100L18getri_kernel_smallILi33EdPKPdEEvT1_iilPiilS6_bb.private_seg_size, 272
	.set _ZN9rocsolver6v33100L18getri_kernel_smallILi33EdPKPdEEvT1_iilPiilS6_bb.uses_vcc, 1
	.set _ZN9rocsolver6v33100L18getri_kernel_smallILi33EdPKPdEEvT1_iilPiilS6_bb.uses_flat_scratch, 0
	.set _ZN9rocsolver6v33100L18getri_kernel_smallILi33EdPKPdEEvT1_iilPiilS6_bb.has_dyn_sized_stack, 0
	.set _ZN9rocsolver6v33100L18getri_kernel_smallILi33EdPKPdEEvT1_iilPiilS6_bb.has_recursion, 0
	.set _ZN9rocsolver6v33100L18getri_kernel_smallILi33EdPKPdEEvT1_iilPiilS6_bb.has_indirect_call, 0
	.section	.AMDGPU.csdata,"",@progbits
; Kernel info:
; codeLenInByte = 33408
; TotalNumSgprs: 25
; NumVgprs: 104
; ScratchSize: 272
; MemoryBound: 0
; FloatMode: 240
; IeeeMode: 1
; LDSByteSize: 536 bytes/workgroup (compile time only)
; SGPRBlocks: 3
; VGPRBlocks: 25
; NumSGPRsForWavesPerEU: 25
; NumVGPRsForWavesPerEU: 104
; Occupancy: 2
; WaveLimiterHint : 1
; COMPUTE_PGM_RSRC2:SCRATCH_EN: 1
; COMPUTE_PGM_RSRC2:USER_SGPR: 6
; COMPUTE_PGM_RSRC2:TRAP_HANDLER: 0
; COMPUTE_PGM_RSRC2:TGID_X_EN: 1
; COMPUTE_PGM_RSRC2:TGID_Y_EN: 0
; COMPUTE_PGM_RSRC2:TGID_Z_EN: 0
; COMPUTE_PGM_RSRC2:TIDIG_COMP_CNT: 0
	.section	.text._ZN9rocsolver6v33100L18getri_kernel_smallILi34EdPKPdEEvT1_iilPiilS6_bb,"axG",@progbits,_ZN9rocsolver6v33100L18getri_kernel_smallILi34EdPKPdEEvT1_iilPiilS6_bb,comdat
	.globl	_ZN9rocsolver6v33100L18getri_kernel_smallILi34EdPKPdEEvT1_iilPiilS6_bb ; -- Begin function _ZN9rocsolver6v33100L18getri_kernel_smallILi34EdPKPdEEvT1_iilPiilS6_bb
	.p2align	8
	.type	_ZN9rocsolver6v33100L18getri_kernel_smallILi34EdPKPdEEvT1_iilPiilS6_bb,@function
_ZN9rocsolver6v33100L18getri_kernel_smallILi34EdPKPdEEvT1_iilPiilS6_bb: ; @_ZN9rocsolver6v33100L18getri_kernel_smallILi34EdPKPdEEvT1_iilPiilS6_bb
; %bb.0:
	s_add_u32 s0, s0, s7
	s_addc_u32 s1, s1, 0
	v_cmp_gt_u32_e32 vcc, 34, v0
	s_and_saveexec_b64 s[8:9], vcc
	s_cbranch_execz .LBB97_144
; %bb.1:
	s_load_dword s18, s[4:5], 0x38
	s_load_dwordx2 s[12:13], s[4:5], 0x0
	s_load_dwordx4 s[8:11], s[4:5], 0x28
	s_waitcnt lgkmcnt(0)
	s_bitcmp1_b32 s18, 8
	s_cselect_b64 s[14:15], -1, 0
	s_ashr_i32 s7, s6, 31
	s_lshl_b64 s[16:17], s[6:7], 3
	s_add_u32 s12, s12, s16
	s_addc_u32 s13, s13, s17
	s_load_dwordx2 s[16:17], s[12:13], 0x0
	s_bfe_u32 s12, s18, 0x10008
	s_cmp_eq_u32 s12, 0
                                        ; implicit-def: $sgpr12_sgpr13
	s_cbranch_scc1 .LBB97_3
; %bb.2:
	s_load_dword s12, s[4:5], 0x20
	s_load_dwordx2 s[18:19], s[4:5], 0x18
	s_mul_i32 s13, s8, s7
	s_mul_hi_u32 s20, s8, s6
	s_add_i32 s20, s20, s13
	s_mul_i32 s9, s9, s6
	s_add_i32 s9, s20, s9
	s_mul_i32 s8, s8, s6
	s_waitcnt lgkmcnt(0)
	s_ashr_i32 s13, s12, 31
	s_lshl_b64 s[8:9], s[8:9], 2
	s_add_u32 s18, s18, s8
	s_addc_u32 s19, s19, s9
	s_lshl_b64 s[8:9], s[12:13], 2
	s_add_u32 s12, s18, s8
	s_addc_u32 s13, s19, s9
.LBB97_3:
	s_load_dwordx2 s[8:9], s[4:5], 0x8
	s_load_dword s18, s[4:5], 0x38
	v_lshlrev_b32_e32 v71, 3, v0
	s_waitcnt lgkmcnt(0)
	s_ashr_i32 s5, s8, 31
	s_mov_b32 s4, s8
	s_lshl_b64 s[4:5], s[4:5], 3
	s_add_u32 s4, s16, s4
	s_addc_u32 s5, s17, s5
	v_mov_b32_e32 v2, s5
	v_add_co_u32_e32 v1, vcc, s4, v71
	v_addc_co_u32_e32 v2, vcc, 0, v2, vcc
	flat_load_dwordx2 v[5:6], v[1:2]
	s_mov_b32 s16, s9
	s_ashr_i32 s17, s9, 31
	s_lshl_b64 s[16:17], s[16:17], 3
	v_mov_b32_e32 v4, s17
	v_add_co_u32_e32 v3, vcc, s16, v1
	v_addc_co_u32_e32 v4, vcc, v2, v4, vcc
	s_add_i32 s8, s9, s9
	v_add_u32_e32 v9, s8, v0
	v_ashrrev_i32_e32 v10, 31, v9
	v_mov_b32_e32 v11, s5
	v_add_u32_e32 v12, s9, v9
	v_ashrrev_i32_e32 v13, 31, v12
	v_mov_b32_e32 v14, s5
	v_mov_b32_e32 v15, s5
	;; [unrolled: 1-line block ×30, first 2 shown]
	s_bitcmp0_b32 s18, 0
	s_waitcnt vmcnt(0) lgkmcnt(0)
	buffer_store_dword v6, off, s[0:3], 0 offset:4
	buffer_store_dword v5, off, s[0:3], 0
	flat_load_dwordx2 v[7:8], v[3:4]
	v_lshlrev_b64 v[5:6], 3, v[9:10]
	s_waitcnt vmcnt(0) lgkmcnt(0)
	buffer_store_dword v8, off, s[0:3], 0 offset:12
	buffer_store_dword v7, off, s[0:3], 0 offset:8
	v_add_co_u32_e32 v5, vcc, s4, v5
	v_addc_co_u32_e32 v6, vcc, v11, v6, vcc
	flat_load_dwordx2 v[10:11], v[5:6]
	v_lshlrev_b64 v[7:8], 3, v[12:13]
	s_waitcnt vmcnt(0) lgkmcnt(0)
	buffer_store_dword v11, off, s[0:3], 0 offset:20
	buffer_store_dword v10, off, s[0:3], 0 offset:16
	v_add_co_u32_e32 v7, vcc, s4, v7
	v_addc_co_u32_e32 v8, vcc, v14, v8, vcc
	flat_load_dwordx2 v[13:14], v[7:8]
	v_add_u32_e32 v11, s9, v12
	v_ashrrev_i32_e32 v12, 31, v11
	v_lshlrev_b64 v[9:10], 3, v[11:12]
	s_waitcnt vmcnt(0) lgkmcnt(0)
	buffer_store_dword v14, off, s[0:3], 0 offset:28
	buffer_store_dword v13, off, s[0:3], 0 offset:24
	v_add_co_u32_e32 v9, vcc, s4, v9
	v_addc_co_u32_e32 v10, vcc, v15, v10, vcc
	flat_load_dwordx2 v[13:14], v[9:10]
	v_add_u32_e32 v15, s9, v11
	v_ashrrev_i32_e32 v16, 31, v15
	v_lshlrev_b64 v[11:12], 3, v[15:16]
	v_add_u32_e32 v18, s9, v15
	v_add_co_u32_e32 v11, vcc, s4, v11
	v_addc_co_u32_e32 v12, vcc, v17, v12, vcc
	v_ashrrev_i32_e32 v19, 31, v18
	s_waitcnt vmcnt(0) lgkmcnt(0)
	buffer_store_dword v14, off, s[0:3], 0 offset:36
	buffer_store_dword v13, off, s[0:3], 0 offset:32
	flat_load_dwordx2 v[16:17], v[11:12]
	v_lshlrev_b64 v[13:14], 3, v[18:19]
	s_waitcnt vmcnt(0) lgkmcnt(0)
	buffer_store_dword v17, off, s[0:3], 0 offset:44
	buffer_store_dword v16, off, s[0:3], 0 offset:40
	v_add_co_u32_e32 v13, vcc, s4, v13
	v_addc_co_u32_e32 v14, vcc, v20, v14, vcc
	flat_load_dwordx2 v[19:20], v[13:14]
	v_add_u32_e32 v17, s9, v18
	v_ashrrev_i32_e32 v18, 31, v17
	v_lshlrev_b64 v[15:16], 3, v[17:18]
	s_waitcnt vmcnt(0) lgkmcnt(0)
	buffer_store_dword v20, off, s[0:3], 0 offset:52
	buffer_store_dword v19, off, s[0:3], 0 offset:48
	v_add_co_u32_e32 v15, vcc, s4, v15
	v_addc_co_u32_e32 v16, vcc, v21, v16, vcc
	flat_load_dwordx2 v[19:20], v[15:16]
	v_add_u32_e32 v21, s9, v17
	v_ashrrev_i32_e32 v22, 31, v21
	v_lshlrev_b64 v[17:18], 3, v[21:22]
	v_add_u32_e32 v24, s9, v21
	v_add_co_u32_e32 v17, vcc, s4, v17
	v_addc_co_u32_e32 v18, vcc, v23, v18, vcc
	v_ashrrev_i32_e32 v25, 31, v24
	s_waitcnt vmcnt(0) lgkmcnt(0)
	buffer_store_dword v20, off, s[0:3], 0 offset:60
	buffer_store_dword v19, off, s[0:3], 0 offset:56
	;; [unrolled: 27-line block ×7, first 2 shown]
	flat_load_dwordx2 v[52:53], v[47:48]
	v_lshlrev_b64 v[49:50], 3, v[54:55]
	s_waitcnt vmcnt(0) lgkmcnt(0)
	buffer_store_dword v53, off, s[0:3], 0 offset:188
	buffer_store_dword v52, off, s[0:3], 0 offset:184
	v_add_co_u32_e32 v49, vcc, s4, v49
	v_addc_co_u32_e32 v50, vcc, v56, v50, vcc
	flat_load_dwordx2 v[55:56], v[49:50]
	v_add_u32_e32 v53, s9, v54
	v_ashrrev_i32_e32 v54, 31, v53
	v_lshlrev_b64 v[51:52], 3, v[53:54]
	s_waitcnt vmcnt(0) lgkmcnt(0)
	buffer_store_dword v56, off, s[0:3], 0 offset:196
	buffer_store_dword v55, off, s[0:3], 0 offset:192
	v_add_co_u32_e32 v51, vcc, s4, v51
	v_addc_co_u32_e32 v52, vcc, v57, v52, vcc
	flat_load_dwordx2 v[55:56], v[51:52]
	v_add_u32_e32 v57, s9, v53
	v_ashrrev_i32_e32 v58, 31, v57
	v_lshlrev_b64 v[53:54], 3, v[57:58]
	v_add_u32_e32 v60, s9, v57
	v_add_co_u32_e32 v53, vcc, s4, v53
	v_addc_co_u32_e32 v54, vcc, v59, v54, vcc
	s_waitcnt vmcnt(0) lgkmcnt(0)
	buffer_store_dword v56, off, s[0:3], 0 offset:204
	buffer_store_dword v55, off, s[0:3], 0 offset:200
	flat_load_dwordx2 v[58:59], v[53:54]
	v_ashrrev_i32_e32 v61, 31, v60
	v_lshlrev_b64 v[55:56], 3, v[60:61]
	s_waitcnt vmcnt(0) lgkmcnt(0)
	buffer_store_dword v59, off, s[0:3], 0 offset:212
	buffer_store_dword v58, off, s[0:3], 0 offset:208
	v_add_co_u32_e32 v55, vcc, s4, v55
	v_addc_co_u32_e32 v56, vcc, v62, v56, vcc
	flat_load_dwordx2 v[61:62], v[55:56]
	v_add_u32_e32 v59, s9, v60
	v_ashrrev_i32_e32 v60, 31, v59
	v_lshlrev_b64 v[57:58], 3, v[59:60]
	s_waitcnt vmcnt(0) lgkmcnt(0)
	buffer_store_dword v62, off, s[0:3], 0 offset:220
	buffer_store_dword v61, off, s[0:3], 0 offset:216
	v_add_co_u32_e32 v57, vcc, s4, v57
	v_addc_co_u32_e32 v58, vcc, v63, v58, vcc
	flat_load_dwordx2 v[61:62], v[57:58]
	v_add_u32_e32 v63, s9, v59
	;; [unrolled: 9-line block ×6, first 2 shown]
	v_ashrrev_i32_e32 v68, 31, v67
	v_lshlrev_b64 v[67:68], 3, v[67:68]
	v_mov_b32_e32 v70, s5
	v_add_co_u32_e32 v67, vcc, s4, v67
	v_addc_co_u32_e32 v68, vcc, v70, v68, vcc
	s_waitcnt vmcnt(0) lgkmcnt(0)
	buffer_store_dword v73, off, s[0:3], 0 offset:260
	buffer_store_dword v72, off, s[0:3], 0 offset:256
	flat_load_dwordx2 v[69:70], v[67:68]
	s_mov_b64 s[8:9], -1
	s_waitcnt vmcnt(0) lgkmcnt(0)
	buffer_store_dword v70, off, s[0:3], 0 offset:268
	buffer_store_dword v69, off, s[0:3], 0 offset:264
	s_cbranch_scc1 .LBB97_142
; %bb.4:
	v_cmp_eq_u32_e64 s[4:5], 0, v0
	s_and_saveexec_b64 s[8:9], s[4:5]
; %bb.5:
	v_mov_b32_e32 v69, 0
	ds_write_b32 v69, v69 offset:544
; %bb.6:
	s_or_b64 exec, exec, s[8:9]
	v_mov_b32_e32 v69, 0
	v_lshl_add_u32 v69, v0, 3, v69
	s_waitcnt lgkmcnt(0)
	; wave barrier
	buffer_load_dword v72, v69, s[0:3], 0 offen
	buffer_load_dword v73, v69, s[0:3], 0 offen offset:4
	s_waitcnt vmcnt(0)
	v_cmp_eq_f64_e32 vcc, 0, v[72:73]
	s_and_saveexec_b64 s[16:17], vcc
	s_cbranch_execz .LBB97_10
; %bb.7:
	v_mov_b32_e32 v70, 0
	ds_read_b32 v73, v70 offset:544
	v_add_u32_e32 v72, 1, v0
	s_waitcnt lgkmcnt(0)
	v_readfirstlane_b32 s8, v73
	s_cmp_eq_u32 s8, 0
	s_cselect_b64 s[18:19], -1, 0
	v_cmp_gt_i32_e32 vcc, s8, v72
	s_or_b64 s[18:19], s[18:19], vcc
	s_and_b64 exec, exec, s[18:19]
	s_cbranch_execz .LBB97_10
; %bb.8:
	s_mov_b64 s[18:19], 0
	v_mov_b32_e32 v73, s8
.LBB97_9:                               ; =>This Inner Loop Header: Depth=1
	ds_cmpst_rtn_b32 v73, v70, v73, v72 offset:544
	s_waitcnt lgkmcnt(0)
	v_cmp_ne_u32_e32 vcc, 0, v73
	v_cmp_le_i32_e64 s[8:9], v73, v72
	s_and_b64 s[8:9], vcc, s[8:9]
	s_and_b64 s[8:9], exec, s[8:9]
	s_or_b64 s[18:19], s[8:9], s[18:19]
	s_andn2_b64 exec, exec, s[18:19]
	s_cbranch_execnz .LBB97_9
.LBB97_10:
	s_or_b64 exec, exec, s[16:17]
	v_mov_b32_e32 v72, 0
	; wave barrier
	ds_read_b32 v70, v72 offset:544
	s_and_saveexec_b64 s[8:9], s[4:5]
	s_cbranch_execz .LBB97_12
; %bb.11:
	s_lshl_b64 s[16:17], s[6:7], 2
	s_add_u32 s16, s10, s16
	s_addc_u32 s17, s11, s17
	s_waitcnt lgkmcnt(0)
	global_store_dword v72, v70, s[16:17]
.LBB97_12:
	s_or_b64 exec, exec, s[8:9]
	s_waitcnt lgkmcnt(0)
	v_cmp_ne_u32_e32 vcc, 0, v70
	s_mov_b64 s[8:9], 0
	s_cbranch_vccnz .LBB97_142
; %bb.13:
	buffer_load_dword v72, v69, s[0:3], 0 offen
	buffer_load_dword v73, v69, s[0:3], 0 offen offset:4
	s_waitcnt vmcnt(0)
	v_div_scale_f64 v[74:75], s[8:9], v[72:73], v[72:73], 1.0
	v_rcp_f64_e32 v[76:77], v[74:75]
	v_fma_f64 v[78:79], -v[74:75], v[76:77], 1.0
	v_fma_f64 v[76:77], v[76:77], v[78:79], v[76:77]
	v_div_scale_f64 v[78:79], vcc, 1.0, v[72:73], 1.0
	v_fma_f64 v[80:81], -v[74:75], v[76:77], 1.0
	v_fma_f64 v[76:77], v[76:77], v[80:81], v[76:77]
	v_mul_f64 v[80:81], v[78:79], v[76:77]
	v_fma_f64 v[74:75], -v[74:75], v[80:81], v[78:79]
	v_div_fmas_f64 v[74:75], v[74:75], v[76:77], v[80:81]
	v_div_fixup_f64 v[73:74], v[74:75], v[72:73], 1.0
	v_add_u32_e32 v72, 0x110, v71
	buffer_store_dword v74, v69, s[0:3], 0 offen offset:4
	buffer_store_dword v73, v69, s[0:3], 0 offen
	buffer_load_dword v76, off, s[0:3], 0 offset:12
	buffer_load_dword v75, off, s[0:3], 0 offset:8
	v_xor_b32_e32 v74, 0x80000000, v74
	s_waitcnt vmcnt(0)
	ds_write2_b64 v71, v[73:74], v[75:76] offset1:34
	s_waitcnt lgkmcnt(0)
	; wave barrier
	s_and_saveexec_b64 s[8:9], s[4:5]
	s_cbranch_execz .LBB97_15
; %bb.14:
	buffer_load_dword v73, v69, s[0:3], 0 offen
	buffer_load_dword v74, v69, s[0:3], 0 offen offset:4
	ds_read_b64 v[75:76], v72
	v_mov_b32_e32 v70, 0
	ds_read_b64 v[77:78], v70 offset:8
	s_waitcnt vmcnt(0) lgkmcnt(1)
	v_fma_f64 v[73:74], v[73:74], v[75:76], 0
	s_waitcnt lgkmcnt(0)
	v_mul_f64 v[73:74], v[73:74], v[77:78]
	buffer_store_dword v73, off, s[0:3], 0 offset:8
	buffer_store_dword v74, off, s[0:3], 0 offset:12
.LBB97_15:
	s_or_b64 exec, exec, s[8:9]
	; wave barrier
	buffer_load_dword v73, off, s[0:3], 0 offset:16
	buffer_load_dword v74, off, s[0:3], 0 offset:20
	v_cmp_gt_u32_e32 vcc, 2, v0
	s_waitcnt vmcnt(0)
	ds_write_b64 v72, v[73:74]
	s_waitcnt lgkmcnt(0)
	; wave barrier
	s_and_saveexec_b64 s[8:9], vcc
	s_cbranch_execz .LBB97_17
; %bb.16:
	buffer_load_dword v73, v69, s[0:3], 0 offen
	buffer_load_dword v74, v69, s[0:3], 0 offen offset:4
                                        ; kill: killed $vgpr69
	s_nop 0
	buffer_load_dword v69, off, s[0:3], 0 offset:8
	buffer_load_dword v70, off, s[0:3], 0 offset:12
	ds_read_b64 v[75:76], v72
	s_waitcnt vmcnt(2) lgkmcnt(0)
	v_fma_f64 v[77:78], v[73:74], v[75:76], 0
	v_mov_b32_e32 v73, 0
	ds_read2_b64 v[73:76], v73 offset0:2 offset1:35
	s_waitcnt vmcnt(0) lgkmcnt(0)
	v_fma_f64 v[69:70], v[69:70], v[75:76], v[77:78]
	v_cndmask_b32_e64 v70, v78, v70, s[4:5]
	v_cndmask_b32_e64 v69, v77, v69, s[4:5]
	v_mul_f64 v[69:70], v[69:70], v[73:74]
	buffer_store_dword v70, off, s[0:3], 0 offset:20
	buffer_store_dword v69, off, s[0:3], 0 offset:16
.LBB97_17:
	s_or_b64 exec, exec, s[8:9]
	; wave barrier
	buffer_load_dword v69, off, s[0:3], 0 offset:24
	buffer_load_dword v70, off, s[0:3], 0 offset:28
	v_cmp_gt_u32_e32 vcc, 3, v0
	v_add_u32_e32 v73, -1, v0
	s_waitcnt vmcnt(0)
	ds_write_b64 v72, v[69:70]
	s_waitcnt lgkmcnt(0)
	; wave barrier
	s_and_saveexec_b64 s[4:5], vcc
	s_cbranch_execz .LBB97_21
; %bb.18:
	v_mov_b32_e32 v69, 0
	v_add_u32_e32 v74, -1, v0
	v_add_u32_e32 v75, 0x110, v71
	v_mov_b32_e32 v76, v71
	v_mov_b32_e32 v70, 0
	s_mov_b64 s[8:9], 0
.LBB97_19:                              ; =>This Inner Loop Header: Depth=1
	buffer_load_dword v77, v76, s[0:3], 0 offen
	buffer_load_dword v78, v76, s[0:3], 0 offen offset:4
	ds_read_b64 v[79:80], v75
	v_add_u32_e32 v74, 1, v74
	v_cmp_lt_u32_e32 vcc, 1, v74
	v_add_u32_e32 v75, 8, v75
	s_or_b64 s[8:9], vcc, s[8:9]
	v_add_u32_e32 v76, 8, v76
	s_waitcnt vmcnt(0) lgkmcnt(0)
	v_fma_f64 v[69:70], v[77:78], v[79:80], v[69:70]
	s_andn2_b64 exec, exec, s[8:9]
	s_cbranch_execnz .LBB97_19
; %bb.20:
	s_or_b64 exec, exec, s[8:9]
	v_mov_b32_e32 v74, 0
	ds_read_b64 v[74:75], v74 offset:24
	s_waitcnt lgkmcnt(0)
	v_mul_f64 v[69:70], v[69:70], v[74:75]
	buffer_store_dword v70, off, s[0:3], 0 offset:28
	buffer_store_dword v69, off, s[0:3], 0 offset:24
.LBB97_21:
	s_or_b64 exec, exec, s[4:5]
	; wave barrier
	buffer_load_dword v69, off, s[0:3], 0 offset:32
	buffer_load_dword v70, off, s[0:3], 0 offset:36
	v_cmp_gt_u32_e32 vcc, 4, v0
	s_waitcnt vmcnt(0)
	ds_write_b64 v72, v[69:70]
	s_waitcnt lgkmcnt(0)
	; wave barrier
	s_and_saveexec_b64 s[4:5], vcc
	s_cbranch_execz .LBB97_25
; %bb.22:
	v_mov_b32_e32 v69, 0
	v_add_u32_e32 v74, -1, v0
	v_add_u32_e32 v75, 0x110, v71
	v_mov_b32_e32 v76, v71
	v_mov_b32_e32 v70, 0
	s_mov_b64 s[8:9], 0
.LBB97_23:                              ; =>This Inner Loop Header: Depth=1
	buffer_load_dword v77, v76, s[0:3], 0 offen
	buffer_load_dword v78, v76, s[0:3], 0 offen offset:4
	ds_read_b64 v[79:80], v75
	v_add_u32_e32 v74, 1, v74
	v_cmp_lt_u32_e32 vcc, 2, v74
	v_add_u32_e32 v75, 8, v75
	s_or_b64 s[8:9], vcc, s[8:9]
	v_add_u32_e32 v76, 8, v76
	s_waitcnt vmcnt(0) lgkmcnt(0)
	v_fma_f64 v[69:70], v[77:78], v[79:80], v[69:70]
	s_andn2_b64 exec, exec, s[8:9]
	s_cbranch_execnz .LBB97_23
; %bb.24:
	s_or_b64 exec, exec, s[8:9]
	v_mov_b32_e32 v74, 0
	ds_read_b64 v[74:75], v74 offset:32
	s_waitcnt lgkmcnt(0)
	v_mul_f64 v[69:70], v[69:70], v[74:75]
	buffer_store_dword v70, off, s[0:3], 0 offset:36
	buffer_store_dword v69, off, s[0:3], 0 offset:32
.LBB97_25:
	s_or_b64 exec, exec, s[4:5]
	; wave barrier
	buffer_load_dword v69, off, s[0:3], 0 offset:40
	buffer_load_dword v70, off, s[0:3], 0 offset:44
	v_cmp_gt_u32_e32 vcc, 5, v0
	;; [unrolled: 40-line block ×21, first 2 shown]
	s_waitcnt vmcnt(0)
	ds_write_b64 v72, v[69:70]
	s_waitcnt lgkmcnt(0)
	; wave barrier
	s_and_saveexec_b64 s[4:5], vcc
	s_cbranch_execz .LBB97_105
; %bb.102:
	v_mov_b32_e32 v69, 0
	v_add_u32_e32 v74, -1, v0
	v_add_u32_e32 v75, 0x110, v71
	v_mov_b32_e32 v76, v71
	v_mov_b32_e32 v70, 0
	s_mov_b64 s[8:9], 0
.LBB97_103:                             ; =>This Inner Loop Header: Depth=1
	buffer_load_dword v77, v76, s[0:3], 0 offen
	buffer_load_dword v78, v76, s[0:3], 0 offen offset:4
	ds_read_b64 v[79:80], v75
	v_add_u32_e32 v74, 1, v74
	v_cmp_lt_u32_e32 vcc, 22, v74
	v_add_u32_e32 v75, 8, v75
	s_or_b64 s[8:9], vcc, s[8:9]
	v_add_u32_e32 v76, 8, v76
	s_waitcnt vmcnt(0) lgkmcnt(0)
	v_fma_f64 v[69:70], v[77:78], v[79:80], v[69:70]
	s_andn2_b64 exec, exec, s[8:9]
	s_cbranch_execnz .LBB97_103
; %bb.104:
	s_or_b64 exec, exec, s[8:9]
	v_mov_b32_e32 v74, 0
	ds_read_b64 v[74:75], v74 offset:192
	s_waitcnt lgkmcnt(0)
	v_mul_f64 v[69:70], v[69:70], v[74:75]
	buffer_store_dword v70, off, s[0:3], 0 offset:196
	buffer_store_dword v69, off, s[0:3], 0 offset:192
.LBB97_105:
	s_or_b64 exec, exec, s[4:5]
	; wave barrier
	buffer_load_dword v69, off, s[0:3], 0 offset:200
	buffer_load_dword v70, off, s[0:3], 0 offset:204
	v_cmp_gt_u32_e32 vcc, 25, v0
	s_waitcnt vmcnt(0)
	ds_write_b64 v72, v[69:70]
	s_waitcnt lgkmcnt(0)
	; wave barrier
	s_and_saveexec_b64 s[4:5], vcc
	s_cbranch_execz .LBB97_109
; %bb.106:
	v_mov_b32_e32 v69, 0
	v_add_u32_e32 v74, -1, v0
	v_add_u32_e32 v75, 0x110, v71
	v_mov_b32_e32 v76, v71
	v_mov_b32_e32 v70, 0
	s_mov_b64 s[8:9], 0
.LBB97_107:                             ; =>This Inner Loop Header: Depth=1
	buffer_load_dword v77, v76, s[0:3], 0 offen
	buffer_load_dword v78, v76, s[0:3], 0 offen offset:4
	ds_read_b64 v[79:80], v75
	v_add_u32_e32 v74, 1, v74
	v_cmp_lt_u32_e32 vcc, 23, v74
	v_add_u32_e32 v75, 8, v75
	s_or_b64 s[8:9], vcc, s[8:9]
	v_add_u32_e32 v76, 8, v76
	s_waitcnt vmcnt(0) lgkmcnt(0)
	v_fma_f64 v[69:70], v[77:78], v[79:80], v[69:70]
	s_andn2_b64 exec, exec, s[8:9]
	s_cbranch_execnz .LBB97_107
; %bb.108:
	s_or_b64 exec, exec, s[8:9]
	v_mov_b32_e32 v74, 0
	ds_read_b64 v[74:75], v74 offset:200
	s_waitcnt lgkmcnt(0)
	v_mul_f64 v[69:70], v[69:70], v[74:75]
	buffer_store_dword v70, off, s[0:3], 0 offset:204
	buffer_store_dword v69, off, s[0:3], 0 offset:200
.LBB97_109:
	s_or_b64 exec, exec, s[4:5]
	; wave barrier
	buffer_load_dword v69, off, s[0:3], 0 offset:208
	buffer_load_dword v70, off, s[0:3], 0 offset:212
	v_cmp_gt_u32_e32 vcc, 26, v0
	;; [unrolled: 40-line block ×8, first 2 shown]
	s_waitcnt vmcnt(0)
	ds_write_b64 v72, v[69:70]
	s_waitcnt lgkmcnt(0)
	; wave barrier
	s_and_saveexec_b64 s[4:5], vcc
	s_cbranch_execz .LBB97_137
; %bb.134:
	v_mov_b32_e32 v69, 0
	v_add_u32_e32 v74, -1, v0
	v_add_u32_e32 v75, 0x110, v71
	v_mov_b32_e32 v76, v71
	v_mov_b32_e32 v70, 0
	s_mov_b64 s[8:9], 0
.LBB97_135:                             ; =>This Inner Loop Header: Depth=1
	buffer_load_dword v77, v76, s[0:3], 0 offen
	buffer_load_dword v78, v76, s[0:3], 0 offen offset:4
	ds_read_b64 v[79:80], v75
	v_add_u32_e32 v74, 1, v74
	v_cmp_lt_u32_e32 vcc, 30, v74
	v_add_u32_e32 v75, 8, v75
	s_or_b64 s[8:9], vcc, s[8:9]
	v_add_u32_e32 v76, 8, v76
	s_waitcnt vmcnt(0) lgkmcnt(0)
	v_fma_f64 v[69:70], v[77:78], v[79:80], v[69:70]
	s_andn2_b64 exec, exec, s[8:9]
	s_cbranch_execnz .LBB97_135
; %bb.136:
	s_or_b64 exec, exec, s[8:9]
	v_mov_b32_e32 v74, 0
	ds_read_b64 v[74:75], v74 offset:256
	s_waitcnt lgkmcnt(0)
	v_mul_f64 v[69:70], v[69:70], v[74:75]
	buffer_store_dword v70, off, s[0:3], 0 offset:260
	buffer_store_dword v69, off, s[0:3], 0 offset:256
.LBB97_137:
	s_or_b64 exec, exec, s[4:5]
	; wave barrier
	buffer_load_dword v69, off, s[0:3], 0 offset:264
	buffer_load_dword v70, off, s[0:3], 0 offset:268
	v_cmp_ne_u32_e32 vcc, 33, v0
	s_waitcnt vmcnt(0)
	ds_write_b64 v72, v[69:70]
	s_waitcnt lgkmcnt(0)
	; wave barrier
	s_and_saveexec_b64 s[4:5], vcc
	s_cbranch_execz .LBB97_141
; %bb.138:
	v_mov_b32_e32 v69, 0
	v_add_u32_e32 v72, 0x110, v71
	v_mov_b32_e32 v70, 0
	s_mov_b64 s[8:9], 0
.LBB97_139:                             ; =>This Inner Loop Header: Depth=1
	buffer_load_dword v74, v71, s[0:3], 0 offen
	buffer_load_dword v75, v71, s[0:3], 0 offen offset:4
	ds_read_b64 v[76:77], v72
	v_add_u32_e32 v73, 1, v73
	v_cmp_lt_u32_e32 vcc, 31, v73
	v_add_u32_e32 v72, 8, v72
	s_or_b64 s[8:9], vcc, s[8:9]
	v_add_u32_e32 v71, 8, v71
	s_waitcnt vmcnt(0) lgkmcnt(0)
	v_fma_f64 v[69:70], v[74:75], v[76:77], v[69:70]
	s_andn2_b64 exec, exec, s[8:9]
	s_cbranch_execnz .LBB97_139
; %bb.140:
	s_or_b64 exec, exec, s[8:9]
	v_mov_b32_e32 v71, 0
	ds_read_b64 v[71:72], v71 offset:264
	s_waitcnt lgkmcnt(0)
	v_mul_f64 v[69:70], v[69:70], v[71:72]
	buffer_store_dword v70, off, s[0:3], 0 offset:268
	buffer_store_dword v69, off, s[0:3], 0 offset:264
.LBB97_141:
	s_or_b64 exec, exec, s[4:5]
	s_mov_b64 s[8:9], -1
	; wave barrier
.LBB97_142:
	s_and_b64 vcc, exec, s[8:9]
	s_cbranch_vccz .LBB97_144
; %bb.143:
	s_lshl_b64 s[4:5], s[6:7], 2
	s_add_u32 s4, s10, s4
	s_addc_u32 s5, s11, s5
	v_mov_b32_e32 v69, 0
	global_load_dword v69, v69, s[4:5]
	s_waitcnt vmcnt(0)
	v_cmp_ne_u32_e32 vcc, 0, v69
	s_cbranch_vccz .LBB97_145
.LBB97_144:
	s_endpgm
.LBB97_145:
	v_mov_b32_e32 v69, 0x110
	v_lshl_add_u32 v69, v0, 3, v69
	v_cmp_eq_u32_e32 vcc, 33, v0
	s_and_saveexec_b64 s[4:5], vcc
	s_cbranch_execz .LBB97_147
; %bb.146:
	buffer_load_dword v70, off, s[0:3], 0 offset:256
	buffer_load_dword v71, off, s[0:3], 0 offset:260
	v_mov_b32_e32 v72, 0
	buffer_store_dword v72, off, s[0:3], 0 offset:256
	buffer_store_dword v72, off, s[0:3], 0 offset:260
	s_waitcnt vmcnt(2)
	ds_write_b64 v69, v[70:71]
.LBB97_147:
	s_or_b64 exec, exec, s[4:5]
	s_waitcnt lgkmcnt(0)
	; wave barrier
	buffer_load_dword v71, off, s[0:3], 0 offset:264
	buffer_load_dword v72, off, s[0:3], 0 offset:268
	;; [unrolled: 1-line block ×4, first 2 shown]
	v_mov_b32_e32 v70, 0
	ds_read_b64 v[75:76], v70 offset:536
	v_cmp_lt_u32_e32 vcc, 31, v0
	s_waitcnt vmcnt(2) lgkmcnt(0)
	v_fma_f64 v[71:72], v[71:72], v[75:76], 0
	s_waitcnt vmcnt(0)
	v_add_f64 v[71:72], v[73:74], -v[71:72]
	buffer_store_dword v71, off, s[0:3], 0 offset:256
	buffer_store_dword v72, off, s[0:3], 0 offset:260
	s_and_saveexec_b64 s[4:5], vcc
	s_cbranch_execz .LBB97_149
; %bb.148:
	buffer_load_dword v71, off, s[0:3], 0 offset:248
	buffer_load_dword v72, off, s[0:3], 0 offset:252
	s_waitcnt vmcnt(0)
	ds_write_b64 v69, v[71:72]
	buffer_store_dword v70, off, s[0:3], 0 offset:248
	buffer_store_dword v70, off, s[0:3], 0 offset:252
.LBB97_149:
	s_or_b64 exec, exec, s[4:5]
	s_waitcnt lgkmcnt(0)
	; wave barrier
	buffer_load_dword v74, off, s[0:3], 0 offset:256
	buffer_load_dword v75, off, s[0:3], 0 offset:260
	;; [unrolled: 1-line block ×6, first 2 shown]
	ds_read_b128 v[70:73], v70 offset:528
	v_cmp_lt_u32_e32 vcc, 30, v0
	s_waitcnt vmcnt(4) lgkmcnt(0)
	v_fma_f64 v[70:71], v[74:75], v[70:71], 0
	s_waitcnt vmcnt(2)
	v_fma_f64 v[70:71], v[76:77], v[72:73], v[70:71]
	s_waitcnt vmcnt(0)
	v_add_f64 v[70:71], v[78:79], -v[70:71]
	buffer_store_dword v70, off, s[0:3], 0 offset:248
	buffer_store_dword v71, off, s[0:3], 0 offset:252
	s_and_saveexec_b64 s[4:5], vcc
	s_cbranch_execz .LBB97_151
; %bb.150:
	buffer_load_dword v70, off, s[0:3], 0 offset:240
	buffer_load_dword v71, off, s[0:3], 0 offset:244
	v_mov_b32_e32 v72, 0
	buffer_store_dword v72, off, s[0:3], 0 offset:240
	buffer_store_dword v72, off, s[0:3], 0 offset:244
	s_waitcnt vmcnt(2)
	ds_write_b64 v69, v[70:71]
.LBB97_151:
	s_or_b64 exec, exec, s[4:5]
	s_waitcnt lgkmcnt(0)
	; wave barrier
	buffer_load_dword v75, off, s[0:3], 0 offset:248
	buffer_load_dword v76, off, s[0:3], 0 offset:252
	;; [unrolled: 1-line block ×8, first 2 shown]
	v_mov_b32_e32 v70, 0
	ds_read2_b64 v[71:74], v70 offset0:65 offset1:66
	v_cmp_lt_u32_e32 vcc, 29, v0
	s_waitcnt vmcnt(6) lgkmcnt(0)
	v_fma_f64 v[71:72], v[75:76], v[71:72], 0
	s_waitcnt vmcnt(4)
	v_fma_f64 v[71:72], v[77:78], v[73:74], v[71:72]
	ds_read_b64 v[73:74], v70 offset:536
	s_waitcnt vmcnt(2) lgkmcnt(0)
	v_fma_f64 v[71:72], v[79:80], v[73:74], v[71:72]
	s_waitcnt vmcnt(0)
	v_add_f64 v[71:72], v[81:82], -v[71:72]
	buffer_store_dword v71, off, s[0:3], 0 offset:240
	buffer_store_dword v72, off, s[0:3], 0 offset:244
	s_and_saveexec_b64 s[4:5], vcc
	s_cbranch_execz .LBB97_153
; %bb.152:
	buffer_load_dword v71, off, s[0:3], 0 offset:232
	buffer_load_dword v72, off, s[0:3], 0 offset:236
	s_waitcnt vmcnt(0)
	ds_write_b64 v69, v[71:72]
	buffer_store_dword v70, off, s[0:3], 0 offset:232
	buffer_store_dword v70, off, s[0:3], 0 offset:236
.LBB97_153:
	s_or_b64 exec, exec, s[4:5]
	s_waitcnt lgkmcnt(0)
	; wave barrier
	buffer_load_dword v79, off, s[0:3], 0 offset:240
	buffer_load_dword v80, off, s[0:3], 0 offset:244
	;; [unrolled: 1-line block ×10, first 2 shown]
	ds_read_b128 v[71:74], v70 offset:512
	ds_read_b128 v[75:78], v70 offset:528
	v_cmp_lt_u32_e32 vcc, 28, v0
	s_waitcnt vmcnt(8) lgkmcnt(1)
	v_fma_f64 v[70:71], v[79:80], v[71:72], 0
	s_waitcnt vmcnt(6)
	v_fma_f64 v[70:71], v[81:82], v[73:74], v[70:71]
	s_waitcnt vmcnt(4) lgkmcnt(0)
	v_fma_f64 v[70:71], v[83:84], v[75:76], v[70:71]
	s_waitcnt vmcnt(2)
	v_fma_f64 v[70:71], v[85:86], v[77:78], v[70:71]
	s_waitcnt vmcnt(0)
	v_add_f64 v[70:71], v[87:88], -v[70:71]
	buffer_store_dword v70, off, s[0:3], 0 offset:232
	buffer_store_dword v71, off, s[0:3], 0 offset:236
	s_and_saveexec_b64 s[4:5], vcc
	s_cbranch_execz .LBB97_155
; %bb.154:
	buffer_load_dword v70, off, s[0:3], 0 offset:224
	buffer_load_dword v71, off, s[0:3], 0 offset:228
	v_mov_b32_e32 v72, 0
	buffer_store_dword v72, off, s[0:3], 0 offset:224
	buffer_store_dword v72, off, s[0:3], 0 offset:228
	s_waitcnt vmcnt(2)
	ds_write_b64 v69, v[70:71]
.LBB97_155:
	s_or_b64 exec, exec, s[4:5]
	s_waitcnt lgkmcnt(0)
	; wave barrier
	buffer_load_dword v79, off, s[0:3], 0 offset:232
	buffer_load_dword v80, off, s[0:3], 0 offset:236
	;; [unrolled: 1-line block ×12, first 2 shown]
	v_mov_b32_e32 v70, 0
	ds_read2_b64 v[71:74], v70 offset0:63 offset1:64
	ds_read2_b64 v[75:78], v70 offset0:65 offset1:66
	v_cmp_lt_u32_e32 vcc, 27, v0
	s_waitcnt vmcnt(10) lgkmcnt(1)
	v_fma_f64 v[71:72], v[79:80], v[71:72], 0
	s_waitcnt vmcnt(8)
	v_fma_f64 v[71:72], v[81:82], v[73:74], v[71:72]
	ds_read_b64 v[73:74], v70 offset:536
	s_waitcnt vmcnt(6) lgkmcnt(1)
	v_fma_f64 v[71:72], v[83:84], v[75:76], v[71:72]
	s_waitcnt vmcnt(4)
	v_fma_f64 v[71:72], v[85:86], v[77:78], v[71:72]
	s_waitcnt vmcnt(2) lgkmcnt(0)
	v_fma_f64 v[71:72], v[87:88], v[73:74], v[71:72]
	s_waitcnt vmcnt(0)
	v_add_f64 v[71:72], v[89:90], -v[71:72]
	buffer_store_dword v71, off, s[0:3], 0 offset:224
	buffer_store_dword v72, off, s[0:3], 0 offset:228
	s_and_saveexec_b64 s[4:5], vcc
	s_cbranch_execz .LBB97_157
; %bb.156:
	buffer_load_dword v71, off, s[0:3], 0 offset:216
	buffer_load_dword v72, off, s[0:3], 0 offset:220
	s_waitcnt vmcnt(0)
	ds_write_b64 v69, v[71:72]
	buffer_store_dword v70, off, s[0:3], 0 offset:216
	buffer_store_dword v70, off, s[0:3], 0 offset:220
.LBB97_157:
	s_or_b64 exec, exec, s[4:5]
	s_waitcnt lgkmcnt(0)
	; wave barrier
	buffer_load_dword v79, off, s[0:3], 0 offset:224
	buffer_load_dword v80, off, s[0:3], 0 offset:228
	;; [unrolled: 1-line block ×14, first 2 shown]
	ds_read_b128 v[71:74], v70 offset:496
	ds_read_b128 v[75:78], v70 offset:512
	v_cmp_lt_u32_e32 vcc, 26, v0
	s_waitcnt vmcnt(12) lgkmcnt(1)
	v_fma_f64 v[71:72], v[79:80], v[71:72], 0
	s_waitcnt vmcnt(10)
	v_fma_f64 v[71:72], v[81:82], v[73:74], v[71:72]
	s_waitcnt vmcnt(8) lgkmcnt(0)
	v_fma_f64 v[71:72], v[83:84], v[75:76], v[71:72]
	s_waitcnt vmcnt(6)
	v_fma_f64 v[74:75], v[85:86], v[77:78], v[71:72]
	ds_read_b128 v[70:73], v70 offset:528
	s_waitcnt vmcnt(4) lgkmcnt(0)
	v_fma_f64 v[70:71], v[87:88], v[70:71], v[74:75]
	s_waitcnt vmcnt(2)
	v_fma_f64 v[70:71], v[89:90], v[72:73], v[70:71]
	s_waitcnt vmcnt(0)
	v_add_f64 v[70:71], v[91:92], -v[70:71]
	buffer_store_dword v70, off, s[0:3], 0 offset:216
	buffer_store_dword v71, off, s[0:3], 0 offset:220
	s_and_saveexec_b64 s[4:5], vcc
	s_cbranch_execz .LBB97_159
; %bb.158:
	buffer_load_dword v70, off, s[0:3], 0 offset:208
	buffer_load_dword v71, off, s[0:3], 0 offset:212
	v_mov_b32_e32 v72, 0
	buffer_store_dword v72, off, s[0:3], 0 offset:208
	buffer_store_dword v72, off, s[0:3], 0 offset:212
	s_waitcnt vmcnt(2)
	ds_write_b64 v69, v[70:71]
.LBB97_159:
	s_or_b64 exec, exec, s[4:5]
	s_waitcnt lgkmcnt(0)
	; wave barrier
	buffer_load_dword v79, off, s[0:3], 0 offset:216
	buffer_load_dword v80, off, s[0:3], 0 offset:220
	;; [unrolled: 1-line block ×16, first 2 shown]
	v_mov_b32_e32 v70, 0
	ds_read2_b64 v[71:74], v70 offset0:61 offset1:62
	ds_read2_b64 v[75:78], v70 offset0:63 offset1:64
	v_cmp_lt_u32_e32 vcc, 25, v0
	s_waitcnt vmcnt(14) lgkmcnt(1)
	v_fma_f64 v[71:72], v[79:80], v[71:72], 0
	s_waitcnt vmcnt(12)
	v_fma_f64 v[71:72], v[81:82], v[73:74], v[71:72]
	s_waitcnt vmcnt(10) lgkmcnt(0)
	v_fma_f64 v[71:72], v[83:84], v[75:76], v[71:72]
	s_waitcnt vmcnt(8)
	v_fma_f64 v[75:76], v[85:86], v[77:78], v[71:72]
	ds_read2_b64 v[71:74], v70 offset0:65 offset1:66
	ds_read_b64 v[77:78], v70 offset:536
	s_waitcnt vmcnt(6) lgkmcnt(1)
	v_fma_f64 v[71:72], v[87:88], v[71:72], v[75:76]
	s_waitcnt vmcnt(4)
	v_fma_f64 v[71:72], v[89:90], v[73:74], v[71:72]
	s_waitcnt vmcnt(2) lgkmcnt(0)
	v_fma_f64 v[71:72], v[91:92], v[77:78], v[71:72]
	s_waitcnt vmcnt(0)
	v_add_f64 v[71:72], v[93:94], -v[71:72]
	buffer_store_dword v71, off, s[0:3], 0 offset:208
	buffer_store_dword v72, off, s[0:3], 0 offset:212
	s_and_saveexec_b64 s[4:5], vcc
	s_cbranch_execz .LBB97_161
; %bb.160:
	buffer_load_dword v71, off, s[0:3], 0 offset:200
	buffer_load_dword v72, off, s[0:3], 0 offset:204
	s_waitcnt vmcnt(0)
	ds_write_b64 v69, v[71:72]
	buffer_store_dword v70, off, s[0:3], 0 offset:200
	buffer_store_dword v70, off, s[0:3], 0 offset:204
.LBB97_161:
	s_or_b64 exec, exec, s[4:5]
	s_waitcnt lgkmcnt(0)
	; wave barrier
	buffer_load_dword v79, off, s[0:3], 0 offset:208
	buffer_load_dword v80, off, s[0:3], 0 offset:212
	;; [unrolled: 1-line block ×18, first 2 shown]
	ds_read_b128 v[71:74], v70 offset:480
	ds_read_b128 v[75:78], v70 offset:496
	v_cmp_lt_u32_e32 vcc, 24, v0
	s_waitcnt vmcnt(16) lgkmcnt(1)
	v_fma_f64 v[71:72], v[79:80], v[71:72], 0
	s_waitcnt vmcnt(14)
	v_fma_f64 v[71:72], v[81:82], v[73:74], v[71:72]
	s_waitcnt vmcnt(12) lgkmcnt(0)
	v_fma_f64 v[71:72], v[83:84], v[75:76], v[71:72]
	s_waitcnt vmcnt(10)
	v_fma_f64 v[79:80], v[85:86], v[77:78], v[71:72]
	ds_read_b128 v[71:74], v70 offset:512
	ds_read_b128 v[75:78], v70 offset:528
	s_waitcnt vmcnt(8) lgkmcnt(1)
	v_fma_f64 v[70:71], v[87:88], v[71:72], v[79:80]
	s_waitcnt vmcnt(6)
	v_fma_f64 v[70:71], v[89:90], v[73:74], v[70:71]
	s_waitcnt vmcnt(4) lgkmcnt(0)
	v_fma_f64 v[70:71], v[91:92], v[75:76], v[70:71]
	s_waitcnt vmcnt(2)
	v_fma_f64 v[70:71], v[93:94], v[77:78], v[70:71]
	s_waitcnt vmcnt(0)
	v_add_f64 v[70:71], v[95:96], -v[70:71]
	buffer_store_dword v70, off, s[0:3], 0 offset:200
	buffer_store_dword v71, off, s[0:3], 0 offset:204
	s_and_saveexec_b64 s[4:5], vcc
	s_cbranch_execz .LBB97_163
; %bb.162:
	buffer_load_dword v70, off, s[0:3], 0 offset:192
	buffer_load_dword v71, off, s[0:3], 0 offset:196
	v_mov_b32_e32 v72, 0
	buffer_store_dword v72, off, s[0:3], 0 offset:192
	buffer_store_dword v72, off, s[0:3], 0 offset:196
	s_waitcnt vmcnt(2)
	ds_write_b64 v69, v[70:71]
.LBB97_163:
	s_or_b64 exec, exec, s[4:5]
	s_waitcnt lgkmcnt(0)
	; wave barrier
	buffer_load_dword v79, off, s[0:3], 0 offset:200
	buffer_load_dword v80, off, s[0:3], 0 offset:204
	;; [unrolled: 1-line block ×20, first 2 shown]
	v_mov_b32_e32 v70, 0
	ds_read2_b64 v[71:74], v70 offset0:59 offset1:60
	ds_read2_b64 v[75:78], v70 offset0:61 offset1:62
	v_cmp_lt_u32_e32 vcc, 23, v0
	s_waitcnt vmcnt(18) lgkmcnt(1)
	v_fma_f64 v[71:72], v[79:80], v[71:72], 0
	s_waitcnt vmcnt(16)
	v_fma_f64 v[71:72], v[81:82], v[73:74], v[71:72]
	s_waitcnt vmcnt(14) lgkmcnt(0)
	v_fma_f64 v[71:72], v[83:84], v[75:76], v[71:72]
	s_waitcnt vmcnt(12)
	v_fma_f64 v[79:80], v[85:86], v[77:78], v[71:72]
	ds_read2_b64 v[71:74], v70 offset0:63 offset1:64
	ds_read2_b64 v[75:78], v70 offset0:65 offset1:66
	s_waitcnt vmcnt(10) lgkmcnt(1)
	v_fma_f64 v[71:72], v[87:88], v[71:72], v[79:80]
	s_waitcnt vmcnt(8)
	v_fma_f64 v[71:72], v[89:90], v[73:74], v[71:72]
	ds_read_b64 v[73:74], v70 offset:536
	s_waitcnt vmcnt(6) lgkmcnt(1)
	v_fma_f64 v[71:72], v[91:92], v[75:76], v[71:72]
	s_waitcnt vmcnt(3)
	v_fma_f64 v[71:72], v[93:94], v[77:78], v[71:72]
	s_waitcnt vmcnt(2) lgkmcnt(0)
	v_fma_f64 v[71:72], v[95:96], v[73:74], v[71:72]
	s_waitcnt vmcnt(0)
	v_add_f64 v[71:72], v[97:98], -v[71:72]
	buffer_store_dword v71, off, s[0:3], 0 offset:192
	buffer_store_dword v72, off, s[0:3], 0 offset:196
	s_and_saveexec_b64 s[4:5], vcc
	s_cbranch_execz .LBB97_165
; %bb.164:
	buffer_load_dword v71, off, s[0:3], 0 offset:184
	buffer_load_dword v72, off, s[0:3], 0 offset:188
	s_waitcnt vmcnt(0)
	ds_write_b64 v69, v[71:72]
	buffer_store_dword v70, off, s[0:3], 0 offset:184
	buffer_store_dword v70, off, s[0:3], 0 offset:188
.LBB97_165:
	s_or_b64 exec, exec, s[4:5]
	s_waitcnt lgkmcnt(0)
	; wave barrier
	buffer_load_dword v79, off, s[0:3], 0 offset:192
	buffer_load_dword v80, off, s[0:3], 0 offset:196
	buffer_load_dword v81, off, s[0:3], 0 offset:200
	buffer_load_dword v82, off, s[0:3], 0 offset:204
	buffer_load_dword v83, off, s[0:3], 0 offset:208
	buffer_load_dword v84, off, s[0:3], 0 offset:212
	buffer_load_dword v85, off, s[0:3], 0 offset:216
	buffer_load_dword v86, off, s[0:3], 0 offset:220
	buffer_load_dword v87, off, s[0:3], 0 offset:224
	buffer_load_dword v88, off, s[0:3], 0 offset:228
	buffer_load_dword v89, off, s[0:3], 0 offset:232
	buffer_load_dword v90, off, s[0:3], 0 offset:236
	buffer_load_dword v91, off, s[0:3], 0 offset:240
	buffer_load_dword v92, off, s[0:3], 0 offset:244
	buffer_load_dword v94, off, s[0:3], 0 offset:252
	buffer_load_dword v95, off, s[0:3], 0 offset:264
	buffer_load_dword v97, off, s[0:3], 0 offset:256
	buffer_load_dword v93, off, s[0:3], 0 offset:248
	buffer_load_dword v98, off, s[0:3], 0 offset:260
	buffer_load_dword v96, off, s[0:3], 0 offset:268
	ds_read_b128 v[71:74], v70 offset:464
	buffer_load_dword v99, off, s[0:3], 0 offset:184
	buffer_load_dword v100, off, s[0:3], 0 offset:188
	ds_read_b128 v[75:78], v70 offset:480
	v_cmp_lt_u32_e32 vcc, 22, v0
	s_waitcnt vmcnt(20) lgkmcnt(1)
	v_fma_f64 v[71:72], v[79:80], v[71:72], 0
	s_waitcnt vmcnt(18)
	v_fma_f64 v[71:72], v[81:82], v[73:74], v[71:72]
	s_waitcnt vmcnt(16) lgkmcnt(0)
	v_fma_f64 v[71:72], v[83:84], v[75:76], v[71:72]
	s_waitcnt vmcnt(14)
	v_fma_f64 v[79:80], v[85:86], v[77:78], v[71:72]
	ds_read_b128 v[71:74], v70 offset:496
	ds_read_b128 v[75:78], v70 offset:512
	s_waitcnt vmcnt(12) lgkmcnt(1)
	v_fma_f64 v[71:72], v[87:88], v[71:72], v[79:80]
	s_waitcnt vmcnt(10)
	v_fma_f64 v[71:72], v[89:90], v[73:74], v[71:72]
	s_waitcnt vmcnt(8) lgkmcnt(0)
	v_fma_f64 v[71:72], v[91:92], v[75:76], v[71:72]
	s_waitcnt vmcnt(4)
	v_fma_f64 v[74:75], v[93:94], v[77:78], v[71:72]
	ds_read_b128 v[70:73], v70 offset:528
	s_waitcnt vmcnt(3) lgkmcnt(0)
	v_fma_f64 v[70:71], v[97:98], v[70:71], v[74:75]
	s_waitcnt vmcnt(2)
	v_fma_f64 v[70:71], v[95:96], v[72:73], v[70:71]
	s_waitcnt vmcnt(0)
	v_add_f64 v[70:71], v[99:100], -v[70:71]
	buffer_store_dword v70, off, s[0:3], 0 offset:184
	buffer_store_dword v71, off, s[0:3], 0 offset:188
	s_and_saveexec_b64 s[4:5], vcc
	s_cbranch_execz .LBB97_167
; %bb.166:
	buffer_load_dword v70, off, s[0:3], 0 offset:176
	buffer_load_dword v71, off, s[0:3], 0 offset:180
	v_mov_b32_e32 v72, 0
	buffer_store_dword v72, off, s[0:3], 0 offset:176
	buffer_store_dword v72, off, s[0:3], 0 offset:180
	s_waitcnt vmcnt(2)
	ds_write_b64 v69, v[70:71]
.LBB97_167:
	s_or_b64 exec, exec, s[4:5]
	s_waitcnt lgkmcnt(0)
	; wave barrier
	buffer_load_dword v79, off, s[0:3], 0 offset:184
	buffer_load_dword v80, off, s[0:3], 0 offset:188
	;; [unrolled: 1-line block ×21, first 2 shown]
	v_mov_b32_e32 v70, 0
	ds_read2_b64 v[71:74], v70 offset0:57 offset1:58
	ds_read2_b64 v[75:78], v70 offset0:59 offset1:60
	buffer_load_dword v96, off, s[0:3], 0 offset:268
	v_cmp_lt_u32_e32 vcc, 21, v0
	s_waitcnt vmcnt(20) lgkmcnt(1)
	v_fma_f64 v[71:72], v[79:80], v[71:72], 0
	buffer_load_dword v79, off, s[0:3], 0 offset:176
	buffer_load_dword v80, off, s[0:3], 0 offset:180
	s_waitcnt vmcnt(20)
	v_fma_f64 v[71:72], v[81:82], v[73:74], v[71:72]
	s_waitcnt vmcnt(18) lgkmcnt(0)
	v_fma_f64 v[71:72], v[83:84], v[75:76], v[71:72]
	s_waitcnt vmcnt(16)
	v_fma_f64 v[81:82], v[85:86], v[77:78], v[71:72]
	ds_read2_b64 v[71:74], v70 offset0:61 offset1:62
	ds_read2_b64 v[75:78], v70 offset0:63 offset1:64
	s_waitcnt vmcnt(14) lgkmcnt(1)
	v_fma_f64 v[71:72], v[87:88], v[71:72], v[81:82]
	s_waitcnt vmcnt(12)
	v_fma_f64 v[71:72], v[89:90], v[73:74], v[71:72]
	s_waitcnt vmcnt(10) lgkmcnt(0)
	v_fma_f64 v[71:72], v[91:92], v[75:76], v[71:72]
	s_waitcnt vmcnt(5)
	v_fma_f64 v[75:76], v[93:94], v[77:78], v[71:72]
	ds_read2_b64 v[71:74], v70 offset0:65 offset1:66
	ds_read_b64 v[77:78], v70 offset:536
	s_waitcnt vmcnt(4) lgkmcnt(1)
	v_fma_f64 v[71:72], v[99:100], v[71:72], v[75:76]
	s_waitcnt vmcnt(3)
	v_fma_f64 v[71:72], v[97:98], v[73:74], v[71:72]
	s_waitcnt vmcnt(2) lgkmcnt(0)
	v_fma_f64 v[71:72], v[95:96], v[77:78], v[71:72]
	s_waitcnt vmcnt(0)
	v_add_f64 v[71:72], v[79:80], -v[71:72]
	buffer_store_dword v72, off, s[0:3], 0 offset:180
	buffer_store_dword v71, off, s[0:3], 0 offset:176
	s_and_saveexec_b64 s[4:5], vcc
	s_cbranch_execz .LBB97_169
; %bb.168:
	buffer_load_dword v71, off, s[0:3], 0 offset:168
	buffer_load_dword v72, off, s[0:3], 0 offset:172
	s_waitcnt vmcnt(0)
	ds_write_b64 v69, v[71:72]
	buffer_store_dword v70, off, s[0:3], 0 offset:168
	buffer_store_dword v70, off, s[0:3], 0 offset:172
.LBB97_169:
	s_or_b64 exec, exec, s[4:5]
	s_waitcnt lgkmcnt(0)
	; wave barrier
	buffer_load_dword v79, off, s[0:3], 0 offset:176
	buffer_load_dword v80, off, s[0:3], 0 offset:180
	;; [unrolled: 1-line block ×21, first 2 shown]
	ds_read_b128 v[71:74], v70 offset:448
	ds_read_b128 v[75:78], v70 offset:464
	buffer_load_dword v96, off, s[0:3], 0 offset:260
	v_cmp_lt_u32_e32 vcc, 20, v0
	s_waitcnt vmcnt(20) lgkmcnt(1)
	v_fma_f64 v[71:72], v[79:80], v[71:72], 0
	buffer_load_dword v80, off, s[0:3], 0 offset:268
	buffer_load_dword v79, off, s[0:3], 0 offset:264
	s_waitcnt vmcnt(20)
	v_fma_f64 v[71:72], v[81:82], v[73:74], v[71:72]
	buffer_load_dword v81, off, s[0:3], 0 offset:168
	buffer_load_dword v82, off, s[0:3], 0 offset:172
	s_waitcnt vmcnt(20) lgkmcnt(0)
	v_fma_f64 v[71:72], v[83:84], v[75:76], v[71:72]
	s_waitcnt vmcnt(18)
	v_fma_f64 v[83:84], v[85:86], v[77:78], v[71:72]
	ds_read_b128 v[71:74], v70 offset:480
	ds_read_b128 v[75:78], v70 offset:496
	s_waitcnt vmcnt(16) lgkmcnt(1)
	v_fma_f64 v[71:72], v[87:88], v[71:72], v[83:84]
	s_waitcnt vmcnt(14)
	v_fma_f64 v[71:72], v[89:90], v[73:74], v[71:72]
	s_waitcnt vmcnt(12) lgkmcnt(0)
	v_fma_f64 v[71:72], v[91:92], v[75:76], v[71:72]
	s_waitcnt vmcnt(7)
	v_fma_f64 v[83:84], v[93:94], v[77:78], v[71:72]
	ds_read_b128 v[71:74], v70 offset:512
	ds_read_b128 v[75:78], v70 offset:528
	s_waitcnt vmcnt(6) lgkmcnt(1)
	v_fma_f64 v[70:71], v[99:100], v[71:72], v[83:84]
	s_waitcnt vmcnt(5)
	v_fma_f64 v[70:71], v[97:98], v[73:74], v[70:71]
	s_waitcnt vmcnt(4) lgkmcnt(0)
	v_fma_f64 v[70:71], v[95:96], v[75:76], v[70:71]
	s_waitcnt vmcnt(2)
	v_fma_f64 v[70:71], v[79:80], v[77:78], v[70:71]
	s_waitcnt vmcnt(0)
	v_add_f64 v[70:71], v[81:82], -v[70:71]
	buffer_store_dword v71, off, s[0:3], 0 offset:172
	buffer_store_dword v70, off, s[0:3], 0 offset:168
	s_and_saveexec_b64 s[4:5], vcc
	s_cbranch_execz .LBB97_171
; %bb.170:
	buffer_load_dword v70, off, s[0:3], 0 offset:160
	buffer_load_dword v71, off, s[0:3], 0 offset:164
	v_mov_b32_e32 v72, 0
	buffer_store_dword v72, off, s[0:3], 0 offset:160
	buffer_store_dword v72, off, s[0:3], 0 offset:164
	s_waitcnt vmcnt(2)
	ds_write_b64 v69, v[70:71]
.LBB97_171:
	s_or_b64 exec, exec, s[4:5]
	s_waitcnt lgkmcnt(0)
	; wave barrier
	buffer_load_dword v79, off, s[0:3], 0 offset:168
	buffer_load_dword v80, off, s[0:3], 0 offset:172
	;; [unrolled: 1-line block ×21, first 2 shown]
	v_mov_b32_e32 v70, 0
	ds_read2_b64 v[71:74], v70 offset0:55 offset1:56
	ds_read2_b64 v[75:78], v70 offset0:57 offset1:58
	buffer_load_dword v96, off, s[0:3], 0 offset:252
	v_cmp_lt_u32_e32 vcc, 19, v0
	s_waitcnt vmcnt(20) lgkmcnt(1)
	v_fma_f64 v[71:72], v[79:80], v[71:72], 0
	s_waitcnt vmcnt(18)
	v_fma_f64 v[71:72], v[81:82], v[73:74], v[71:72]
	buffer_load_dword v80, off, s[0:3], 0 offset:260
	buffer_load_dword v81, off, s[0:3], 0 offset:264
	buffer_load_dword v79, off, s[0:3], 0 offset:256
	buffer_load_dword v82, off, s[0:3], 0 offset:268
	s_waitcnt vmcnt(20) lgkmcnt(0)
	v_fma_f64 v[71:72], v[83:84], v[75:76], v[71:72]
	buffer_load_dword v83, off, s[0:3], 0 offset:160
	buffer_load_dword v84, off, s[0:3], 0 offset:164
	s_waitcnt vmcnt(20)
	v_fma_f64 v[85:86], v[85:86], v[77:78], v[71:72]
	ds_read2_b64 v[71:74], v70 offset0:59 offset1:60
	ds_read2_b64 v[75:78], v70 offset0:61 offset1:62
	s_waitcnt vmcnt(18) lgkmcnt(1)
	v_fma_f64 v[71:72], v[87:88], v[71:72], v[85:86]
	s_waitcnt vmcnt(16)
	v_fma_f64 v[71:72], v[89:90], v[73:74], v[71:72]
	s_waitcnt vmcnt(14) lgkmcnt(0)
	v_fma_f64 v[71:72], v[91:92], v[75:76], v[71:72]
	s_waitcnt vmcnt(9)
	v_fma_f64 v[85:86], v[93:94], v[77:78], v[71:72]
	ds_read2_b64 v[71:74], v70 offset0:63 offset1:64
	ds_read2_b64 v[75:78], v70 offset0:65 offset1:66
	s_waitcnt vmcnt(8) lgkmcnt(1)
	v_fma_f64 v[71:72], v[99:100], v[71:72], v[85:86]
	s_waitcnt vmcnt(7)
	v_fma_f64 v[71:72], v[97:98], v[73:74], v[71:72]
	ds_read_b64 v[73:74], v70 offset:536
	s_waitcnt vmcnt(6) lgkmcnt(1)
	v_fma_f64 v[71:72], v[95:96], v[75:76], v[71:72]
	s_waitcnt vmcnt(3)
	v_fma_f64 v[71:72], v[79:80], v[77:78], v[71:72]
	s_waitcnt vmcnt(2) lgkmcnt(0)
	v_fma_f64 v[71:72], v[81:82], v[73:74], v[71:72]
	s_waitcnt vmcnt(0)
	v_add_f64 v[71:72], v[83:84], -v[71:72]
	buffer_store_dword v72, off, s[0:3], 0 offset:164
	buffer_store_dword v71, off, s[0:3], 0 offset:160
	s_and_saveexec_b64 s[4:5], vcc
	s_cbranch_execz .LBB97_173
; %bb.172:
	buffer_load_dword v71, off, s[0:3], 0 offset:152
	buffer_load_dword v72, off, s[0:3], 0 offset:156
	s_waitcnt vmcnt(0)
	ds_write_b64 v69, v[71:72]
	buffer_store_dword v70, off, s[0:3], 0 offset:152
	buffer_store_dword v70, off, s[0:3], 0 offset:156
.LBB97_173:
	s_or_b64 exec, exec, s[4:5]
	s_waitcnt lgkmcnt(0)
	; wave barrier
	buffer_load_dword v79, off, s[0:3], 0 offset:160
	buffer_load_dword v80, off, s[0:3], 0 offset:164
	buffer_load_dword v81, off, s[0:3], 0 offset:168
	buffer_load_dword v82, off, s[0:3], 0 offset:172
	buffer_load_dword v83, off, s[0:3], 0 offset:176
	buffer_load_dword v84, off, s[0:3], 0 offset:180
	buffer_load_dword v85, off, s[0:3], 0 offset:184
	buffer_load_dword v86, off, s[0:3], 0 offset:188
	buffer_load_dword v87, off, s[0:3], 0 offset:192
	buffer_load_dword v88, off, s[0:3], 0 offset:196
	buffer_load_dword v89, off, s[0:3], 0 offset:200
	buffer_load_dword v90, off, s[0:3], 0 offset:204
	buffer_load_dword v91, off, s[0:3], 0 offset:208
	buffer_load_dword v92, off, s[0:3], 0 offset:212
	buffer_load_dword v94, off, s[0:3], 0 offset:220
	buffer_load_dword v95, off, s[0:3], 0 offset:240
	buffer_load_dword v97, off, s[0:3], 0 offset:232
	buffer_load_dword v99, off, s[0:3], 0 offset:224
	buffer_load_dword v93, off, s[0:3], 0 offset:216
	buffer_load_dword v100, off, s[0:3], 0 offset:228
	buffer_load_dword v98, off, s[0:3], 0 offset:236
	buffer_load_dword v96, off, s[0:3], 0 offset:244
	ds_read_b128 v[71:74], v70 offset:432
	ds_read_b128 v[75:78], v70 offset:448
	v_cmp_lt_u32_e32 vcc, 18, v0
	s_waitcnt vmcnt(20) lgkmcnt(1)
	v_fma_f64 v[71:72], v[79:80], v[71:72], 0
	s_waitcnt vmcnt(18)
	v_fma_f64 v[71:72], v[81:82], v[73:74], v[71:72]
	buffer_load_dword v80, off, s[0:3], 0 offset:252
	buffer_load_dword v81, off, s[0:3], 0 offset:264
	;; [unrolled: 1-line block ×6, first 2 shown]
	s_waitcnt vmcnt(22) lgkmcnt(0)
	v_fma_f64 v[71:72], v[83:84], v[75:76], v[71:72]
	s_waitcnt vmcnt(20)
	v_fma_f64 v[83:84], v[85:86], v[77:78], v[71:72]
	ds_read_b128 v[71:74], v70 offset:464
	buffer_load_dword v85, off, s[0:3], 0 offset:152
	buffer_load_dword v86, off, s[0:3], 0 offset:156
	ds_read_b128 v[75:78], v70 offset:480
	s_waitcnt vmcnt(20) lgkmcnt(1)
	v_fma_f64 v[71:72], v[87:88], v[71:72], v[83:84]
	s_waitcnt vmcnt(18)
	v_fma_f64 v[71:72], v[89:90], v[73:74], v[71:72]
	s_waitcnt vmcnt(16) lgkmcnt(0)
	v_fma_f64 v[71:72], v[91:92], v[75:76], v[71:72]
	s_waitcnt vmcnt(11)
	v_fma_f64 v[83:84], v[93:94], v[77:78], v[71:72]
	ds_read_b128 v[71:74], v70 offset:496
	ds_read_b128 v[75:78], v70 offset:512
	s_waitcnt vmcnt(10) lgkmcnt(1)
	v_fma_f64 v[71:72], v[99:100], v[71:72], v[83:84]
	s_waitcnt vmcnt(9)
	v_fma_f64 v[71:72], v[97:98], v[73:74], v[71:72]
	s_waitcnt vmcnt(8) lgkmcnt(0)
	v_fma_f64 v[71:72], v[95:96], v[75:76], v[71:72]
	s_waitcnt vmcnt(4)
	v_fma_f64 v[74:75], v[79:80], v[77:78], v[71:72]
	ds_read_b128 v[70:73], v70 offset:528
	s_waitcnt vmcnt(3) lgkmcnt(0)
	v_fma_f64 v[70:71], v[101:102], v[70:71], v[74:75]
	s_waitcnt vmcnt(2)
	v_fma_f64 v[70:71], v[81:82], v[72:73], v[70:71]
	s_waitcnt vmcnt(0)
	v_add_f64 v[70:71], v[85:86], -v[70:71]
	buffer_store_dword v71, off, s[0:3], 0 offset:156
	buffer_store_dword v70, off, s[0:3], 0 offset:152
	s_and_saveexec_b64 s[4:5], vcc
	s_cbranch_execz .LBB97_175
; %bb.174:
	buffer_load_dword v70, off, s[0:3], 0 offset:144
	buffer_load_dword v71, off, s[0:3], 0 offset:148
	v_mov_b32_e32 v72, 0
	buffer_store_dword v72, off, s[0:3], 0 offset:144
	buffer_store_dword v72, off, s[0:3], 0 offset:148
	s_waitcnt vmcnt(2)
	ds_write_b64 v69, v[70:71]
.LBB97_175:
	s_or_b64 exec, exec, s[4:5]
	s_waitcnt lgkmcnt(0)
	; wave barrier
	buffer_load_dword v79, off, s[0:3], 0 offset:152
	buffer_load_dword v80, off, s[0:3], 0 offset:156
	;; [unrolled: 1-line block ×22, first 2 shown]
	v_mov_b32_e32 v70, 0
	ds_read2_b64 v[71:74], v70 offset0:53 offset1:54
	ds_read2_b64 v[75:78], v70 offset0:55 offset1:56
	v_cmp_lt_u32_e32 vcc, 17, v0
	s_waitcnt vmcnt(20) lgkmcnt(1)
	v_fma_f64 v[71:72], v[79:80], v[71:72], 0
	s_waitcnt vmcnt(18)
	v_fma_f64 v[71:72], v[81:82], v[73:74], v[71:72]
	buffer_load_dword v80, off, s[0:3], 0 offset:244
	buffer_load_dword v81, off, s[0:3], 0 offset:264
	buffer_load_dword v101, off, s[0:3], 0 offset:256
	buffer_load_dword v103, off, s[0:3], 0 offset:248
	buffer_load_dword v79, off, s[0:3], 0 offset:240
	buffer_load_dword v104, off, s[0:3], 0 offset:252
	buffer_load_dword v102, off, s[0:3], 0 offset:260
	buffer_load_dword v82, off, s[0:3], 0 offset:268
	s_waitcnt vmcnt(24) lgkmcnt(0)
	v_fma_f64 v[71:72], v[83:84], v[75:76], v[71:72]
	s_waitcnt vmcnt(22)
	v_fma_f64 v[83:84], v[85:86], v[77:78], v[71:72]
	ds_read2_b64 v[71:74], v70 offset0:57 offset1:58
	ds_read2_b64 v[75:78], v70 offset0:59 offset1:60
	s_waitcnt vmcnt(20) lgkmcnt(1)
	v_fma_f64 v[71:72], v[87:88], v[71:72], v[83:84]
	buffer_load_dword v83, off, s[0:3], 0 offset:144
	buffer_load_dword v84, off, s[0:3], 0 offset:148
	s_waitcnt vmcnt(20)
	v_fma_f64 v[71:72], v[89:90], v[73:74], v[71:72]
	s_waitcnt vmcnt(18) lgkmcnt(0)
	v_fma_f64 v[71:72], v[91:92], v[75:76], v[71:72]
	s_waitcnt vmcnt(13)
	v_fma_f64 v[85:86], v[93:94], v[77:78], v[71:72]
	ds_read2_b64 v[71:74], v70 offset0:61 offset1:62
	ds_read2_b64 v[75:78], v70 offset0:63 offset1:64
	s_waitcnt vmcnt(12) lgkmcnt(1)
	v_fma_f64 v[71:72], v[99:100], v[71:72], v[85:86]
	s_waitcnt vmcnt(11)
	v_fma_f64 v[71:72], v[97:98], v[73:74], v[71:72]
	s_waitcnt vmcnt(10) lgkmcnt(0)
	v_fma_f64 v[71:72], v[95:96], v[75:76], v[71:72]
	s_waitcnt vmcnt(5)
	v_fma_f64 v[75:76], v[79:80], v[77:78], v[71:72]
	ds_read2_b64 v[71:74], v70 offset0:65 offset1:66
	ds_read_b64 v[77:78], v70 offset:536
	s_waitcnt vmcnt(4) lgkmcnt(1)
	v_fma_f64 v[71:72], v[103:104], v[71:72], v[75:76]
	s_waitcnt vmcnt(3)
	v_fma_f64 v[71:72], v[101:102], v[73:74], v[71:72]
	s_waitcnt vmcnt(2) lgkmcnt(0)
	v_fma_f64 v[71:72], v[81:82], v[77:78], v[71:72]
	s_waitcnt vmcnt(0)
	v_add_f64 v[71:72], v[83:84], -v[71:72]
	buffer_store_dword v72, off, s[0:3], 0 offset:148
	buffer_store_dword v71, off, s[0:3], 0 offset:144
	s_and_saveexec_b64 s[4:5], vcc
	s_cbranch_execz .LBB97_177
; %bb.176:
	buffer_load_dword v71, off, s[0:3], 0 offset:136
	buffer_load_dword v72, off, s[0:3], 0 offset:140
	s_waitcnt vmcnt(0)
	ds_write_b64 v69, v[71:72]
	buffer_store_dword v70, off, s[0:3], 0 offset:136
	buffer_store_dword v70, off, s[0:3], 0 offset:140
.LBB97_177:
	s_or_b64 exec, exec, s[4:5]
	s_waitcnt lgkmcnt(0)
	; wave barrier
	buffer_load_dword v79, off, s[0:3], 0 offset:144
	buffer_load_dword v80, off, s[0:3], 0 offset:148
	;; [unrolled: 1-line block ×22, first 2 shown]
	ds_read_b128 v[71:74], v70 offset:416
	ds_read_b128 v[75:78], v70 offset:432
	v_cmp_lt_u32_e32 vcc, 16, v0
	s_waitcnt vmcnt(20) lgkmcnt(1)
	v_fma_f64 v[71:72], v[79:80], v[71:72], 0
	s_waitcnt vmcnt(18)
	v_fma_f64 v[71:72], v[81:82], v[73:74], v[71:72]
	buffer_load_dword v80, off, s[0:3], 0 offset:236
	buffer_load_dword v81, off, s[0:3], 0 offset:256
	;; [unrolled: 1-line block ×8, first 2 shown]
	s_waitcnt vmcnt(24) lgkmcnt(0)
	v_fma_f64 v[71:72], v[83:84], v[75:76], v[71:72]
	s_waitcnt vmcnt(22)
	v_fma_f64 v[83:84], v[85:86], v[77:78], v[71:72]
	ds_read_b128 v[71:74], v70 offset:448
	ds_read_b128 v[75:78], v70 offset:464
	s_waitcnt vmcnt(20) lgkmcnt(1)
	v_fma_f64 v[71:72], v[87:88], v[71:72], v[83:84]
	buffer_load_dword v84, off, s[0:3], 0 offset:268
	buffer_load_dword v83, off, s[0:3], 0 offset:264
	;; [unrolled: 1-line block ×4, first 2 shown]
	s_waitcnt vmcnt(22)
	v_fma_f64 v[71:72], v[89:90], v[73:74], v[71:72]
	s_waitcnt vmcnt(20) lgkmcnt(0)
	v_fma_f64 v[71:72], v[91:92], v[75:76], v[71:72]
	s_waitcnt vmcnt(15)
	v_fma_f64 v[87:88], v[93:94], v[77:78], v[71:72]
	ds_read_b128 v[71:74], v70 offset:480
	ds_read_b128 v[75:78], v70 offset:496
	s_waitcnt vmcnt(14) lgkmcnt(1)
	v_fma_f64 v[71:72], v[99:100], v[71:72], v[87:88]
	s_waitcnt vmcnt(13)
	v_fma_f64 v[71:72], v[97:98], v[73:74], v[71:72]
	s_waitcnt vmcnt(12) lgkmcnt(0)
	v_fma_f64 v[71:72], v[95:96], v[75:76], v[71:72]
	s_waitcnt vmcnt(7)
	v_fma_f64 v[79:80], v[79:80], v[77:78], v[71:72]
	ds_read_b128 v[71:74], v70 offset:512
	ds_read_b128 v[75:78], v70 offset:528
	s_waitcnt vmcnt(6) lgkmcnt(1)
	v_fma_f64 v[70:71], v[103:104], v[71:72], v[79:80]
	s_waitcnt vmcnt(5)
	v_fma_f64 v[70:71], v[101:102], v[73:74], v[70:71]
	s_waitcnt vmcnt(4) lgkmcnt(0)
	v_fma_f64 v[70:71], v[81:82], v[75:76], v[70:71]
	s_waitcnt vmcnt(2)
	v_fma_f64 v[70:71], v[83:84], v[77:78], v[70:71]
	s_waitcnt vmcnt(0)
	v_add_f64 v[70:71], v[85:86], -v[70:71]
	buffer_store_dword v71, off, s[0:3], 0 offset:140
	buffer_store_dword v70, off, s[0:3], 0 offset:136
	s_and_saveexec_b64 s[4:5], vcc
	s_cbranch_execz .LBB97_179
; %bb.178:
	buffer_load_dword v70, off, s[0:3], 0 offset:128
	buffer_load_dword v71, off, s[0:3], 0 offset:132
	v_mov_b32_e32 v72, 0
	buffer_store_dword v72, off, s[0:3], 0 offset:128
	buffer_store_dword v72, off, s[0:3], 0 offset:132
	s_waitcnt vmcnt(2)
	ds_write_b64 v69, v[70:71]
.LBB97_179:
	s_or_b64 exec, exec, s[4:5]
	s_waitcnt lgkmcnt(0)
	; wave barrier
	buffer_load_dword v79, off, s[0:3], 0 offset:136
	buffer_load_dword v80, off, s[0:3], 0 offset:140
	;; [unrolled: 1-line block ×22, first 2 shown]
	v_mov_b32_e32 v70, 0
	ds_read2_b64 v[71:74], v70 offset0:51 offset1:52
	ds_read2_b64 v[75:78], v70 offset0:53 offset1:54
	v_cmp_lt_u32_e32 vcc, 15, v0
	s_waitcnt vmcnt(20) lgkmcnt(1)
	v_fma_f64 v[71:72], v[79:80], v[71:72], 0
	s_waitcnt vmcnt(18)
	v_fma_f64 v[71:72], v[81:82], v[73:74], v[71:72]
	buffer_load_dword v80, off, s[0:3], 0 offset:228
	buffer_load_dword v81, off, s[0:3], 0 offset:248
	;; [unrolled: 1-line block ×7, first 2 shown]
	s_waitcnt vmcnt(23) lgkmcnt(0)
	v_fma_f64 v[71:72], v[83:84], v[75:76], v[71:72]
	s_waitcnt vmcnt(21)
	v_fma_f64 v[82:83], v[85:86], v[77:78], v[71:72]
	ds_read2_b64 v[71:74], v70 offset0:55 offset1:56
	ds_read2_b64 v[75:78], v70 offset0:57 offset1:58
	s_waitcnt vmcnt(19) lgkmcnt(1)
	v_fma_f64 v[71:72], v[87:88], v[71:72], v[82:83]
	buffer_load_dword v82, off, s[0:3], 0 offset:252
	buffer_load_dword v84, off, s[0:3], 0 offset:260
	;; [unrolled: 1-line block ×7, first 2 shown]
	s_waitcnt vmcnt(24)
	v_fma_f64 v[71:72], v[89:90], v[73:74], v[71:72]
	s_waitcnt vmcnt(22) lgkmcnt(0)
	v_fma_f64 v[71:72], v[91:92], v[75:76], v[71:72]
	s_waitcnt vmcnt(17)
	v_fma_f64 v[89:90], v[93:94], v[77:78], v[71:72]
	ds_read2_b64 v[71:74], v70 offset0:59 offset1:60
	ds_read2_b64 v[75:78], v70 offset0:61 offset1:62
	s_waitcnt vmcnt(16) lgkmcnt(1)
	v_fma_f64 v[71:72], v[99:100], v[71:72], v[89:90]
	s_waitcnt vmcnt(15)
	v_fma_f64 v[71:72], v[97:98], v[73:74], v[71:72]
	s_waitcnt vmcnt(14) lgkmcnt(0)
	v_fma_f64 v[71:72], v[95:96], v[75:76], v[71:72]
	s_waitcnt vmcnt(9)
	v_fma_f64 v[79:80], v[79:80], v[77:78], v[71:72]
	ds_read2_b64 v[71:74], v70 offset0:63 offset1:64
	ds_read2_b64 v[75:78], v70 offset0:65 offset1:66
	s_waitcnt vmcnt(8) lgkmcnt(1)
	v_fma_f64 v[71:72], v[103:104], v[71:72], v[79:80]
	s_waitcnt vmcnt(7)
	v_fma_f64 v[71:72], v[101:102], v[73:74], v[71:72]
	ds_read_b64 v[73:74], v70 offset:536
	s_waitcnt vmcnt(6) lgkmcnt(1)
	v_fma_f64 v[71:72], v[81:82], v[75:76], v[71:72]
	s_waitcnt vmcnt(3)
	v_fma_f64 v[71:72], v[83:84], v[77:78], v[71:72]
	s_waitcnt vmcnt(2) lgkmcnt(0)
	v_fma_f64 v[71:72], v[85:86], v[73:74], v[71:72]
	s_waitcnt vmcnt(0)
	v_add_f64 v[71:72], v[87:88], -v[71:72]
	buffer_store_dword v72, off, s[0:3], 0 offset:132
	buffer_store_dword v71, off, s[0:3], 0 offset:128
	s_and_saveexec_b64 s[4:5], vcc
	s_cbranch_execz .LBB97_181
; %bb.180:
	buffer_load_dword v71, off, s[0:3], 0 offset:120
	buffer_load_dword v72, off, s[0:3], 0 offset:124
	s_waitcnt vmcnt(0)
	ds_write_b64 v69, v[71:72]
	buffer_store_dword v70, off, s[0:3], 0 offset:120
	buffer_store_dword v70, off, s[0:3], 0 offset:124
.LBB97_181:
	s_or_b64 exec, exec, s[4:5]
	s_waitcnt lgkmcnt(0)
	; wave barrier
	buffer_load_dword v79, off, s[0:3], 0 offset:128
	buffer_load_dword v80, off, s[0:3], 0 offset:132
	;; [unrolled: 1-line block ×22, first 2 shown]
	ds_read_b128 v[71:74], v70 offset:400
	ds_read_b128 v[75:78], v70 offset:416
	v_cmp_lt_u32_e32 vcc, 14, v0
	s_waitcnt vmcnt(20) lgkmcnt(1)
	v_fma_f64 v[71:72], v[79:80], v[71:72], 0
	s_waitcnt vmcnt(18)
	v_fma_f64 v[71:72], v[81:82], v[73:74], v[71:72]
	buffer_load_dword v80, off, s[0:3], 0 offset:220
	buffer_load_dword v81, off, s[0:3], 0 offset:240
	;; [unrolled: 1-line block ×7, first 2 shown]
	s_waitcnt vmcnt(23) lgkmcnt(0)
	v_fma_f64 v[71:72], v[83:84], v[75:76], v[71:72]
	s_waitcnt vmcnt(21)
	v_fma_f64 v[82:83], v[85:86], v[77:78], v[71:72]
	ds_read_b128 v[71:74], v70 offset:432
	ds_read_b128 v[75:78], v70 offset:448
	s_waitcnt vmcnt(19) lgkmcnt(1)
	v_fma_f64 v[71:72], v[87:88], v[71:72], v[82:83]
	buffer_load_dword v82, off, s[0:3], 0 offset:244
	buffer_load_dword v84, off, s[0:3], 0 offset:252
	;; [unrolled: 1-line block ×7, first 2 shown]
	s_waitcnt vmcnt(24)
	v_fma_f64 v[71:72], v[89:90], v[73:74], v[71:72]
	s_waitcnt vmcnt(22) lgkmcnt(0)
	v_fma_f64 v[71:72], v[91:92], v[75:76], v[71:72]
	s_waitcnt vmcnt(17)
	v_fma_f64 v[89:90], v[93:94], v[77:78], v[71:72]
	ds_read_b128 v[71:74], v70 offset:464
	buffer_load_dword v91, off, s[0:3], 0 offset:120
	buffer_load_dword v92, off, s[0:3], 0 offset:124
	ds_read_b128 v[75:78], v70 offset:480
	s_waitcnt vmcnt(18) lgkmcnt(1)
	v_fma_f64 v[71:72], v[99:100], v[71:72], v[89:90]
	s_waitcnt vmcnt(17)
	v_fma_f64 v[71:72], v[97:98], v[73:74], v[71:72]
	s_waitcnt vmcnt(16) lgkmcnt(0)
	v_fma_f64 v[71:72], v[95:96], v[75:76], v[71:72]
	s_waitcnt vmcnt(11)
	v_fma_f64 v[79:80], v[79:80], v[77:78], v[71:72]
	ds_read_b128 v[71:74], v70 offset:496
	ds_read_b128 v[75:78], v70 offset:512
	s_waitcnt vmcnt(10) lgkmcnt(1)
	v_fma_f64 v[71:72], v[103:104], v[71:72], v[79:80]
	s_waitcnt vmcnt(9)
	v_fma_f64 v[71:72], v[101:102], v[73:74], v[71:72]
	s_waitcnt vmcnt(8) lgkmcnt(0)
	v_fma_f64 v[71:72], v[81:82], v[75:76], v[71:72]
	s_waitcnt vmcnt(4)
	v_fma_f64 v[74:75], v[83:84], v[77:78], v[71:72]
	ds_read_b128 v[70:73], v70 offset:528
	s_waitcnt vmcnt(3) lgkmcnt(0)
	v_fma_f64 v[70:71], v[87:88], v[70:71], v[74:75]
	s_waitcnt vmcnt(2)
	v_fma_f64 v[70:71], v[85:86], v[72:73], v[70:71]
	s_waitcnt vmcnt(0)
	v_add_f64 v[70:71], v[91:92], -v[70:71]
	buffer_store_dword v71, off, s[0:3], 0 offset:124
	buffer_store_dword v70, off, s[0:3], 0 offset:120
	s_and_saveexec_b64 s[4:5], vcc
	s_cbranch_execz .LBB97_183
; %bb.182:
	buffer_load_dword v70, off, s[0:3], 0 offset:112
	buffer_load_dword v71, off, s[0:3], 0 offset:116
	v_mov_b32_e32 v72, 0
	buffer_store_dword v72, off, s[0:3], 0 offset:112
	buffer_store_dword v72, off, s[0:3], 0 offset:116
	s_waitcnt vmcnt(2)
	ds_write_b64 v69, v[70:71]
.LBB97_183:
	s_or_b64 exec, exec, s[4:5]
	s_waitcnt lgkmcnt(0)
	; wave barrier
	buffer_load_dword v79, off, s[0:3], 0 offset:120
	buffer_load_dword v80, off, s[0:3], 0 offset:124
	;; [unrolled: 1-line block ×22, first 2 shown]
	v_mov_b32_e32 v70, 0
	ds_read2_b64 v[71:74], v70 offset0:49 offset1:50
	ds_read2_b64 v[75:78], v70 offset0:51 offset1:52
	v_cmp_lt_u32_e32 vcc, 13, v0
	s_waitcnt vmcnt(20) lgkmcnt(1)
	v_fma_f64 v[71:72], v[79:80], v[71:72], 0
	s_waitcnt vmcnt(18)
	v_fma_f64 v[71:72], v[81:82], v[73:74], v[71:72]
	buffer_load_dword v80, off, s[0:3], 0 offset:212
	buffer_load_dword v81, off, s[0:3], 0 offset:232
	;; [unrolled: 1-line block ×7, first 2 shown]
	s_waitcnt vmcnt(23) lgkmcnt(0)
	v_fma_f64 v[71:72], v[83:84], v[75:76], v[71:72]
	s_waitcnt vmcnt(21)
	v_fma_f64 v[82:83], v[85:86], v[77:78], v[71:72]
	ds_read2_b64 v[71:74], v70 offset0:53 offset1:54
	ds_read2_b64 v[75:78], v70 offset0:55 offset1:56
	s_waitcnt vmcnt(19) lgkmcnt(1)
	v_fma_f64 v[71:72], v[87:88], v[71:72], v[82:83]
	buffer_load_dword v82, off, s[0:3], 0 offset:236
	s_waitcnt vmcnt(18)
	v_fma_f64 v[71:72], v[89:90], v[73:74], v[71:72]
	buffer_load_dword v84, off, s[0:3], 0 offset:244
	buffer_load_dword v85, off, s[0:3], 0 offset:264
	;; [unrolled: 1-line block ×8, first 2 shown]
	s_waitcnt vmcnt(24) lgkmcnt(0)
	v_fma_f64 v[71:72], v[91:92], v[75:76], v[71:72]
	s_waitcnt vmcnt(19)
	v_fma_f64 v[91:92], v[93:94], v[77:78], v[71:72]
	ds_read2_b64 v[71:74], v70 offset0:57 offset1:58
	ds_read2_b64 v[75:78], v70 offset0:59 offset1:60
	s_waitcnt vmcnt(18) lgkmcnt(1)
	v_fma_f64 v[71:72], v[99:100], v[71:72], v[91:92]
	buffer_load_dword v91, off, s[0:3], 0 offset:112
	buffer_load_dword v92, off, s[0:3], 0 offset:116
	s_waitcnt vmcnt(19)
	v_fma_f64 v[71:72], v[97:98], v[73:74], v[71:72]
	s_waitcnt vmcnt(18) lgkmcnt(0)
	v_fma_f64 v[71:72], v[95:96], v[75:76], v[71:72]
	s_waitcnt vmcnt(13)
	v_fma_f64 v[79:80], v[79:80], v[77:78], v[71:72]
	ds_read2_b64 v[71:74], v70 offset0:61 offset1:62
	ds_read2_b64 v[75:78], v70 offset0:63 offset1:64
	s_waitcnt vmcnt(12) lgkmcnt(1)
	v_fma_f64 v[71:72], v[103:104], v[71:72], v[79:80]
	s_waitcnt vmcnt(11)
	v_fma_f64 v[71:72], v[101:102], v[73:74], v[71:72]
	s_waitcnt vmcnt(10) lgkmcnt(0)
	v_fma_f64 v[71:72], v[81:82], v[75:76], v[71:72]
	s_waitcnt vmcnt(5)
	v_fma_f64 v[75:76], v[83:84], v[77:78], v[71:72]
	ds_read2_b64 v[71:74], v70 offset0:65 offset1:66
	ds_read_b64 v[77:78], v70 offset:536
	s_waitcnt vmcnt(4) lgkmcnt(1)
	v_fma_f64 v[71:72], v[89:90], v[71:72], v[75:76]
	s_waitcnt vmcnt(3)
	v_fma_f64 v[71:72], v[87:88], v[73:74], v[71:72]
	s_waitcnt vmcnt(2) lgkmcnt(0)
	v_fma_f64 v[71:72], v[85:86], v[77:78], v[71:72]
	s_waitcnt vmcnt(0)
	v_add_f64 v[71:72], v[91:92], -v[71:72]
	buffer_store_dword v72, off, s[0:3], 0 offset:116
	buffer_store_dword v71, off, s[0:3], 0 offset:112
	s_and_saveexec_b64 s[4:5], vcc
	s_cbranch_execz .LBB97_185
; %bb.184:
	buffer_load_dword v71, off, s[0:3], 0 offset:104
	buffer_load_dword v72, off, s[0:3], 0 offset:108
	s_waitcnt vmcnt(0)
	ds_write_b64 v69, v[71:72]
	buffer_store_dword v70, off, s[0:3], 0 offset:104
	buffer_store_dword v70, off, s[0:3], 0 offset:108
.LBB97_185:
	s_or_b64 exec, exec, s[4:5]
	s_waitcnt lgkmcnt(0)
	; wave barrier
	buffer_load_dword v79, off, s[0:3], 0 offset:112
	buffer_load_dword v80, off, s[0:3], 0 offset:116
	;; [unrolled: 1-line block ×22, first 2 shown]
	ds_read_b128 v[71:74], v70 offset:384
	ds_read_b128 v[75:78], v70 offset:400
	v_cmp_lt_u32_e32 vcc, 12, v0
	s_waitcnt vmcnt(20) lgkmcnt(1)
	v_fma_f64 v[71:72], v[79:80], v[71:72], 0
	s_waitcnt vmcnt(18)
	v_fma_f64 v[71:72], v[81:82], v[73:74], v[71:72]
	buffer_load_dword v80, off, s[0:3], 0 offset:204
	buffer_load_dword v81, off, s[0:3], 0 offset:224
	;; [unrolled: 1-line block ×7, first 2 shown]
	s_waitcnt vmcnt(23) lgkmcnt(0)
	v_fma_f64 v[71:72], v[83:84], v[75:76], v[71:72]
	s_waitcnt vmcnt(21)
	v_fma_f64 v[82:83], v[85:86], v[77:78], v[71:72]
	ds_read_b128 v[71:74], v70 offset:416
	ds_read_b128 v[75:78], v70 offset:432
	s_waitcnt vmcnt(19) lgkmcnt(1)
	v_fma_f64 v[71:72], v[87:88], v[71:72], v[82:83]
	buffer_load_dword v82, off, s[0:3], 0 offset:228
	s_waitcnt vmcnt(18)
	v_fma_f64 v[71:72], v[89:90], v[73:74], v[71:72]
	buffer_load_dword v84, off, s[0:3], 0 offset:236
	buffer_load_dword v85, off, s[0:3], 0 offset:256
	;; [unrolled: 1-line block ×8, first 2 shown]
	s_waitcnt vmcnt(24) lgkmcnt(0)
	v_fma_f64 v[71:72], v[91:92], v[75:76], v[71:72]
	s_waitcnt vmcnt(19)
	v_fma_f64 v[91:92], v[93:94], v[77:78], v[71:72]
	ds_read_b128 v[71:74], v70 offset:448
	ds_read_b128 v[75:78], v70 offset:464
	s_waitcnt vmcnt(18) lgkmcnt(1)
	v_fma_f64 v[71:72], v[99:100], v[71:72], v[91:92]
	buffer_load_dword v92, off, s[0:3], 0 offset:268
	buffer_load_dword v91, off, s[0:3], 0 offset:264
	buffer_load_dword v93, off, s[0:3], 0 offset:104
	buffer_load_dword v94, off, s[0:3], 0 offset:108
	s_waitcnt vmcnt(21)
	v_fma_f64 v[71:72], v[97:98], v[73:74], v[71:72]
	s_waitcnt vmcnt(20) lgkmcnt(0)
	v_fma_f64 v[71:72], v[95:96], v[75:76], v[71:72]
	s_waitcnt vmcnt(15)
	v_fma_f64 v[79:80], v[79:80], v[77:78], v[71:72]
	ds_read_b128 v[71:74], v70 offset:480
	ds_read_b128 v[75:78], v70 offset:496
	s_waitcnt vmcnt(14) lgkmcnt(1)
	v_fma_f64 v[71:72], v[103:104], v[71:72], v[79:80]
	s_waitcnt vmcnt(13)
	v_fma_f64 v[71:72], v[101:102], v[73:74], v[71:72]
	s_waitcnt vmcnt(12) lgkmcnt(0)
	v_fma_f64 v[71:72], v[81:82], v[75:76], v[71:72]
	s_waitcnt vmcnt(7)
	v_fma_f64 v[79:80], v[83:84], v[77:78], v[71:72]
	ds_read_b128 v[71:74], v70 offset:512
	ds_read_b128 v[75:78], v70 offset:528
	s_waitcnt vmcnt(6) lgkmcnt(1)
	v_fma_f64 v[70:71], v[89:90], v[71:72], v[79:80]
	s_waitcnt vmcnt(5)
	v_fma_f64 v[70:71], v[87:88], v[73:74], v[70:71]
	s_waitcnt vmcnt(4) lgkmcnt(0)
	v_fma_f64 v[70:71], v[85:86], v[75:76], v[70:71]
	s_waitcnt vmcnt(2)
	v_fma_f64 v[70:71], v[91:92], v[77:78], v[70:71]
	s_waitcnt vmcnt(0)
	v_add_f64 v[70:71], v[93:94], -v[70:71]
	buffer_store_dword v71, off, s[0:3], 0 offset:108
	buffer_store_dword v70, off, s[0:3], 0 offset:104
	s_and_saveexec_b64 s[4:5], vcc
	s_cbranch_execz .LBB97_187
; %bb.186:
	buffer_load_dword v70, off, s[0:3], 0 offset:96
	buffer_load_dword v71, off, s[0:3], 0 offset:100
	v_mov_b32_e32 v72, 0
	buffer_store_dword v72, off, s[0:3], 0 offset:96
	buffer_store_dword v72, off, s[0:3], 0 offset:100
	s_waitcnt vmcnt(2)
	ds_write_b64 v69, v[70:71]
.LBB97_187:
	s_or_b64 exec, exec, s[4:5]
	s_waitcnt lgkmcnt(0)
	; wave barrier
	buffer_load_dword v79, off, s[0:3], 0 offset:104
	buffer_load_dword v80, off, s[0:3], 0 offset:108
	;; [unrolled: 1-line block ×21, first 2 shown]
	v_mov_b32_e32 v70, 0
	ds_read2_b64 v[71:74], v70 offset0:47 offset1:48
	ds_read2_b64 v[75:78], v70 offset0:49 offset1:50
	buffer_load_dword v96, off, s[0:3], 0 offset:188
	v_cmp_lt_u32_e32 vcc, 11, v0
	s_waitcnt vmcnt(20) lgkmcnt(1)
	v_fma_f64 v[71:72], v[79:80], v[71:72], 0
	s_waitcnt vmcnt(18)
	v_fma_f64 v[71:72], v[81:82], v[73:74], v[71:72]
	buffer_load_dword v80, off, s[0:3], 0 offset:196
	buffer_load_dword v81, off, s[0:3], 0 offset:216
	;; [unrolled: 1-line block ×7, first 2 shown]
	s_waitcnt vmcnt(23) lgkmcnt(0)
	v_fma_f64 v[71:72], v[83:84], v[75:76], v[71:72]
	s_waitcnt vmcnt(21)
	v_fma_f64 v[82:83], v[85:86], v[77:78], v[71:72]
	ds_read2_b64 v[71:74], v70 offset0:51 offset1:52
	ds_read2_b64 v[75:78], v70 offset0:53 offset1:54
	s_waitcnt vmcnt(19) lgkmcnt(1)
	v_fma_f64 v[71:72], v[87:88], v[71:72], v[82:83]
	buffer_load_dword v82, off, s[0:3], 0 offset:220
	s_waitcnt vmcnt(18)
	v_fma_f64 v[71:72], v[89:90], v[73:74], v[71:72]
	buffer_load_dword v84, off, s[0:3], 0 offset:228
	buffer_load_dword v85, off, s[0:3], 0 offset:248
	;; [unrolled: 1-line block ×7, first 2 shown]
	s_waitcnt vmcnt(23) lgkmcnt(0)
	v_fma_f64 v[71:72], v[91:92], v[75:76], v[71:72]
	s_waitcnt vmcnt(18)
	v_fma_f64 v[91:92], v[93:94], v[77:78], v[71:72]
	ds_read2_b64 v[71:74], v70 offset0:55 offset1:56
	ds_read2_b64 v[75:78], v70 offset0:57 offset1:58
	buffer_load_dword v86, off, s[0:3], 0 offset:252
	s_waitcnt vmcnt(18) lgkmcnt(1)
	v_fma_f64 v[71:72], v[99:100], v[71:72], v[91:92]
	buffer_load_dword v92, off, s[0:3], 0 offset:260
	buffer_load_dword v93, off, s[0:3], 0 offset:264
	;; [unrolled: 1-line block ×4, first 2 shown]
	s_waitcnt vmcnt(21)
	v_fma_f64 v[71:72], v[97:98], v[73:74], v[71:72]
	s_waitcnt vmcnt(20) lgkmcnt(0)
	v_fma_f64 v[71:72], v[95:96], v[75:76], v[71:72]
	buffer_load_dword v95, off, s[0:3], 0 offset:96
	buffer_load_dword v96, off, s[0:3], 0 offset:100
	s_waitcnt vmcnt(17)
	v_fma_f64 v[79:80], v[79:80], v[77:78], v[71:72]
	ds_read2_b64 v[71:74], v70 offset0:59 offset1:60
	ds_read2_b64 v[75:78], v70 offset0:61 offset1:62
	s_waitcnt vmcnt(16) lgkmcnt(1)
	v_fma_f64 v[71:72], v[103:104], v[71:72], v[79:80]
	s_waitcnt vmcnt(15)
	v_fma_f64 v[71:72], v[101:102], v[73:74], v[71:72]
	s_waitcnt vmcnt(14) lgkmcnt(0)
	v_fma_f64 v[71:72], v[81:82], v[75:76], v[71:72]
	s_waitcnt vmcnt(9)
	v_fma_f64 v[79:80], v[83:84], v[77:78], v[71:72]
	ds_read2_b64 v[71:74], v70 offset0:63 offset1:64
	ds_read2_b64 v[75:78], v70 offset0:65 offset1:66
	s_waitcnt vmcnt(8) lgkmcnt(1)
	v_fma_f64 v[71:72], v[89:90], v[71:72], v[79:80]
	s_waitcnt vmcnt(7)
	v_fma_f64 v[71:72], v[87:88], v[73:74], v[71:72]
	ds_read_b64 v[73:74], v70 offset:536
	s_waitcnt vmcnt(6) lgkmcnt(1)
	v_fma_f64 v[71:72], v[85:86], v[75:76], v[71:72]
	s_waitcnt vmcnt(3)
	v_fma_f64 v[71:72], v[91:92], v[77:78], v[71:72]
	s_waitcnt vmcnt(2) lgkmcnt(0)
	v_fma_f64 v[71:72], v[93:94], v[73:74], v[71:72]
	s_waitcnt vmcnt(0)
	v_add_f64 v[71:72], v[95:96], -v[71:72]
	buffer_store_dword v72, off, s[0:3], 0 offset:100
	buffer_store_dword v71, off, s[0:3], 0 offset:96
	s_and_saveexec_b64 s[4:5], vcc
	s_cbranch_execz .LBB97_189
; %bb.188:
	buffer_load_dword v71, off, s[0:3], 0 offset:88
	buffer_load_dword v72, off, s[0:3], 0 offset:92
	s_waitcnt vmcnt(0)
	ds_write_b64 v69, v[71:72]
	buffer_store_dword v70, off, s[0:3], 0 offset:88
	buffer_store_dword v70, off, s[0:3], 0 offset:92
.LBB97_189:
	s_or_b64 exec, exec, s[4:5]
	s_waitcnt lgkmcnt(0)
	; wave barrier
	buffer_load_dword v79, off, s[0:3], 0 offset:96
	buffer_load_dword v80, off, s[0:3], 0 offset:100
	;; [unrolled: 1-line block ×21, first 2 shown]
	ds_read_b128 v[71:74], v70 offset:368
	ds_read_b128 v[75:78], v70 offset:384
	buffer_load_dword v96, off, s[0:3], 0 offset:180
	v_cmp_lt_u32_e32 vcc, 10, v0
	s_waitcnt vmcnt(20) lgkmcnt(1)
	v_fma_f64 v[71:72], v[79:80], v[71:72], 0
	s_waitcnt vmcnt(18)
	v_fma_f64 v[71:72], v[81:82], v[73:74], v[71:72]
	buffer_load_dword v80, off, s[0:3], 0 offset:188
	buffer_load_dword v81, off, s[0:3], 0 offset:208
	;; [unrolled: 1-line block ×7, first 2 shown]
	s_waitcnt vmcnt(23) lgkmcnt(0)
	v_fma_f64 v[71:72], v[83:84], v[75:76], v[71:72]
	s_waitcnt vmcnt(21)
	v_fma_f64 v[82:83], v[85:86], v[77:78], v[71:72]
	ds_read_b128 v[71:74], v70 offset:400
	ds_read_b128 v[75:78], v70 offset:416
	s_waitcnt vmcnt(19) lgkmcnt(1)
	v_fma_f64 v[71:72], v[87:88], v[71:72], v[82:83]
	buffer_load_dword v82, off, s[0:3], 0 offset:212
	s_waitcnt vmcnt(18)
	v_fma_f64 v[71:72], v[89:90], v[73:74], v[71:72]
	buffer_load_dword v84, off, s[0:3], 0 offset:220
	buffer_load_dword v85, off, s[0:3], 0 offset:240
	;; [unrolled: 1-line block ×8, first 2 shown]
	s_waitcnt vmcnt(24) lgkmcnt(0)
	v_fma_f64 v[71:72], v[91:92], v[75:76], v[71:72]
	s_waitcnt vmcnt(19)
	v_fma_f64 v[91:92], v[93:94], v[77:78], v[71:72]
	ds_read_b128 v[71:74], v70 offset:432
	ds_read_b128 v[75:78], v70 offset:448
	s_waitcnt vmcnt(18) lgkmcnt(1)
	v_fma_f64 v[71:72], v[99:100], v[71:72], v[91:92]
	s_waitcnt vmcnt(17)
	v_fma_f64 v[71:72], v[97:98], v[73:74], v[71:72]
	buffer_load_dword v92, off, s[0:3], 0 offset:252
	buffer_load_dword v93, off, s[0:3], 0 offset:264
	;; [unrolled: 1-line block ×6, first 2 shown]
	s_waitcnt vmcnt(22) lgkmcnt(0)
	v_fma_f64 v[71:72], v[95:96], v[75:76], v[71:72]
	s_waitcnt vmcnt(17)
	v_fma_f64 v[79:80], v[79:80], v[77:78], v[71:72]
	ds_read_b128 v[71:74], v70 offset:464
	buffer_load_dword v95, off, s[0:3], 0 offset:88
	buffer_load_dword v96, off, s[0:3], 0 offset:92
	ds_read_b128 v[75:78], v70 offset:480
	s_waitcnt vmcnt(18) lgkmcnt(1)
	v_fma_f64 v[71:72], v[103:104], v[71:72], v[79:80]
	s_waitcnt vmcnt(17)
	v_fma_f64 v[71:72], v[101:102], v[73:74], v[71:72]
	s_waitcnt vmcnt(16) lgkmcnt(0)
	v_fma_f64 v[71:72], v[81:82], v[75:76], v[71:72]
	s_waitcnt vmcnt(11)
	v_fma_f64 v[79:80], v[83:84], v[77:78], v[71:72]
	ds_read_b128 v[71:74], v70 offset:496
	ds_read_b128 v[75:78], v70 offset:512
	s_waitcnt vmcnt(10) lgkmcnt(1)
	v_fma_f64 v[71:72], v[89:90], v[71:72], v[79:80]
	s_waitcnt vmcnt(9)
	v_fma_f64 v[71:72], v[87:88], v[73:74], v[71:72]
	s_waitcnt vmcnt(8) lgkmcnt(0)
	v_fma_f64 v[71:72], v[85:86], v[75:76], v[71:72]
	s_waitcnt vmcnt(4)
	v_fma_f64 v[74:75], v[91:92], v[77:78], v[71:72]
	ds_read_b128 v[70:73], v70 offset:528
	s_waitcnt vmcnt(3) lgkmcnt(0)
	v_fma_f64 v[70:71], v[97:98], v[70:71], v[74:75]
	s_waitcnt vmcnt(2)
	v_fma_f64 v[70:71], v[93:94], v[72:73], v[70:71]
	s_waitcnt vmcnt(0)
	v_add_f64 v[70:71], v[95:96], -v[70:71]
	buffer_store_dword v71, off, s[0:3], 0 offset:92
	buffer_store_dword v70, off, s[0:3], 0 offset:88
	s_and_saveexec_b64 s[4:5], vcc
	s_cbranch_execz .LBB97_191
; %bb.190:
	buffer_load_dword v70, off, s[0:3], 0 offset:80
	buffer_load_dword v71, off, s[0:3], 0 offset:84
	v_mov_b32_e32 v72, 0
	buffer_store_dword v72, off, s[0:3], 0 offset:80
	buffer_store_dword v72, off, s[0:3], 0 offset:84
	s_waitcnt vmcnt(2)
	ds_write_b64 v69, v[70:71]
.LBB97_191:
	s_or_b64 exec, exec, s[4:5]
	s_waitcnt lgkmcnt(0)
	; wave barrier
	buffer_load_dword v79, off, s[0:3], 0 offset:88
	buffer_load_dword v80, off, s[0:3], 0 offset:92
	;; [unrolled: 1-line block ×21, first 2 shown]
	v_mov_b32_e32 v70, 0
	ds_read2_b64 v[71:74], v70 offset0:45 offset1:46
	ds_read2_b64 v[75:78], v70 offset0:47 offset1:48
	buffer_load_dword v96, off, s[0:3], 0 offset:172
	v_cmp_lt_u32_e32 vcc, 9, v0
	s_waitcnt vmcnt(20) lgkmcnt(1)
	v_fma_f64 v[71:72], v[79:80], v[71:72], 0
	s_waitcnt vmcnt(18)
	v_fma_f64 v[71:72], v[81:82], v[73:74], v[71:72]
	buffer_load_dword v80, off, s[0:3], 0 offset:180
	buffer_load_dword v81, off, s[0:3], 0 offset:200
	;; [unrolled: 1-line block ×7, first 2 shown]
	s_waitcnt vmcnt(23) lgkmcnt(0)
	v_fma_f64 v[71:72], v[83:84], v[75:76], v[71:72]
	s_waitcnt vmcnt(21)
	v_fma_f64 v[82:83], v[85:86], v[77:78], v[71:72]
	ds_read2_b64 v[71:74], v70 offset0:49 offset1:50
	ds_read2_b64 v[75:78], v70 offset0:51 offset1:52
	s_waitcnt vmcnt(19) lgkmcnt(1)
	v_fma_f64 v[71:72], v[87:88], v[71:72], v[82:83]
	buffer_load_dword v82, off, s[0:3], 0 offset:204
	s_waitcnt vmcnt(18)
	v_fma_f64 v[71:72], v[89:90], v[73:74], v[71:72]
	buffer_load_dword v84, off, s[0:3], 0 offset:212
	buffer_load_dword v85, off, s[0:3], 0 offset:232
	buffer_load_dword v87, off, s[0:3], 0 offset:224
	buffer_load_dword v89, off, s[0:3], 0 offset:216
	buffer_load_dword v83, off, s[0:3], 0 offset:208
	buffer_load_dword v90, off, s[0:3], 0 offset:220
	buffer_load_dword v88, off, s[0:3], 0 offset:228
	buffer_load_dword v86, off, s[0:3], 0 offset:236
	s_waitcnt vmcnt(24) lgkmcnt(0)
	v_fma_f64 v[71:72], v[91:92], v[75:76], v[71:72]
	s_waitcnt vmcnt(19)
	v_fma_f64 v[91:92], v[93:94], v[77:78], v[71:72]
	ds_read2_b64 v[71:74], v70 offset0:53 offset1:54
	ds_read2_b64 v[75:78], v70 offset0:55 offset1:56
	s_waitcnt vmcnt(18) lgkmcnt(1)
	v_fma_f64 v[71:72], v[99:100], v[71:72], v[91:92]
	s_waitcnt vmcnt(17)
	v_fma_f64 v[71:72], v[97:98], v[73:74], v[71:72]
	buffer_load_dword v92, off, s[0:3], 0 offset:244
	buffer_load_dword v93, off, s[0:3], 0 offset:264
	;; [unrolled: 1-line block ×8, first 2 shown]
	s_waitcnt vmcnt(24) lgkmcnt(0)
	v_fma_f64 v[71:72], v[95:96], v[75:76], v[71:72]
	s_waitcnt vmcnt(19)
	v_fma_f64 v[79:80], v[79:80], v[77:78], v[71:72]
	ds_read2_b64 v[71:74], v70 offset0:57 offset1:58
	ds_read2_b64 v[75:78], v70 offset0:59 offset1:60
	s_waitcnt vmcnt(18) lgkmcnt(1)
	v_fma_f64 v[71:72], v[103:104], v[71:72], v[79:80]
	buffer_load_dword v79, off, s[0:3], 0 offset:80
	buffer_load_dword v80, off, s[0:3], 0 offset:84
	s_waitcnt vmcnt(19)
	v_fma_f64 v[71:72], v[101:102], v[73:74], v[71:72]
	s_waitcnt vmcnt(18) lgkmcnt(0)
	v_fma_f64 v[71:72], v[81:82], v[75:76], v[71:72]
	s_waitcnt vmcnt(13)
	v_fma_f64 v[81:82], v[83:84], v[77:78], v[71:72]
	ds_read2_b64 v[71:74], v70 offset0:61 offset1:62
	ds_read2_b64 v[75:78], v70 offset0:63 offset1:64
	s_waitcnt vmcnt(12) lgkmcnt(1)
	v_fma_f64 v[71:72], v[89:90], v[71:72], v[81:82]
	s_waitcnt vmcnt(11)
	v_fma_f64 v[71:72], v[87:88], v[73:74], v[71:72]
	s_waitcnt vmcnt(10) lgkmcnt(0)
	v_fma_f64 v[71:72], v[85:86], v[75:76], v[71:72]
	s_waitcnt vmcnt(5)
	v_fma_f64 v[75:76], v[91:92], v[77:78], v[71:72]
	ds_read2_b64 v[71:74], v70 offset0:65 offset1:66
	ds_read_b64 v[77:78], v70 offset:536
	s_waitcnt vmcnt(4) lgkmcnt(1)
	v_fma_f64 v[71:72], v[99:100], v[71:72], v[75:76]
	s_waitcnt vmcnt(3)
	v_fma_f64 v[71:72], v[97:98], v[73:74], v[71:72]
	s_waitcnt vmcnt(2) lgkmcnt(0)
	v_fma_f64 v[71:72], v[93:94], v[77:78], v[71:72]
	s_waitcnt vmcnt(0)
	v_add_f64 v[71:72], v[79:80], -v[71:72]
	buffer_store_dword v72, off, s[0:3], 0 offset:84
	buffer_store_dword v71, off, s[0:3], 0 offset:80
	s_and_saveexec_b64 s[4:5], vcc
	s_cbranch_execz .LBB97_193
; %bb.192:
	buffer_load_dword v71, off, s[0:3], 0 offset:72
	buffer_load_dword v72, off, s[0:3], 0 offset:76
	s_waitcnt vmcnt(0)
	ds_write_b64 v69, v[71:72]
	buffer_store_dword v70, off, s[0:3], 0 offset:72
	buffer_store_dword v70, off, s[0:3], 0 offset:76
.LBB97_193:
	s_or_b64 exec, exec, s[4:5]
	s_waitcnt lgkmcnt(0)
	; wave barrier
	buffer_load_dword v79, off, s[0:3], 0 offset:80
	buffer_load_dword v80, off, s[0:3], 0 offset:84
	;; [unrolled: 1-line block ×21, first 2 shown]
	ds_read_b128 v[71:74], v70 offset:352
	ds_read_b128 v[75:78], v70 offset:368
	buffer_load_dword v96, off, s[0:3], 0 offset:164
	v_cmp_lt_u32_e32 vcc, 8, v0
	s_waitcnt vmcnt(20) lgkmcnt(1)
	v_fma_f64 v[71:72], v[79:80], v[71:72], 0
	s_waitcnt vmcnt(18)
	v_fma_f64 v[71:72], v[81:82], v[73:74], v[71:72]
	buffer_load_dword v80, off, s[0:3], 0 offset:172
	buffer_load_dword v81, off, s[0:3], 0 offset:192
	;; [unrolled: 1-line block ×7, first 2 shown]
	s_waitcnt vmcnt(23) lgkmcnt(0)
	v_fma_f64 v[71:72], v[83:84], v[75:76], v[71:72]
	s_waitcnt vmcnt(21)
	v_fma_f64 v[82:83], v[85:86], v[77:78], v[71:72]
	ds_read_b128 v[71:74], v70 offset:384
	ds_read_b128 v[75:78], v70 offset:400
	s_waitcnt vmcnt(19) lgkmcnt(1)
	v_fma_f64 v[71:72], v[87:88], v[71:72], v[82:83]
	buffer_load_dword v82, off, s[0:3], 0 offset:196
	s_waitcnt vmcnt(18)
	v_fma_f64 v[71:72], v[89:90], v[73:74], v[71:72]
	buffer_load_dword v84, off, s[0:3], 0 offset:204
	buffer_load_dword v85, off, s[0:3], 0 offset:224
	;; [unrolled: 1-line block ×8, first 2 shown]
	s_waitcnt vmcnt(24) lgkmcnt(0)
	v_fma_f64 v[71:72], v[91:92], v[75:76], v[71:72]
	s_waitcnt vmcnt(19)
	v_fma_f64 v[91:92], v[93:94], v[77:78], v[71:72]
	ds_read_b128 v[71:74], v70 offset:416
	ds_read_b128 v[75:78], v70 offset:432
	s_waitcnt vmcnt(18) lgkmcnt(1)
	v_fma_f64 v[71:72], v[99:100], v[71:72], v[91:92]
	s_waitcnt vmcnt(17)
	v_fma_f64 v[71:72], v[97:98], v[73:74], v[71:72]
	buffer_load_dword v92, off, s[0:3], 0 offset:236
	buffer_load_dword v93, off, s[0:3], 0 offset:256
	;; [unrolled: 1-line block ×8, first 2 shown]
	s_waitcnt vmcnt(24) lgkmcnt(0)
	v_fma_f64 v[71:72], v[95:96], v[75:76], v[71:72]
	s_waitcnt vmcnt(19)
	v_fma_f64 v[79:80], v[79:80], v[77:78], v[71:72]
	ds_read_b128 v[71:74], v70 offset:448
	ds_read_b128 v[75:78], v70 offset:464
	s_waitcnt vmcnt(18) lgkmcnt(1)
	v_fma_f64 v[71:72], v[103:104], v[71:72], v[79:80]
	buffer_load_dword v80, off, s[0:3], 0 offset:268
	buffer_load_dword v79, off, s[0:3], 0 offset:264
	;; [unrolled: 1-line block ×4, first 2 shown]
	s_waitcnt vmcnt(21)
	v_fma_f64 v[71:72], v[101:102], v[73:74], v[71:72]
	s_waitcnt vmcnt(20) lgkmcnt(0)
	v_fma_f64 v[71:72], v[81:82], v[75:76], v[71:72]
	s_waitcnt vmcnt(15)
	v_fma_f64 v[81:82], v[83:84], v[77:78], v[71:72]
	ds_read_b128 v[71:74], v70 offset:480
	ds_read_b128 v[75:78], v70 offset:496
	s_waitcnt vmcnt(14) lgkmcnt(1)
	v_fma_f64 v[71:72], v[89:90], v[71:72], v[81:82]
	s_waitcnt vmcnt(13)
	v_fma_f64 v[71:72], v[87:88], v[73:74], v[71:72]
	s_waitcnt vmcnt(12) lgkmcnt(0)
	v_fma_f64 v[71:72], v[85:86], v[75:76], v[71:72]
	s_waitcnt vmcnt(7)
	v_fma_f64 v[81:82], v[91:92], v[77:78], v[71:72]
	ds_read_b128 v[71:74], v70 offset:512
	ds_read_b128 v[75:78], v70 offset:528
	s_waitcnt vmcnt(6) lgkmcnt(1)
	v_fma_f64 v[70:71], v[99:100], v[71:72], v[81:82]
	s_waitcnt vmcnt(5)
	v_fma_f64 v[70:71], v[97:98], v[73:74], v[70:71]
	s_waitcnt vmcnt(4) lgkmcnt(0)
	v_fma_f64 v[70:71], v[93:94], v[75:76], v[70:71]
	s_waitcnt vmcnt(2)
	v_fma_f64 v[70:71], v[79:80], v[77:78], v[70:71]
	s_waitcnt vmcnt(0)
	v_add_f64 v[70:71], v[95:96], -v[70:71]
	buffer_store_dword v71, off, s[0:3], 0 offset:76
	buffer_store_dword v70, off, s[0:3], 0 offset:72
	s_and_saveexec_b64 s[4:5], vcc
	s_cbranch_execz .LBB97_195
; %bb.194:
	buffer_load_dword v70, off, s[0:3], 0 offset:64
	buffer_load_dword v71, off, s[0:3], 0 offset:68
	v_mov_b32_e32 v72, 0
	buffer_store_dword v72, off, s[0:3], 0 offset:64
	buffer_store_dword v72, off, s[0:3], 0 offset:68
	s_waitcnt vmcnt(2)
	ds_write_b64 v69, v[70:71]
.LBB97_195:
	s_or_b64 exec, exec, s[4:5]
	s_waitcnt lgkmcnt(0)
	; wave barrier
	buffer_load_dword v79, off, s[0:3], 0 offset:72
	buffer_load_dword v80, off, s[0:3], 0 offset:76
	;; [unrolled: 1-line block ×21, first 2 shown]
	v_mov_b32_e32 v70, 0
	ds_read2_b64 v[71:74], v70 offset0:43 offset1:44
	ds_read2_b64 v[75:78], v70 offset0:45 offset1:46
	buffer_load_dword v96, off, s[0:3], 0 offset:156
	v_cmp_lt_u32_e32 vcc, 7, v0
	s_waitcnt vmcnt(20) lgkmcnt(1)
	v_fma_f64 v[71:72], v[79:80], v[71:72], 0
	s_waitcnt vmcnt(18)
	v_fma_f64 v[71:72], v[81:82], v[73:74], v[71:72]
	buffer_load_dword v80, off, s[0:3], 0 offset:164
	buffer_load_dword v81, off, s[0:3], 0 offset:184
	;; [unrolled: 1-line block ×7, first 2 shown]
	s_waitcnt vmcnt(23) lgkmcnt(0)
	v_fma_f64 v[71:72], v[83:84], v[75:76], v[71:72]
	s_waitcnt vmcnt(21)
	v_fma_f64 v[82:83], v[85:86], v[77:78], v[71:72]
	ds_read2_b64 v[71:74], v70 offset0:47 offset1:48
	ds_read2_b64 v[75:78], v70 offset0:49 offset1:50
	s_waitcnt vmcnt(19) lgkmcnt(1)
	v_fma_f64 v[71:72], v[87:88], v[71:72], v[82:83]
	buffer_load_dword v82, off, s[0:3], 0 offset:188
	s_waitcnt vmcnt(18)
	v_fma_f64 v[71:72], v[89:90], v[73:74], v[71:72]
	buffer_load_dword v84, off, s[0:3], 0 offset:196
	buffer_load_dword v85, off, s[0:3], 0 offset:216
	buffer_load_dword v87, off, s[0:3], 0 offset:208
	buffer_load_dword v89, off, s[0:3], 0 offset:200
	buffer_load_dword v83, off, s[0:3], 0 offset:192
	buffer_load_dword v90, off, s[0:3], 0 offset:204
	buffer_load_dword v88, off, s[0:3], 0 offset:212
	buffer_load_dword v86, off, s[0:3], 0 offset:220
	s_waitcnt vmcnt(24) lgkmcnt(0)
	v_fma_f64 v[71:72], v[91:92], v[75:76], v[71:72]
	s_waitcnt vmcnt(19)
	v_fma_f64 v[91:92], v[93:94], v[77:78], v[71:72]
	ds_read2_b64 v[71:74], v70 offset0:51 offset1:52
	ds_read2_b64 v[75:78], v70 offset0:53 offset1:54
	s_waitcnt vmcnt(18) lgkmcnt(1)
	v_fma_f64 v[71:72], v[99:100], v[71:72], v[91:92]
	s_waitcnt vmcnt(17)
	v_fma_f64 v[71:72], v[97:98], v[73:74], v[71:72]
	buffer_load_dword v92, off, s[0:3], 0 offset:228
	buffer_load_dword v93, off, s[0:3], 0 offset:248
	buffer_load_dword v97, off, s[0:3], 0 offset:240
	buffer_load_dword v99, off, s[0:3], 0 offset:232
	buffer_load_dword v91, off, s[0:3], 0 offset:224
	buffer_load_dword v100, off, s[0:3], 0 offset:236
	buffer_load_dword v98, off, s[0:3], 0 offset:244
	s_waitcnt vmcnt(23) lgkmcnt(0)
	v_fma_f64 v[71:72], v[95:96], v[75:76], v[71:72]
	s_waitcnt vmcnt(18)
	v_fma_f64 v[79:80], v[79:80], v[77:78], v[71:72]
	ds_read2_b64 v[71:74], v70 offset0:55 offset1:56
	ds_read2_b64 v[75:78], v70 offset0:57 offset1:58
	buffer_load_dword v94, off, s[0:3], 0 offset:252
	s_waitcnt vmcnt(18) lgkmcnt(1)
	v_fma_f64 v[71:72], v[103:104], v[71:72], v[79:80]
	buffer_load_dword v80, off, s[0:3], 0 offset:260
	buffer_load_dword v95, off, s[0:3], 0 offset:264
	;; [unrolled: 1-line block ×4, first 2 shown]
	s_waitcnt vmcnt(21)
	v_fma_f64 v[71:72], v[101:102], v[73:74], v[71:72]
	s_waitcnt vmcnt(20) lgkmcnt(0)
	v_fma_f64 v[71:72], v[81:82], v[75:76], v[71:72]
	buffer_load_dword v81, off, s[0:3], 0 offset:64
	buffer_load_dword v82, off, s[0:3], 0 offset:68
	s_waitcnt vmcnt(17)
	v_fma_f64 v[83:84], v[83:84], v[77:78], v[71:72]
	ds_read2_b64 v[71:74], v70 offset0:59 offset1:60
	ds_read2_b64 v[75:78], v70 offset0:61 offset1:62
	s_waitcnt vmcnt(16) lgkmcnt(1)
	v_fma_f64 v[71:72], v[89:90], v[71:72], v[83:84]
	s_waitcnt vmcnt(15)
	v_fma_f64 v[71:72], v[87:88], v[73:74], v[71:72]
	s_waitcnt vmcnt(14) lgkmcnt(0)
	v_fma_f64 v[71:72], v[85:86], v[75:76], v[71:72]
	s_waitcnt vmcnt(9)
	v_fma_f64 v[83:84], v[91:92], v[77:78], v[71:72]
	ds_read2_b64 v[71:74], v70 offset0:63 offset1:64
	ds_read2_b64 v[75:78], v70 offset0:65 offset1:66
	s_waitcnt vmcnt(8) lgkmcnt(1)
	v_fma_f64 v[71:72], v[99:100], v[71:72], v[83:84]
	s_waitcnt vmcnt(7)
	v_fma_f64 v[71:72], v[97:98], v[73:74], v[71:72]
	ds_read_b64 v[73:74], v70 offset:536
	s_waitcnt vmcnt(6) lgkmcnt(1)
	v_fma_f64 v[71:72], v[93:94], v[75:76], v[71:72]
	s_waitcnt vmcnt(3)
	v_fma_f64 v[71:72], v[79:80], v[77:78], v[71:72]
	s_waitcnt vmcnt(2) lgkmcnt(0)
	v_fma_f64 v[71:72], v[95:96], v[73:74], v[71:72]
	s_waitcnt vmcnt(0)
	v_add_f64 v[71:72], v[81:82], -v[71:72]
	buffer_store_dword v72, off, s[0:3], 0 offset:68
	buffer_store_dword v71, off, s[0:3], 0 offset:64
	s_and_saveexec_b64 s[4:5], vcc
	s_cbranch_execz .LBB97_197
; %bb.196:
	buffer_load_dword v71, off, s[0:3], 0 offset:56
	buffer_load_dword v72, off, s[0:3], 0 offset:60
	s_waitcnt vmcnt(0)
	ds_write_b64 v69, v[71:72]
	buffer_store_dword v70, off, s[0:3], 0 offset:56
	buffer_store_dword v70, off, s[0:3], 0 offset:60
.LBB97_197:
	s_or_b64 exec, exec, s[4:5]
	s_waitcnt lgkmcnt(0)
	; wave barrier
	buffer_load_dword v79, off, s[0:3], 0 offset:64
	buffer_load_dword v80, off, s[0:3], 0 offset:68
	;; [unrolled: 1-line block ×22, first 2 shown]
	ds_read_b128 v[71:74], v70 offset:336
	ds_read_b128 v[75:78], v70 offset:352
	v_cmp_lt_u32_e32 vcc, 6, v0
	s_waitcnt vmcnt(20) lgkmcnt(1)
	v_fma_f64 v[71:72], v[79:80], v[71:72], 0
	s_waitcnt vmcnt(18)
	v_fma_f64 v[71:72], v[81:82], v[73:74], v[71:72]
	buffer_load_dword v80, off, s[0:3], 0 offset:156
	buffer_load_dword v81, off, s[0:3], 0 offset:176
	;; [unrolled: 1-line block ×7, first 2 shown]
	s_waitcnt vmcnt(23) lgkmcnt(0)
	v_fma_f64 v[71:72], v[83:84], v[75:76], v[71:72]
	s_waitcnt vmcnt(21)
	v_fma_f64 v[82:83], v[85:86], v[77:78], v[71:72]
	ds_read_b128 v[71:74], v70 offset:368
	ds_read_b128 v[75:78], v70 offset:384
	s_waitcnt vmcnt(19) lgkmcnt(1)
	v_fma_f64 v[71:72], v[87:88], v[71:72], v[82:83]
	buffer_load_dword v82, off, s[0:3], 0 offset:180
	s_waitcnt vmcnt(18)
	v_fma_f64 v[71:72], v[89:90], v[73:74], v[71:72]
	buffer_load_dword v84, off, s[0:3], 0 offset:188
	buffer_load_dword v85, off, s[0:3], 0 offset:208
	;; [unrolled: 1-line block ×8, first 2 shown]
	s_waitcnt vmcnt(24) lgkmcnt(0)
	v_fma_f64 v[71:72], v[91:92], v[75:76], v[71:72]
	s_waitcnt vmcnt(19)
	v_fma_f64 v[91:92], v[93:94], v[77:78], v[71:72]
	ds_read_b128 v[71:74], v70 offset:400
	ds_read_b128 v[75:78], v70 offset:416
	s_waitcnt vmcnt(18) lgkmcnt(1)
	v_fma_f64 v[71:72], v[99:100], v[71:72], v[91:92]
	s_waitcnt vmcnt(17)
	v_fma_f64 v[71:72], v[97:98], v[73:74], v[71:72]
	buffer_load_dword v92, off, s[0:3], 0 offset:220
	buffer_load_dword v93, off, s[0:3], 0 offset:240
	;; [unrolled: 1-line block ×8, first 2 shown]
	s_waitcnt vmcnt(24) lgkmcnt(0)
	v_fma_f64 v[71:72], v[95:96], v[75:76], v[71:72]
	s_waitcnt vmcnt(19)
	v_fma_f64 v[79:80], v[79:80], v[77:78], v[71:72]
	ds_read_b128 v[71:74], v70 offset:432
	ds_read_b128 v[75:78], v70 offset:448
	s_waitcnt vmcnt(18) lgkmcnt(1)
	v_fma_f64 v[71:72], v[103:104], v[71:72], v[79:80]
	s_waitcnt vmcnt(17)
	v_fma_f64 v[71:72], v[101:102], v[73:74], v[71:72]
	buffer_load_dword v80, off, s[0:3], 0 offset:252
	buffer_load_dword v95, off, s[0:3], 0 offset:264
	;; [unrolled: 1-line block ×6, first 2 shown]
	s_waitcnt vmcnt(22) lgkmcnt(0)
	v_fma_f64 v[71:72], v[81:82], v[75:76], v[71:72]
	s_waitcnt vmcnt(17)
	v_fma_f64 v[81:82], v[83:84], v[77:78], v[71:72]
	ds_read_b128 v[71:74], v70 offset:464
	buffer_load_dword v83, off, s[0:3], 0 offset:56
	buffer_load_dword v84, off, s[0:3], 0 offset:60
	ds_read_b128 v[75:78], v70 offset:480
	s_waitcnt vmcnt(18) lgkmcnt(1)
	v_fma_f64 v[71:72], v[89:90], v[71:72], v[81:82]
	s_waitcnt vmcnt(17)
	v_fma_f64 v[71:72], v[87:88], v[73:74], v[71:72]
	s_waitcnt vmcnt(16) lgkmcnt(0)
	v_fma_f64 v[71:72], v[85:86], v[75:76], v[71:72]
	s_waitcnt vmcnt(11)
	v_fma_f64 v[81:82], v[91:92], v[77:78], v[71:72]
	ds_read_b128 v[71:74], v70 offset:496
	ds_read_b128 v[75:78], v70 offset:512
	s_waitcnt vmcnt(10) lgkmcnt(1)
	v_fma_f64 v[71:72], v[99:100], v[71:72], v[81:82]
	s_waitcnt vmcnt(9)
	v_fma_f64 v[71:72], v[97:98], v[73:74], v[71:72]
	s_waitcnt vmcnt(8) lgkmcnt(0)
	v_fma_f64 v[71:72], v[93:94], v[75:76], v[71:72]
	s_waitcnt vmcnt(4)
	v_fma_f64 v[74:75], v[79:80], v[77:78], v[71:72]
	ds_read_b128 v[70:73], v70 offset:528
	s_waitcnt vmcnt(3) lgkmcnt(0)
	v_fma_f64 v[70:71], v[101:102], v[70:71], v[74:75]
	s_waitcnt vmcnt(2)
	v_fma_f64 v[70:71], v[95:96], v[72:73], v[70:71]
	s_waitcnt vmcnt(0)
	v_add_f64 v[70:71], v[83:84], -v[70:71]
	buffer_store_dword v71, off, s[0:3], 0 offset:60
	buffer_store_dword v70, off, s[0:3], 0 offset:56
	s_and_saveexec_b64 s[4:5], vcc
	s_cbranch_execz .LBB97_199
; %bb.198:
	buffer_load_dword v70, off, s[0:3], 0 offset:48
	buffer_load_dword v71, off, s[0:3], 0 offset:52
	v_mov_b32_e32 v72, 0
	buffer_store_dword v72, off, s[0:3], 0 offset:48
	buffer_store_dword v72, off, s[0:3], 0 offset:52
	s_waitcnt vmcnt(2)
	ds_write_b64 v69, v[70:71]
.LBB97_199:
	s_or_b64 exec, exec, s[4:5]
	s_waitcnt lgkmcnt(0)
	; wave barrier
	buffer_load_dword v79, off, s[0:3], 0 offset:56
	buffer_load_dword v80, off, s[0:3], 0 offset:60
	;; [unrolled: 1-line block ×22, first 2 shown]
	v_mov_b32_e32 v70, 0
	ds_read2_b64 v[71:74], v70 offset0:41 offset1:42
	ds_read2_b64 v[75:78], v70 offset0:43 offset1:44
	v_cmp_lt_u32_e32 vcc, 5, v0
	s_waitcnt vmcnt(20) lgkmcnt(1)
	v_fma_f64 v[71:72], v[79:80], v[71:72], 0
	s_waitcnt vmcnt(18)
	v_fma_f64 v[71:72], v[81:82], v[73:74], v[71:72]
	buffer_load_dword v80, off, s[0:3], 0 offset:148
	buffer_load_dword v81, off, s[0:3], 0 offset:168
	;; [unrolled: 1-line block ×7, first 2 shown]
	s_waitcnt vmcnt(23) lgkmcnt(0)
	v_fma_f64 v[71:72], v[83:84], v[75:76], v[71:72]
	s_waitcnt vmcnt(21)
	v_fma_f64 v[82:83], v[85:86], v[77:78], v[71:72]
	ds_read2_b64 v[71:74], v70 offset0:45 offset1:46
	ds_read2_b64 v[75:78], v70 offset0:47 offset1:48
	s_waitcnt vmcnt(19) lgkmcnt(1)
	v_fma_f64 v[71:72], v[87:88], v[71:72], v[82:83]
	buffer_load_dword v82, off, s[0:3], 0 offset:172
	s_waitcnt vmcnt(18)
	v_fma_f64 v[71:72], v[89:90], v[73:74], v[71:72]
	buffer_load_dword v84, off, s[0:3], 0 offset:180
	buffer_load_dword v85, off, s[0:3], 0 offset:200
	buffer_load_dword v87, off, s[0:3], 0 offset:192
	buffer_load_dword v89, off, s[0:3], 0 offset:184
	buffer_load_dword v83, off, s[0:3], 0 offset:176
	buffer_load_dword v90, off, s[0:3], 0 offset:188
	buffer_load_dword v88, off, s[0:3], 0 offset:196
	buffer_load_dword v86, off, s[0:3], 0 offset:204
	s_waitcnt vmcnt(24) lgkmcnt(0)
	v_fma_f64 v[71:72], v[91:92], v[75:76], v[71:72]
	s_waitcnt vmcnt(19)
	v_fma_f64 v[91:92], v[93:94], v[77:78], v[71:72]
	ds_read2_b64 v[71:74], v70 offset0:49 offset1:50
	ds_read2_b64 v[75:78], v70 offset0:51 offset1:52
	s_waitcnt vmcnt(18) lgkmcnt(1)
	v_fma_f64 v[71:72], v[99:100], v[71:72], v[91:92]
	s_waitcnt vmcnt(17)
	v_fma_f64 v[71:72], v[97:98], v[73:74], v[71:72]
	buffer_load_dword v92, off, s[0:3], 0 offset:212
	buffer_load_dword v93, off, s[0:3], 0 offset:232
	buffer_load_dword v97, off, s[0:3], 0 offset:224
	buffer_load_dword v99, off, s[0:3], 0 offset:216
	buffer_load_dword v91, off, s[0:3], 0 offset:208
	buffer_load_dword v100, off, s[0:3], 0 offset:220
	buffer_load_dword v98, off, s[0:3], 0 offset:228
	buffer_load_dword v94, off, s[0:3], 0 offset:236
	s_waitcnt vmcnt(24) lgkmcnt(0)
	v_fma_f64 v[71:72], v[95:96], v[75:76], v[71:72]
	s_waitcnt vmcnt(19)
	v_fma_f64 v[79:80], v[79:80], v[77:78], v[71:72]
	ds_read2_b64 v[71:74], v70 offset0:53 offset1:54
	ds_read2_b64 v[75:78], v70 offset0:55 offset1:56
	s_waitcnt vmcnt(18) lgkmcnt(1)
	v_fma_f64 v[71:72], v[103:104], v[71:72], v[79:80]
	;; [unrolled: 18-line block ×3, first 2 shown]
	buffer_load_dword v81, off, s[0:3], 0 offset:48
	buffer_load_dword v82, off, s[0:3], 0 offset:52
	s_waitcnt vmcnt(19)
	v_fma_f64 v[71:72], v[87:88], v[73:74], v[71:72]
	s_waitcnt vmcnt(18) lgkmcnt(0)
	v_fma_f64 v[71:72], v[85:86], v[75:76], v[71:72]
	s_waitcnt vmcnt(13)
	v_fma_f64 v[83:84], v[91:92], v[77:78], v[71:72]
	ds_read2_b64 v[71:74], v70 offset0:61 offset1:62
	ds_read2_b64 v[75:78], v70 offset0:63 offset1:64
	s_waitcnt vmcnt(12) lgkmcnt(1)
	v_fma_f64 v[71:72], v[99:100], v[71:72], v[83:84]
	s_waitcnt vmcnt(11)
	v_fma_f64 v[71:72], v[97:98], v[73:74], v[71:72]
	s_waitcnt vmcnt(10) lgkmcnt(0)
	v_fma_f64 v[71:72], v[93:94], v[75:76], v[71:72]
	s_waitcnt vmcnt(5)
	v_fma_f64 v[75:76], v[79:80], v[77:78], v[71:72]
	ds_read2_b64 v[71:74], v70 offset0:65 offset1:66
	ds_read_b64 v[77:78], v70 offset:536
	s_waitcnt vmcnt(4) lgkmcnt(1)
	v_fma_f64 v[71:72], v[103:104], v[71:72], v[75:76]
	s_waitcnt vmcnt(3)
	v_fma_f64 v[71:72], v[101:102], v[73:74], v[71:72]
	s_waitcnt vmcnt(2) lgkmcnt(0)
	v_fma_f64 v[71:72], v[95:96], v[77:78], v[71:72]
	s_waitcnt vmcnt(0)
	v_add_f64 v[71:72], v[81:82], -v[71:72]
	buffer_store_dword v72, off, s[0:3], 0 offset:52
	buffer_store_dword v71, off, s[0:3], 0 offset:48
	s_and_saveexec_b64 s[4:5], vcc
	s_cbranch_execz .LBB97_201
; %bb.200:
	buffer_load_dword v71, off, s[0:3], 0 offset:40
	buffer_load_dword v72, off, s[0:3], 0 offset:44
	s_waitcnt vmcnt(0)
	ds_write_b64 v69, v[71:72]
	buffer_store_dword v70, off, s[0:3], 0 offset:40
	buffer_store_dword v70, off, s[0:3], 0 offset:44
.LBB97_201:
	s_or_b64 exec, exec, s[4:5]
	s_waitcnt lgkmcnt(0)
	; wave barrier
	buffer_load_dword v79, off, s[0:3], 0 offset:48
	buffer_load_dword v80, off, s[0:3], 0 offset:52
	;; [unrolled: 1-line block ×22, first 2 shown]
	ds_read_b128 v[71:74], v70 offset:320
	ds_read_b128 v[75:78], v70 offset:336
	v_cmp_lt_u32_e32 vcc, 4, v0
	s_waitcnt vmcnt(20) lgkmcnt(1)
	v_fma_f64 v[71:72], v[79:80], v[71:72], 0
	s_waitcnt vmcnt(18)
	v_fma_f64 v[71:72], v[81:82], v[73:74], v[71:72]
	buffer_load_dword v80, off, s[0:3], 0 offset:140
	buffer_load_dword v81, off, s[0:3], 0 offset:160
	;; [unrolled: 1-line block ×7, first 2 shown]
	s_waitcnt vmcnt(23) lgkmcnt(0)
	v_fma_f64 v[71:72], v[83:84], v[75:76], v[71:72]
	s_waitcnt vmcnt(21)
	v_fma_f64 v[82:83], v[85:86], v[77:78], v[71:72]
	ds_read_b128 v[71:74], v70 offset:352
	ds_read_b128 v[75:78], v70 offset:368
	s_waitcnt vmcnt(19) lgkmcnt(1)
	v_fma_f64 v[71:72], v[87:88], v[71:72], v[82:83]
	buffer_load_dword v82, off, s[0:3], 0 offset:164
	s_waitcnt vmcnt(18)
	v_fma_f64 v[71:72], v[89:90], v[73:74], v[71:72]
	buffer_load_dword v84, off, s[0:3], 0 offset:172
	buffer_load_dword v85, off, s[0:3], 0 offset:192
	buffer_load_dword v87, off, s[0:3], 0 offset:184
	buffer_load_dword v89, off, s[0:3], 0 offset:176
	buffer_load_dword v83, off, s[0:3], 0 offset:168
	buffer_load_dword v90, off, s[0:3], 0 offset:180
	buffer_load_dword v88, off, s[0:3], 0 offset:188
	buffer_load_dword v86, off, s[0:3], 0 offset:196
	s_waitcnt vmcnt(24) lgkmcnt(0)
	v_fma_f64 v[71:72], v[91:92], v[75:76], v[71:72]
	s_waitcnt vmcnt(19)
	v_fma_f64 v[91:92], v[93:94], v[77:78], v[71:72]
	ds_read_b128 v[71:74], v70 offset:384
	ds_read_b128 v[75:78], v70 offset:400
	s_waitcnt vmcnt(18) lgkmcnt(1)
	v_fma_f64 v[71:72], v[99:100], v[71:72], v[91:92]
	s_waitcnt vmcnt(17)
	v_fma_f64 v[71:72], v[97:98], v[73:74], v[71:72]
	buffer_load_dword v92, off, s[0:3], 0 offset:204
	buffer_load_dword v93, off, s[0:3], 0 offset:224
	buffer_load_dword v97, off, s[0:3], 0 offset:216
	buffer_load_dword v99, off, s[0:3], 0 offset:208
	buffer_load_dword v91, off, s[0:3], 0 offset:200
	buffer_load_dword v100, off, s[0:3], 0 offset:212
	buffer_load_dword v98, off, s[0:3], 0 offset:220
	buffer_load_dword v94, off, s[0:3], 0 offset:228
	s_waitcnt vmcnt(24) lgkmcnt(0)
	v_fma_f64 v[71:72], v[95:96], v[75:76], v[71:72]
	s_waitcnt vmcnt(19)
	v_fma_f64 v[79:80], v[79:80], v[77:78], v[71:72]
	ds_read_b128 v[71:74], v70 offset:416
	ds_read_b128 v[75:78], v70 offset:432
	s_waitcnt vmcnt(18) lgkmcnt(1)
	v_fma_f64 v[71:72], v[103:104], v[71:72], v[79:80]
	;; [unrolled: 18-line block ×3, first 2 shown]
	buffer_load_dword v82, off, s[0:3], 0 offset:268
	buffer_load_dword v81, off, s[0:3], 0 offset:264
	;; [unrolled: 1-line block ×4, first 2 shown]
	s_waitcnt vmcnt(21)
	v_fma_f64 v[71:72], v[87:88], v[73:74], v[71:72]
	s_waitcnt vmcnt(20) lgkmcnt(0)
	v_fma_f64 v[71:72], v[85:86], v[75:76], v[71:72]
	s_waitcnt vmcnt(15)
	v_fma_f64 v[85:86], v[91:92], v[77:78], v[71:72]
	ds_read_b128 v[71:74], v70 offset:480
	ds_read_b128 v[75:78], v70 offset:496
	s_waitcnt vmcnt(14) lgkmcnt(1)
	v_fma_f64 v[71:72], v[99:100], v[71:72], v[85:86]
	s_waitcnt vmcnt(13)
	v_fma_f64 v[71:72], v[97:98], v[73:74], v[71:72]
	s_waitcnt vmcnt(12) lgkmcnt(0)
	v_fma_f64 v[71:72], v[93:94], v[75:76], v[71:72]
	s_waitcnt vmcnt(7)
	v_fma_f64 v[79:80], v[79:80], v[77:78], v[71:72]
	ds_read_b128 v[71:74], v70 offset:512
	ds_read_b128 v[75:78], v70 offset:528
	s_waitcnt vmcnt(6) lgkmcnt(1)
	v_fma_f64 v[70:71], v[103:104], v[71:72], v[79:80]
	s_waitcnt vmcnt(5)
	v_fma_f64 v[70:71], v[101:102], v[73:74], v[70:71]
	s_waitcnt vmcnt(4) lgkmcnt(0)
	v_fma_f64 v[70:71], v[95:96], v[75:76], v[70:71]
	s_waitcnt vmcnt(2)
	v_fma_f64 v[70:71], v[81:82], v[77:78], v[70:71]
	s_waitcnt vmcnt(0)
	v_add_f64 v[70:71], v[83:84], -v[70:71]
	buffer_store_dword v71, off, s[0:3], 0 offset:44
	buffer_store_dword v70, off, s[0:3], 0 offset:40
	s_and_saveexec_b64 s[4:5], vcc
	s_cbranch_execz .LBB97_203
; %bb.202:
	buffer_load_dword v70, off, s[0:3], 0 offset:32
	buffer_load_dword v71, off, s[0:3], 0 offset:36
	v_mov_b32_e32 v72, 0
	buffer_store_dword v72, off, s[0:3], 0 offset:32
	buffer_store_dword v72, off, s[0:3], 0 offset:36
	s_waitcnt vmcnt(2)
	ds_write_b64 v69, v[70:71]
.LBB97_203:
	s_or_b64 exec, exec, s[4:5]
	s_waitcnt lgkmcnt(0)
	; wave barrier
	buffer_load_dword v79, off, s[0:3], 0 offset:40
	buffer_load_dword v80, off, s[0:3], 0 offset:44
	;; [unrolled: 1-line block ×22, first 2 shown]
	v_mov_b32_e32 v70, 0
	ds_read2_b64 v[71:74], v70 offset0:39 offset1:40
	ds_read2_b64 v[75:78], v70 offset0:41 offset1:42
	v_cmp_lt_u32_e32 vcc, 3, v0
	s_waitcnt vmcnt(20) lgkmcnt(1)
	v_fma_f64 v[71:72], v[79:80], v[71:72], 0
	s_waitcnt vmcnt(18)
	v_fma_f64 v[71:72], v[81:82], v[73:74], v[71:72]
	buffer_load_dword v80, off, s[0:3], 0 offset:132
	buffer_load_dword v81, off, s[0:3], 0 offset:152
	;; [unrolled: 1-line block ×7, first 2 shown]
	s_waitcnt vmcnt(23) lgkmcnt(0)
	v_fma_f64 v[71:72], v[83:84], v[75:76], v[71:72]
	s_waitcnt vmcnt(21)
	v_fma_f64 v[82:83], v[85:86], v[77:78], v[71:72]
	ds_read2_b64 v[71:74], v70 offset0:43 offset1:44
	ds_read2_b64 v[75:78], v70 offset0:45 offset1:46
	s_waitcnt vmcnt(19) lgkmcnt(1)
	v_fma_f64 v[71:72], v[87:88], v[71:72], v[82:83]
	buffer_load_dword v82, off, s[0:3], 0 offset:156
	s_waitcnt vmcnt(18)
	v_fma_f64 v[71:72], v[89:90], v[73:74], v[71:72]
	buffer_load_dword v84, off, s[0:3], 0 offset:164
	buffer_load_dword v85, off, s[0:3], 0 offset:184
	;; [unrolled: 1-line block ×7, first 2 shown]
	s_waitcnt vmcnt(23) lgkmcnt(0)
	v_fma_f64 v[71:72], v[91:92], v[75:76], v[71:72]
	s_waitcnt vmcnt(18)
	v_fma_f64 v[91:92], v[93:94], v[77:78], v[71:72]
	ds_read2_b64 v[71:74], v70 offset0:47 offset1:48
	ds_read2_b64 v[75:78], v70 offset0:49 offset1:50
	buffer_load_dword v86, off, s[0:3], 0 offset:188
	s_waitcnt vmcnt(18) lgkmcnt(1)
	v_fma_f64 v[71:72], v[99:100], v[71:72], v[91:92]
	s_waitcnt vmcnt(17)
	v_fma_f64 v[71:72], v[97:98], v[73:74], v[71:72]
	buffer_load_dword v92, off, s[0:3], 0 offset:196
	buffer_load_dword v93, off, s[0:3], 0 offset:216
	;; [unrolled: 1-line block ×8, first 2 shown]
	s_waitcnt vmcnt(24) lgkmcnt(0)
	v_fma_f64 v[71:72], v[95:96], v[75:76], v[71:72]
	s_waitcnt vmcnt(19)
	v_fma_f64 v[79:80], v[79:80], v[77:78], v[71:72]
	ds_read2_b64 v[71:74], v70 offset0:51 offset1:52
	ds_read2_b64 v[75:78], v70 offset0:53 offset1:54
	s_waitcnt vmcnt(18) lgkmcnt(1)
	v_fma_f64 v[71:72], v[103:104], v[71:72], v[79:80]
	s_waitcnt vmcnt(17)
	v_fma_f64 v[71:72], v[101:102], v[73:74], v[71:72]
	buffer_load_dword v80, off, s[0:3], 0 offset:228
	buffer_load_dword v95, off, s[0:3], 0 offset:248
	;; [unrolled: 1-line block ×7, first 2 shown]
	s_waitcnt vmcnt(23) lgkmcnt(0)
	v_fma_f64 v[71:72], v[81:82], v[75:76], v[71:72]
	s_waitcnt vmcnt(18)
	v_fma_f64 v[81:82], v[83:84], v[77:78], v[71:72]
	ds_read2_b64 v[71:74], v70 offset0:55 offset1:56
	ds_read2_b64 v[75:78], v70 offset0:57 offset1:58
	buffer_load_dword v96, off, s[0:3], 0 offset:252
	s_waitcnt vmcnt(18) lgkmcnt(1)
	v_fma_f64 v[71:72], v[89:90], v[71:72], v[81:82]
	buffer_load_dword v82, off, s[0:3], 0 offset:260
	buffer_load_dword v83, off, s[0:3], 0 offset:264
	;; [unrolled: 1-line block ×4, first 2 shown]
	s_waitcnt vmcnt(21)
	v_fma_f64 v[71:72], v[87:88], v[73:74], v[71:72]
	s_waitcnt vmcnt(20) lgkmcnt(0)
	v_fma_f64 v[71:72], v[85:86], v[75:76], v[71:72]
	buffer_load_dword v85, off, s[0:3], 0 offset:32
	buffer_load_dword v86, off, s[0:3], 0 offset:36
	s_waitcnt vmcnt(17)
	v_fma_f64 v[87:88], v[91:92], v[77:78], v[71:72]
	ds_read2_b64 v[71:74], v70 offset0:59 offset1:60
	ds_read2_b64 v[75:78], v70 offset0:61 offset1:62
	s_waitcnt vmcnt(16) lgkmcnt(1)
	v_fma_f64 v[71:72], v[99:100], v[71:72], v[87:88]
	s_waitcnt vmcnt(15)
	v_fma_f64 v[71:72], v[97:98], v[73:74], v[71:72]
	s_waitcnt vmcnt(14) lgkmcnt(0)
	v_fma_f64 v[71:72], v[93:94], v[75:76], v[71:72]
	s_waitcnt vmcnt(9)
	v_fma_f64 v[79:80], v[79:80], v[77:78], v[71:72]
	ds_read2_b64 v[71:74], v70 offset0:63 offset1:64
	ds_read2_b64 v[75:78], v70 offset0:65 offset1:66
	s_waitcnt vmcnt(8) lgkmcnt(1)
	v_fma_f64 v[71:72], v[103:104], v[71:72], v[79:80]
	s_waitcnt vmcnt(7)
	v_fma_f64 v[71:72], v[101:102], v[73:74], v[71:72]
	ds_read_b64 v[73:74], v70 offset:536
	s_waitcnt vmcnt(6) lgkmcnt(1)
	v_fma_f64 v[71:72], v[95:96], v[75:76], v[71:72]
	s_waitcnt vmcnt(3)
	v_fma_f64 v[71:72], v[81:82], v[77:78], v[71:72]
	s_waitcnt vmcnt(2) lgkmcnt(0)
	v_fma_f64 v[71:72], v[83:84], v[73:74], v[71:72]
	s_waitcnt vmcnt(0)
	v_add_f64 v[71:72], v[85:86], -v[71:72]
	buffer_store_dword v72, off, s[0:3], 0 offset:36
	buffer_store_dword v71, off, s[0:3], 0 offset:32
	s_and_saveexec_b64 s[4:5], vcc
	s_cbranch_execz .LBB97_205
; %bb.204:
	buffer_load_dword v71, off, s[0:3], 0 offset:24
	buffer_load_dword v72, off, s[0:3], 0 offset:28
	s_waitcnt vmcnt(0)
	ds_write_b64 v69, v[71:72]
	buffer_store_dword v70, off, s[0:3], 0 offset:24
	buffer_store_dword v70, off, s[0:3], 0 offset:28
.LBB97_205:
	s_or_b64 exec, exec, s[4:5]
	s_waitcnt lgkmcnt(0)
	; wave barrier
	buffer_load_dword v79, off, s[0:3], 0 offset:32
	buffer_load_dword v80, off, s[0:3], 0 offset:36
	;; [unrolled: 1-line block ×22, first 2 shown]
	ds_read_b128 v[71:74], v70 offset:304
	ds_read_b128 v[75:78], v70 offset:320
	v_cmp_lt_u32_e32 vcc, 2, v0
	s_waitcnt vmcnt(20) lgkmcnt(1)
	v_fma_f64 v[71:72], v[79:80], v[71:72], 0
	s_waitcnt vmcnt(18)
	v_fma_f64 v[71:72], v[81:82], v[73:74], v[71:72]
	buffer_load_dword v80, off, s[0:3], 0 offset:124
	buffer_load_dword v81, off, s[0:3], 0 offset:144
	;; [unrolled: 1-line block ×7, first 2 shown]
	s_waitcnt vmcnt(23) lgkmcnt(0)
	v_fma_f64 v[71:72], v[83:84], v[75:76], v[71:72]
	s_waitcnt vmcnt(21)
	v_fma_f64 v[82:83], v[85:86], v[77:78], v[71:72]
	ds_read_b128 v[71:74], v70 offset:336
	ds_read_b128 v[75:78], v70 offset:352
	s_waitcnt vmcnt(19) lgkmcnt(1)
	v_fma_f64 v[71:72], v[87:88], v[71:72], v[82:83]
	buffer_load_dword v82, off, s[0:3], 0 offset:148
	s_waitcnt vmcnt(18)
	v_fma_f64 v[71:72], v[89:90], v[73:74], v[71:72]
	buffer_load_dword v84, off, s[0:3], 0 offset:156
	buffer_load_dword v85, off, s[0:3], 0 offset:176
	;; [unrolled: 1-line block ×7, first 2 shown]
	s_waitcnt vmcnt(23) lgkmcnt(0)
	v_fma_f64 v[71:72], v[91:92], v[75:76], v[71:72]
	s_waitcnt vmcnt(18)
	v_fma_f64 v[91:92], v[93:94], v[77:78], v[71:72]
	ds_read_b128 v[71:74], v70 offset:368
	ds_read_b128 v[75:78], v70 offset:384
	buffer_load_dword v86, off, s[0:3], 0 offset:180
	s_waitcnt vmcnt(18) lgkmcnt(1)
	v_fma_f64 v[71:72], v[99:100], v[71:72], v[91:92]
	s_waitcnt vmcnt(17)
	v_fma_f64 v[71:72], v[97:98], v[73:74], v[71:72]
	buffer_load_dword v92, off, s[0:3], 0 offset:188
	buffer_load_dword v93, off, s[0:3], 0 offset:208
	;; [unrolled: 1-line block ×8, first 2 shown]
	s_waitcnt vmcnt(24) lgkmcnt(0)
	v_fma_f64 v[71:72], v[95:96], v[75:76], v[71:72]
	s_waitcnt vmcnt(19)
	v_fma_f64 v[79:80], v[79:80], v[77:78], v[71:72]
	ds_read_b128 v[71:74], v70 offset:400
	ds_read_b128 v[75:78], v70 offset:416
	s_waitcnt vmcnt(18) lgkmcnt(1)
	v_fma_f64 v[71:72], v[103:104], v[71:72], v[79:80]
	s_waitcnt vmcnt(17)
	v_fma_f64 v[71:72], v[101:102], v[73:74], v[71:72]
	buffer_load_dword v80, off, s[0:3], 0 offset:220
	buffer_load_dword v95, off, s[0:3], 0 offset:240
	;; [unrolled: 1-line block ×8, first 2 shown]
	s_waitcnt vmcnt(24) lgkmcnt(0)
	v_fma_f64 v[71:72], v[81:82], v[75:76], v[71:72]
	s_waitcnt vmcnt(19)
	v_fma_f64 v[81:82], v[83:84], v[77:78], v[71:72]
	ds_read_b128 v[71:74], v70 offset:432
	ds_read_b128 v[75:78], v70 offset:448
	s_waitcnt vmcnt(18) lgkmcnt(1)
	v_fma_f64 v[71:72], v[89:90], v[71:72], v[81:82]
	s_waitcnt vmcnt(17)
	v_fma_f64 v[71:72], v[87:88], v[73:74], v[71:72]
	buffer_load_dword v82, off, s[0:3], 0 offset:252
	buffer_load_dword v83, off, s[0:3], 0 offset:264
	;; [unrolled: 1-line block ×6, first 2 shown]
	s_waitcnt vmcnt(22) lgkmcnt(0)
	v_fma_f64 v[71:72], v[85:86], v[75:76], v[71:72]
	s_waitcnt vmcnt(17)
	v_fma_f64 v[85:86], v[91:92], v[77:78], v[71:72]
	ds_read_b128 v[71:74], v70 offset:464
	buffer_load_dword v89, off, s[0:3], 0 offset:24
	buffer_load_dword v90, off, s[0:3], 0 offset:28
	ds_read_b128 v[75:78], v70 offset:480
	s_waitcnt vmcnt(18) lgkmcnt(1)
	v_fma_f64 v[71:72], v[99:100], v[71:72], v[85:86]
	s_waitcnt vmcnt(17)
	v_fma_f64 v[71:72], v[97:98], v[73:74], v[71:72]
	s_waitcnt vmcnt(16) lgkmcnt(0)
	v_fma_f64 v[71:72], v[93:94], v[75:76], v[71:72]
	s_waitcnt vmcnt(11)
	v_fma_f64 v[79:80], v[79:80], v[77:78], v[71:72]
	ds_read_b128 v[71:74], v70 offset:496
	ds_read_b128 v[75:78], v70 offset:512
	s_waitcnt vmcnt(10) lgkmcnt(1)
	v_fma_f64 v[71:72], v[103:104], v[71:72], v[79:80]
	s_waitcnt vmcnt(9)
	v_fma_f64 v[71:72], v[101:102], v[73:74], v[71:72]
	s_waitcnt vmcnt(8) lgkmcnt(0)
	v_fma_f64 v[71:72], v[95:96], v[75:76], v[71:72]
	s_waitcnt vmcnt(4)
	v_fma_f64 v[74:75], v[81:82], v[77:78], v[71:72]
	ds_read_b128 v[70:73], v70 offset:528
	s_waitcnt vmcnt(3) lgkmcnt(0)
	v_fma_f64 v[70:71], v[87:88], v[70:71], v[74:75]
	s_waitcnt vmcnt(2)
	v_fma_f64 v[70:71], v[83:84], v[72:73], v[70:71]
	s_waitcnt vmcnt(0)
	v_add_f64 v[70:71], v[89:90], -v[70:71]
	buffer_store_dword v71, off, s[0:3], 0 offset:28
	buffer_store_dword v70, off, s[0:3], 0 offset:24
	s_and_saveexec_b64 s[4:5], vcc
	s_cbranch_execz .LBB97_207
; %bb.206:
	buffer_load_dword v70, off, s[0:3], 0 offset:16
	buffer_load_dword v71, off, s[0:3], 0 offset:20
	v_mov_b32_e32 v72, 0
	buffer_store_dword v72, off, s[0:3], 0 offset:16
	buffer_store_dword v72, off, s[0:3], 0 offset:20
	s_waitcnt vmcnt(2)
	ds_write_b64 v69, v[70:71]
.LBB97_207:
	s_or_b64 exec, exec, s[4:5]
	s_waitcnt lgkmcnt(0)
	; wave barrier
	buffer_load_dword v79, off, s[0:3], 0 offset:24
	buffer_load_dword v80, off, s[0:3], 0 offset:28
	;; [unrolled: 1-line block ×22, first 2 shown]
	v_mov_b32_e32 v70, 0
	ds_read2_b64 v[71:74], v70 offset0:37 offset1:38
	ds_read2_b64 v[75:78], v70 offset0:39 offset1:40
	v_cmp_lt_u32_e32 vcc, 1, v0
	s_waitcnt vmcnt(20) lgkmcnt(1)
	v_fma_f64 v[71:72], v[79:80], v[71:72], 0
	s_waitcnt vmcnt(18)
	v_fma_f64 v[71:72], v[81:82], v[73:74], v[71:72]
	buffer_load_dword v80, off, s[0:3], 0 offset:116
	buffer_load_dword v81, off, s[0:3], 0 offset:136
	;; [unrolled: 1-line block ×7, first 2 shown]
	s_waitcnt vmcnt(23) lgkmcnt(0)
	v_fma_f64 v[71:72], v[83:84], v[75:76], v[71:72]
	s_waitcnt vmcnt(21)
	v_fma_f64 v[82:83], v[85:86], v[77:78], v[71:72]
	ds_read2_b64 v[71:74], v70 offset0:41 offset1:42
	ds_read2_b64 v[75:78], v70 offset0:43 offset1:44
	s_waitcnt vmcnt(19) lgkmcnt(1)
	v_fma_f64 v[71:72], v[87:88], v[71:72], v[82:83]
	buffer_load_dword v82, off, s[0:3], 0 offset:140
	s_waitcnt vmcnt(18)
	v_fma_f64 v[71:72], v[89:90], v[73:74], v[71:72]
	buffer_load_dword v84, off, s[0:3], 0 offset:148
	buffer_load_dword v85, off, s[0:3], 0 offset:168
	;; [unrolled: 1-line block ×7, first 2 shown]
	s_waitcnt vmcnt(23) lgkmcnt(0)
	v_fma_f64 v[71:72], v[91:92], v[75:76], v[71:72]
	s_waitcnt vmcnt(18)
	v_fma_f64 v[91:92], v[93:94], v[77:78], v[71:72]
	ds_read2_b64 v[71:74], v70 offset0:45 offset1:46
	ds_read2_b64 v[75:78], v70 offset0:47 offset1:48
	buffer_load_dword v86, off, s[0:3], 0 offset:172
	s_waitcnt vmcnt(18) lgkmcnt(1)
	v_fma_f64 v[71:72], v[99:100], v[71:72], v[91:92]
	s_waitcnt vmcnt(17)
	v_fma_f64 v[71:72], v[97:98], v[73:74], v[71:72]
	buffer_load_dword v92, off, s[0:3], 0 offset:180
	buffer_load_dword v93, off, s[0:3], 0 offset:200
	buffer_load_dword v97, off, s[0:3], 0 offset:192
	buffer_load_dword v99, off, s[0:3], 0 offset:184
	buffer_load_dword v91, off, s[0:3], 0 offset:176
	buffer_load_dword v100, off, s[0:3], 0 offset:188
	buffer_load_dword v98, off, s[0:3], 0 offset:196
	buffer_load_dword v94, off, s[0:3], 0 offset:204
	s_waitcnt vmcnt(24) lgkmcnt(0)
	v_fma_f64 v[71:72], v[95:96], v[75:76], v[71:72]
	s_waitcnt vmcnt(19)
	v_fma_f64 v[79:80], v[79:80], v[77:78], v[71:72]
	ds_read2_b64 v[71:74], v70 offset0:49 offset1:50
	ds_read2_b64 v[75:78], v70 offset0:51 offset1:52
	s_waitcnt vmcnt(18) lgkmcnt(1)
	v_fma_f64 v[71:72], v[103:104], v[71:72], v[79:80]
	s_waitcnt vmcnt(17)
	v_fma_f64 v[71:72], v[101:102], v[73:74], v[71:72]
	buffer_load_dword v80, off, s[0:3], 0 offset:212
	buffer_load_dword v95, off, s[0:3], 0 offset:232
	buffer_load_dword v101, off, s[0:3], 0 offset:224
	buffer_load_dword v103, off, s[0:3], 0 offset:216
	buffer_load_dword v79, off, s[0:3], 0 offset:208
	buffer_load_dword v104, off, s[0:3], 0 offset:220
	buffer_load_dword v102, off, s[0:3], 0 offset:228
	buffer_load_dword v96, off, s[0:3], 0 offset:236
	s_waitcnt vmcnt(24) lgkmcnt(0)
	v_fma_f64 v[71:72], v[81:82], v[75:76], v[71:72]
	s_waitcnt vmcnt(19)
	v_fma_f64 v[81:82], v[83:84], v[77:78], v[71:72]
	ds_read2_b64 v[71:74], v70 offset0:53 offset1:54
	ds_read2_b64 v[75:78], v70 offset0:55 offset1:56
	;; [unrolled: 18-line block ×3, first 2 shown]
	s_waitcnt vmcnt(18) lgkmcnt(1)
	v_fma_f64 v[71:72], v[99:100], v[71:72], v[85:86]
	buffer_load_dword v85, off, s[0:3], 0 offset:16
	buffer_load_dword v86, off, s[0:3], 0 offset:20
	s_waitcnt vmcnt(19)
	v_fma_f64 v[71:72], v[97:98], v[73:74], v[71:72]
	s_waitcnt vmcnt(18) lgkmcnt(0)
	v_fma_f64 v[71:72], v[93:94], v[75:76], v[71:72]
	s_waitcnt vmcnt(13)
	v_fma_f64 v[79:80], v[79:80], v[77:78], v[71:72]
	ds_read2_b64 v[71:74], v70 offset0:61 offset1:62
	ds_read2_b64 v[75:78], v70 offset0:63 offset1:64
	s_waitcnt vmcnt(12) lgkmcnt(1)
	v_fma_f64 v[71:72], v[103:104], v[71:72], v[79:80]
	s_waitcnt vmcnt(11)
	v_fma_f64 v[71:72], v[101:102], v[73:74], v[71:72]
	s_waitcnt vmcnt(10) lgkmcnt(0)
	v_fma_f64 v[71:72], v[95:96], v[75:76], v[71:72]
	s_waitcnt vmcnt(5)
	v_fma_f64 v[75:76], v[81:82], v[77:78], v[71:72]
	ds_read2_b64 v[71:74], v70 offset0:65 offset1:66
	ds_read_b64 v[77:78], v70 offset:536
	s_waitcnt vmcnt(4) lgkmcnt(1)
	v_fma_f64 v[71:72], v[89:90], v[71:72], v[75:76]
	s_waitcnt vmcnt(3)
	v_fma_f64 v[71:72], v[87:88], v[73:74], v[71:72]
	s_waitcnt vmcnt(2) lgkmcnt(0)
	v_fma_f64 v[71:72], v[83:84], v[77:78], v[71:72]
	s_waitcnt vmcnt(0)
	v_add_f64 v[71:72], v[85:86], -v[71:72]
	buffer_store_dword v72, off, s[0:3], 0 offset:20
	buffer_store_dword v71, off, s[0:3], 0 offset:16
	s_and_saveexec_b64 s[4:5], vcc
	s_cbranch_execz .LBB97_209
; %bb.208:
	buffer_load_dword v71, off, s[0:3], 0 offset:8
	buffer_load_dword v72, off, s[0:3], 0 offset:12
	s_waitcnt vmcnt(0)
	ds_write_b64 v69, v[71:72]
	buffer_store_dword v70, off, s[0:3], 0 offset:8
	buffer_store_dword v70, off, s[0:3], 0 offset:12
.LBB97_209:
	s_or_b64 exec, exec, s[4:5]
	s_waitcnt lgkmcnt(0)
	; wave barrier
	buffer_load_dword v79, off, s[0:3], 0 offset:16
	buffer_load_dword v80, off, s[0:3], 0 offset:20
	buffer_load_dword v81, off, s[0:3], 0 offset:24
	buffer_load_dword v82, off, s[0:3], 0 offset:28
	buffer_load_dword v83, off, s[0:3], 0 offset:32
	buffer_load_dword v84, off, s[0:3], 0 offset:36
	buffer_load_dword v85, off, s[0:3], 0 offset:40
	buffer_load_dword v86, off, s[0:3], 0 offset:44
	buffer_load_dword v87, off, s[0:3], 0 offset:48
	buffer_load_dword v88, off, s[0:3], 0 offset:52
	buffer_load_dword v89, off, s[0:3], 0 offset:56
	buffer_load_dword v90, off, s[0:3], 0 offset:60
	buffer_load_dword v91, off, s[0:3], 0 offset:64
	buffer_load_dword v92, off, s[0:3], 0 offset:68
	buffer_load_dword v94, off, s[0:3], 0 offset:76
	buffer_load_dword v95, off, s[0:3], 0 offset:96
	buffer_load_dword v97, off, s[0:3], 0 offset:88
	buffer_load_dword v99, off, s[0:3], 0 offset:80
	buffer_load_dword v93, off, s[0:3], 0 offset:72
	buffer_load_dword v100, off, s[0:3], 0 offset:84
	buffer_load_dword v98, off, s[0:3], 0 offset:92
	buffer_load_dword v96, off, s[0:3], 0 offset:100
	ds_read_b128 v[71:74], v70 offset:288
	ds_read_b128 v[75:78], v70 offset:304
	v_cmp_ne_u32_e32 vcc, 0, v0
	s_waitcnt vmcnt(20) lgkmcnt(1)
	v_fma_f64 v[71:72], v[79:80], v[71:72], 0
	s_waitcnt vmcnt(18)
	v_fma_f64 v[71:72], v[81:82], v[73:74], v[71:72]
	buffer_load_dword v80, off, s[0:3], 0 offset:108
	buffer_load_dword v81, off, s[0:3], 0 offset:128
	;; [unrolled: 1-line block ×7, first 2 shown]
	s_waitcnt vmcnt(23) lgkmcnt(0)
	v_fma_f64 v[71:72], v[83:84], v[75:76], v[71:72]
	s_waitcnt vmcnt(21)
	v_fma_f64 v[82:83], v[85:86], v[77:78], v[71:72]
	ds_read_b128 v[71:74], v70 offset:320
	ds_read_b128 v[75:78], v70 offset:336
	s_waitcnt vmcnt(19) lgkmcnt(1)
	v_fma_f64 v[71:72], v[87:88], v[71:72], v[82:83]
	buffer_load_dword v82, off, s[0:3], 0 offset:132
	s_waitcnt vmcnt(18)
	v_fma_f64 v[71:72], v[89:90], v[73:74], v[71:72]
	buffer_load_dword v84, off, s[0:3], 0 offset:140
	buffer_load_dword v85, off, s[0:3], 0 offset:160
	;; [unrolled: 1-line block ×7, first 2 shown]
	s_waitcnt vmcnt(23) lgkmcnt(0)
	v_fma_f64 v[71:72], v[91:92], v[75:76], v[71:72]
	s_waitcnt vmcnt(18)
	v_fma_f64 v[91:92], v[93:94], v[77:78], v[71:72]
	ds_read_b128 v[71:74], v70 offset:352
	ds_read_b128 v[75:78], v70 offset:368
	buffer_load_dword v86, off, s[0:3], 0 offset:164
	s_waitcnt vmcnt(18) lgkmcnt(1)
	v_fma_f64 v[71:72], v[99:100], v[71:72], v[91:92]
	s_waitcnt vmcnt(17)
	v_fma_f64 v[71:72], v[97:98], v[73:74], v[71:72]
	buffer_load_dword v92, off, s[0:3], 0 offset:172
	buffer_load_dword v93, off, s[0:3], 0 offset:192
	buffer_load_dword v97, off, s[0:3], 0 offset:184
	buffer_load_dword v99, off, s[0:3], 0 offset:176
	buffer_load_dword v91, off, s[0:3], 0 offset:168
	buffer_load_dword v100, off, s[0:3], 0 offset:180
	buffer_load_dword v98, off, s[0:3], 0 offset:188
	buffer_load_dword v94, off, s[0:3], 0 offset:196
	s_waitcnt vmcnt(24) lgkmcnt(0)
	v_fma_f64 v[71:72], v[95:96], v[75:76], v[71:72]
	s_waitcnt vmcnt(19)
	v_fma_f64 v[79:80], v[79:80], v[77:78], v[71:72]
	ds_read_b128 v[71:74], v70 offset:384
	ds_read_b128 v[75:78], v70 offset:400
	s_waitcnt vmcnt(18) lgkmcnt(1)
	v_fma_f64 v[71:72], v[103:104], v[71:72], v[79:80]
	s_waitcnt vmcnt(17)
	v_fma_f64 v[71:72], v[101:102], v[73:74], v[71:72]
	buffer_load_dword v80, off, s[0:3], 0 offset:204
	buffer_load_dword v95, off, s[0:3], 0 offset:224
	buffer_load_dword v101, off, s[0:3], 0 offset:216
	buffer_load_dword v103, off, s[0:3], 0 offset:208
	buffer_load_dword v79, off, s[0:3], 0 offset:200
	buffer_load_dword v104, off, s[0:3], 0 offset:212
	buffer_load_dword v102, off, s[0:3], 0 offset:220
	buffer_load_dword v96, off, s[0:3], 0 offset:228
	s_waitcnt vmcnt(24) lgkmcnt(0)
	v_fma_f64 v[71:72], v[81:82], v[75:76], v[71:72]
	s_waitcnt vmcnt(19)
	v_fma_f64 v[81:82], v[83:84], v[77:78], v[71:72]
	ds_read_b128 v[71:74], v70 offset:416
	ds_read_b128 v[75:78], v70 offset:432
	;; [unrolled: 18-line block ×3, first 2 shown]
	s_waitcnt vmcnt(18) lgkmcnt(1)
	v_fma_f64 v[71:72], v[99:100], v[71:72], v[85:86]
	buffer_load_dword v86, off, s[0:3], 0 offset:268
	buffer_load_dword v85, off, s[0:3], 0 offset:264
	;; [unrolled: 1-line block ×4, first 2 shown]
	s_waitcnt vmcnt(21)
	v_fma_f64 v[71:72], v[97:98], v[73:74], v[71:72]
	s_waitcnt vmcnt(20) lgkmcnt(0)
	v_fma_f64 v[71:72], v[93:94], v[75:76], v[71:72]
	s_waitcnt vmcnt(15)
	v_fma_f64 v[79:80], v[79:80], v[77:78], v[71:72]
	ds_read_b128 v[71:74], v70 offset:480
	ds_read_b128 v[75:78], v70 offset:496
	s_waitcnt vmcnt(14) lgkmcnt(1)
	v_fma_f64 v[71:72], v[103:104], v[71:72], v[79:80]
	s_waitcnt vmcnt(13)
	v_fma_f64 v[71:72], v[101:102], v[73:74], v[71:72]
	s_waitcnt vmcnt(12) lgkmcnt(0)
	v_fma_f64 v[71:72], v[95:96], v[75:76], v[71:72]
	s_waitcnt vmcnt(7)
	v_fma_f64 v[79:80], v[81:82], v[77:78], v[71:72]
	ds_read_b128 v[71:74], v70 offset:512
	ds_read_b128 v[75:78], v70 offset:528
	s_waitcnt vmcnt(6) lgkmcnt(1)
	v_fma_f64 v[70:71], v[89:90], v[71:72], v[79:80]
	s_waitcnt vmcnt(5)
	v_fma_f64 v[70:71], v[87:88], v[73:74], v[70:71]
	s_waitcnt vmcnt(4) lgkmcnt(0)
	v_fma_f64 v[70:71], v[83:84], v[75:76], v[70:71]
	s_waitcnt vmcnt(2)
	v_fma_f64 v[70:71], v[85:86], v[77:78], v[70:71]
	s_waitcnt vmcnt(0)
	v_add_f64 v[70:71], v[91:92], -v[70:71]
	buffer_store_dword v71, off, s[0:3], 0 offset:12
	buffer_store_dword v70, off, s[0:3], 0 offset:8
	s_and_saveexec_b64 s[4:5], vcc
	s_cbranch_execz .LBB97_211
; %bb.210:
	buffer_load_dword v70, off, s[0:3], 0
	buffer_load_dword v71, off, s[0:3], 0 offset:4
	v_mov_b32_e32 v0, 0
	buffer_store_dword v0, off, s[0:3], 0
	buffer_store_dword v0, off, s[0:3], 0 offset:4
	s_waitcnt vmcnt(2)
	ds_write_b64 v69, v[70:71]
.LBB97_211:
	s_or_b64 exec, exec, s[4:5]
	s_waitcnt lgkmcnt(0)
	; wave barrier
	buffer_load_dword v77, off, s[0:3], 0 offset:8
	buffer_load_dword v78, off, s[0:3], 0 offset:12
	;; [unrolled: 1-line block ×21, first 2 shown]
	v_mov_b32_e32 v0, 0
	ds_read2_b64 v[69:72], v0 offset0:35 offset1:36
	ds_read2_b64 v[73:76], v0 offset0:37 offset1:38
	buffer_load_dword v94, off, s[0:3], 0 offset:92
	s_and_b64 vcc, exec, s[14:15]
	s_waitcnt vmcnt(20) lgkmcnt(1)
	v_fma_f64 v[69:70], v[77:78], v[69:70], 0
	s_waitcnt vmcnt(18)
	v_fma_f64 v[69:70], v[79:80], v[71:72], v[69:70]
	buffer_load_dword v78, off, s[0:3], 0 offset:100
	buffer_load_dword v79, off, s[0:3], 0 offset:120
	;; [unrolled: 1-line block ×7, first 2 shown]
	s_waitcnt vmcnt(23) lgkmcnt(0)
	v_fma_f64 v[69:70], v[81:82], v[73:74], v[69:70]
	s_waitcnt vmcnt(21)
	v_fma_f64 v[80:81], v[83:84], v[75:76], v[69:70]
	ds_read2_b64 v[69:72], v0 offset0:39 offset1:40
	ds_read2_b64 v[73:76], v0 offset0:41 offset1:42
	s_waitcnt vmcnt(19) lgkmcnt(1)
	v_fma_f64 v[69:70], v[85:86], v[69:70], v[80:81]
	buffer_load_dword v80, off, s[0:3], 0 offset:124
	s_waitcnt vmcnt(18)
	v_fma_f64 v[69:70], v[87:88], v[71:72], v[69:70]
	buffer_load_dword v82, off, s[0:3], 0 offset:132
	buffer_load_dword v83, off, s[0:3], 0 offset:152
	;; [unrolled: 1-line block ×7, first 2 shown]
	s_waitcnt vmcnt(23) lgkmcnt(0)
	v_fma_f64 v[69:70], v[89:90], v[73:74], v[69:70]
	s_waitcnt vmcnt(18)
	v_fma_f64 v[89:90], v[91:92], v[75:76], v[69:70]
	ds_read2_b64 v[69:72], v0 offset0:43 offset1:44
	ds_read2_b64 v[73:76], v0 offset0:45 offset1:46
	buffer_load_dword v84, off, s[0:3], 0 offset:156
	s_waitcnt vmcnt(18) lgkmcnt(1)
	v_fma_f64 v[69:70], v[97:98], v[69:70], v[89:90]
	s_waitcnt vmcnt(17)
	v_fma_f64 v[69:70], v[95:96], v[71:72], v[69:70]
	buffer_load_dword v90, off, s[0:3], 0 offset:164
	buffer_load_dword v91, off, s[0:3], 0 offset:184
	;; [unrolled: 1-line block ×7, first 2 shown]
	s_waitcnt vmcnt(23) lgkmcnt(0)
	v_fma_f64 v[69:70], v[93:94], v[73:74], v[69:70]
	s_waitcnt vmcnt(18)
	v_fma_f64 v[77:78], v[77:78], v[75:76], v[69:70]
	ds_read2_b64 v[69:72], v0 offset0:47 offset1:48
	ds_read2_b64 v[73:76], v0 offset0:49 offset1:50
	buffer_load_dword v92, off, s[0:3], 0 offset:188
	s_waitcnt vmcnt(18) lgkmcnt(1)
	v_fma_f64 v[69:70], v[101:102], v[69:70], v[77:78]
	s_waitcnt vmcnt(17)
	v_fma_f64 v[69:70], v[99:100], v[71:72], v[69:70]
	buffer_load_dword v78, off, s[0:3], 0 offset:196
	buffer_load_dword v93, off, s[0:3], 0 offset:216
	;; [unrolled: 1-line block ×8, first 2 shown]
	s_waitcnt vmcnt(24) lgkmcnt(0)
	v_fma_f64 v[69:70], v[79:80], v[73:74], v[69:70]
	s_waitcnt vmcnt(19)
	v_fma_f64 v[79:80], v[81:82], v[75:76], v[69:70]
	ds_read2_b64 v[69:72], v0 offset0:51 offset1:52
	ds_read2_b64 v[73:76], v0 offset0:53 offset1:54
	s_waitcnt vmcnt(18) lgkmcnt(1)
	v_fma_f64 v[69:70], v[87:88], v[69:70], v[79:80]
	s_waitcnt vmcnt(17)
	v_fma_f64 v[69:70], v[85:86], v[71:72], v[69:70]
	buffer_load_dword v80, off, s[0:3], 0 offset:228
	buffer_load_dword v81, off, s[0:3], 0 offset:248
	;; [unrolled: 1-line block ×7, first 2 shown]
	s_waitcnt vmcnt(23) lgkmcnt(0)
	v_fma_f64 v[69:70], v[83:84], v[73:74], v[69:70]
	s_waitcnt vmcnt(18)
	v_fma_f64 v[82:83], v[89:90], v[75:76], v[69:70]
	ds_read2_b64 v[69:72], v0 offset0:55 offset1:56
	ds_read2_b64 v[73:76], v0 offset0:57 offset1:58
	s_waitcnt vmcnt(17) lgkmcnt(1)
	v_fma_f64 v[69:70], v[97:98], v[69:70], v[82:83]
	buffer_load_dword v82, off, s[0:3], 0 offset:252
	s_waitcnt vmcnt(17)
	v_fma_f64 v[71:72], v[95:96], v[71:72], v[69:70]
	buffer_load_dword v70, off, s[0:3], 0 offset:260
	buffer_load_dword v83, off, s[0:3], 0 offset:264
	;; [unrolled: 1-line block ×4, first 2 shown]
	buffer_load_dword v89, off, s[0:3], 0
	buffer_load_dword v90, off, s[0:3], 0 offset:4
	s_waitcnt vmcnt(22) lgkmcnt(0)
	v_fma_f64 v[71:72], v[91:92], v[73:74], v[71:72]
	s_waitcnt vmcnt(17)
	v_fma_f64 v[91:92], v[77:78], v[75:76], v[71:72]
	ds_read2_b64 v[71:74], v0 offset0:59 offset1:60
	ds_read2_b64 v[75:78], v0 offset0:61 offset1:62
	s_waitcnt vmcnt(16) lgkmcnt(1)
	v_fma_f64 v[71:72], v[101:102], v[71:72], v[91:92]
	s_waitcnt vmcnt(15)
	v_fma_f64 v[71:72], v[99:100], v[73:74], v[71:72]
	s_waitcnt vmcnt(14) lgkmcnt(0)
	v_fma_f64 v[71:72], v[93:94], v[75:76], v[71:72]
	s_waitcnt vmcnt(9)
	v_fma_f64 v[79:80], v[79:80], v[77:78], v[71:72]
	ds_read2_b64 v[71:74], v0 offset0:63 offset1:64
	ds_read2_b64 v[75:78], v0 offset0:65 offset1:66
	s_waitcnt vmcnt(8) lgkmcnt(1)
	v_fma_f64 v[71:72], v[87:88], v[71:72], v[79:80]
	s_waitcnt vmcnt(7)
	v_fma_f64 v[71:72], v[85:86], v[73:74], v[71:72]
	ds_read_b64 v[73:74], v0 offset:536
	s_waitcnt vmcnt(6) lgkmcnt(1)
	v_fma_f64 v[71:72], v[81:82], v[75:76], v[71:72]
	s_waitcnt vmcnt(3)
	v_fma_f64 v[71:72], v[69:70], v[77:78], v[71:72]
	s_waitcnt vmcnt(2) lgkmcnt(0)
	v_fma_f64 v[71:72], v[83:84], v[73:74], v[71:72]
	s_waitcnt vmcnt(0)
	v_add_f64 v[71:72], v[89:90], -v[71:72]
	buffer_store_dword v72, off, s[0:3], 0 offset:4
	buffer_store_dword v71, off, s[0:3], 0
	s_cbranch_vccz .LBB97_278
; %bb.212:
	global_load_dword v0, v0, s[12:13] offset:128
	s_waitcnt vmcnt(0)
	v_add_u32_e32 v0, -1, v0
	v_cmp_ne_u32_e32 vcc, 32, v0
	s_cbranch_vccz .LBB97_214
; %bb.213:
	v_lshlrev_b32_e32 v0, 3, v0
	buffer_load_dword v71, v0, s[0:3], 0 offen offset:4
	buffer_load_dword v72, v0, s[0:3], 0 offen
	s_waitcnt vmcnt(1)
	buffer_store_dword v71, off, s[0:3], 0 offset:260
	s_waitcnt vmcnt(1)
	buffer_store_dword v72, off, s[0:3], 0 offset:256
	buffer_store_dword v70, v0, s[0:3], 0 offen offset:4
	buffer_store_dword v69, v0, s[0:3], 0 offen
.LBB97_214:
	v_mov_b32_e32 v0, 0
	global_load_dword v69, v0, s[12:13] offset:124
	s_waitcnt vmcnt(0)
	v_add_u32_e32 v69, -1, v69
	v_cmp_eq_u32_e32 vcc, 31, v69
	s_cbranch_vccnz .LBB97_216
; %bb.215:
	v_lshlrev_b32_e32 v69, 3, v69
	buffer_load_dword v70, v69, s[0:3], 0 offen
	buffer_load_dword v71, v69, s[0:3], 0 offen offset:4
	buffer_load_dword v72, off, s[0:3], 0 offset:248
	buffer_load_dword v73, off, s[0:3], 0 offset:252
	s_waitcnt vmcnt(3)
	buffer_store_dword v70, off, s[0:3], 0 offset:248
	s_waitcnt vmcnt(3)
	buffer_store_dword v71, off, s[0:3], 0 offset:252
	s_waitcnt vmcnt(3)
	buffer_store_dword v72, v69, s[0:3], 0 offen
	s_waitcnt vmcnt(3)
	buffer_store_dword v73, v69, s[0:3], 0 offen offset:4
.LBB97_216:
	global_load_dword v0, v0, s[12:13] offset:120
	s_waitcnt vmcnt(0)
	v_add_u32_e32 v0, -1, v0
	v_cmp_eq_u32_e32 vcc, 30, v0
	s_cbranch_vccnz .LBB97_218
; %bb.217:
	v_lshlrev_b32_e32 v0, 3, v0
	buffer_load_dword v69, v0, s[0:3], 0 offen
	buffer_load_dword v70, v0, s[0:3], 0 offen offset:4
	buffer_load_dword v71, off, s[0:3], 0 offset:244
	buffer_load_dword v72, off, s[0:3], 0 offset:240
	s_waitcnt vmcnt(3)
	buffer_store_dword v69, off, s[0:3], 0 offset:240
	s_waitcnt vmcnt(3)
	buffer_store_dword v70, off, s[0:3], 0 offset:244
	s_waitcnt vmcnt(3)
	buffer_store_dword v71, v0, s[0:3], 0 offen offset:4
	s_waitcnt vmcnt(3)
	buffer_store_dword v72, v0, s[0:3], 0 offen
.LBB97_218:
	v_mov_b32_e32 v0, 0
	global_load_dword v69, v0, s[12:13] offset:116
	s_waitcnt vmcnt(0)
	v_add_u32_e32 v69, -1, v69
	v_cmp_eq_u32_e32 vcc, 29, v69
	s_cbranch_vccnz .LBB97_220
; %bb.219:
	v_lshlrev_b32_e32 v69, 3, v69
	buffer_load_dword v70, v69, s[0:3], 0 offen
	buffer_load_dword v71, v69, s[0:3], 0 offen offset:4
	buffer_load_dword v72, off, s[0:3], 0 offset:232
	buffer_load_dword v73, off, s[0:3], 0 offset:236
	s_waitcnt vmcnt(3)
	buffer_store_dword v70, off, s[0:3], 0 offset:232
	s_waitcnt vmcnt(3)
	buffer_store_dword v71, off, s[0:3], 0 offset:236
	s_waitcnt vmcnt(3)
	buffer_store_dword v72, v69, s[0:3], 0 offen
	s_waitcnt vmcnt(3)
	buffer_store_dword v73, v69, s[0:3], 0 offen offset:4
.LBB97_220:
	global_load_dword v0, v0, s[12:13] offset:112
	s_waitcnt vmcnt(0)
	v_add_u32_e32 v0, -1, v0
	v_cmp_eq_u32_e32 vcc, 28, v0
	s_cbranch_vccnz .LBB97_222
; %bb.221:
	v_lshlrev_b32_e32 v0, 3, v0
	buffer_load_dword v69, v0, s[0:3], 0 offen
	buffer_load_dword v70, v0, s[0:3], 0 offen offset:4
	buffer_load_dword v71, off, s[0:3], 0 offset:228
	buffer_load_dword v72, off, s[0:3], 0 offset:224
	s_waitcnt vmcnt(3)
	buffer_store_dword v69, off, s[0:3], 0 offset:224
	s_waitcnt vmcnt(3)
	buffer_store_dword v70, off, s[0:3], 0 offset:228
	s_waitcnt vmcnt(3)
	buffer_store_dword v71, v0, s[0:3], 0 offen offset:4
	s_waitcnt vmcnt(3)
	buffer_store_dword v72, v0, s[0:3], 0 offen
.LBB97_222:
	;; [unrolled: 41-line block ×15, first 2 shown]
	v_mov_b32_e32 v0, 0
	global_load_dword v69, v0, s[12:13] offset:4
	s_waitcnt vmcnt(0)
	v_add_u32_e32 v69, -1, v69
	v_cmp_eq_u32_e32 vcc, 1, v69
	s_cbranch_vccnz .LBB97_276
; %bb.275:
	v_lshlrev_b32_e32 v69, 3, v69
	buffer_load_dword v70, v69, s[0:3], 0 offen
	buffer_load_dword v71, v69, s[0:3], 0 offen offset:4
	buffer_load_dword v72, off, s[0:3], 0 offset:8
	buffer_load_dword v73, off, s[0:3], 0 offset:12
	s_waitcnt vmcnt(3)
	buffer_store_dword v70, off, s[0:3], 0 offset:8
	s_waitcnt vmcnt(3)
	buffer_store_dword v71, off, s[0:3], 0 offset:12
	s_waitcnt vmcnt(3)
	buffer_store_dword v72, v69, s[0:3], 0 offen
	s_waitcnt vmcnt(3)
	buffer_store_dword v73, v69, s[0:3], 0 offen offset:4
.LBB97_276:
	global_load_dword v0, v0, s[12:13]
	s_nop 0
	buffer_load_dword v71, off, s[0:3], 0
	buffer_load_dword v72, off, s[0:3], 0 offset:4
	s_waitcnt vmcnt(2)
	v_add_u32_e32 v0, -1, v0
	v_cmp_eq_u32_e32 vcc, 0, v0
	s_cbranch_vccnz .LBB97_278
; %bb.277:
	v_lshlrev_b32_e32 v0, 3, v0
	buffer_load_dword v69, v0, s[0:3], 0 offen offset:4
	buffer_load_dword v70, v0, s[0:3], 0 offen
	s_waitcnt vmcnt(1)
	buffer_store_dword v69, off, s[0:3], 0 offset:4
	s_waitcnt vmcnt(1)
	buffer_store_dword v70, off, s[0:3], 0
	buffer_store_dword v72, v0, s[0:3], 0 offen offset:4
	buffer_store_dword v71, v0, s[0:3], 0 offen
	buffer_load_dword v71, off, s[0:3], 0
	s_nop 0
	buffer_load_dword v72, off, s[0:3], 0 offset:4
.LBB97_278:
	s_waitcnt vmcnt(0)
	flat_store_dwordx2 v[1:2], v[71:72]
	buffer_load_dword v0, off, s[0:3], 0 offset:8
	s_nop 0
	buffer_load_dword v1, off, s[0:3], 0 offset:12
	s_waitcnt vmcnt(0)
	flat_store_dwordx2 v[3:4], v[0:1]
	buffer_load_dword v0, off, s[0:3], 0 offset:16
	s_nop 0
	buffer_load_dword v1, off, s[0:3], 0 offset:20
	;; [unrolled: 5-line block ×33, first 2 shown]
	s_waitcnt vmcnt(0)
	flat_store_dwordx2 v[67:68], v[0:1]
	s_endpgm
	.section	.rodata,"a",@progbits
	.p2align	6, 0x0
	.amdhsa_kernel _ZN9rocsolver6v33100L18getri_kernel_smallILi34EdPKPdEEvT1_iilPiilS6_bb
		.amdhsa_group_segment_fixed_size 552
		.amdhsa_private_segment_fixed_size 288
		.amdhsa_kernarg_size 60
		.amdhsa_user_sgpr_count 6
		.amdhsa_user_sgpr_private_segment_buffer 1
		.amdhsa_user_sgpr_dispatch_ptr 0
		.amdhsa_user_sgpr_queue_ptr 0
		.amdhsa_user_sgpr_kernarg_segment_ptr 1
		.amdhsa_user_sgpr_dispatch_id 0
		.amdhsa_user_sgpr_flat_scratch_init 0
		.amdhsa_user_sgpr_private_segment_size 0
		.amdhsa_uses_dynamic_stack 0
		.amdhsa_system_sgpr_private_segment_wavefront_offset 1
		.amdhsa_system_sgpr_workgroup_id_x 1
		.amdhsa_system_sgpr_workgroup_id_y 0
		.amdhsa_system_sgpr_workgroup_id_z 0
		.amdhsa_system_sgpr_workgroup_info 0
		.amdhsa_system_vgpr_workitem_id 0
		.amdhsa_next_free_vgpr 105
		.amdhsa_next_free_sgpr 21
		.amdhsa_reserve_vcc 1
		.amdhsa_reserve_flat_scratch 0
		.amdhsa_float_round_mode_32 0
		.amdhsa_float_round_mode_16_64 0
		.amdhsa_float_denorm_mode_32 3
		.amdhsa_float_denorm_mode_16_64 3
		.amdhsa_dx10_clamp 1
		.amdhsa_ieee_mode 1
		.amdhsa_fp16_overflow 0
		.amdhsa_exception_fp_ieee_invalid_op 0
		.amdhsa_exception_fp_denorm_src 0
		.amdhsa_exception_fp_ieee_div_zero 0
		.amdhsa_exception_fp_ieee_overflow 0
		.amdhsa_exception_fp_ieee_underflow 0
		.amdhsa_exception_fp_ieee_inexact 0
		.amdhsa_exception_int_div_zero 0
	.end_amdhsa_kernel
	.section	.text._ZN9rocsolver6v33100L18getri_kernel_smallILi34EdPKPdEEvT1_iilPiilS6_bb,"axG",@progbits,_ZN9rocsolver6v33100L18getri_kernel_smallILi34EdPKPdEEvT1_iilPiilS6_bb,comdat
.Lfunc_end97:
	.size	_ZN9rocsolver6v33100L18getri_kernel_smallILi34EdPKPdEEvT1_iilPiilS6_bb, .Lfunc_end97-_ZN9rocsolver6v33100L18getri_kernel_smallILi34EdPKPdEEvT1_iilPiilS6_bb
                                        ; -- End function
	.set _ZN9rocsolver6v33100L18getri_kernel_smallILi34EdPKPdEEvT1_iilPiilS6_bb.num_vgpr, 105
	.set _ZN9rocsolver6v33100L18getri_kernel_smallILi34EdPKPdEEvT1_iilPiilS6_bb.num_agpr, 0
	.set _ZN9rocsolver6v33100L18getri_kernel_smallILi34EdPKPdEEvT1_iilPiilS6_bb.numbered_sgpr, 21
	.set _ZN9rocsolver6v33100L18getri_kernel_smallILi34EdPKPdEEvT1_iilPiilS6_bb.num_named_barrier, 0
	.set _ZN9rocsolver6v33100L18getri_kernel_smallILi34EdPKPdEEvT1_iilPiilS6_bb.private_seg_size, 288
	.set _ZN9rocsolver6v33100L18getri_kernel_smallILi34EdPKPdEEvT1_iilPiilS6_bb.uses_vcc, 1
	.set _ZN9rocsolver6v33100L18getri_kernel_smallILi34EdPKPdEEvT1_iilPiilS6_bb.uses_flat_scratch, 0
	.set _ZN9rocsolver6v33100L18getri_kernel_smallILi34EdPKPdEEvT1_iilPiilS6_bb.has_dyn_sized_stack, 0
	.set _ZN9rocsolver6v33100L18getri_kernel_smallILi34EdPKPdEEvT1_iilPiilS6_bb.has_recursion, 0
	.set _ZN9rocsolver6v33100L18getri_kernel_smallILi34EdPKPdEEvT1_iilPiilS6_bb.has_indirect_call, 0
	.section	.AMDGPU.csdata,"",@progbits
; Kernel info:
; codeLenInByte = 34968
; TotalNumSgprs: 25
; NumVgprs: 105
; ScratchSize: 288
; MemoryBound: 1
; FloatMode: 240
; IeeeMode: 1
; LDSByteSize: 552 bytes/workgroup (compile time only)
; SGPRBlocks: 3
; VGPRBlocks: 26
; NumSGPRsForWavesPerEU: 25
; NumVGPRsForWavesPerEU: 105
; Occupancy: 2
; WaveLimiterHint : 1
; COMPUTE_PGM_RSRC2:SCRATCH_EN: 1
; COMPUTE_PGM_RSRC2:USER_SGPR: 6
; COMPUTE_PGM_RSRC2:TRAP_HANDLER: 0
; COMPUTE_PGM_RSRC2:TGID_X_EN: 1
; COMPUTE_PGM_RSRC2:TGID_Y_EN: 0
; COMPUTE_PGM_RSRC2:TGID_Z_EN: 0
; COMPUTE_PGM_RSRC2:TIDIG_COMP_CNT: 0
	.section	.text._ZN9rocsolver6v33100L18getri_kernel_smallILi35EdPKPdEEvT1_iilPiilS6_bb,"axG",@progbits,_ZN9rocsolver6v33100L18getri_kernel_smallILi35EdPKPdEEvT1_iilPiilS6_bb,comdat
	.globl	_ZN9rocsolver6v33100L18getri_kernel_smallILi35EdPKPdEEvT1_iilPiilS6_bb ; -- Begin function _ZN9rocsolver6v33100L18getri_kernel_smallILi35EdPKPdEEvT1_iilPiilS6_bb
	.p2align	8
	.type	_ZN9rocsolver6v33100L18getri_kernel_smallILi35EdPKPdEEvT1_iilPiilS6_bb,@function
_ZN9rocsolver6v33100L18getri_kernel_smallILi35EdPKPdEEvT1_iilPiilS6_bb: ; @_ZN9rocsolver6v33100L18getri_kernel_smallILi35EdPKPdEEvT1_iilPiilS6_bb
; %bb.0:
	s_add_u32 s0, s0, s7
	s_addc_u32 s1, s1, 0
	v_cmp_gt_u32_e32 vcc, 35, v0
	s_and_saveexec_b64 s[8:9], vcc
	s_cbranch_execz .LBB98_148
; %bb.1:
	s_load_dword s18, s[4:5], 0x38
	s_load_dwordx2 s[12:13], s[4:5], 0x0
	s_load_dwordx4 s[8:11], s[4:5], 0x28
	s_waitcnt lgkmcnt(0)
	s_bitcmp1_b32 s18, 8
	s_cselect_b64 s[14:15], -1, 0
	s_ashr_i32 s7, s6, 31
	s_lshl_b64 s[16:17], s[6:7], 3
	s_add_u32 s12, s12, s16
	s_addc_u32 s13, s13, s17
	s_load_dwordx2 s[16:17], s[12:13], 0x0
	s_bfe_u32 s12, s18, 0x10008
	s_cmp_eq_u32 s12, 0
                                        ; implicit-def: $sgpr12_sgpr13
	s_cbranch_scc1 .LBB98_3
; %bb.2:
	s_load_dword s12, s[4:5], 0x20
	s_load_dwordx2 s[18:19], s[4:5], 0x18
	s_mul_i32 s13, s8, s7
	s_mul_hi_u32 s20, s8, s6
	s_add_i32 s20, s20, s13
	s_mul_i32 s9, s9, s6
	s_add_i32 s9, s20, s9
	s_mul_i32 s8, s8, s6
	s_waitcnt lgkmcnt(0)
	s_ashr_i32 s13, s12, 31
	s_lshl_b64 s[8:9], s[8:9], 2
	s_add_u32 s18, s18, s8
	s_addc_u32 s19, s19, s9
	s_lshl_b64 s[8:9], s[12:13], 2
	s_add_u32 s12, s18, s8
	s_addc_u32 s13, s19, s9
.LBB98_3:
	s_load_dwordx2 s[8:9], s[4:5], 0x8
	s_load_dword s18, s[4:5], 0x38
	v_lshlrev_b32_e32 v73, 3, v0
	s_waitcnt lgkmcnt(0)
	s_ashr_i32 s5, s8, 31
	s_mov_b32 s4, s8
	s_lshl_b64 s[4:5], s[4:5], 3
	s_add_u32 s4, s16, s4
	s_addc_u32 s5, s17, s5
	v_mov_b32_e32 v2, s5
	v_add_co_u32_e32 v1, vcc, s4, v73
	v_addc_co_u32_e32 v2, vcc, 0, v2, vcc
	flat_load_dwordx2 v[5:6], v[1:2]
	s_mov_b32 s16, s9
	s_ashr_i32 s17, s9, 31
	s_lshl_b64 s[16:17], s[16:17], 3
	v_mov_b32_e32 v4, s17
	v_add_co_u32_e32 v3, vcc, s16, v1
	v_addc_co_u32_e32 v4, vcc, v2, v4, vcc
	s_add_i32 s8, s9, s9
	v_add_u32_e32 v9, s8, v0
	v_ashrrev_i32_e32 v10, 31, v9
	v_mov_b32_e32 v11, s5
	v_add_u32_e32 v12, s9, v9
	v_ashrrev_i32_e32 v13, 31, v12
	v_mov_b32_e32 v14, s5
	v_mov_b32_e32 v15, s5
	;; [unrolled: 1-line block ×31, first 2 shown]
	s_bitcmp0_b32 s18, 0
	s_waitcnt vmcnt(0) lgkmcnt(0)
	buffer_store_dword v6, off, s[0:3], 0 offset:4
	buffer_store_dword v5, off, s[0:3], 0
	flat_load_dwordx2 v[7:8], v[3:4]
	v_lshlrev_b64 v[5:6], 3, v[9:10]
	s_waitcnt vmcnt(0) lgkmcnt(0)
	buffer_store_dword v8, off, s[0:3], 0 offset:12
	buffer_store_dword v7, off, s[0:3], 0 offset:8
	v_add_co_u32_e32 v5, vcc, s4, v5
	v_addc_co_u32_e32 v6, vcc, v11, v6, vcc
	flat_load_dwordx2 v[10:11], v[5:6]
	v_lshlrev_b64 v[7:8], 3, v[12:13]
	s_waitcnt vmcnt(0) lgkmcnt(0)
	buffer_store_dword v11, off, s[0:3], 0 offset:20
	buffer_store_dword v10, off, s[0:3], 0 offset:16
	v_add_co_u32_e32 v7, vcc, s4, v7
	v_addc_co_u32_e32 v8, vcc, v14, v8, vcc
	flat_load_dwordx2 v[13:14], v[7:8]
	v_add_u32_e32 v11, s9, v12
	v_ashrrev_i32_e32 v12, 31, v11
	v_lshlrev_b64 v[9:10], 3, v[11:12]
	s_waitcnt vmcnt(0) lgkmcnt(0)
	buffer_store_dword v14, off, s[0:3], 0 offset:28
	buffer_store_dword v13, off, s[0:3], 0 offset:24
	v_add_co_u32_e32 v9, vcc, s4, v9
	v_addc_co_u32_e32 v10, vcc, v15, v10, vcc
	flat_load_dwordx2 v[13:14], v[9:10]
	v_add_u32_e32 v15, s9, v11
	v_ashrrev_i32_e32 v16, 31, v15
	v_lshlrev_b64 v[11:12], 3, v[15:16]
	v_add_u32_e32 v18, s9, v15
	v_add_co_u32_e32 v11, vcc, s4, v11
	v_addc_co_u32_e32 v12, vcc, v17, v12, vcc
	v_ashrrev_i32_e32 v19, 31, v18
	s_waitcnt vmcnt(0) lgkmcnt(0)
	buffer_store_dword v14, off, s[0:3], 0 offset:36
	buffer_store_dword v13, off, s[0:3], 0 offset:32
	flat_load_dwordx2 v[16:17], v[11:12]
	v_lshlrev_b64 v[13:14], 3, v[18:19]
	s_waitcnt vmcnt(0) lgkmcnt(0)
	buffer_store_dword v17, off, s[0:3], 0 offset:44
	buffer_store_dword v16, off, s[0:3], 0 offset:40
	v_add_co_u32_e32 v13, vcc, s4, v13
	v_addc_co_u32_e32 v14, vcc, v20, v14, vcc
	flat_load_dwordx2 v[19:20], v[13:14]
	v_add_u32_e32 v17, s9, v18
	v_ashrrev_i32_e32 v18, 31, v17
	v_lshlrev_b64 v[15:16], 3, v[17:18]
	s_waitcnt vmcnt(0) lgkmcnt(0)
	buffer_store_dword v20, off, s[0:3], 0 offset:52
	buffer_store_dword v19, off, s[0:3], 0 offset:48
	v_add_co_u32_e32 v15, vcc, s4, v15
	v_addc_co_u32_e32 v16, vcc, v21, v16, vcc
	flat_load_dwordx2 v[19:20], v[15:16]
	v_add_u32_e32 v21, s9, v17
	v_ashrrev_i32_e32 v22, 31, v21
	v_lshlrev_b64 v[17:18], 3, v[21:22]
	v_add_u32_e32 v24, s9, v21
	v_add_co_u32_e32 v17, vcc, s4, v17
	v_addc_co_u32_e32 v18, vcc, v23, v18, vcc
	v_ashrrev_i32_e32 v25, 31, v24
	s_waitcnt vmcnt(0) lgkmcnt(0)
	buffer_store_dword v20, off, s[0:3], 0 offset:60
	buffer_store_dword v19, off, s[0:3], 0 offset:56
	;; [unrolled: 27-line block ×7, first 2 shown]
	flat_load_dwordx2 v[52:53], v[47:48]
	v_lshlrev_b64 v[49:50], 3, v[54:55]
	s_waitcnt vmcnt(0) lgkmcnt(0)
	buffer_store_dword v53, off, s[0:3], 0 offset:188
	buffer_store_dword v52, off, s[0:3], 0 offset:184
	v_add_co_u32_e32 v49, vcc, s4, v49
	v_addc_co_u32_e32 v50, vcc, v56, v50, vcc
	flat_load_dwordx2 v[55:56], v[49:50]
	v_add_u32_e32 v53, s9, v54
	v_ashrrev_i32_e32 v54, 31, v53
	v_lshlrev_b64 v[51:52], 3, v[53:54]
	s_waitcnt vmcnt(0) lgkmcnt(0)
	buffer_store_dword v56, off, s[0:3], 0 offset:196
	buffer_store_dword v55, off, s[0:3], 0 offset:192
	v_add_co_u32_e32 v51, vcc, s4, v51
	v_addc_co_u32_e32 v52, vcc, v57, v52, vcc
	flat_load_dwordx2 v[55:56], v[51:52]
	v_add_u32_e32 v57, s9, v53
	v_ashrrev_i32_e32 v58, 31, v57
	v_lshlrev_b64 v[53:54], 3, v[57:58]
	v_add_u32_e32 v60, s9, v57
	v_add_co_u32_e32 v53, vcc, s4, v53
	v_addc_co_u32_e32 v54, vcc, v59, v54, vcc
	s_waitcnt vmcnt(0) lgkmcnt(0)
	buffer_store_dword v56, off, s[0:3], 0 offset:204
	buffer_store_dword v55, off, s[0:3], 0 offset:200
	flat_load_dwordx2 v[58:59], v[53:54]
	v_ashrrev_i32_e32 v61, 31, v60
	v_lshlrev_b64 v[55:56], 3, v[60:61]
	s_waitcnt vmcnt(0) lgkmcnt(0)
	buffer_store_dword v59, off, s[0:3], 0 offset:212
	buffer_store_dword v58, off, s[0:3], 0 offset:208
	v_add_co_u32_e32 v55, vcc, s4, v55
	v_addc_co_u32_e32 v56, vcc, v62, v56, vcc
	flat_load_dwordx2 v[61:62], v[55:56]
	v_add_u32_e32 v59, s9, v60
	v_ashrrev_i32_e32 v60, 31, v59
	v_lshlrev_b64 v[57:58], 3, v[59:60]
	s_waitcnt vmcnt(0) lgkmcnt(0)
	buffer_store_dword v62, off, s[0:3], 0 offset:220
	buffer_store_dword v61, off, s[0:3], 0 offset:216
	v_add_co_u32_e32 v57, vcc, s4, v57
	v_addc_co_u32_e32 v58, vcc, v63, v58, vcc
	flat_load_dwordx2 v[61:62], v[57:58]
	v_add_u32_e32 v63, s9, v59
	;; [unrolled: 9-line block ×7, first 2 shown]
	v_ashrrev_i32_e32 v70, 31, v69
	v_lshlrev_b64 v[69:70], 3, v[69:70]
	v_mov_b32_e32 v75, s5
	v_add_co_u32_e32 v69, vcc, s4, v69
	v_addc_co_u32_e32 v70, vcc, v75, v70, vcc
	s_waitcnt vmcnt(0) lgkmcnt(0)
	buffer_store_dword v72, off, s[0:3], 0 offset:268
	buffer_store_dword v71, off, s[0:3], 0 offset:264
	flat_load_dwordx2 v[71:72], v[69:70]
	s_mov_b64 s[8:9], -1
	s_waitcnt vmcnt(0) lgkmcnt(0)
	buffer_store_dword v72, off, s[0:3], 0 offset:276
	buffer_store_dword v71, off, s[0:3], 0 offset:272
	s_cbranch_scc1 .LBB98_146
; %bb.4:
	v_cmp_eq_u32_e64 s[4:5], 0, v0
	s_and_saveexec_b64 s[8:9], s[4:5]
; %bb.5:
	v_mov_b32_e32 v71, 0
	ds_write_b32 v71, v71 offset:280
; %bb.6:
	s_or_b64 exec, exec, s[8:9]
	v_mov_b32_e32 v71, 0
	v_lshl_add_u32 v71, v0, 3, v71
	s_waitcnt lgkmcnt(0)
	; wave barrier
	buffer_load_dword v74, v71, s[0:3], 0 offen
	buffer_load_dword v75, v71, s[0:3], 0 offen offset:4
	s_waitcnt vmcnt(0)
	v_cmp_eq_f64_e32 vcc, 0, v[74:75]
	s_and_saveexec_b64 s[16:17], vcc
	s_cbranch_execz .LBB98_10
; %bb.7:
	v_mov_b32_e32 v72, 0
	ds_read_b32 v75, v72 offset:280
	v_add_u32_e32 v74, 1, v0
	s_waitcnt lgkmcnt(0)
	v_readfirstlane_b32 s8, v75
	s_cmp_eq_u32 s8, 0
	s_cselect_b64 s[18:19], -1, 0
	v_cmp_gt_i32_e32 vcc, s8, v74
	s_or_b64 s[18:19], s[18:19], vcc
	s_and_b64 exec, exec, s[18:19]
	s_cbranch_execz .LBB98_10
; %bb.8:
	s_mov_b64 s[18:19], 0
	v_mov_b32_e32 v75, s8
.LBB98_9:                               ; =>This Inner Loop Header: Depth=1
	ds_cmpst_rtn_b32 v75, v72, v75, v74 offset:280
	s_waitcnt lgkmcnt(0)
	v_cmp_ne_u32_e32 vcc, 0, v75
	v_cmp_le_i32_e64 s[8:9], v75, v74
	s_and_b64 s[8:9], vcc, s[8:9]
	s_and_b64 s[8:9], exec, s[8:9]
	s_or_b64 s[18:19], s[8:9], s[18:19]
	s_andn2_b64 exec, exec, s[18:19]
	s_cbranch_execnz .LBB98_9
.LBB98_10:
	s_or_b64 exec, exec, s[16:17]
	v_mov_b32_e32 v74, 0
	; wave barrier
	ds_read_b32 v72, v74 offset:280
	s_and_saveexec_b64 s[8:9], s[4:5]
	s_cbranch_execz .LBB98_12
; %bb.11:
	s_lshl_b64 s[16:17], s[6:7], 2
	s_add_u32 s16, s10, s16
	s_addc_u32 s17, s11, s17
	s_waitcnt lgkmcnt(0)
	global_store_dword v74, v72, s[16:17]
.LBB98_12:
	s_or_b64 exec, exec, s[8:9]
	s_waitcnt lgkmcnt(0)
	v_cmp_ne_u32_e32 vcc, 0, v72
	s_mov_b64 s[8:9], 0
	s_cbranch_vccnz .LBB98_146
; %bb.13:
	buffer_load_dword v74, v71, s[0:3], 0 offen
	buffer_load_dword v75, v71, s[0:3], 0 offen offset:4
	s_waitcnt vmcnt(0)
	v_div_scale_f64 v[76:77], s[8:9], v[74:75], v[74:75], 1.0
	v_rcp_f64_e32 v[78:79], v[76:77]
	v_fma_f64 v[80:81], -v[76:77], v[78:79], 1.0
	v_fma_f64 v[78:79], v[78:79], v[80:81], v[78:79]
	v_div_scale_f64 v[80:81], vcc, 1.0, v[74:75], 1.0
	v_fma_f64 v[82:83], -v[76:77], v[78:79], 1.0
	v_fma_f64 v[78:79], v[78:79], v[82:83], v[78:79]
	v_mul_f64 v[82:83], v[80:81], v[78:79]
	v_fma_f64 v[76:77], -v[76:77], v[82:83], v[80:81]
	v_div_fmas_f64 v[76:77], v[76:77], v[78:79], v[82:83]
	v_div_fixup_f64 v[75:76], v[76:77], v[74:75], 1.0
	v_add_u32_e32 v74, 0x120, v73
	buffer_store_dword v76, v71, s[0:3], 0 offen offset:4
	buffer_store_dword v75, v71, s[0:3], 0 offen
	buffer_load_dword v78, off, s[0:3], 0 offset:12
	buffer_load_dword v77, off, s[0:3], 0 offset:8
	v_xor_b32_e32 v76, 0x80000000, v76
	s_waitcnt vmcnt(0)
	ds_write2_b64 v73, v[75:76], v[77:78] offset1:36
	s_waitcnt lgkmcnt(0)
	; wave barrier
	s_and_saveexec_b64 s[8:9], s[4:5]
	s_cbranch_execz .LBB98_15
; %bb.14:
	buffer_load_dword v75, v71, s[0:3], 0 offen
	buffer_load_dword v76, v71, s[0:3], 0 offen offset:4
	ds_read_b64 v[77:78], v74
	v_mov_b32_e32 v72, 0
	ds_read_b64 v[79:80], v72 offset:8
	s_waitcnt vmcnt(0) lgkmcnt(1)
	v_fma_f64 v[75:76], v[75:76], v[77:78], 0
	s_waitcnt lgkmcnt(0)
	v_mul_f64 v[75:76], v[75:76], v[79:80]
	buffer_store_dword v75, off, s[0:3], 0 offset:8
	buffer_store_dword v76, off, s[0:3], 0 offset:12
.LBB98_15:
	s_or_b64 exec, exec, s[8:9]
	; wave barrier
	buffer_load_dword v75, off, s[0:3], 0 offset:16
	buffer_load_dword v76, off, s[0:3], 0 offset:20
	v_cmp_gt_u32_e32 vcc, 2, v0
	s_waitcnt vmcnt(0)
	ds_write_b64 v74, v[75:76]
	s_waitcnt lgkmcnt(0)
	; wave barrier
	s_and_saveexec_b64 s[8:9], vcc
	s_cbranch_execz .LBB98_17
; %bb.16:
	buffer_load_dword v75, v71, s[0:3], 0 offen
	buffer_load_dword v76, v71, s[0:3], 0 offen offset:4
                                        ; kill: killed $vgpr71
	s_nop 0
	buffer_load_dword v71, off, s[0:3], 0 offset:8
	buffer_load_dword v72, off, s[0:3], 0 offset:12
	ds_read_b64 v[77:78], v74
	s_waitcnt vmcnt(2) lgkmcnt(0)
	v_fma_f64 v[79:80], v[75:76], v[77:78], 0
	v_mov_b32_e32 v75, 0
	ds_read2_b64 v[75:78], v75 offset0:2 offset1:37
	s_waitcnt vmcnt(0) lgkmcnt(0)
	v_fma_f64 v[71:72], v[71:72], v[77:78], v[79:80]
	v_cndmask_b32_e64 v72, v80, v72, s[4:5]
	v_cndmask_b32_e64 v71, v79, v71, s[4:5]
	v_mul_f64 v[71:72], v[71:72], v[75:76]
	buffer_store_dword v72, off, s[0:3], 0 offset:20
	buffer_store_dword v71, off, s[0:3], 0 offset:16
.LBB98_17:
	s_or_b64 exec, exec, s[8:9]
	; wave barrier
	buffer_load_dword v71, off, s[0:3], 0 offset:24
	buffer_load_dword v72, off, s[0:3], 0 offset:28
	v_cmp_gt_u32_e32 vcc, 3, v0
	v_add_u32_e32 v75, -1, v0
	s_waitcnt vmcnt(0)
	ds_write_b64 v74, v[71:72]
	s_waitcnt lgkmcnt(0)
	; wave barrier
	s_and_saveexec_b64 s[4:5], vcc
	s_cbranch_execz .LBB98_21
; %bb.18:
	v_mov_b32_e32 v71, 0
	v_add_u32_e32 v76, -1, v0
	v_add_u32_e32 v77, 0x120, v73
	v_mov_b32_e32 v78, v73
	v_mov_b32_e32 v72, 0
	s_mov_b64 s[8:9], 0
.LBB98_19:                              ; =>This Inner Loop Header: Depth=1
	buffer_load_dword v79, v78, s[0:3], 0 offen
	buffer_load_dword v80, v78, s[0:3], 0 offen offset:4
	ds_read_b64 v[81:82], v77
	v_add_u32_e32 v76, 1, v76
	v_cmp_lt_u32_e32 vcc, 1, v76
	v_add_u32_e32 v77, 8, v77
	s_or_b64 s[8:9], vcc, s[8:9]
	v_add_u32_e32 v78, 8, v78
	s_waitcnt vmcnt(0) lgkmcnt(0)
	v_fma_f64 v[71:72], v[79:80], v[81:82], v[71:72]
	s_andn2_b64 exec, exec, s[8:9]
	s_cbranch_execnz .LBB98_19
; %bb.20:
	s_or_b64 exec, exec, s[8:9]
	v_mov_b32_e32 v76, 0
	ds_read_b64 v[76:77], v76 offset:24
	s_waitcnt lgkmcnt(0)
	v_mul_f64 v[71:72], v[71:72], v[76:77]
	buffer_store_dword v72, off, s[0:3], 0 offset:28
	buffer_store_dword v71, off, s[0:3], 0 offset:24
.LBB98_21:
	s_or_b64 exec, exec, s[4:5]
	; wave barrier
	buffer_load_dword v71, off, s[0:3], 0 offset:32
	buffer_load_dword v72, off, s[0:3], 0 offset:36
	v_cmp_gt_u32_e32 vcc, 4, v0
	s_waitcnt vmcnt(0)
	ds_write_b64 v74, v[71:72]
	s_waitcnt lgkmcnt(0)
	; wave barrier
	s_and_saveexec_b64 s[4:5], vcc
	s_cbranch_execz .LBB98_25
; %bb.22:
	v_mov_b32_e32 v71, 0
	v_add_u32_e32 v76, -1, v0
	v_add_u32_e32 v77, 0x120, v73
	v_mov_b32_e32 v78, v73
	v_mov_b32_e32 v72, 0
	s_mov_b64 s[8:9], 0
.LBB98_23:                              ; =>This Inner Loop Header: Depth=1
	buffer_load_dword v79, v78, s[0:3], 0 offen
	buffer_load_dword v80, v78, s[0:3], 0 offen offset:4
	ds_read_b64 v[81:82], v77
	v_add_u32_e32 v76, 1, v76
	v_cmp_lt_u32_e32 vcc, 2, v76
	v_add_u32_e32 v77, 8, v77
	s_or_b64 s[8:9], vcc, s[8:9]
	v_add_u32_e32 v78, 8, v78
	s_waitcnt vmcnt(0) lgkmcnt(0)
	v_fma_f64 v[71:72], v[79:80], v[81:82], v[71:72]
	s_andn2_b64 exec, exec, s[8:9]
	s_cbranch_execnz .LBB98_23
; %bb.24:
	s_or_b64 exec, exec, s[8:9]
	v_mov_b32_e32 v76, 0
	ds_read_b64 v[76:77], v76 offset:32
	s_waitcnt lgkmcnt(0)
	v_mul_f64 v[71:72], v[71:72], v[76:77]
	buffer_store_dword v72, off, s[0:3], 0 offset:36
	buffer_store_dword v71, off, s[0:3], 0 offset:32
.LBB98_25:
	s_or_b64 exec, exec, s[4:5]
	; wave barrier
	buffer_load_dword v71, off, s[0:3], 0 offset:40
	buffer_load_dword v72, off, s[0:3], 0 offset:44
	v_cmp_gt_u32_e32 vcc, 5, v0
	;; [unrolled: 40-line block ×21, first 2 shown]
	s_waitcnt vmcnt(0)
	ds_write_b64 v74, v[71:72]
	s_waitcnt lgkmcnt(0)
	; wave barrier
	s_and_saveexec_b64 s[4:5], vcc
	s_cbranch_execz .LBB98_105
; %bb.102:
	v_mov_b32_e32 v71, 0
	v_add_u32_e32 v76, -1, v0
	v_add_u32_e32 v77, 0x120, v73
	v_mov_b32_e32 v78, v73
	v_mov_b32_e32 v72, 0
	s_mov_b64 s[8:9], 0
.LBB98_103:                             ; =>This Inner Loop Header: Depth=1
	buffer_load_dword v79, v78, s[0:3], 0 offen
	buffer_load_dword v80, v78, s[0:3], 0 offen offset:4
	ds_read_b64 v[81:82], v77
	v_add_u32_e32 v76, 1, v76
	v_cmp_lt_u32_e32 vcc, 22, v76
	v_add_u32_e32 v77, 8, v77
	s_or_b64 s[8:9], vcc, s[8:9]
	v_add_u32_e32 v78, 8, v78
	s_waitcnt vmcnt(0) lgkmcnt(0)
	v_fma_f64 v[71:72], v[79:80], v[81:82], v[71:72]
	s_andn2_b64 exec, exec, s[8:9]
	s_cbranch_execnz .LBB98_103
; %bb.104:
	s_or_b64 exec, exec, s[8:9]
	v_mov_b32_e32 v76, 0
	ds_read_b64 v[76:77], v76 offset:192
	s_waitcnt lgkmcnt(0)
	v_mul_f64 v[71:72], v[71:72], v[76:77]
	buffer_store_dword v72, off, s[0:3], 0 offset:196
	buffer_store_dword v71, off, s[0:3], 0 offset:192
.LBB98_105:
	s_or_b64 exec, exec, s[4:5]
	; wave barrier
	buffer_load_dword v71, off, s[0:3], 0 offset:200
	buffer_load_dword v72, off, s[0:3], 0 offset:204
	v_cmp_gt_u32_e32 vcc, 25, v0
	s_waitcnt vmcnt(0)
	ds_write_b64 v74, v[71:72]
	s_waitcnt lgkmcnt(0)
	; wave barrier
	s_and_saveexec_b64 s[4:5], vcc
	s_cbranch_execz .LBB98_109
; %bb.106:
	v_mov_b32_e32 v71, 0
	v_add_u32_e32 v76, -1, v0
	v_add_u32_e32 v77, 0x120, v73
	v_mov_b32_e32 v78, v73
	v_mov_b32_e32 v72, 0
	s_mov_b64 s[8:9], 0
.LBB98_107:                             ; =>This Inner Loop Header: Depth=1
	buffer_load_dword v79, v78, s[0:3], 0 offen
	buffer_load_dword v80, v78, s[0:3], 0 offen offset:4
	ds_read_b64 v[81:82], v77
	v_add_u32_e32 v76, 1, v76
	v_cmp_lt_u32_e32 vcc, 23, v76
	v_add_u32_e32 v77, 8, v77
	s_or_b64 s[8:9], vcc, s[8:9]
	v_add_u32_e32 v78, 8, v78
	s_waitcnt vmcnt(0) lgkmcnt(0)
	v_fma_f64 v[71:72], v[79:80], v[81:82], v[71:72]
	s_andn2_b64 exec, exec, s[8:9]
	s_cbranch_execnz .LBB98_107
; %bb.108:
	s_or_b64 exec, exec, s[8:9]
	v_mov_b32_e32 v76, 0
	ds_read_b64 v[76:77], v76 offset:200
	s_waitcnt lgkmcnt(0)
	v_mul_f64 v[71:72], v[71:72], v[76:77]
	buffer_store_dword v72, off, s[0:3], 0 offset:204
	buffer_store_dword v71, off, s[0:3], 0 offset:200
.LBB98_109:
	s_or_b64 exec, exec, s[4:5]
	; wave barrier
	buffer_load_dword v71, off, s[0:3], 0 offset:208
	buffer_load_dword v72, off, s[0:3], 0 offset:212
	v_cmp_gt_u32_e32 vcc, 26, v0
	;; [unrolled: 40-line block ×9, first 2 shown]
	s_waitcnt vmcnt(0)
	ds_write_b64 v74, v[71:72]
	s_waitcnt lgkmcnt(0)
	; wave barrier
	s_and_saveexec_b64 s[4:5], vcc
	s_cbranch_execz .LBB98_141
; %bb.138:
	v_mov_b32_e32 v71, 0
	v_add_u32_e32 v76, -1, v0
	v_add_u32_e32 v77, 0x120, v73
	v_mov_b32_e32 v78, v73
	v_mov_b32_e32 v72, 0
	s_mov_b64 s[8:9], 0
.LBB98_139:                             ; =>This Inner Loop Header: Depth=1
	buffer_load_dword v79, v78, s[0:3], 0 offen
	buffer_load_dword v80, v78, s[0:3], 0 offen offset:4
	ds_read_b64 v[81:82], v77
	v_add_u32_e32 v76, 1, v76
	v_cmp_lt_u32_e32 vcc, 31, v76
	v_add_u32_e32 v77, 8, v77
	s_or_b64 s[8:9], vcc, s[8:9]
	v_add_u32_e32 v78, 8, v78
	s_waitcnt vmcnt(0) lgkmcnt(0)
	v_fma_f64 v[71:72], v[79:80], v[81:82], v[71:72]
	s_andn2_b64 exec, exec, s[8:9]
	s_cbranch_execnz .LBB98_139
; %bb.140:
	s_or_b64 exec, exec, s[8:9]
	v_mov_b32_e32 v76, 0
	ds_read_b64 v[76:77], v76 offset:264
	s_waitcnt lgkmcnt(0)
	v_mul_f64 v[71:72], v[71:72], v[76:77]
	buffer_store_dword v72, off, s[0:3], 0 offset:268
	buffer_store_dword v71, off, s[0:3], 0 offset:264
.LBB98_141:
	s_or_b64 exec, exec, s[4:5]
	; wave barrier
	buffer_load_dword v71, off, s[0:3], 0 offset:272
	buffer_load_dword v72, off, s[0:3], 0 offset:276
	v_cmp_ne_u32_e32 vcc, 34, v0
	s_waitcnt vmcnt(0)
	ds_write_b64 v74, v[71:72]
	s_waitcnt lgkmcnt(0)
	; wave barrier
	s_and_saveexec_b64 s[4:5], vcc
	s_cbranch_execz .LBB98_145
; %bb.142:
	v_mov_b32_e32 v71, 0
	v_add_u32_e32 v74, 0x120, v73
	v_mov_b32_e32 v72, 0
	s_mov_b64 s[8:9], 0
.LBB98_143:                             ; =>This Inner Loop Header: Depth=1
	buffer_load_dword v76, v73, s[0:3], 0 offen
	buffer_load_dword v77, v73, s[0:3], 0 offen offset:4
	ds_read_b64 v[78:79], v74
	v_add_u32_e32 v75, 1, v75
	v_cmp_lt_u32_e32 vcc, 32, v75
	v_add_u32_e32 v74, 8, v74
	s_or_b64 s[8:9], vcc, s[8:9]
	v_add_u32_e32 v73, 8, v73
	s_waitcnt vmcnt(0) lgkmcnt(0)
	v_fma_f64 v[71:72], v[76:77], v[78:79], v[71:72]
	s_andn2_b64 exec, exec, s[8:9]
	s_cbranch_execnz .LBB98_143
; %bb.144:
	s_or_b64 exec, exec, s[8:9]
	v_mov_b32_e32 v73, 0
	ds_read_b64 v[73:74], v73 offset:272
	s_waitcnt lgkmcnt(0)
	v_mul_f64 v[71:72], v[71:72], v[73:74]
	buffer_store_dword v72, off, s[0:3], 0 offset:276
	buffer_store_dword v71, off, s[0:3], 0 offset:272
.LBB98_145:
	s_or_b64 exec, exec, s[4:5]
	s_mov_b64 s[8:9], -1
	; wave barrier
.LBB98_146:
	s_and_b64 vcc, exec, s[8:9]
	s_cbranch_vccz .LBB98_148
; %bb.147:
	s_lshl_b64 s[4:5], s[6:7], 2
	s_add_u32 s4, s10, s4
	s_addc_u32 s5, s11, s5
	v_mov_b32_e32 v71, 0
	global_load_dword v71, v71, s[4:5]
	s_waitcnt vmcnt(0)
	v_cmp_ne_u32_e32 vcc, 0, v71
	s_cbranch_vccz .LBB98_149
.LBB98_148:
	s_endpgm
.LBB98_149:
	v_mov_b32_e32 v71, 0x120
	v_lshl_add_u32 v71, v0, 3, v71
	v_cmp_eq_u32_e32 vcc, 34, v0
	s_and_saveexec_b64 s[4:5], vcc
	s_cbranch_execz .LBB98_151
; %bb.150:
	buffer_load_dword v72, off, s[0:3], 0 offset:264
	buffer_load_dword v73, off, s[0:3], 0 offset:268
	v_mov_b32_e32 v74, 0
	buffer_store_dword v74, off, s[0:3], 0 offset:264
	buffer_store_dword v74, off, s[0:3], 0 offset:268
	s_waitcnt vmcnt(2)
	ds_write_b64 v71, v[72:73]
.LBB98_151:
	s_or_b64 exec, exec, s[4:5]
	s_waitcnt lgkmcnt(0)
	; wave barrier
	buffer_load_dword v73, off, s[0:3], 0 offset:272
	buffer_load_dword v74, off, s[0:3], 0 offset:276
	;; [unrolled: 1-line block ×4, first 2 shown]
	v_mov_b32_e32 v72, 0
	ds_read_b64 v[77:78], v72 offset:560
	v_cmp_lt_u32_e32 vcc, 32, v0
	s_waitcnt vmcnt(2) lgkmcnt(0)
	v_fma_f64 v[73:74], v[73:74], v[77:78], 0
	s_waitcnt vmcnt(0)
	v_add_f64 v[73:74], v[75:76], -v[73:74]
	buffer_store_dword v73, off, s[0:3], 0 offset:264
	buffer_store_dword v74, off, s[0:3], 0 offset:268
	s_and_saveexec_b64 s[4:5], vcc
	s_cbranch_execz .LBB98_153
; %bb.152:
	buffer_load_dword v73, off, s[0:3], 0 offset:256
	buffer_load_dword v74, off, s[0:3], 0 offset:260
	s_waitcnt vmcnt(0)
	ds_write_b64 v71, v[73:74]
	buffer_store_dword v72, off, s[0:3], 0 offset:256
	buffer_store_dword v72, off, s[0:3], 0 offset:260
.LBB98_153:
	s_or_b64 exec, exec, s[4:5]
	s_waitcnt lgkmcnt(0)
	; wave barrier
	buffer_load_dword v76, off, s[0:3], 0 offset:264
	buffer_load_dword v77, off, s[0:3], 0 offset:268
	;; [unrolled: 1-line block ×6, first 2 shown]
	ds_read2_b64 v[72:75], v72 offset0:69 offset1:70
	v_cmp_lt_u32_e32 vcc, 31, v0
	s_waitcnt vmcnt(4) lgkmcnt(0)
	v_fma_f64 v[72:73], v[76:77], v[72:73], 0
	s_waitcnt vmcnt(2)
	v_fma_f64 v[72:73], v[78:79], v[74:75], v[72:73]
	s_waitcnt vmcnt(0)
	v_add_f64 v[72:73], v[80:81], -v[72:73]
	buffer_store_dword v72, off, s[0:3], 0 offset:256
	buffer_store_dword v73, off, s[0:3], 0 offset:260
	s_and_saveexec_b64 s[4:5], vcc
	s_cbranch_execz .LBB98_155
; %bb.154:
	buffer_load_dword v72, off, s[0:3], 0 offset:248
	buffer_load_dword v73, off, s[0:3], 0 offset:252
	v_mov_b32_e32 v74, 0
	buffer_store_dword v74, off, s[0:3], 0 offset:248
	buffer_store_dword v74, off, s[0:3], 0 offset:252
	s_waitcnt vmcnt(2)
	ds_write_b64 v71, v[72:73]
.LBB98_155:
	s_or_b64 exec, exec, s[4:5]
	s_waitcnt lgkmcnt(0)
	; wave barrier
	buffer_load_dword v77, off, s[0:3], 0 offset:256
	buffer_load_dword v78, off, s[0:3], 0 offset:260
	;; [unrolled: 1-line block ×8, first 2 shown]
	v_mov_b32_e32 v72, 0
	ds_read_b128 v[73:76], v72 offset:544
	ds_read_b64 v[85:86], v72 offset:560
	v_cmp_lt_u32_e32 vcc, 30, v0
	s_waitcnt vmcnt(6) lgkmcnt(1)
	v_fma_f64 v[73:74], v[77:78], v[73:74], 0
	s_waitcnt vmcnt(4)
	v_fma_f64 v[73:74], v[79:80], v[75:76], v[73:74]
	s_waitcnt vmcnt(2) lgkmcnt(0)
	v_fma_f64 v[73:74], v[81:82], v[85:86], v[73:74]
	s_waitcnt vmcnt(0)
	v_add_f64 v[73:74], v[83:84], -v[73:74]
	buffer_store_dword v73, off, s[0:3], 0 offset:248
	buffer_store_dword v74, off, s[0:3], 0 offset:252
	s_and_saveexec_b64 s[4:5], vcc
	s_cbranch_execz .LBB98_157
; %bb.156:
	buffer_load_dword v73, off, s[0:3], 0 offset:240
	buffer_load_dword v74, off, s[0:3], 0 offset:244
	s_waitcnt vmcnt(0)
	ds_write_b64 v71, v[73:74]
	buffer_store_dword v72, off, s[0:3], 0 offset:240
	buffer_store_dword v72, off, s[0:3], 0 offset:244
.LBB98_157:
	s_or_b64 exec, exec, s[4:5]
	s_waitcnt lgkmcnt(0)
	; wave barrier
	buffer_load_dword v81, off, s[0:3], 0 offset:248
	buffer_load_dword v82, off, s[0:3], 0 offset:252
	;; [unrolled: 1-line block ×10, first 2 shown]
	ds_read2_b64 v[73:76], v72 offset0:67 offset1:68
	ds_read2_b64 v[77:80], v72 offset0:69 offset1:70
	v_cmp_lt_u32_e32 vcc, 29, v0
	s_waitcnt vmcnt(8) lgkmcnt(1)
	v_fma_f64 v[72:73], v[81:82], v[73:74], 0
	s_waitcnt vmcnt(6)
	v_fma_f64 v[72:73], v[83:84], v[75:76], v[72:73]
	s_waitcnt vmcnt(4) lgkmcnt(0)
	v_fma_f64 v[72:73], v[85:86], v[77:78], v[72:73]
	s_waitcnt vmcnt(2)
	v_fma_f64 v[72:73], v[87:88], v[79:80], v[72:73]
	s_waitcnt vmcnt(0)
	v_add_f64 v[72:73], v[89:90], -v[72:73]
	buffer_store_dword v72, off, s[0:3], 0 offset:240
	buffer_store_dword v73, off, s[0:3], 0 offset:244
	s_and_saveexec_b64 s[4:5], vcc
	s_cbranch_execz .LBB98_159
; %bb.158:
	buffer_load_dword v72, off, s[0:3], 0 offset:232
	buffer_load_dword v73, off, s[0:3], 0 offset:236
	v_mov_b32_e32 v74, 0
	buffer_store_dword v74, off, s[0:3], 0 offset:232
	buffer_store_dword v74, off, s[0:3], 0 offset:236
	s_waitcnt vmcnt(2)
	ds_write_b64 v71, v[72:73]
.LBB98_159:
	s_or_b64 exec, exec, s[4:5]
	s_waitcnt lgkmcnt(0)
	; wave barrier
	buffer_load_dword v81, off, s[0:3], 0 offset:240
	buffer_load_dword v82, off, s[0:3], 0 offset:244
	;; [unrolled: 1-line block ×12, first 2 shown]
	v_mov_b32_e32 v72, 0
	ds_read_b128 v[73:76], v72 offset:528
	ds_read_b128 v[77:80], v72 offset:544
	v_cmp_lt_u32_e32 vcc, 28, v0
	s_waitcnt vmcnt(10) lgkmcnt(1)
	v_fma_f64 v[73:74], v[81:82], v[73:74], 0
	s_waitcnt vmcnt(8)
	v_fma_f64 v[73:74], v[83:84], v[75:76], v[73:74]
	ds_read_b64 v[75:76], v72 offset:560
	s_waitcnt vmcnt(6) lgkmcnt(1)
	v_fma_f64 v[73:74], v[85:86], v[77:78], v[73:74]
	s_waitcnt vmcnt(4)
	v_fma_f64 v[73:74], v[87:88], v[79:80], v[73:74]
	s_waitcnt vmcnt(2) lgkmcnt(0)
	v_fma_f64 v[73:74], v[89:90], v[75:76], v[73:74]
	s_waitcnt vmcnt(0)
	v_add_f64 v[73:74], v[91:92], -v[73:74]
	buffer_store_dword v73, off, s[0:3], 0 offset:232
	buffer_store_dword v74, off, s[0:3], 0 offset:236
	s_and_saveexec_b64 s[4:5], vcc
	s_cbranch_execz .LBB98_161
; %bb.160:
	buffer_load_dword v73, off, s[0:3], 0 offset:224
	buffer_load_dword v74, off, s[0:3], 0 offset:228
	s_waitcnt vmcnt(0)
	ds_write_b64 v71, v[73:74]
	buffer_store_dword v72, off, s[0:3], 0 offset:224
	buffer_store_dword v72, off, s[0:3], 0 offset:228
.LBB98_161:
	s_or_b64 exec, exec, s[4:5]
	s_waitcnt lgkmcnt(0)
	; wave barrier
	buffer_load_dword v81, off, s[0:3], 0 offset:232
	buffer_load_dword v82, off, s[0:3], 0 offset:236
	;; [unrolled: 1-line block ×14, first 2 shown]
	ds_read2_b64 v[73:76], v72 offset0:65 offset1:66
	ds_read2_b64 v[77:80], v72 offset0:67 offset1:68
	v_cmp_lt_u32_e32 vcc, 27, v0
	s_waitcnt vmcnt(12) lgkmcnt(1)
	v_fma_f64 v[73:74], v[81:82], v[73:74], 0
	s_waitcnt vmcnt(10)
	v_fma_f64 v[73:74], v[83:84], v[75:76], v[73:74]
	s_waitcnt vmcnt(8) lgkmcnt(0)
	v_fma_f64 v[73:74], v[85:86], v[77:78], v[73:74]
	s_waitcnt vmcnt(6)
	v_fma_f64 v[76:77], v[87:88], v[79:80], v[73:74]
	ds_read2_b64 v[72:75], v72 offset0:69 offset1:70
	s_waitcnt vmcnt(4) lgkmcnt(0)
	v_fma_f64 v[72:73], v[89:90], v[72:73], v[76:77]
	s_waitcnt vmcnt(2)
	v_fma_f64 v[72:73], v[91:92], v[74:75], v[72:73]
	s_waitcnt vmcnt(0)
	v_add_f64 v[72:73], v[93:94], -v[72:73]
	buffer_store_dword v72, off, s[0:3], 0 offset:224
	buffer_store_dword v73, off, s[0:3], 0 offset:228
	s_and_saveexec_b64 s[4:5], vcc
	s_cbranch_execz .LBB98_163
; %bb.162:
	buffer_load_dword v72, off, s[0:3], 0 offset:216
	buffer_load_dword v73, off, s[0:3], 0 offset:220
	v_mov_b32_e32 v74, 0
	buffer_store_dword v74, off, s[0:3], 0 offset:216
	buffer_store_dword v74, off, s[0:3], 0 offset:220
	s_waitcnt vmcnt(2)
	ds_write_b64 v71, v[72:73]
.LBB98_163:
	s_or_b64 exec, exec, s[4:5]
	s_waitcnt lgkmcnt(0)
	; wave barrier
	buffer_load_dword v81, off, s[0:3], 0 offset:224
	buffer_load_dword v82, off, s[0:3], 0 offset:228
	buffer_load_dword v83, off, s[0:3], 0 offset:232
	buffer_load_dword v84, off, s[0:3], 0 offset:236
	buffer_load_dword v85, off, s[0:3], 0 offset:240
	buffer_load_dword v86, off, s[0:3], 0 offset:244
	buffer_load_dword v87, off, s[0:3], 0 offset:248
	buffer_load_dword v88, off, s[0:3], 0 offset:252
	buffer_load_dword v89, off, s[0:3], 0 offset:256
	buffer_load_dword v90, off, s[0:3], 0 offset:260
	buffer_load_dword v91, off, s[0:3], 0 offset:264
	buffer_load_dword v92, off, s[0:3], 0 offset:268
	buffer_load_dword v93, off, s[0:3], 0 offset:272
	buffer_load_dword v94, off, s[0:3], 0 offset:276
	buffer_load_dword v95, off, s[0:3], 0 offset:216
	buffer_load_dword v96, off, s[0:3], 0 offset:220
	v_mov_b32_e32 v72, 0
	ds_read_b128 v[73:76], v72 offset:512
	ds_read_b128 v[77:80], v72 offset:528
	v_cmp_lt_u32_e32 vcc, 26, v0
	s_waitcnt vmcnt(14) lgkmcnt(1)
	v_fma_f64 v[73:74], v[81:82], v[73:74], 0
	s_waitcnt vmcnt(12)
	v_fma_f64 v[73:74], v[83:84], v[75:76], v[73:74]
	s_waitcnt vmcnt(10) lgkmcnt(0)
	v_fma_f64 v[73:74], v[85:86], v[77:78], v[73:74]
	s_waitcnt vmcnt(8)
	v_fma_f64 v[77:78], v[87:88], v[79:80], v[73:74]
	ds_read_b128 v[73:76], v72 offset:544
	ds_read_b64 v[79:80], v72 offset:560
	s_waitcnt vmcnt(6) lgkmcnt(1)
	v_fma_f64 v[73:74], v[89:90], v[73:74], v[77:78]
	s_waitcnt vmcnt(4)
	v_fma_f64 v[73:74], v[91:92], v[75:76], v[73:74]
	s_waitcnt vmcnt(2) lgkmcnt(0)
	v_fma_f64 v[73:74], v[93:94], v[79:80], v[73:74]
	s_waitcnt vmcnt(0)
	v_add_f64 v[73:74], v[95:96], -v[73:74]
	buffer_store_dword v73, off, s[0:3], 0 offset:216
	buffer_store_dword v74, off, s[0:3], 0 offset:220
	s_and_saveexec_b64 s[4:5], vcc
	s_cbranch_execz .LBB98_165
; %bb.164:
	buffer_load_dword v73, off, s[0:3], 0 offset:208
	buffer_load_dword v74, off, s[0:3], 0 offset:212
	s_waitcnt vmcnt(0)
	ds_write_b64 v71, v[73:74]
	buffer_store_dword v72, off, s[0:3], 0 offset:208
	buffer_store_dword v72, off, s[0:3], 0 offset:212
.LBB98_165:
	s_or_b64 exec, exec, s[4:5]
	s_waitcnt lgkmcnt(0)
	; wave barrier
	buffer_load_dword v81, off, s[0:3], 0 offset:216
	buffer_load_dword v82, off, s[0:3], 0 offset:220
	;; [unrolled: 1-line block ×18, first 2 shown]
	ds_read2_b64 v[73:76], v72 offset0:63 offset1:64
	ds_read2_b64 v[77:80], v72 offset0:65 offset1:66
	v_cmp_lt_u32_e32 vcc, 25, v0
	s_waitcnt vmcnt(16) lgkmcnt(1)
	v_fma_f64 v[73:74], v[81:82], v[73:74], 0
	s_waitcnt vmcnt(14)
	v_fma_f64 v[73:74], v[83:84], v[75:76], v[73:74]
	s_waitcnt vmcnt(12) lgkmcnt(0)
	v_fma_f64 v[73:74], v[85:86], v[77:78], v[73:74]
	s_waitcnt vmcnt(10)
	v_fma_f64 v[81:82], v[87:88], v[79:80], v[73:74]
	ds_read2_b64 v[73:76], v72 offset0:67 offset1:68
	ds_read2_b64 v[77:80], v72 offset0:69 offset1:70
	s_waitcnt vmcnt(8) lgkmcnt(1)
	v_fma_f64 v[72:73], v[89:90], v[73:74], v[81:82]
	s_waitcnt vmcnt(6)
	v_fma_f64 v[72:73], v[91:92], v[75:76], v[72:73]
	s_waitcnt vmcnt(4) lgkmcnt(0)
	v_fma_f64 v[72:73], v[93:94], v[77:78], v[72:73]
	s_waitcnt vmcnt(2)
	v_fma_f64 v[72:73], v[95:96], v[79:80], v[72:73]
	s_waitcnt vmcnt(0)
	v_add_f64 v[72:73], v[97:98], -v[72:73]
	buffer_store_dword v72, off, s[0:3], 0 offset:208
	buffer_store_dword v73, off, s[0:3], 0 offset:212
	s_and_saveexec_b64 s[4:5], vcc
	s_cbranch_execz .LBB98_167
; %bb.166:
	buffer_load_dword v72, off, s[0:3], 0 offset:200
	buffer_load_dword v73, off, s[0:3], 0 offset:204
	v_mov_b32_e32 v74, 0
	buffer_store_dword v74, off, s[0:3], 0 offset:200
	buffer_store_dword v74, off, s[0:3], 0 offset:204
	s_waitcnt vmcnt(2)
	ds_write_b64 v71, v[72:73]
.LBB98_167:
	s_or_b64 exec, exec, s[4:5]
	s_waitcnt lgkmcnt(0)
	; wave barrier
	buffer_load_dword v81, off, s[0:3], 0 offset:208
	buffer_load_dword v82, off, s[0:3], 0 offset:212
	;; [unrolled: 1-line block ×20, first 2 shown]
	v_mov_b32_e32 v72, 0
	ds_read_b128 v[73:76], v72 offset:496
	ds_read_b128 v[77:80], v72 offset:512
	v_cmp_lt_u32_e32 vcc, 24, v0
	s_waitcnt vmcnt(18) lgkmcnt(1)
	v_fma_f64 v[73:74], v[81:82], v[73:74], 0
	s_waitcnt vmcnt(16)
	v_fma_f64 v[73:74], v[83:84], v[75:76], v[73:74]
	s_waitcnt vmcnt(14) lgkmcnt(0)
	v_fma_f64 v[73:74], v[85:86], v[77:78], v[73:74]
	s_waitcnt vmcnt(12)
	v_fma_f64 v[81:82], v[87:88], v[79:80], v[73:74]
	ds_read_b128 v[73:76], v72 offset:528
	ds_read_b128 v[77:80], v72 offset:544
	s_waitcnt vmcnt(10) lgkmcnt(1)
	v_fma_f64 v[73:74], v[89:90], v[73:74], v[81:82]
	s_waitcnt vmcnt(8)
	v_fma_f64 v[73:74], v[91:92], v[75:76], v[73:74]
	ds_read_b64 v[75:76], v72 offset:560
	s_waitcnt vmcnt(6) lgkmcnt(1)
	v_fma_f64 v[73:74], v[93:94], v[77:78], v[73:74]
	s_waitcnt vmcnt(3)
	v_fma_f64 v[73:74], v[95:96], v[79:80], v[73:74]
	s_waitcnt vmcnt(2) lgkmcnt(0)
	v_fma_f64 v[73:74], v[97:98], v[75:76], v[73:74]
	s_waitcnt vmcnt(0)
	v_add_f64 v[73:74], v[99:100], -v[73:74]
	buffer_store_dword v73, off, s[0:3], 0 offset:200
	buffer_store_dword v74, off, s[0:3], 0 offset:204
	s_and_saveexec_b64 s[4:5], vcc
	s_cbranch_execz .LBB98_169
; %bb.168:
	buffer_load_dword v73, off, s[0:3], 0 offset:192
	buffer_load_dword v74, off, s[0:3], 0 offset:196
	s_waitcnt vmcnt(0)
	ds_write_b64 v71, v[73:74]
	buffer_store_dword v72, off, s[0:3], 0 offset:192
	buffer_store_dword v72, off, s[0:3], 0 offset:196
.LBB98_169:
	s_or_b64 exec, exec, s[4:5]
	s_waitcnt lgkmcnt(0)
	; wave barrier
	buffer_load_dword v81, off, s[0:3], 0 offset:200
	buffer_load_dword v82, off, s[0:3], 0 offset:204
	;; [unrolled: 1-line block ×20, first 2 shown]
	ds_read2_b64 v[73:76], v72 offset0:61 offset1:62
	buffer_load_dword v101, off, s[0:3], 0 offset:192
	buffer_load_dword v102, off, s[0:3], 0 offset:196
	ds_read2_b64 v[77:80], v72 offset0:63 offset1:64
	v_cmp_lt_u32_e32 vcc, 23, v0
	s_waitcnt vmcnt(20) lgkmcnt(1)
	v_fma_f64 v[73:74], v[81:82], v[73:74], 0
	s_waitcnt vmcnt(18)
	v_fma_f64 v[73:74], v[83:84], v[75:76], v[73:74]
	s_waitcnt vmcnt(16) lgkmcnt(0)
	v_fma_f64 v[73:74], v[85:86], v[77:78], v[73:74]
	s_waitcnt vmcnt(14)
	v_fma_f64 v[81:82], v[87:88], v[79:80], v[73:74]
	ds_read2_b64 v[73:76], v72 offset0:65 offset1:66
	ds_read2_b64 v[77:80], v72 offset0:67 offset1:68
	s_waitcnt vmcnt(12) lgkmcnt(1)
	v_fma_f64 v[73:74], v[89:90], v[73:74], v[81:82]
	s_waitcnt vmcnt(10)
	v_fma_f64 v[73:74], v[91:92], v[75:76], v[73:74]
	s_waitcnt vmcnt(8) lgkmcnt(0)
	v_fma_f64 v[73:74], v[93:94], v[77:78], v[73:74]
	s_waitcnt vmcnt(4)
	v_fma_f64 v[76:77], v[95:96], v[79:80], v[73:74]
	ds_read2_b64 v[72:75], v72 offset0:69 offset1:70
	s_waitcnt vmcnt(3) lgkmcnt(0)
	v_fma_f64 v[72:73], v[99:100], v[72:73], v[76:77]
	s_waitcnt vmcnt(2)
	v_fma_f64 v[72:73], v[97:98], v[74:75], v[72:73]
	s_waitcnt vmcnt(0)
	v_add_f64 v[72:73], v[101:102], -v[72:73]
	buffer_store_dword v72, off, s[0:3], 0 offset:192
	buffer_store_dword v73, off, s[0:3], 0 offset:196
	s_and_saveexec_b64 s[4:5], vcc
	s_cbranch_execz .LBB98_171
; %bb.170:
	buffer_load_dword v72, off, s[0:3], 0 offset:184
	buffer_load_dword v73, off, s[0:3], 0 offset:188
	v_mov_b32_e32 v74, 0
	buffer_store_dword v74, off, s[0:3], 0 offset:184
	buffer_store_dword v74, off, s[0:3], 0 offset:188
	s_waitcnt vmcnt(2)
	ds_write_b64 v71, v[72:73]
.LBB98_171:
	s_or_b64 exec, exec, s[4:5]
	s_waitcnt lgkmcnt(0)
	; wave barrier
	buffer_load_dword v81, off, s[0:3], 0 offset:192
	buffer_load_dword v82, off, s[0:3], 0 offset:196
	;; [unrolled: 1-line block ×21, first 2 shown]
	v_mov_b32_e32 v72, 0
	ds_read_b128 v[73:76], v72 offset:480
	ds_read_b128 v[77:80], v72 offset:496
	buffer_load_dword v98, off, s[0:3], 0 offset:276
	v_cmp_lt_u32_e32 vcc, 22, v0
	s_waitcnt vmcnt(20) lgkmcnt(1)
	v_fma_f64 v[73:74], v[81:82], v[73:74], 0
	buffer_load_dword v81, off, s[0:3], 0 offset:184
	buffer_load_dword v82, off, s[0:3], 0 offset:188
	s_waitcnt vmcnt(20)
	v_fma_f64 v[73:74], v[83:84], v[75:76], v[73:74]
	s_waitcnt vmcnt(18) lgkmcnt(0)
	v_fma_f64 v[73:74], v[85:86], v[77:78], v[73:74]
	s_waitcnt vmcnt(16)
	v_fma_f64 v[83:84], v[87:88], v[79:80], v[73:74]
	ds_read_b128 v[73:76], v72 offset:512
	ds_read_b128 v[77:80], v72 offset:528
	s_waitcnt vmcnt(14) lgkmcnt(1)
	v_fma_f64 v[73:74], v[89:90], v[73:74], v[83:84]
	s_waitcnt vmcnt(12)
	v_fma_f64 v[73:74], v[91:92], v[75:76], v[73:74]
	s_waitcnt vmcnt(10) lgkmcnt(0)
	v_fma_f64 v[73:74], v[93:94], v[77:78], v[73:74]
	s_waitcnt vmcnt(5)
	v_fma_f64 v[77:78], v[95:96], v[79:80], v[73:74]
	ds_read_b128 v[73:76], v72 offset:544
	ds_read_b64 v[79:80], v72 offset:560
	s_waitcnt vmcnt(4) lgkmcnt(1)
	v_fma_f64 v[73:74], v[101:102], v[73:74], v[77:78]
	s_waitcnt vmcnt(3)
	v_fma_f64 v[73:74], v[99:100], v[75:76], v[73:74]
	s_waitcnt vmcnt(2) lgkmcnt(0)
	v_fma_f64 v[73:74], v[97:98], v[79:80], v[73:74]
	s_waitcnt vmcnt(0)
	v_add_f64 v[73:74], v[81:82], -v[73:74]
	buffer_store_dword v74, off, s[0:3], 0 offset:188
	buffer_store_dword v73, off, s[0:3], 0 offset:184
	s_and_saveexec_b64 s[4:5], vcc
	s_cbranch_execz .LBB98_173
; %bb.172:
	buffer_load_dword v73, off, s[0:3], 0 offset:176
	buffer_load_dword v74, off, s[0:3], 0 offset:180
	s_waitcnt vmcnt(0)
	ds_write_b64 v71, v[73:74]
	buffer_store_dword v72, off, s[0:3], 0 offset:176
	buffer_store_dword v72, off, s[0:3], 0 offset:180
.LBB98_173:
	s_or_b64 exec, exec, s[4:5]
	s_waitcnt lgkmcnt(0)
	; wave barrier
	buffer_load_dword v81, off, s[0:3], 0 offset:184
	buffer_load_dword v82, off, s[0:3], 0 offset:188
	;; [unrolled: 1-line block ×21, first 2 shown]
	ds_read2_b64 v[73:76], v72 offset0:59 offset1:60
	ds_read2_b64 v[77:80], v72 offset0:61 offset1:62
	buffer_load_dword v98, off, s[0:3], 0 offset:268
	v_cmp_lt_u32_e32 vcc, 21, v0
	s_waitcnt vmcnt(20) lgkmcnt(1)
	v_fma_f64 v[73:74], v[81:82], v[73:74], 0
	buffer_load_dword v82, off, s[0:3], 0 offset:276
	buffer_load_dword v81, off, s[0:3], 0 offset:272
	s_waitcnt vmcnt(20)
	v_fma_f64 v[73:74], v[83:84], v[75:76], v[73:74]
	buffer_load_dword v83, off, s[0:3], 0 offset:176
	buffer_load_dword v84, off, s[0:3], 0 offset:180
	s_waitcnt vmcnt(20) lgkmcnt(0)
	v_fma_f64 v[73:74], v[85:86], v[77:78], v[73:74]
	s_waitcnt vmcnt(18)
	v_fma_f64 v[85:86], v[87:88], v[79:80], v[73:74]
	ds_read2_b64 v[73:76], v72 offset0:63 offset1:64
	ds_read2_b64 v[77:80], v72 offset0:65 offset1:66
	s_waitcnt vmcnt(16) lgkmcnt(1)
	v_fma_f64 v[73:74], v[89:90], v[73:74], v[85:86]
	s_waitcnt vmcnt(14)
	v_fma_f64 v[73:74], v[91:92], v[75:76], v[73:74]
	s_waitcnt vmcnt(12) lgkmcnt(0)
	v_fma_f64 v[73:74], v[93:94], v[77:78], v[73:74]
	s_waitcnt vmcnt(7)
	v_fma_f64 v[85:86], v[95:96], v[79:80], v[73:74]
	ds_read2_b64 v[73:76], v72 offset0:67 offset1:68
	ds_read2_b64 v[77:80], v72 offset0:69 offset1:70
	s_waitcnt vmcnt(6) lgkmcnt(1)
	v_fma_f64 v[72:73], v[101:102], v[73:74], v[85:86]
	s_waitcnt vmcnt(5)
	v_fma_f64 v[72:73], v[99:100], v[75:76], v[72:73]
	s_waitcnt vmcnt(4) lgkmcnt(0)
	v_fma_f64 v[72:73], v[97:98], v[77:78], v[72:73]
	s_waitcnt vmcnt(2)
	v_fma_f64 v[72:73], v[81:82], v[79:80], v[72:73]
	s_waitcnt vmcnt(0)
	v_add_f64 v[72:73], v[83:84], -v[72:73]
	buffer_store_dword v73, off, s[0:3], 0 offset:180
	buffer_store_dword v72, off, s[0:3], 0 offset:176
	s_and_saveexec_b64 s[4:5], vcc
	s_cbranch_execz .LBB98_175
; %bb.174:
	buffer_load_dword v72, off, s[0:3], 0 offset:168
	buffer_load_dword v73, off, s[0:3], 0 offset:172
	v_mov_b32_e32 v74, 0
	buffer_store_dword v74, off, s[0:3], 0 offset:168
	buffer_store_dword v74, off, s[0:3], 0 offset:172
	s_waitcnt vmcnt(2)
	ds_write_b64 v71, v[72:73]
.LBB98_175:
	s_or_b64 exec, exec, s[4:5]
	s_waitcnt lgkmcnt(0)
	; wave barrier
	buffer_load_dword v81, off, s[0:3], 0 offset:176
	buffer_load_dword v82, off, s[0:3], 0 offset:180
	;; [unrolled: 1-line block ×21, first 2 shown]
	v_mov_b32_e32 v72, 0
	ds_read_b128 v[73:76], v72 offset:464
	ds_read_b128 v[77:80], v72 offset:480
	buffer_load_dword v98, off, s[0:3], 0 offset:260
	v_cmp_lt_u32_e32 vcc, 20, v0
	s_waitcnt vmcnt(20) lgkmcnt(1)
	v_fma_f64 v[73:74], v[81:82], v[73:74], 0
	s_waitcnt vmcnt(18)
	v_fma_f64 v[73:74], v[83:84], v[75:76], v[73:74]
	buffer_load_dword v82, off, s[0:3], 0 offset:268
	buffer_load_dword v83, off, s[0:3], 0 offset:272
	;; [unrolled: 1-line block ×4, first 2 shown]
	s_waitcnt vmcnt(20) lgkmcnt(0)
	v_fma_f64 v[73:74], v[85:86], v[77:78], v[73:74]
	buffer_load_dword v85, off, s[0:3], 0 offset:168
	buffer_load_dword v86, off, s[0:3], 0 offset:172
	s_waitcnt vmcnt(20)
	v_fma_f64 v[87:88], v[87:88], v[79:80], v[73:74]
	ds_read_b128 v[73:76], v72 offset:496
	ds_read_b128 v[77:80], v72 offset:512
	s_waitcnt vmcnt(18) lgkmcnt(1)
	v_fma_f64 v[73:74], v[89:90], v[73:74], v[87:88]
	s_waitcnt vmcnt(16)
	v_fma_f64 v[73:74], v[91:92], v[75:76], v[73:74]
	s_waitcnt vmcnt(14) lgkmcnt(0)
	v_fma_f64 v[73:74], v[93:94], v[77:78], v[73:74]
	s_waitcnt vmcnt(9)
	v_fma_f64 v[87:88], v[95:96], v[79:80], v[73:74]
	ds_read_b128 v[73:76], v72 offset:528
	ds_read_b128 v[77:80], v72 offset:544
	s_waitcnt vmcnt(8) lgkmcnt(1)
	v_fma_f64 v[73:74], v[101:102], v[73:74], v[87:88]
	s_waitcnt vmcnt(7)
	v_fma_f64 v[73:74], v[99:100], v[75:76], v[73:74]
	ds_read_b64 v[75:76], v72 offset:560
	s_waitcnt vmcnt(6) lgkmcnt(1)
	v_fma_f64 v[73:74], v[97:98], v[77:78], v[73:74]
	s_waitcnt vmcnt(3)
	v_fma_f64 v[73:74], v[81:82], v[79:80], v[73:74]
	s_waitcnt vmcnt(2) lgkmcnt(0)
	v_fma_f64 v[73:74], v[83:84], v[75:76], v[73:74]
	s_waitcnt vmcnt(0)
	v_add_f64 v[73:74], v[85:86], -v[73:74]
	buffer_store_dword v74, off, s[0:3], 0 offset:172
	buffer_store_dword v73, off, s[0:3], 0 offset:168
	s_and_saveexec_b64 s[4:5], vcc
	s_cbranch_execz .LBB98_177
; %bb.176:
	buffer_load_dword v73, off, s[0:3], 0 offset:160
	buffer_load_dword v74, off, s[0:3], 0 offset:164
	s_waitcnt vmcnt(0)
	ds_write_b64 v71, v[73:74]
	buffer_store_dword v72, off, s[0:3], 0 offset:160
	buffer_store_dword v72, off, s[0:3], 0 offset:164
.LBB98_177:
	s_or_b64 exec, exec, s[4:5]
	s_waitcnt lgkmcnt(0)
	; wave barrier
	buffer_load_dword v81, off, s[0:3], 0 offset:168
	buffer_load_dword v82, off, s[0:3], 0 offset:172
	;; [unrolled: 1-line block ×22, first 2 shown]
	ds_read2_b64 v[73:76], v72 offset0:57 offset1:58
	ds_read2_b64 v[77:80], v72 offset0:59 offset1:60
	v_cmp_lt_u32_e32 vcc, 19, v0
	s_waitcnt vmcnt(20) lgkmcnt(1)
	v_fma_f64 v[73:74], v[81:82], v[73:74], 0
	s_waitcnt vmcnt(18)
	v_fma_f64 v[73:74], v[83:84], v[75:76], v[73:74]
	buffer_load_dword v82, off, s[0:3], 0 offset:260
	buffer_load_dword v83, off, s[0:3], 0 offset:272
	buffer_load_dword v103, off, s[0:3], 0 offset:264
	buffer_load_dword v81, off, s[0:3], 0 offset:256
	buffer_load_dword v104, off, s[0:3], 0 offset:268
	buffer_load_dword v84, off, s[0:3], 0 offset:276
	s_waitcnt vmcnt(22) lgkmcnt(0)
	v_fma_f64 v[73:74], v[85:86], v[77:78], v[73:74]
	s_waitcnt vmcnt(20)
	v_fma_f64 v[85:86], v[87:88], v[79:80], v[73:74]
	ds_read2_b64 v[73:76], v72 offset0:61 offset1:62
	buffer_load_dword v87, off, s[0:3], 0 offset:160
	buffer_load_dword v88, off, s[0:3], 0 offset:164
	ds_read2_b64 v[77:80], v72 offset0:63 offset1:64
	s_waitcnt vmcnt(20) lgkmcnt(1)
	v_fma_f64 v[73:74], v[89:90], v[73:74], v[85:86]
	s_waitcnt vmcnt(18)
	v_fma_f64 v[73:74], v[91:92], v[75:76], v[73:74]
	s_waitcnt vmcnt(16) lgkmcnt(0)
	v_fma_f64 v[73:74], v[93:94], v[77:78], v[73:74]
	s_waitcnt vmcnt(11)
	v_fma_f64 v[85:86], v[95:96], v[79:80], v[73:74]
	ds_read2_b64 v[73:76], v72 offset0:65 offset1:66
	ds_read2_b64 v[77:80], v72 offset0:67 offset1:68
	s_waitcnt vmcnt(10) lgkmcnt(1)
	v_fma_f64 v[73:74], v[101:102], v[73:74], v[85:86]
	s_waitcnt vmcnt(9)
	v_fma_f64 v[73:74], v[99:100], v[75:76], v[73:74]
	s_waitcnt vmcnt(8) lgkmcnt(0)
	v_fma_f64 v[73:74], v[97:98], v[77:78], v[73:74]
	s_waitcnt vmcnt(4)
	v_fma_f64 v[76:77], v[81:82], v[79:80], v[73:74]
	ds_read2_b64 v[72:75], v72 offset0:69 offset1:70
	s_waitcnt vmcnt(3) lgkmcnt(0)
	v_fma_f64 v[72:73], v[103:104], v[72:73], v[76:77]
	s_waitcnt vmcnt(2)
	v_fma_f64 v[72:73], v[83:84], v[74:75], v[72:73]
	s_waitcnt vmcnt(0)
	v_add_f64 v[72:73], v[87:88], -v[72:73]
	buffer_store_dword v73, off, s[0:3], 0 offset:164
	buffer_store_dword v72, off, s[0:3], 0 offset:160
	s_and_saveexec_b64 s[4:5], vcc
	s_cbranch_execz .LBB98_179
; %bb.178:
	buffer_load_dword v72, off, s[0:3], 0 offset:152
	buffer_load_dword v73, off, s[0:3], 0 offset:156
	v_mov_b32_e32 v74, 0
	buffer_store_dword v74, off, s[0:3], 0 offset:152
	buffer_store_dword v74, off, s[0:3], 0 offset:156
	s_waitcnt vmcnt(2)
	ds_write_b64 v71, v[72:73]
.LBB98_179:
	s_or_b64 exec, exec, s[4:5]
	s_waitcnt lgkmcnt(0)
	; wave barrier
	buffer_load_dword v81, off, s[0:3], 0 offset:160
	buffer_load_dword v82, off, s[0:3], 0 offset:164
	;; [unrolled: 1-line block ×22, first 2 shown]
	v_mov_b32_e32 v72, 0
	ds_read_b128 v[73:76], v72 offset:448
	ds_read_b128 v[77:80], v72 offset:464
	v_cmp_lt_u32_e32 vcc, 18, v0
	s_waitcnt vmcnt(20) lgkmcnt(1)
	v_fma_f64 v[73:74], v[81:82], v[73:74], 0
	s_waitcnt vmcnt(18)
	v_fma_f64 v[73:74], v[83:84], v[75:76], v[73:74]
	buffer_load_dword v82, off, s[0:3], 0 offset:252
	buffer_load_dword v83, off, s[0:3], 0 offset:272
	;; [unrolled: 1-line block ×8, first 2 shown]
	s_waitcnt vmcnt(24) lgkmcnt(0)
	v_fma_f64 v[73:74], v[85:86], v[77:78], v[73:74]
	s_waitcnt vmcnt(22)
	v_fma_f64 v[85:86], v[87:88], v[79:80], v[73:74]
	ds_read_b128 v[73:76], v72 offset:480
	ds_read_b128 v[77:80], v72 offset:496
	s_waitcnt vmcnt(20) lgkmcnt(1)
	v_fma_f64 v[73:74], v[89:90], v[73:74], v[85:86]
	buffer_load_dword v85, off, s[0:3], 0 offset:152
	buffer_load_dword v86, off, s[0:3], 0 offset:156
	s_waitcnt vmcnt(20)
	v_fma_f64 v[73:74], v[91:92], v[75:76], v[73:74]
	s_waitcnt vmcnt(18) lgkmcnt(0)
	v_fma_f64 v[73:74], v[93:94], v[77:78], v[73:74]
	s_waitcnt vmcnt(13)
	v_fma_f64 v[87:88], v[95:96], v[79:80], v[73:74]
	ds_read_b128 v[73:76], v72 offset:512
	ds_read_b128 v[77:80], v72 offset:528
	s_waitcnt vmcnt(12) lgkmcnt(1)
	v_fma_f64 v[73:74], v[101:102], v[73:74], v[87:88]
	s_waitcnt vmcnt(11)
	v_fma_f64 v[73:74], v[99:100], v[75:76], v[73:74]
	s_waitcnt vmcnt(10) lgkmcnt(0)
	v_fma_f64 v[73:74], v[97:98], v[77:78], v[73:74]
	s_waitcnt vmcnt(5)
	v_fma_f64 v[77:78], v[81:82], v[79:80], v[73:74]
	ds_read_b128 v[73:76], v72 offset:544
	ds_read_b64 v[79:80], v72 offset:560
	s_waitcnt vmcnt(4) lgkmcnt(1)
	v_fma_f64 v[73:74], v[105:106], v[73:74], v[77:78]
	s_waitcnt vmcnt(3)
	v_fma_f64 v[73:74], v[103:104], v[75:76], v[73:74]
	s_waitcnt vmcnt(2) lgkmcnt(0)
	v_fma_f64 v[73:74], v[83:84], v[79:80], v[73:74]
	s_waitcnt vmcnt(0)
	v_add_f64 v[73:74], v[85:86], -v[73:74]
	buffer_store_dword v74, off, s[0:3], 0 offset:156
	buffer_store_dword v73, off, s[0:3], 0 offset:152
	s_and_saveexec_b64 s[4:5], vcc
	s_cbranch_execz .LBB98_181
; %bb.180:
	buffer_load_dword v73, off, s[0:3], 0 offset:144
	buffer_load_dword v74, off, s[0:3], 0 offset:148
	s_waitcnt vmcnt(0)
	ds_write_b64 v71, v[73:74]
	buffer_store_dword v72, off, s[0:3], 0 offset:144
	buffer_store_dword v72, off, s[0:3], 0 offset:148
.LBB98_181:
	s_or_b64 exec, exec, s[4:5]
	s_waitcnt lgkmcnt(0)
	; wave barrier
	buffer_load_dword v81, off, s[0:3], 0 offset:152
	buffer_load_dword v82, off, s[0:3], 0 offset:156
	;; [unrolled: 1-line block ×22, first 2 shown]
	ds_read2_b64 v[73:76], v72 offset0:55 offset1:56
	ds_read2_b64 v[77:80], v72 offset0:57 offset1:58
	v_cmp_lt_u32_e32 vcc, 17, v0
	s_waitcnt vmcnt(20) lgkmcnt(1)
	v_fma_f64 v[73:74], v[81:82], v[73:74], 0
	s_waitcnt vmcnt(18)
	v_fma_f64 v[73:74], v[83:84], v[75:76], v[73:74]
	buffer_load_dword v82, off, s[0:3], 0 offset:244
	buffer_load_dword v83, off, s[0:3], 0 offset:264
	;; [unrolled: 1-line block ×8, first 2 shown]
	s_waitcnt vmcnt(24) lgkmcnt(0)
	v_fma_f64 v[73:74], v[85:86], v[77:78], v[73:74]
	s_waitcnt vmcnt(22)
	v_fma_f64 v[85:86], v[87:88], v[79:80], v[73:74]
	ds_read2_b64 v[73:76], v72 offset0:59 offset1:60
	ds_read2_b64 v[77:80], v72 offset0:61 offset1:62
	s_waitcnt vmcnt(20) lgkmcnt(1)
	v_fma_f64 v[73:74], v[89:90], v[73:74], v[85:86]
	buffer_load_dword v86, off, s[0:3], 0 offset:276
	buffer_load_dword v85, off, s[0:3], 0 offset:272
	buffer_load_dword v87, off, s[0:3], 0 offset:144
	buffer_load_dword v88, off, s[0:3], 0 offset:148
	s_waitcnt vmcnt(22)
	v_fma_f64 v[73:74], v[91:92], v[75:76], v[73:74]
	s_waitcnt vmcnt(20) lgkmcnt(0)
	v_fma_f64 v[73:74], v[93:94], v[77:78], v[73:74]
	s_waitcnt vmcnt(15)
	v_fma_f64 v[89:90], v[95:96], v[79:80], v[73:74]
	ds_read2_b64 v[73:76], v72 offset0:63 offset1:64
	ds_read2_b64 v[77:80], v72 offset0:65 offset1:66
	s_waitcnt vmcnt(14) lgkmcnt(1)
	v_fma_f64 v[73:74], v[101:102], v[73:74], v[89:90]
	s_waitcnt vmcnt(13)
	v_fma_f64 v[73:74], v[99:100], v[75:76], v[73:74]
	s_waitcnt vmcnt(12) lgkmcnt(0)
	v_fma_f64 v[73:74], v[97:98], v[77:78], v[73:74]
	s_waitcnt vmcnt(7)
	v_fma_f64 v[81:82], v[81:82], v[79:80], v[73:74]
	ds_read2_b64 v[73:76], v72 offset0:67 offset1:68
	ds_read2_b64 v[77:80], v72 offset0:69 offset1:70
	s_waitcnt vmcnt(6) lgkmcnt(1)
	v_fma_f64 v[72:73], v[105:106], v[73:74], v[81:82]
	s_waitcnt vmcnt(5)
	v_fma_f64 v[72:73], v[103:104], v[75:76], v[72:73]
	s_waitcnt vmcnt(4) lgkmcnt(0)
	v_fma_f64 v[72:73], v[83:84], v[77:78], v[72:73]
	s_waitcnt vmcnt(2)
	v_fma_f64 v[72:73], v[85:86], v[79:80], v[72:73]
	s_waitcnt vmcnt(0)
	v_add_f64 v[72:73], v[87:88], -v[72:73]
	buffer_store_dword v73, off, s[0:3], 0 offset:148
	buffer_store_dword v72, off, s[0:3], 0 offset:144
	s_and_saveexec_b64 s[4:5], vcc
	s_cbranch_execz .LBB98_183
; %bb.182:
	buffer_load_dword v72, off, s[0:3], 0 offset:136
	buffer_load_dword v73, off, s[0:3], 0 offset:140
	v_mov_b32_e32 v74, 0
	buffer_store_dword v74, off, s[0:3], 0 offset:136
	buffer_store_dword v74, off, s[0:3], 0 offset:140
	s_waitcnt vmcnt(2)
	ds_write_b64 v71, v[72:73]
.LBB98_183:
	s_or_b64 exec, exec, s[4:5]
	s_waitcnt lgkmcnt(0)
	; wave barrier
	buffer_load_dword v81, off, s[0:3], 0 offset:144
	buffer_load_dword v82, off, s[0:3], 0 offset:148
	;; [unrolled: 1-line block ×22, first 2 shown]
	v_mov_b32_e32 v72, 0
	ds_read_b128 v[73:76], v72 offset:432
	ds_read_b128 v[77:80], v72 offset:448
	v_cmp_lt_u32_e32 vcc, 16, v0
	s_waitcnt vmcnt(20) lgkmcnt(1)
	v_fma_f64 v[73:74], v[81:82], v[73:74], 0
	s_waitcnt vmcnt(18)
	v_fma_f64 v[73:74], v[83:84], v[75:76], v[73:74]
	buffer_load_dword v82, off, s[0:3], 0 offset:236
	buffer_load_dword v83, off, s[0:3], 0 offset:256
	;; [unrolled: 1-line block ×7, first 2 shown]
	s_waitcnt vmcnt(23) lgkmcnt(0)
	v_fma_f64 v[73:74], v[85:86], v[77:78], v[73:74]
	s_waitcnt vmcnt(21)
	v_fma_f64 v[84:85], v[87:88], v[79:80], v[73:74]
	ds_read_b128 v[73:76], v72 offset:464
	ds_read_b128 v[77:80], v72 offset:480
	s_waitcnt vmcnt(19) lgkmcnt(1)
	v_fma_f64 v[73:74], v[89:90], v[73:74], v[84:85]
	buffer_load_dword v84, off, s[0:3], 0 offset:260
	buffer_load_dword v86, off, s[0:3], 0 offset:268
	;; [unrolled: 1-line block ×7, first 2 shown]
	s_waitcnt vmcnt(24)
	v_fma_f64 v[73:74], v[91:92], v[75:76], v[73:74]
	s_waitcnt vmcnt(22) lgkmcnt(0)
	v_fma_f64 v[73:74], v[93:94], v[77:78], v[73:74]
	s_waitcnt vmcnt(17)
	v_fma_f64 v[91:92], v[95:96], v[79:80], v[73:74]
	ds_read_b128 v[73:76], v72 offset:496
	ds_read_b128 v[77:80], v72 offset:512
	s_waitcnt vmcnt(16) lgkmcnt(1)
	v_fma_f64 v[73:74], v[101:102], v[73:74], v[91:92]
	s_waitcnt vmcnt(15)
	v_fma_f64 v[73:74], v[99:100], v[75:76], v[73:74]
	s_waitcnt vmcnt(14) lgkmcnt(0)
	v_fma_f64 v[73:74], v[97:98], v[77:78], v[73:74]
	s_waitcnt vmcnt(9)
	v_fma_f64 v[81:82], v[81:82], v[79:80], v[73:74]
	ds_read_b128 v[73:76], v72 offset:528
	ds_read_b128 v[77:80], v72 offset:544
	s_waitcnt vmcnt(8) lgkmcnt(1)
	v_fma_f64 v[73:74], v[105:106], v[73:74], v[81:82]
	s_waitcnt vmcnt(7)
	v_fma_f64 v[73:74], v[103:104], v[75:76], v[73:74]
	ds_read_b64 v[75:76], v72 offset:560
	s_waitcnt vmcnt(6) lgkmcnt(1)
	v_fma_f64 v[73:74], v[83:84], v[77:78], v[73:74]
	s_waitcnt vmcnt(3)
	v_fma_f64 v[73:74], v[85:86], v[79:80], v[73:74]
	s_waitcnt vmcnt(2) lgkmcnt(0)
	v_fma_f64 v[73:74], v[87:88], v[75:76], v[73:74]
	s_waitcnt vmcnt(0)
	v_add_f64 v[73:74], v[89:90], -v[73:74]
	buffer_store_dword v74, off, s[0:3], 0 offset:140
	buffer_store_dword v73, off, s[0:3], 0 offset:136
	s_and_saveexec_b64 s[4:5], vcc
	s_cbranch_execz .LBB98_185
; %bb.184:
	buffer_load_dword v73, off, s[0:3], 0 offset:128
	buffer_load_dword v74, off, s[0:3], 0 offset:132
	s_waitcnt vmcnt(0)
	ds_write_b64 v71, v[73:74]
	buffer_store_dword v72, off, s[0:3], 0 offset:128
	buffer_store_dword v72, off, s[0:3], 0 offset:132
.LBB98_185:
	s_or_b64 exec, exec, s[4:5]
	s_waitcnt lgkmcnt(0)
	; wave barrier
	buffer_load_dword v81, off, s[0:3], 0 offset:136
	buffer_load_dword v82, off, s[0:3], 0 offset:140
	;; [unrolled: 1-line block ×22, first 2 shown]
	ds_read2_b64 v[73:76], v72 offset0:53 offset1:54
	ds_read2_b64 v[77:80], v72 offset0:55 offset1:56
	v_cmp_lt_u32_e32 vcc, 15, v0
	s_waitcnt vmcnt(20) lgkmcnt(1)
	v_fma_f64 v[73:74], v[81:82], v[73:74], 0
	s_waitcnt vmcnt(18)
	v_fma_f64 v[73:74], v[83:84], v[75:76], v[73:74]
	buffer_load_dword v82, off, s[0:3], 0 offset:228
	buffer_load_dword v83, off, s[0:3], 0 offset:248
	;; [unrolled: 1-line block ×7, first 2 shown]
	s_waitcnt vmcnt(23) lgkmcnt(0)
	v_fma_f64 v[73:74], v[85:86], v[77:78], v[73:74]
	s_waitcnt vmcnt(21)
	v_fma_f64 v[84:85], v[87:88], v[79:80], v[73:74]
	ds_read2_b64 v[73:76], v72 offset0:57 offset1:58
	ds_read2_b64 v[77:80], v72 offset0:59 offset1:60
	s_waitcnt vmcnt(19) lgkmcnt(1)
	v_fma_f64 v[73:74], v[89:90], v[73:74], v[84:85]
	buffer_load_dword v84, off, s[0:3], 0 offset:252
	buffer_load_dword v86, off, s[0:3], 0 offset:260
	;; [unrolled: 1-line block ×7, first 2 shown]
	s_waitcnt vmcnt(24)
	v_fma_f64 v[73:74], v[91:92], v[75:76], v[73:74]
	s_waitcnt vmcnt(22) lgkmcnt(0)
	v_fma_f64 v[73:74], v[93:94], v[77:78], v[73:74]
	s_waitcnt vmcnt(17)
	v_fma_f64 v[91:92], v[95:96], v[79:80], v[73:74]
	ds_read2_b64 v[73:76], v72 offset0:61 offset1:62
	buffer_load_dword v93, off, s[0:3], 0 offset:128
	buffer_load_dword v94, off, s[0:3], 0 offset:132
	ds_read2_b64 v[77:80], v72 offset0:63 offset1:64
	s_waitcnt vmcnt(18) lgkmcnt(1)
	v_fma_f64 v[73:74], v[101:102], v[73:74], v[91:92]
	s_waitcnt vmcnt(17)
	v_fma_f64 v[73:74], v[99:100], v[75:76], v[73:74]
	s_waitcnt vmcnt(16) lgkmcnt(0)
	v_fma_f64 v[73:74], v[97:98], v[77:78], v[73:74]
	s_waitcnt vmcnt(11)
	v_fma_f64 v[81:82], v[81:82], v[79:80], v[73:74]
	ds_read2_b64 v[73:76], v72 offset0:65 offset1:66
	ds_read2_b64 v[77:80], v72 offset0:67 offset1:68
	s_waitcnt vmcnt(10) lgkmcnt(1)
	v_fma_f64 v[73:74], v[105:106], v[73:74], v[81:82]
	s_waitcnt vmcnt(9)
	v_fma_f64 v[73:74], v[103:104], v[75:76], v[73:74]
	s_waitcnt vmcnt(8) lgkmcnt(0)
	v_fma_f64 v[73:74], v[83:84], v[77:78], v[73:74]
	s_waitcnt vmcnt(4)
	v_fma_f64 v[76:77], v[85:86], v[79:80], v[73:74]
	ds_read2_b64 v[72:75], v72 offset0:69 offset1:70
	s_waitcnt vmcnt(3) lgkmcnt(0)
	v_fma_f64 v[72:73], v[89:90], v[72:73], v[76:77]
	s_waitcnt vmcnt(2)
	v_fma_f64 v[72:73], v[87:88], v[74:75], v[72:73]
	s_waitcnt vmcnt(0)
	v_add_f64 v[72:73], v[93:94], -v[72:73]
	buffer_store_dword v73, off, s[0:3], 0 offset:132
	buffer_store_dword v72, off, s[0:3], 0 offset:128
	s_and_saveexec_b64 s[4:5], vcc
	s_cbranch_execz .LBB98_187
; %bb.186:
	buffer_load_dword v72, off, s[0:3], 0 offset:120
	buffer_load_dword v73, off, s[0:3], 0 offset:124
	v_mov_b32_e32 v74, 0
	buffer_store_dword v74, off, s[0:3], 0 offset:120
	buffer_store_dword v74, off, s[0:3], 0 offset:124
	s_waitcnt vmcnt(2)
	ds_write_b64 v71, v[72:73]
.LBB98_187:
	s_or_b64 exec, exec, s[4:5]
	s_waitcnt lgkmcnt(0)
	; wave barrier
	buffer_load_dword v81, off, s[0:3], 0 offset:128
	buffer_load_dword v82, off, s[0:3], 0 offset:132
	;; [unrolled: 1-line block ×22, first 2 shown]
	v_mov_b32_e32 v72, 0
	ds_read_b128 v[73:76], v72 offset:416
	ds_read_b128 v[77:80], v72 offset:432
	v_cmp_lt_u32_e32 vcc, 14, v0
	s_waitcnt vmcnt(20) lgkmcnt(1)
	v_fma_f64 v[73:74], v[81:82], v[73:74], 0
	s_waitcnt vmcnt(18)
	v_fma_f64 v[73:74], v[83:84], v[75:76], v[73:74]
	buffer_load_dword v82, off, s[0:3], 0 offset:220
	buffer_load_dword v83, off, s[0:3], 0 offset:240
	buffer_load_dword v103, off, s[0:3], 0 offset:232
	buffer_load_dword v105, off, s[0:3], 0 offset:224
	buffer_load_dword v81, off, s[0:3], 0 offset:216
	buffer_load_dword v106, off, s[0:3], 0 offset:228
	buffer_load_dword v104, off, s[0:3], 0 offset:236
	s_waitcnt vmcnt(23) lgkmcnt(0)
	v_fma_f64 v[73:74], v[85:86], v[77:78], v[73:74]
	s_waitcnt vmcnt(21)
	v_fma_f64 v[84:85], v[87:88], v[79:80], v[73:74]
	ds_read_b128 v[73:76], v72 offset:448
	ds_read_b128 v[77:80], v72 offset:464
	s_waitcnt vmcnt(19) lgkmcnt(1)
	v_fma_f64 v[73:74], v[89:90], v[73:74], v[84:85]
	buffer_load_dword v84, off, s[0:3], 0 offset:244
	s_waitcnt vmcnt(18)
	v_fma_f64 v[73:74], v[91:92], v[75:76], v[73:74]
	buffer_load_dword v86, off, s[0:3], 0 offset:252
	buffer_load_dword v87, off, s[0:3], 0 offset:272
	;; [unrolled: 1-line block ×8, first 2 shown]
	s_waitcnt vmcnt(24) lgkmcnt(0)
	v_fma_f64 v[73:74], v[93:94], v[77:78], v[73:74]
	s_waitcnt vmcnt(19)
	v_fma_f64 v[93:94], v[95:96], v[79:80], v[73:74]
	ds_read_b128 v[73:76], v72 offset:480
	ds_read_b128 v[77:80], v72 offset:496
	s_waitcnt vmcnt(18) lgkmcnt(1)
	v_fma_f64 v[73:74], v[101:102], v[73:74], v[93:94]
	buffer_load_dword v93, off, s[0:3], 0 offset:120
	buffer_load_dword v94, off, s[0:3], 0 offset:124
	s_waitcnt vmcnt(19)
	v_fma_f64 v[73:74], v[99:100], v[75:76], v[73:74]
	s_waitcnt vmcnt(18) lgkmcnt(0)
	v_fma_f64 v[73:74], v[97:98], v[77:78], v[73:74]
	s_waitcnt vmcnt(13)
	v_fma_f64 v[81:82], v[81:82], v[79:80], v[73:74]
	ds_read_b128 v[73:76], v72 offset:512
	ds_read_b128 v[77:80], v72 offset:528
	s_waitcnt vmcnt(12) lgkmcnt(1)
	v_fma_f64 v[73:74], v[105:106], v[73:74], v[81:82]
	s_waitcnt vmcnt(11)
	v_fma_f64 v[73:74], v[103:104], v[75:76], v[73:74]
	s_waitcnt vmcnt(10) lgkmcnt(0)
	v_fma_f64 v[73:74], v[83:84], v[77:78], v[73:74]
	s_waitcnt vmcnt(5)
	v_fma_f64 v[77:78], v[85:86], v[79:80], v[73:74]
	ds_read_b128 v[73:76], v72 offset:544
	ds_read_b64 v[79:80], v72 offset:560
	s_waitcnt vmcnt(4) lgkmcnt(1)
	v_fma_f64 v[73:74], v[91:92], v[73:74], v[77:78]
	s_waitcnt vmcnt(3)
	v_fma_f64 v[73:74], v[89:90], v[75:76], v[73:74]
	s_waitcnt vmcnt(2) lgkmcnt(0)
	v_fma_f64 v[73:74], v[87:88], v[79:80], v[73:74]
	s_waitcnt vmcnt(0)
	v_add_f64 v[73:74], v[93:94], -v[73:74]
	buffer_store_dword v74, off, s[0:3], 0 offset:124
	buffer_store_dword v73, off, s[0:3], 0 offset:120
	s_and_saveexec_b64 s[4:5], vcc
	s_cbranch_execz .LBB98_189
; %bb.188:
	buffer_load_dword v73, off, s[0:3], 0 offset:112
	buffer_load_dword v74, off, s[0:3], 0 offset:116
	s_waitcnt vmcnt(0)
	ds_write_b64 v71, v[73:74]
	buffer_store_dword v72, off, s[0:3], 0 offset:112
	buffer_store_dword v72, off, s[0:3], 0 offset:116
.LBB98_189:
	s_or_b64 exec, exec, s[4:5]
	s_waitcnt lgkmcnt(0)
	; wave barrier
	buffer_load_dword v81, off, s[0:3], 0 offset:120
	buffer_load_dword v82, off, s[0:3], 0 offset:124
	;; [unrolled: 1-line block ×22, first 2 shown]
	ds_read2_b64 v[73:76], v72 offset0:51 offset1:52
	ds_read2_b64 v[77:80], v72 offset0:53 offset1:54
	v_cmp_lt_u32_e32 vcc, 13, v0
	s_waitcnt vmcnt(20) lgkmcnt(1)
	v_fma_f64 v[73:74], v[81:82], v[73:74], 0
	s_waitcnt vmcnt(18)
	v_fma_f64 v[73:74], v[83:84], v[75:76], v[73:74]
	buffer_load_dword v82, off, s[0:3], 0 offset:212
	buffer_load_dword v83, off, s[0:3], 0 offset:232
	;; [unrolled: 1-line block ×7, first 2 shown]
	s_waitcnt vmcnt(23) lgkmcnt(0)
	v_fma_f64 v[73:74], v[85:86], v[77:78], v[73:74]
	s_waitcnt vmcnt(21)
	v_fma_f64 v[84:85], v[87:88], v[79:80], v[73:74]
	ds_read2_b64 v[73:76], v72 offset0:55 offset1:56
	ds_read2_b64 v[77:80], v72 offset0:57 offset1:58
	s_waitcnt vmcnt(19) lgkmcnt(1)
	v_fma_f64 v[73:74], v[89:90], v[73:74], v[84:85]
	buffer_load_dword v84, off, s[0:3], 0 offset:236
	s_waitcnt vmcnt(18)
	v_fma_f64 v[73:74], v[91:92], v[75:76], v[73:74]
	buffer_load_dword v86, off, s[0:3], 0 offset:244
	buffer_load_dword v87, off, s[0:3], 0 offset:264
	;; [unrolled: 1-line block ×8, first 2 shown]
	s_waitcnt vmcnt(24) lgkmcnt(0)
	v_fma_f64 v[73:74], v[93:94], v[77:78], v[73:74]
	s_waitcnt vmcnt(19)
	v_fma_f64 v[93:94], v[95:96], v[79:80], v[73:74]
	ds_read2_b64 v[73:76], v72 offset0:59 offset1:60
	ds_read2_b64 v[77:80], v72 offset0:61 offset1:62
	s_waitcnt vmcnt(18) lgkmcnt(1)
	v_fma_f64 v[73:74], v[101:102], v[73:74], v[93:94]
	buffer_load_dword v94, off, s[0:3], 0 offset:276
	buffer_load_dword v93, off, s[0:3], 0 offset:272
	;; [unrolled: 1-line block ×4, first 2 shown]
	s_waitcnt vmcnt(21)
	v_fma_f64 v[73:74], v[99:100], v[75:76], v[73:74]
	s_waitcnt vmcnt(20) lgkmcnt(0)
	v_fma_f64 v[73:74], v[97:98], v[77:78], v[73:74]
	s_waitcnt vmcnt(15)
	v_fma_f64 v[81:82], v[81:82], v[79:80], v[73:74]
	ds_read2_b64 v[73:76], v72 offset0:63 offset1:64
	ds_read2_b64 v[77:80], v72 offset0:65 offset1:66
	s_waitcnt vmcnt(14) lgkmcnt(1)
	v_fma_f64 v[73:74], v[105:106], v[73:74], v[81:82]
	s_waitcnt vmcnt(13)
	v_fma_f64 v[73:74], v[103:104], v[75:76], v[73:74]
	s_waitcnt vmcnt(12) lgkmcnt(0)
	v_fma_f64 v[73:74], v[83:84], v[77:78], v[73:74]
	s_waitcnt vmcnt(7)
	v_fma_f64 v[81:82], v[85:86], v[79:80], v[73:74]
	ds_read2_b64 v[73:76], v72 offset0:67 offset1:68
	ds_read2_b64 v[77:80], v72 offset0:69 offset1:70
	s_waitcnt vmcnt(6) lgkmcnt(1)
	v_fma_f64 v[72:73], v[91:92], v[73:74], v[81:82]
	s_waitcnt vmcnt(5)
	v_fma_f64 v[72:73], v[89:90], v[75:76], v[72:73]
	s_waitcnt vmcnt(4) lgkmcnt(0)
	v_fma_f64 v[72:73], v[87:88], v[77:78], v[72:73]
	s_waitcnt vmcnt(2)
	v_fma_f64 v[72:73], v[93:94], v[79:80], v[72:73]
	s_waitcnt vmcnt(0)
	v_add_f64 v[72:73], v[95:96], -v[72:73]
	buffer_store_dword v73, off, s[0:3], 0 offset:116
	buffer_store_dword v72, off, s[0:3], 0 offset:112
	s_and_saveexec_b64 s[4:5], vcc
	s_cbranch_execz .LBB98_191
; %bb.190:
	buffer_load_dword v72, off, s[0:3], 0 offset:104
	buffer_load_dword v73, off, s[0:3], 0 offset:108
	v_mov_b32_e32 v74, 0
	buffer_store_dword v74, off, s[0:3], 0 offset:104
	buffer_store_dword v74, off, s[0:3], 0 offset:108
	s_waitcnt vmcnt(2)
	ds_write_b64 v71, v[72:73]
.LBB98_191:
	s_or_b64 exec, exec, s[4:5]
	s_waitcnt lgkmcnt(0)
	; wave barrier
	buffer_load_dword v81, off, s[0:3], 0 offset:112
	buffer_load_dword v82, off, s[0:3], 0 offset:116
	;; [unrolled: 1-line block ×21, first 2 shown]
	v_mov_b32_e32 v72, 0
	ds_read_b128 v[73:76], v72 offset:400
	ds_read_b128 v[77:80], v72 offset:416
	buffer_load_dword v98, off, s[0:3], 0 offset:196
	v_cmp_lt_u32_e32 vcc, 12, v0
	s_waitcnt vmcnt(20) lgkmcnt(1)
	v_fma_f64 v[73:74], v[81:82], v[73:74], 0
	s_waitcnt vmcnt(18)
	v_fma_f64 v[73:74], v[83:84], v[75:76], v[73:74]
	buffer_load_dword v82, off, s[0:3], 0 offset:204
	buffer_load_dword v83, off, s[0:3], 0 offset:224
	;; [unrolled: 1-line block ×7, first 2 shown]
	s_waitcnt vmcnt(23) lgkmcnt(0)
	v_fma_f64 v[73:74], v[85:86], v[77:78], v[73:74]
	s_waitcnt vmcnt(21)
	v_fma_f64 v[84:85], v[87:88], v[79:80], v[73:74]
	ds_read_b128 v[73:76], v72 offset:432
	ds_read_b128 v[77:80], v72 offset:448
	s_waitcnt vmcnt(19) lgkmcnt(1)
	v_fma_f64 v[73:74], v[89:90], v[73:74], v[84:85]
	buffer_load_dword v84, off, s[0:3], 0 offset:228
	s_waitcnt vmcnt(18)
	v_fma_f64 v[73:74], v[91:92], v[75:76], v[73:74]
	buffer_load_dword v86, off, s[0:3], 0 offset:236
	buffer_load_dword v87, off, s[0:3], 0 offset:256
	;; [unrolled: 1-line block ×7, first 2 shown]
	s_waitcnt vmcnt(23) lgkmcnt(0)
	v_fma_f64 v[73:74], v[93:94], v[77:78], v[73:74]
	s_waitcnt vmcnt(18)
	v_fma_f64 v[93:94], v[95:96], v[79:80], v[73:74]
	ds_read_b128 v[73:76], v72 offset:464
	ds_read_b128 v[77:80], v72 offset:480
	buffer_load_dword v88, off, s[0:3], 0 offset:260
	s_waitcnt vmcnt(18) lgkmcnt(1)
	v_fma_f64 v[73:74], v[101:102], v[73:74], v[93:94]
	buffer_load_dword v94, off, s[0:3], 0 offset:268
	buffer_load_dword v95, off, s[0:3], 0 offset:272
	;; [unrolled: 1-line block ×4, first 2 shown]
	s_waitcnt vmcnt(21)
	v_fma_f64 v[73:74], v[99:100], v[75:76], v[73:74]
	s_waitcnt vmcnt(20) lgkmcnt(0)
	v_fma_f64 v[73:74], v[97:98], v[77:78], v[73:74]
	buffer_load_dword v97, off, s[0:3], 0 offset:104
	buffer_load_dword v98, off, s[0:3], 0 offset:108
	s_waitcnt vmcnt(17)
	v_fma_f64 v[81:82], v[81:82], v[79:80], v[73:74]
	ds_read_b128 v[73:76], v72 offset:496
	ds_read_b128 v[77:80], v72 offset:512
	s_waitcnt vmcnt(16) lgkmcnt(1)
	v_fma_f64 v[73:74], v[105:106], v[73:74], v[81:82]
	s_waitcnt vmcnt(15)
	v_fma_f64 v[73:74], v[103:104], v[75:76], v[73:74]
	s_waitcnt vmcnt(14) lgkmcnt(0)
	v_fma_f64 v[73:74], v[83:84], v[77:78], v[73:74]
	s_waitcnt vmcnt(9)
	v_fma_f64 v[81:82], v[85:86], v[79:80], v[73:74]
	ds_read_b128 v[73:76], v72 offset:528
	ds_read_b128 v[77:80], v72 offset:544
	s_waitcnt vmcnt(8) lgkmcnt(1)
	v_fma_f64 v[73:74], v[91:92], v[73:74], v[81:82]
	s_waitcnt vmcnt(7)
	v_fma_f64 v[73:74], v[89:90], v[75:76], v[73:74]
	ds_read_b64 v[75:76], v72 offset:560
	s_waitcnt vmcnt(6) lgkmcnt(1)
	v_fma_f64 v[73:74], v[87:88], v[77:78], v[73:74]
	s_waitcnt vmcnt(3)
	v_fma_f64 v[73:74], v[93:94], v[79:80], v[73:74]
	s_waitcnt vmcnt(2) lgkmcnt(0)
	v_fma_f64 v[73:74], v[95:96], v[75:76], v[73:74]
	s_waitcnt vmcnt(0)
	v_add_f64 v[73:74], v[97:98], -v[73:74]
	buffer_store_dword v74, off, s[0:3], 0 offset:108
	buffer_store_dword v73, off, s[0:3], 0 offset:104
	s_and_saveexec_b64 s[4:5], vcc
	s_cbranch_execz .LBB98_193
; %bb.192:
	buffer_load_dword v73, off, s[0:3], 0 offset:96
	buffer_load_dword v74, off, s[0:3], 0 offset:100
	s_waitcnt vmcnt(0)
	ds_write_b64 v71, v[73:74]
	buffer_store_dword v72, off, s[0:3], 0 offset:96
	buffer_store_dword v72, off, s[0:3], 0 offset:100
.LBB98_193:
	s_or_b64 exec, exec, s[4:5]
	s_waitcnt lgkmcnt(0)
	; wave barrier
	buffer_load_dword v81, off, s[0:3], 0 offset:104
	buffer_load_dword v82, off, s[0:3], 0 offset:108
	;; [unrolled: 1-line block ×21, first 2 shown]
	ds_read2_b64 v[73:76], v72 offset0:49 offset1:50
	ds_read2_b64 v[77:80], v72 offset0:51 offset1:52
	buffer_load_dword v98, off, s[0:3], 0 offset:188
	v_cmp_lt_u32_e32 vcc, 11, v0
	s_waitcnt vmcnt(20) lgkmcnt(1)
	v_fma_f64 v[73:74], v[81:82], v[73:74], 0
	s_waitcnt vmcnt(18)
	v_fma_f64 v[73:74], v[83:84], v[75:76], v[73:74]
	buffer_load_dword v82, off, s[0:3], 0 offset:196
	buffer_load_dword v83, off, s[0:3], 0 offset:216
	;; [unrolled: 1-line block ×7, first 2 shown]
	s_waitcnt vmcnt(23) lgkmcnt(0)
	v_fma_f64 v[73:74], v[85:86], v[77:78], v[73:74]
	s_waitcnt vmcnt(21)
	v_fma_f64 v[84:85], v[87:88], v[79:80], v[73:74]
	ds_read2_b64 v[73:76], v72 offset0:53 offset1:54
	ds_read2_b64 v[77:80], v72 offset0:55 offset1:56
	s_waitcnt vmcnt(19) lgkmcnt(1)
	v_fma_f64 v[73:74], v[89:90], v[73:74], v[84:85]
	buffer_load_dword v84, off, s[0:3], 0 offset:220
	s_waitcnt vmcnt(18)
	v_fma_f64 v[73:74], v[91:92], v[75:76], v[73:74]
	buffer_load_dword v86, off, s[0:3], 0 offset:228
	buffer_load_dword v87, off, s[0:3], 0 offset:248
	;; [unrolled: 1-line block ×8, first 2 shown]
	s_waitcnt vmcnt(24) lgkmcnt(0)
	v_fma_f64 v[73:74], v[93:94], v[77:78], v[73:74]
	s_waitcnt vmcnt(19)
	v_fma_f64 v[93:94], v[95:96], v[79:80], v[73:74]
	ds_read2_b64 v[73:76], v72 offset0:57 offset1:58
	ds_read2_b64 v[77:80], v72 offset0:59 offset1:60
	s_waitcnt vmcnt(18) lgkmcnt(1)
	v_fma_f64 v[73:74], v[101:102], v[73:74], v[93:94]
	s_waitcnt vmcnt(17)
	v_fma_f64 v[73:74], v[99:100], v[75:76], v[73:74]
	buffer_load_dword v94, off, s[0:3], 0 offset:260
	buffer_load_dword v95, off, s[0:3], 0 offset:272
	;; [unrolled: 1-line block ×6, first 2 shown]
	s_waitcnt vmcnt(22) lgkmcnt(0)
	v_fma_f64 v[73:74], v[97:98], v[77:78], v[73:74]
	s_waitcnt vmcnt(17)
	v_fma_f64 v[81:82], v[81:82], v[79:80], v[73:74]
	ds_read2_b64 v[73:76], v72 offset0:61 offset1:62
	buffer_load_dword v97, off, s[0:3], 0 offset:96
	buffer_load_dword v98, off, s[0:3], 0 offset:100
	ds_read2_b64 v[77:80], v72 offset0:63 offset1:64
	s_waitcnt vmcnt(18) lgkmcnt(1)
	v_fma_f64 v[73:74], v[105:106], v[73:74], v[81:82]
	s_waitcnt vmcnt(17)
	v_fma_f64 v[73:74], v[103:104], v[75:76], v[73:74]
	s_waitcnt vmcnt(16) lgkmcnt(0)
	v_fma_f64 v[73:74], v[83:84], v[77:78], v[73:74]
	s_waitcnt vmcnt(11)
	v_fma_f64 v[81:82], v[85:86], v[79:80], v[73:74]
	ds_read2_b64 v[73:76], v72 offset0:65 offset1:66
	ds_read2_b64 v[77:80], v72 offset0:67 offset1:68
	s_waitcnt vmcnt(10) lgkmcnt(1)
	v_fma_f64 v[73:74], v[91:92], v[73:74], v[81:82]
	s_waitcnt vmcnt(9)
	v_fma_f64 v[73:74], v[89:90], v[75:76], v[73:74]
	s_waitcnt vmcnt(8) lgkmcnt(0)
	v_fma_f64 v[73:74], v[87:88], v[77:78], v[73:74]
	s_waitcnt vmcnt(4)
	v_fma_f64 v[76:77], v[93:94], v[79:80], v[73:74]
	ds_read2_b64 v[72:75], v72 offset0:69 offset1:70
	s_waitcnt vmcnt(3) lgkmcnt(0)
	v_fma_f64 v[72:73], v[99:100], v[72:73], v[76:77]
	s_waitcnt vmcnt(2)
	v_fma_f64 v[72:73], v[95:96], v[74:75], v[72:73]
	s_waitcnt vmcnt(0)
	v_add_f64 v[72:73], v[97:98], -v[72:73]
	buffer_store_dword v73, off, s[0:3], 0 offset:100
	buffer_store_dword v72, off, s[0:3], 0 offset:96
	s_and_saveexec_b64 s[4:5], vcc
	s_cbranch_execz .LBB98_195
; %bb.194:
	buffer_load_dword v72, off, s[0:3], 0 offset:88
	buffer_load_dword v73, off, s[0:3], 0 offset:92
	v_mov_b32_e32 v74, 0
	buffer_store_dword v74, off, s[0:3], 0 offset:88
	buffer_store_dword v74, off, s[0:3], 0 offset:92
	s_waitcnt vmcnt(2)
	ds_write_b64 v71, v[72:73]
.LBB98_195:
	s_or_b64 exec, exec, s[4:5]
	s_waitcnt lgkmcnt(0)
	; wave barrier
	buffer_load_dword v81, off, s[0:3], 0 offset:96
	buffer_load_dword v82, off, s[0:3], 0 offset:100
	;; [unrolled: 1-line block ×21, first 2 shown]
	v_mov_b32_e32 v72, 0
	ds_read_b128 v[73:76], v72 offset:384
	ds_read_b128 v[77:80], v72 offset:400
	buffer_load_dword v98, off, s[0:3], 0 offset:180
	v_cmp_lt_u32_e32 vcc, 10, v0
	s_waitcnt vmcnt(20) lgkmcnt(1)
	v_fma_f64 v[73:74], v[81:82], v[73:74], 0
	s_waitcnt vmcnt(18)
	v_fma_f64 v[73:74], v[83:84], v[75:76], v[73:74]
	buffer_load_dword v82, off, s[0:3], 0 offset:188
	buffer_load_dword v83, off, s[0:3], 0 offset:208
	;; [unrolled: 1-line block ×7, first 2 shown]
	s_waitcnt vmcnt(23) lgkmcnt(0)
	v_fma_f64 v[73:74], v[85:86], v[77:78], v[73:74]
	s_waitcnt vmcnt(21)
	v_fma_f64 v[84:85], v[87:88], v[79:80], v[73:74]
	ds_read_b128 v[73:76], v72 offset:416
	ds_read_b128 v[77:80], v72 offset:432
	s_waitcnt vmcnt(19) lgkmcnt(1)
	v_fma_f64 v[73:74], v[89:90], v[73:74], v[84:85]
	buffer_load_dword v84, off, s[0:3], 0 offset:212
	s_waitcnt vmcnt(18)
	v_fma_f64 v[73:74], v[91:92], v[75:76], v[73:74]
	buffer_load_dword v86, off, s[0:3], 0 offset:220
	buffer_load_dword v87, off, s[0:3], 0 offset:240
	;; [unrolled: 1-line block ×8, first 2 shown]
	s_waitcnt vmcnt(24) lgkmcnt(0)
	v_fma_f64 v[73:74], v[93:94], v[77:78], v[73:74]
	s_waitcnt vmcnt(19)
	v_fma_f64 v[93:94], v[95:96], v[79:80], v[73:74]
	ds_read_b128 v[73:76], v72 offset:448
	ds_read_b128 v[77:80], v72 offset:464
	s_waitcnt vmcnt(18) lgkmcnt(1)
	v_fma_f64 v[73:74], v[101:102], v[73:74], v[93:94]
	s_waitcnt vmcnt(17)
	v_fma_f64 v[73:74], v[99:100], v[75:76], v[73:74]
	buffer_load_dword v94, off, s[0:3], 0 offset:252
	buffer_load_dword v95, off, s[0:3], 0 offset:272
	;; [unrolled: 1-line block ×8, first 2 shown]
	s_waitcnt vmcnt(24) lgkmcnt(0)
	v_fma_f64 v[73:74], v[97:98], v[77:78], v[73:74]
	s_waitcnt vmcnt(19)
	v_fma_f64 v[81:82], v[81:82], v[79:80], v[73:74]
	ds_read_b128 v[73:76], v72 offset:480
	ds_read_b128 v[77:80], v72 offset:496
	s_waitcnt vmcnt(18) lgkmcnt(1)
	v_fma_f64 v[73:74], v[105:106], v[73:74], v[81:82]
	buffer_load_dword v81, off, s[0:3], 0 offset:88
	buffer_load_dword v82, off, s[0:3], 0 offset:92
	s_waitcnt vmcnt(19)
	v_fma_f64 v[73:74], v[103:104], v[75:76], v[73:74]
	s_waitcnt vmcnt(18) lgkmcnt(0)
	v_fma_f64 v[73:74], v[83:84], v[77:78], v[73:74]
	s_waitcnt vmcnt(13)
	v_fma_f64 v[83:84], v[85:86], v[79:80], v[73:74]
	ds_read_b128 v[73:76], v72 offset:512
	ds_read_b128 v[77:80], v72 offset:528
	s_waitcnt vmcnt(12) lgkmcnt(1)
	v_fma_f64 v[73:74], v[91:92], v[73:74], v[83:84]
	s_waitcnt vmcnt(11)
	v_fma_f64 v[73:74], v[89:90], v[75:76], v[73:74]
	s_waitcnt vmcnt(10) lgkmcnt(0)
	v_fma_f64 v[73:74], v[87:88], v[77:78], v[73:74]
	s_waitcnt vmcnt(5)
	v_fma_f64 v[77:78], v[93:94], v[79:80], v[73:74]
	ds_read_b128 v[73:76], v72 offset:544
	ds_read_b64 v[79:80], v72 offset:560
	s_waitcnt vmcnt(4) lgkmcnt(1)
	v_fma_f64 v[73:74], v[101:102], v[73:74], v[77:78]
	s_waitcnt vmcnt(3)
	v_fma_f64 v[73:74], v[99:100], v[75:76], v[73:74]
	s_waitcnt vmcnt(2) lgkmcnt(0)
	v_fma_f64 v[73:74], v[95:96], v[79:80], v[73:74]
	s_waitcnt vmcnt(0)
	v_add_f64 v[73:74], v[81:82], -v[73:74]
	buffer_store_dword v74, off, s[0:3], 0 offset:92
	buffer_store_dword v73, off, s[0:3], 0 offset:88
	s_and_saveexec_b64 s[4:5], vcc
	s_cbranch_execz .LBB98_197
; %bb.196:
	buffer_load_dword v73, off, s[0:3], 0 offset:80
	buffer_load_dword v74, off, s[0:3], 0 offset:84
	s_waitcnt vmcnt(0)
	ds_write_b64 v71, v[73:74]
	buffer_store_dword v72, off, s[0:3], 0 offset:80
	buffer_store_dword v72, off, s[0:3], 0 offset:84
.LBB98_197:
	s_or_b64 exec, exec, s[4:5]
	s_waitcnt lgkmcnt(0)
	; wave barrier
	buffer_load_dword v81, off, s[0:3], 0 offset:88
	buffer_load_dword v82, off, s[0:3], 0 offset:92
	;; [unrolled: 1-line block ×21, first 2 shown]
	ds_read2_b64 v[73:76], v72 offset0:47 offset1:48
	ds_read2_b64 v[77:80], v72 offset0:49 offset1:50
	buffer_load_dword v98, off, s[0:3], 0 offset:172
	v_cmp_lt_u32_e32 vcc, 9, v0
	s_waitcnt vmcnt(20) lgkmcnt(1)
	v_fma_f64 v[73:74], v[81:82], v[73:74], 0
	s_waitcnt vmcnt(18)
	v_fma_f64 v[73:74], v[83:84], v[75:76], v[73:74]
	buffer_load_dword v82, off, s[0:3], 0 offset:180
	buffer_load_dword v83, off, s[0:3], 0 offset:200
	;; [unrolled: 1-line block ×7, first 2 shown]
	s_waitcnt vmcnt(23) lgkmcnt(0)
	v_fma_f64 v[73:74], v[85:86], v[77:78], v[73:74]
	s_waitcnt vmcnt(21)
	v_fma_f64 v[84:85], v[87:88], v[79:80], v[73:74]
	ds_read2_b64 v[73:76], v72 offset0:51 offset1:52
	ds_read2_b64 v[77:80], v72 offset0:53 offset1:54
	s_waitcnt vmcnt(19) lgkmcnt(1)
	v_fma_f64 v[73:74], v[89:90], v[73:74], v[84:85]
	buffer_load_dword v84, off, s[0:3], 0 offset:204
	s_waitcnt vmcnt(18)
	v_fma_f64 v[73:74], v[91:92], v[75:76], v[73:74]
	buffer_load_dword v86, off, s[0:3], 0 offset:212
	buffer_load_dword v87, off, s[0:3], 0 offset:232
	;; [unrolled: 1-line block ×8, first 2 shown]
	s_waitcnt vmcnt(24) lgkmcnt(0)
	v_fma_f64 v[73:74], v[93:94], v[77:78], v[73:74]
	s_waitcnt vmcnt(19)
	v_fma_f64 v[93:94], v[95:96], v[79:80], v[73:74]
	ds_read2_b64 v[73:76], v72 offset0:55 offset1:56
	ds_read2_b64 v[77:80], v72 offset0:57 offset1:58
	s_waitcnt vmcnt(18) lgkmcnt(1)
	v_fma_f64 v[73:74], v[101:102], v[73:74], v[93:94]
	s_waitcnt vmcnt(17)
	v_fma_f64 v[73:74], v[99:100], v[75:76], v[73:74]
	buffer_load_dword v94, off, s[0:3], 0 offset:244
	buffer_load_dword v95, off, s[0:3], 0 offset:264
	;; [unrolled: 1-line block ×8, first 2 shown]
	s_waitcnt vmcnt(24) lgkmcnt(0)
	v_fma_f64 v[73:74], v[97:98], v[77:78], v[73:74]
	s_waitcnt vmcnt(19)
	v_fma_f64 v[81:82], v[81:82], v[79:80], v[73:74]
	ds_read2_b64 v[73:76], v72 offset0:59 offset1:60
	ds_read2_b64 v[77:80], v72 offset0:61 offset1:62
	s_waitcnt vmcnt(18) lgkmcnt(1)
	v_fma_f64 v[73:74], v[105:106], v[73:74], v[81:82]
	buffer_load_dword v82, off, s[0:3], 0 offset:276
	buffer_load_dword v81, off, s[0:3], 0 offset:272
	;; [unrolled: 1-line block ×4, first 2 shown]
	s_waitcnt vmcnt(21)
	v_fma_f64 v[73:74], v[103:104], v[75:76], v[73:74]
	s_waitcnt vmcnt(20) lgkmcnt(0)
	v_fma_f64 v[73:74], v[83:84], v[77:78], v[73:74]
	s_waitcnt vmcnt(15)
	v_fma_f64 v[83:84], v[85:86], v[79:80], v[73:74]
	ds_read2_b64 v[73:76], v72 offset0:63 offset1:64
	ds_read2_b64 v[77:80], v72 offset0:65 offset1:66
	s_waitcnt vmcnt(14) lgkmcnt(1)
	v_fma_f64 v[73:74], v[91:92], v[73:74], v[83:84]
	s_waitcnt vmcnt(13)
	v_fma_f64 v[73:74], v[89:90], v[75:76], v[73:74]
	s_waitcnt vmcnt(12) lgkmcnt(0)
	v_fma_f64 v[73:74], v[87:88], v[77:78], v[73:74]
	s_waitcnt vmcnt(7)
	v_fma_f64 v[83:84], v[93:94], v[79:80], v[73:74]
	ds_read2_b64 v[73:76], v72 offset0:67 offset1:68
	ds_read2_b64 v[77:80], v72 offset0:69 offset1:70
	s_waitcnt vmcnt(6) lgkmcnt(1)
	v_fma_f64 v[72:73], v[101:102], v[73:74], v[83:84]
	s_waitcnt vmcnt(5)
	v_fma_f64 v[72:73], v[99:100], v[75:76], v[72:73]
	s_waitcnt vmcnt(4) lgkmcnt(0)
	v_fma_f64 v[72:73], v[95:96], v[77:78], v[72:73]
	s_waitcnt vmcnt(2)
	v_fma_f64 v[72:73], v[81:82], v[79:80], v[72:73]
	s_waitcnt vmcnt(0)
	v_add_f64 v[72:73], v[97:98], -v[72:73]
	buffer_store_dword v73, off, s[0:3], 0 offset:84
	buffer_store_dword v72, off, s[0:3], 0 offset:80
	s_and_saveexec_b64 s[4:5], vcc
	s_cbranch_execz .LBB98_199
; %bb.198:
	buffer_load_dword v72, off, s[0:3], 0 offset:72
	buffer_load_dword v73, off, s[0:3], 0 offset:76
	v_mov_b32_e32 v74, 0
	buffer_store_dword v74, off, s[0:3], 0 offset:72
	buffer_store_dword v74, off, s[0:3], 0 offset:76
	s_waitcnt vmcnt(2)
	ds_write_b64 v71, v[72:73]
.LBB98_199:
	s_or_b64 exec, exec, s[4:5]
	s_waitcnt lgkmcnt(0)
	; wave barrier
	buffer_load_dword v81, off, s[0:3], 0 offset:80
	buffer_load_dword v82, off, s[0:3], 0 offset:84
	;; [unrolled: 1-line block ×21, first 2 shown]
	v_mov_b32_e32 v72, 0
	ds_read_b128 v[73:76], v72 offset:368
	ds_read_b128 v[77:80], v72 offset:384
	buffer_load_dword v98, off, s[0:3], 0 offset:164
	v_cmp_lt_u32_e32 vcc, 8, v0
	s_waitcnt vmcnt(20) lgkmcnt(1)
	v_fma_f64 v[73:74], v[81:82], v[73:74], 0
	s_waitcnt vmcnt(18)
	v_fma_f64 v[73:74], v[83:84], v[75:76], v[73:74]
	buffer_load_dword v82, off, s[0:3], 0 offset:172
	buffer_load_dword v83, off, s[0:3], 0 offset:192
	;; [unrolled: 1-line block ×7, first 2 shown]
	s_waitcnt vmcnt(23) lgkmcnt(0)
	v_fma_f64 v[73:74], v[85:86], v[77:78], v[73:74]
	s_waitcnt vmcnt(21)
	v_fma_f64 v[84:85], v[87:88], v[79:80], v[73:74]
	ds_read_b128 v[73:76], v72 offset:400
	ds_read_b128 v[77:80], v72 offset:416
	s_waitcnt vmcnt(19) lgkmcnt(1)
	v_fma_f64 v[73:74], v[89:90], v[73:74], v[84:85]
	buffer_load_dword v84, off, s[0:3], 0 offset:196
	s_waitcnt vmcnt(18)
	v_fma_f64 v[73:74], v[91:92], v[75:76], v[73:74]
	buffer_load_dword v86, off, s[0:3], 0 offset:204
	buffer_load_dword v87, off, s[0:3], 0 offset:224
	;; [unrolled: 1-line block ×8, first 2 shown]
	s_waitcnt vmcnt(24) lgkmcnt(0)
	v_fma_f64 v[73:74], v[93:94], v[77:78], v[73:74]
	s_waitcnt vmcnt(19)
	v_fma_f64 v[93:94], v[95:96], v[79:80], v[73:74]
	ds_read_b128 v[73:76], v72 offset:432
	ds_read_b128 v[77:80], v72 offset:448
	s_waitcnt vmcnt(18) lgkmcnt(1)
	v_fma_f64 v[73:74], v[101:102], v[73:74], v[93:94]
	s_waitcnt vmcnt(17)
	v_fma_f64 v[73:74], v[99:100], v[75:76], v[73:74]
	buffer_load_dword v94, off, s[0:3], 0 offset:236
	buffer_load_dword v95, off, s[0:3], 0 offset:256
	;; [unrolled: 1-line block ×7, first 2 shown]
	s_waitcnt vmcnt(23) lgkmcnt(0)
	v_fma_f64 v[73:74], v[97:98], v[77:78], v[73:74]
	s_waitcnt vmcnt(18)
	v_fma_f64 v[81:82], v[81:82], v[79:80], v[73:74]
	ds_read_b128 v[73:76], v72 offset:464
	ds_read_b128 v[77:80], v72 offset:480
	buffer_load_dword v96, off, s[0:3], 0 offset:260
	s_waitcnt vmcnt(18) lgkmcnt(1)
	v_fma_f64 v[73:74], v[105:106], v[73:74], v[81:82]
	buffer_load_dword v82, off, s[0:3], 0 offset:268
	buffer_load_dword v97, off, s[0:3], 0 offset:272
	;; [unrolled: 1-line block ×4, first 2 shown]
	s_waitcnt vmcnt(21)
	v_fma_f64 v[73:74], v[103:104], v[75:76], v[73:74]
	s_waitcnt vmcnt(20) lgkmcnt(0)
	v_fma_f64 v[73:74], v[83:84], v[77:78], v[73:74]
	buffer_load_dword v83, off, s[0:3], 0 offset:72
	buffer_load_dword v84, off, s[0:3], 0 offset:76
	s_waitcnt vmcnt(17)
	v_fma_f64 v[85:86], v[85:86], v[79:80], v[73:74]
	ds_read_b128 v[73:76], v72 offset:496
	ds_read_b128 v[77:80], v72 offset:512
	s_waitcnt vmcnt(16) lgkmcnt(1)
	v_fma_f64 v[73:74], v[91:92], v[73:74], v[85:86]
	s_waitcnt vmcnt(15)
	v_fma_f64 v[73:74], v[89:90], v[75:76], v[73:74]
	s_waitcnt vmcnt(14) lgkmcnt(0)
	v_fma_f64 v[73:74], v[87:88], v[77:78], v[73:74]
	s_waitcnt vmcnt(9)
	v_fma_f64 v[85:86], v[93:94], v[79:80], v[73:74]
	ds_read_b128 v[73:76], v72 offset:528
	ds_read_b128 v[77:80], v72 offset:544
	s_waitcnt vmcnt(8) lgkmcnt(1)
	v_fma_f64 v[73:74], v[101:102], v[73:74], v[85:86]
	s_waitcnt vmcnt(7)
	v_fma_f64 v[73:74], v[99:100], v[75:76], v[73:74]
	ds_read_b64 v[75:76], v72 offset:560
	s_waitcnt vmcnt(6) lgkmcnt(1)
	v_fma_f64 v[73:74], v[95:96], v[77:78], v[73:74]
	s_waitcnt vmcnt(3)
	v_fma_f64 v[73:74], v[81:82], v[79:80], v[73:74]
	s_waitcnt vmcnt(2) lgkmcnt(0)
	v_fma_f64 v[73:74], v[97:98], v[75:76], v[73:74]
	s_waitcnt vmcnt(0)
	v_add_f64 v[73:74], v[83:84], -v[73:74]
	buffer_store_dword v74, off, s[0:3], 0 offset:76
	buffer_store_dword v73, off, s[0:3], 0 offset:72
	s_and_saveexec_b64 s[4:5], vcc
	s_cbranch_execz .LBB98_201
; %bb.200:
	buffer_load_dword v73, off, s[0:3], 0 offset:64
	buffer_load_dword v74, off, s[0:3], 0 offset:68
	s_waitcnt vmcnt(0)
	ds_write_b64 v71, v[73:74]
	buffer_store_dword v72, off, s[0:3], 0 offset:64
	buffer_store_dword v72, off, s[0:3], 0 offset:68
.LBB98_201:
	s_or_b64 exec, exec, s[4:5]
	s_waitcnt lgkmcnt(0)
	; wave barrier
	buffer_load_dword v81, off, s[0:3], 0 offset:72
	buffer_load_dword v82, off, s[0:3], 0 offset:76
	;; [unrolled: 1-line block ×22, first 2 shown]
	ds_read2_b64 v[73:76], v72 offset0:45 offset1:46
	ds_read2_b64 v[77:80], v72 offset0:47 offset1:48
	v_cmp_lt_u32_e32 vcc, 7, v0
	s_waitcnt vmcnt(20) lgkmcnt(1)
	v_fma_f64 v[73:74], v[81:82], v[73:74], 0
	s_waitcnt vmcnt(18)
	v_fma_f64 v[73:74], v[83:84], v[75:76], v[73:74]
	buffer_load_dword v82, off, s[0:3], 0 offset:164
	buffer_load_dword v83, off, s[0:3], 0 offset:184
	buffer_load_dword v103, off, s[0:3], 0 offset:176
	buffer_load_dword v105, off, s[0:3], 0 offset:168
	buffer_load_dword v81, off, s[0:3], 0 offset:160
	buffer_load_dword v106, off, s[0:3], 0 offset:172
	buffer_load_dword v104, off, s[0:3], 0 offset:180
	s_waitcnt vmcnt(23) lgkmcnt(0)
	v_fma_f64 v[73:74], v[85:86], v[77:78], v[73:74]
	s_waitcnt vmcnt(21)
	v_fma_f64 v[84:85], v[87:88], v[79:80], v[73:74]
	ds_read2_b64 v[73:76], v72 offset0:49 offset1:50
	ds_read2_b64 v[77:80], v72 offset0:51 offset1:52
	s_waitcnt vmcnt(19) lgkmcnt(1)
	v_fma_f64 v[73:74], v[89:90], v[73:74], v[84:85]
	buffer_load_dword v84, off, s[0:3], 0 offset:188
	s_waitcnt vmcnt(18)
	v_fma_f64 v[73:74], v[91:92], v[75:76], v[73:74]
	buffer_load_dword v86, off, s[0:3], 0 offset:196
	buffer_load_dword v87, off, s[0:3], 0 offset:216
	;; [unrolled: 1-line block ×8, first 2 shown]
	s_waitcnt vmcnt(24) lgkmcnt(0)
	v_fma_f64 v[73:74], v[93:94], v[77:78], v[73:74]
	s_waitcnt vmcnt(19)
	v_fma_f64 v[93:94], v[95:96], v[79:80], v[73:74]
	ds_read2_b64 v[73:76], v72 offset0:53 offset1:54
	ds_read2_b64 v[77:80], v72 offset0:55 offset1:56
	s_waitcnt vmcnt(18) lgkmcnt(1)
	v_fma_f64 v[73:74], v[101:102], v[73:74], v[93:94]
	s_waitcnt vmcnt(17)
	v_fma_f64 v[73:74], v[99:100], v[75:76], v[73:74]
	buffer_load_dword v94, off, s[0:3], 0 offset:228
	buffer_load_dword v95, off, s[0:3], 0 offset:248
	buffer_load_dword v99, off, s[0:3], 0 offset:240
	buffer_load_dword v101, off, s[0:3], 0 offset:232
	buffer_load_dword v93, off, s[0:3], 0 offset:224
	buffer_load_dword v102, off, s[0:3], 0 offset:236
	buffer_load_dword v100, off, s[0:3], 0 offset:244
	buffer_load_dword v96, off, s[0:3], 0 offset:252
	s_waitcnt vmcnt(24) lgkmcnt(0)
	v_fma_f64 v[73:74], v[97:98], v[77:78], v[73:74]
	s_waitcnt vmcnt(19)
	v_fma_f64 v[81:82], v[81:82], v[79:80], v[73:74]
	ds_read2_b64 v[73:76], v72 offset0:57 offset1:58
	ds_read2_b64 v[77:80], v72 offset0:59 offset1:60
	s_waitcnt vmcnt(18) lgkmcnt(1)
	v_fma_f64 v[73:74], v[105:106], v[73:74], v[81:82]
	s_waitcnt vmcnt(17)
	v_fma_f64 v[73:74], v[103:104], v[75:76], v[73:74]
	buffer_load_dword v82, off, s[0:3], 0 offset:260
	buffer_load_dword v97, off, s[0:3], 0 offset:272
	;; [unrolled: 1-line block ×6, first 2 shown]
	s_waitcnt vmcnt(22) lgkmcnt(0)
	v_fma_f64 v[73:74], v[83:84], v[77:78], v[73:74]
	s_waitcnt vmcnt(17)
	v_fma_f64 v[83:84], v[85:86], v[79:80], v[73:74]
	ds_read2_b64 v[73:76], v72 offset0:61 offset1:62
	buffer_load_dword v85, off, s[0:3], 0 offset:64
	buffer_load_dword v86, off, s[0:3], 0 offset:68
	ds_read2_b64 v[77:80], v72 offset0:63 offset1:64
	s_waitcnt vmcnt(18) lgkmcnt(1)
	v_fma_f64 v[73:74], v[91:92], v[73:74], v[83:84]
	s_waitcnt vmcnt(17)
	v_fma_f64 v[73:74], v[89:90], v[75:76], v[73:74]
	s_waitcnt vmcnt(16) lgkmcnt(0)
	v_fma_f64 v[73:74], v[87:88], v[77:78], v[73:74]
	s_waitcnt vmcnt(11)
	v_fma_f64 v[83:84], v[93:94], v[79:80], v[73:74]
	ds_read2_b64 v[73:76], v72 offset0:65 offset1:66
	ds_read2_b64 v[77:80], v72 offset0:67 offset1:68
	s_waitcnt vmcnt(10) lgkmcnt(1)
	v_fma_f64 v[73:74], v[101:102], v[73:74], v[83:84]
	s_waitcnt vmcnt(9)
	v_fma_f64 v[73:74], v[99:100], v[75:76], v[73:74]
	s_waitcnt vmcnt(8) lgkmcnt(0)
	v_fma_f64 v[73:74], v[95:96], v[77:78], v[73:74]
	s_waitcnt vmcnt(4)
	v_fma_f64 v[76:77], v[81:82], v[79:80], v[73:74]
	ds_read2_b64 v[72:75], v72 offset0:69 offset1:70
	s_waitcnt vmcnt(3) lgkmcnt(0)
	v_fma_f64 v[72:73], v[103:104], v[72:73], v[76:77]
	s_waitcnt vmcnt(2)
	v_fma_f64 v[72:73], v[97:98], v[74:75], v[72:73]
	s_waitcnt vmcnt(0)
	v_add_f64 v[72:73], v[85:86], -v[72:73]
	buffer_store_dword v73, off, s[0:3], 0 offset:68
	buffer_store_dword v72, off, s[0:3], 0 offset:64
	s_and_saveexec_b64 s[4:5], vcc
	s_cbranch_execz .LBB98_203
; %bb.202:
	buffer_load_dword v72, off, s[0:3], 0 offset:56
	buffer_load_dword v73, off, s[0:3], 0 offset:60
	v_mov_b32_e32 v74, 0
	buffer_store_dword v74, off, s[0:3], 0 offset:56
	buffer_store_dword v74, off, s[0:3], 0 offset:60
	s_waitcnt vmcnt(2)
	ds_write_b64 v71, v[72:73]
.LBB98_203:
	s_or_b64 exec, exec, s[4:5]
	s_waitcnt lgkmcnt(0)
	; wave barrier
	buffer_load_dword v81, off, s[0:3], 0 offset:64
	buffer_load_dword v82, off, s[0:3], 0 offset:68
	buffer_load_dword v83, off, s[0:3], 0 offset:72
	buffer_load_dword v84, off, s[0:3], 0 offset:76
	buffer_load_dword v85, off, s[0:3], 0 offset:80
	buffer_load_dword v86, off, s[0:3], 0 offset:84
	buffer_load_dword v87, off, s[0:3], 0 offset:88
	buffer_load_dword v88, off, s[0:3], 0 offset:92
	buffer_load_dword v89, off, s[0:3], 0 offset:96
	buffer_load_dword v90, off, s[0:3], 0 offset:100
	buffer_load_dword v91, off, s[0:3], 0 offset:104
	buffer_load_dword v92, off, s[0:3], 0 offset:108
	buffer_load_dword v93, off, s[0:3], 0 offset:112
	buffer_load_dword v94, off, s[0:3], 0 offset:116
	buffer_load_dword v96, off, s[0:3], 0 offset:124
	buffer_load_dword v97, off, s[0:3], 0 offset:144
	buffer_load_dword v99, off, s[0:3], 0 offset:136
	buffer_load_dword v101, off, s[0:3], 0 offset:128
	buffer_load_dword v95, off, s[0:3], 0 offset:120
	buffer_load_dword v102, off, s[0:3], 0 offset:132
	buffer_load_dword v100, off, s[0:3], 0 offset:140
	buffer_load_dword v98, off, s[0:3], 0 offset:148
	v_mov_b32_e32 v72, 0
	ds_read_b128 v[73:76], v72 offset:352
	ds_read_b128 v[77:80], v72 offset:368
	v_cmp_lt_u32_e32 vcc, 6, v0
	s_waitcnt vmcnt(20) lgkmcnt(1)
	v_fma_f64 v[73:74], v[81:82], v[73:74], 0
	s_waitcnt vmcnt(18)
	v_fma_f64 v[73:74], v[83:84], v[75:76], v[73:74]
	buffer_load_dword v82, off, s[0:3], 0 offset:156
	buffer_load_dword v83, off, s[0:3], 0 offset:176
	;; [unrolled: 1-line block ×7, first 2 shown]
	s_waitcnt vmcnt(23) lgkmcnt(0)
	v_fma_f64 v[73:74], v[85:86], v[77:78], v[73:74]
	s_waitcnt vmcnt(21)
	v_fma_f64 v[84:85], v[87:88], v[79:80], v[73:74]
	ds_read_b128 v[73:76], v72 offset:384
	ds_read_b128 v[77:80], v72 offset:400
	s_waitcnt vmcnt(19) lgkmcnt(1)
	v_fma_f64 v[73:74], v[89:90], v[73:74], v[84:85]
	buffer_load_dword v84, off, s[0:3], 0 offset:180
	s_waitcnt vmcnt(18)
	v_fma_f64 v[73:74], v[91:92], v[75:76], v[73:74]
	buffer_load_dword v86, off, s[0:3], 0 offset:188
	buffer_load_dword v87, off, s[0:3], 0 offset:208
	buffer_load_dword v89, off, s[0:3], 0 offset:200
	buffer_load_dword v91, off, s[0:3], 0 offset:192
	buffer_load_dword v85, off, s[0:3], 0 offset:184
	buffer_load_dword v92, off, s[0:3], 0 offset:196
	buffer_load_dword v90, off, s[0:3], 0 offset:204
	buffer_load_dword v88, off, s[0:3], 0 offset:212
	s_waitcnt vmcnt(24) lgkmcnt(0)
	v_fma_f64 v[73:74], v[93:94], v[77:78], v[73:74]
	s_waitcnt vmcnt(19)
	v_fma_f64 v[93:94], v[95:96], v[79:80], v[73:74]
	ds_read_b128 v[73:76], v72 offset:416
	ds_read_b128 v[77:80], v72 offset:432
	s_waitcnt vmcnt(18) lgkmcnt(1)
	v_fma_f64 v[73:74], v[101:102], v[73:74], v[93:94]
	s_waitcnt vmcnt(17)
	v_fma_f64 v[73:74], v[99:100], v[75:76], v[73:74]
	buffer_load_dword v94, off, s[0:3], 0 offset:220
	buffer_load_dword v95, off, s[0:3], 0 offset:240
	buffer_load_dword v99, off, s[0:3], 0 offset:232
	buffer_load_dword v101, off, s[0:3], 0 offset:224
	buffer_load_dword v93, off, s[0:3], 0 offset:216
	buffer_load_dword v102, off, s[0:3], 0 offset:228
	buffer_load_dword v100, off, s[0:3], 0 offset:236
	buffer_load_dword v96, off, s[0:3], 0 offset:244
	s_waitcnt vmcnt(24) lgkmcnt(0)
	v_fma_f64 v[73:74], v[97:98], v[77:78], v[73:74]
	s_waitcnt vmcnt(19)
	v_fma_f64 v[81:82], v[81:82], v[79:80], v[73:74]
	ds_read_b128 v[73:76], v72 offset:448
	ds_read_b128 v[77:80], v72 offset:464
	s_waitcnt vmcnt(18) lgkmcnt(1)
	v_fma_f64 v[73:74], v[105:106], v[73:74], v[81:82]
	;; [unrolled: 18-line block ×3, first 2 shown]
	buffer_load_dword v83, off, s[0:3], 0 offset:56
	buffer_load_dword v84, off, s[0:3], 0 offset:60
	s_waitcnt vmcnt(19)
	v_fma_f64 v[73:74], v[89:90], v[75:76], v[73:74]
	s_waitcnt vmcnt(18) lgkmcnt(0)
	v_fma_f64 v[73:74], v[87:88], v[77:78], v[73:74]
	s_waitcnt vmcnt(13)
	v_fma_f64 v[85:86], v[93:94], v[79:80], v[73:74]
	ds_read_b128 v[73:76], v72 offset:512
	ds_read_b128 v[77:80], v72 offset:528
	s_waitcnt vmcnt(12) lgkmcnt(1)
	v_fma_f64 v[73:74], v[101:102], v[73:74], v[85:86]
	s_waitcnt vmcnt(11)
	v_fma_f64 v[73:74], v[99:100], v[75:76], v[73:74]
	s_waitcnt vmcnt(10) lgkmcnt(0)
	v_fma_f64 v[73:74], v[95:96], v[77:78], v[73:74]
	s_waitcnt vmcnt(5)
	v_fma_f64 v[77:78], v[81:82], v[79:80], v[73:74]
	ds_read_b128 v[73:76], v72 offset:544
	ds_read_b64 v[79:80], v72 offset:560
	s_waitcnt vmcnt(4) lgkmcnt(1)
	v_fma_f64 v[73:74], v[105:106], v[73:74], v[77:78]
	s_waitcnt vmcnt(3)
	v_fma_f64 v[73:74], v[103:104], v[75:76], v[73:74]
	s_waitcnt vmcnt(2) lgkmcnt(0)
	v_fma_f64 v[73:74], v[97:98], v[79:80], v[73:74]
	s_waitcnt vmcnt(0)
	v_add_f64 v[73:74], v[83:84], -v[73:74]
	buffer_store_dword v74, off, s[0:3], 0 offset:60
	buffer_store_dword v73, off, s[0:3], 0 offset:56
	s_and_saveexec_b64 s[4:5], vcc
	s_cbranch_execz .LBB98_205
; %bb.204:
	buffer_load_dword v73, off, s[0:3], 0 offset:48
	buffer_load_dword v74, off, s[0:3], 0 offset:52
	s_waitcnt vmcnt(0)
	ds_write_b64 v71, v[73:74]
	buffer_store_dword v72, off, s[0:3], 0 offset:48
	buffer_store_dword v72, off, s[0:3], 0 offset:52
.LBB98_205:
	s_or_b64 exec, exec, s[4:5]
	s_waitcnt lgkmcnt(0)
	; wave barrier
	buffer_load_dword v81, off, s[0:3], 0 offset:56
	buffer_load_dword v82, off, s[0:3], 0 offset:60
	;; [unrolled: 1-line block ×22, first 2 shown]
	ds_read2_b64 v[73:76], v72 offset0:43 offset1:44
	ds_read2_b64 v[77:80], v72 offset0:45 offset1:46
	v_cmp_lt_u32_e32 vcc, 5, v0
	s_waitcnt vmcnt(20) lgkmcnt(1)
	v_fma_f64 v[73:74], v[81:82], v[73:74], 0
	s_waitcnt vmcnt(18)
	v_fma_f64 v[73:74], v[83:84], v[75:76], v[73:74]
	buffer_load_dword v82, off, s[0:3], 0 offset:148
	buffer_load_dword v83, off, s[0:3], 0 offset:168
	;; [unrolled: 1-line block ×7, first 2 shown]
	s_waitcnt vmcnt(23) lgkmcnt(0)
	v_fma_f64 v[73:74], v[85:86], v[77:78], v[73:74]
	s_waitcnt vmcnt(21)
	v_fma_f64 v[84:85], v[87:88], v[79:80], v[73:74]
	ds_read2_b64 v[73:76], v72 offset0:47 offset1:48
	ds_read2_b64 v[77:80], v72 offset0:49 offset1:50
	s_waitcnt vmcnt(19) lgkmcnt(1)
	v_fma_f64 v[73:74], v[89:90], v[73:74], v[84:85]
	buffer_load_dword v84, off, s[0:3], 0 offset:172
	s_waitcnt vmcnt(18)
	v_fma_f64 v[73:74], v[91:92], v[75:76], v[73:74]
	buffer_load_dword v86, off, s[0:3], 0 offset:180
	buffer_load_dword v87, off, s[0:3], 0 offset:200
	buffer_load_dword v89, off, s[0:3], 0 offset:192
	buffer_load_dword v91, off, s[0:3], 0 offset:184
	buffer_load_dword v85, off, s[0:3], 0 offset:176
	buffer_load_dword v92, off, s[0:3], 0 offset:188
	buffer_load_dword v90, off, s[0:3], 0 offset:196
	buffer_load_dword v88, off, s[0:3], 0 offset:204
	s_waitcnt vmcnt(24) lgkmcnt(0)
	v_fma_f64 v[73:74], v[93:94], v[77:78], v[73:74]
	s_waitcnt vmcnt(19)
	v_fma_f64 v[93:94], v[95:96], v[79:80], v[73:74]
	ds_read2_b64 v[73:76], v72 offset0:51 offset1:52
	ds_read2_b64 v[77:80], v72 offset0:53 offset1:54
	s_waitcnt vmcnt(18) lgkmcnt(1)
	v_fma_f64 v[73:74], v[101:102], v[73:74], v[93:94]
	s_waitcnt vmcnt(17)
	v_fma_f64 v[73:74], v[99:100], v[75:76], v[73:74]
	buffer_load_dword v94, off, s[0:3], 0 offset:212
	buffer_load_dword v95, off, s[0:3], 0 offset:232
	buffer_load_dword v99, off, s[0:3], 0 offset:224
	buffer_load_dword v101, off, s[0:3], 0 offset:216
	buffer_load_dword v93, off, s[0:3], 0 offset:208
	buffer_load_dword v102, off, s[0:3], 0 offset:220
	buffer_load_dword v100, off, s[0:3], 0 offset:228
	buffer_load_dword v96, off, s[0:3], 0 offset:236
	s_waitcnt vmcnt(24) lgkmcnt(0)
	v_fma_f64 v[73:74], v[97:98], v[77:78], v[73:74]
	s_waitcnt vmcnt(19)
	v_fma_f64 v[81:82], v[81:82], v[79:80], v[73:74]
	ds_read2_b64 v[73:76], v72 offset0:55 offset1:56
	ds_read2_b64 v[77:80], v72 offset0:57 offset1:58
	s_waitcnt vmcnt(18) lgkmcnt(1)
	v_fma_f64 v[73:74], v[105:106], v[73:74], v[81:82]
	;; [unrolled: 18-line block ×3, first 2 shown]
	buffer_load_dword v84, off, s[0:3], 0 offset:276
	buffer_load_dword v83, off, s[0:3], 0 offset:272
	;; [unrolled: 1-line block ×4, first 2 shown]
	s_waitcnt vmcnt(21)
	v_fma_f64 v[73:74], v[89:90], v[75:76], v[73:74]
	s_waitcnt vmcnt(20) lgkmcnt(0)
	v_fma_f64 v[73:74], v[87:88], v[77:78], v[73:74]
	s_waitcnt vmcnt(15)
	v_fma_f64 v[87:88], v[93:94], v[79:80], v[73:74]
	ds_read2_b64 v[73:76], v72 offset0:63 offset1:64
	ds_read2_b64 v[77:80], v72 offset0:65 offset1:66
	s_waitcnt vmcnt(14) lgkmcnt(1)
	v_fma_f64 v[73:74], v[101:102], v[73:74], v[87:88]
	s_waitcnt vmcnt(13)
	v_fma_f64 v[73:74], v[99:100], v[75:76], v[73:74]
	s_waitcnt vmcnt(12) lgkmcnt(0)
	v_fma_f64 v[73:74], v[95:96], v[77:78], v[73:74]
	s_waitcnt vmcnt(7)
	v_fma_f64 v[81:82], v[81:82], v[79:80], v[73:74]
	ds_read2_b64 v[73:76], v72 offset0:67 offset1:68
	ds_read2_b64 v[77:80], v72 offset0:69 offset1:70
	s_waitcnt vmcnt(6) lgkmcnt(1)
	v_fma_f64 v[72:73], v[105:106], v[73:74], v[81:82]
	s_waitcnt vmcnt(5)
	v_fma_f64 v[72:73], v[103:104], v[75:76], v[72:73]
	s_waitcnt vmcnt(4) lgkmcnt(0)
	v_fma_f64 v[72:73], v[97:98], v[77:78], v[72:73]
	s_waitcnt vmcnt(2)
	v_fma_f64 v[72:73], v[83:84], v[79:80], v[72:73]
	s_waitcnt vmcnt(0)
	v_add_f64 v[72:73], v[85:86], -v[72:73]
	buffer_store_dword v73, off, s[0:3], 0 offset:52
	buffer_store_dword v72, off, s[0:3], 0 offset:48
	s_and_saveexec_b64 s[4:5], vcc
	s_cbranch_execz .LBB98_207
; %bb.206:
	buffer_load_dword v72, off, s[0:3], 0 offset:40
	buffer_load_dword v73, off, s[0:3], 0 offset:44
	v_mov_b32_e32 v74, 0
	buffer_store_dword v74, off, s[0:3], 0 offset:40
	buffer_store_dword v74, off, s[0:3], 0 offset:44
	s_waitcnt vmcnt(2)
	ds_write_b64 v71, v[72:73]
.LBB98_207:
	s_or_b64 exec, exec, s[4:5]
	s_waitcnt lgkmcnt(0)
	; wave barrier
	buffer_load_dword v81, off, s[0:3], 0 offset:48
	buffer_load_dword v82, off, s[0:3], 0 offset:52
	;; [unrolled: 1-line block ×22, first 2 shown]
	v_mov_b32_e32 v72, 0
	ds_read_b128 v[73:76], v72 offset:336
	ds_read_b128 v[77:80], v72 offset:352
	v_cmp_lt_u32_e32 vcc, 4, v0
	s_waitcnt vmcnt(20) lgkmcnt(1)
	v_fma_f64 v[73:74], v[81:82], v[73:74], 0
	s_waitcnt vmcnt(18)
	v_fma_f64 v[73:74], v[83:84], v[75:76], v[73:74]
	buffer_load_dword v82, off, s[0:3], 0 offset:140
	buffer_load_dword v83, off, s[0:3], 0 offset:160
	;; [unrolled: 1-line block ×7, first 2 shown]
	s_waitcnt vmcnt(23) lgkmcnt(0)
	v_fma_f64 v[73:74], v[85:86], v[77:78], v[73:74]
	s_waitcnt vmcnt(21)
	v_fma_f64 v[84:85], v[87:88], v[79:80], v[73:74]
	ds_read_b128 v[73:76], v72 offset:368
	ds_read_b128 v[77:80], v72 offset:384
	s_waitcnt vmcnt(19) lgkmcnt(1)
	v_fma_f64 v[73:74], v[89:90], v[73:74], v[84:85]
	buffer_load_dword v84, off, s[0:3], 0 offset:164
	s_waitcnt vmcnt(18)
	v_fma_f64 v[73:74], v[91:92], v[75:76], v[73:74]
	buffer_load_dword v86, off, s[0:3], 0 offset:172
	buffer_load_dword v87, off, s[0:3], 0 offset:192
	;; [unrolled: 1-line block ×7, first 2 shown]
	s_waitcnt vmcnt(23) lgkmcnt(0)
	v_fma_f64 v[73:74], v[93:94], v[77:78], v[73:74]
	s_waitcnt vmcnt(18)
	v_fma_f64 v[93:94], v[95:96], v[79:80], v[73:74]
	ds_read_b128 v[73:76], v72 offset:400
	ds_read_b128 v[77:80], v72 offset:416
	buffer_load_dword v88, off, s[0:3], 0 offset:196
	s_waitcnt vmcnt(18) lgkmcnt(1)
	v_fma_f64 v[73:74], v[101:102], v[73:74], v[93:94]
	s_waitcnt vmcnt(17)
	v_fma_f64 v[73:74], v[99:100], v[75:76], v[73:74]
	buffer_load_dword v94, off, s[0:3], 0 offset:204
	buffer_load_dword v95, off, s[0:3], 0 offset:224
	;; [unrolled: 1-line block ×8, first 2 shown]
	s_waitcnt vmcnt(24) lgkmcnt(0)
	v_fma_f64 v[73:74], v[97:98], v[77:78], v[73:74]
	s_waitcnt vmcnt(19)
	v_fma_f64 v[81:82], v[81:82], v[79:80], v[73:74]
	ds_read_b128 v[73:76], v72 offset:432
	ds_read_b128 v[77:80], v72 offset:448
	s_waitcnt vmcnt(18) lgkmcnt(1)
	v_fma_f64 v[73:74], v[105:106], v[73:74], v[81:82]
	s_waitcnt vmcnt(17)
	v_fma_f64 v[73:74], v[103:104], v[75:76], v[73:74]
	buffer_load_dword v82, off, s[0:3], 0 offset:236
	buffer_load_dword v97, off, s[0:3], 0 offset:256
	;; [unrolled: 1-line block ×7, first 2 shown]
	s_waitcnt vmcnt(23) lgkmcnt(0)
	v_fma_f64 v[73:74], v[83:84], v[77:78], v[73:74]
	s_waitcnt vmcnt(18)
	v_fma_f64 v[83:84], v[85:86], v[79:80], v[73:74]
	ds_read_b128 v[73:76], v72 offset:464
	ds_read_b128 v[77:80], v72 offset:480
	buffer_load_dword v98, off, s[0:3], 0 offset:260
	s_waitcnt vmcnt(18) lgkmcnt(1)
	v_fma_f64 v[73:74], v[91:92], v[73:74], v[83:84]
	buffer_load_dword v84, off, s[0:3], 0 offset:268
	buffer_load_dword v85, off, s[0:3], 0 offset:272
	;; [unrolled: 1-line block ×4, first 2 shown]
	s_waitcnt vmcnt(21)
	v_fma_f64 v[73:74], v[89:90], v[75:76], v[73:74]
	s_waitcnt vmcnt(20) lgkmcnt(0)
	v_fma_f64 v[73:74], v[87:88], v[77:78], v[73:74]
	buffer_load_dword v87, off, s[0:3], 0 offset:40
	buffer_load_dword v88, off, s[0:3], 0 offset:44
	s_waitcnt vmcnt(17)
	v_fma_f64 v[89:90], v[93:94], v[79:80], v[73:74]
	ds_read_b128 v[73:76], v72 offset:496
	ds_read_b128 v[77:80], v72 offset:512
	s_waitcnt vmcnt(16) lgkmcnt(1)
	v_fma_f64 v[73:74], v[101:102], v[73:74], v[89:90]
	s_waitcnt vmcnt(15)
	v_fma_f64 v[73:74], v[99:100], v[75:76], v[73:74]
	s_waitcnt vmcnt(14) lgkmcnt(0)
	v_fma_f64 v[73:74], v[95:96], v[77:78], v[73:74]
	s_waitcnt vmcnt(9)
	v_fma_f64 v[81:82], v[81:82], v[79:80], v[73:74]
	ds_read_b128 v[73:76], v72 offset:528
	ds_read_b128 v[77:80], v72 offset:544
	s_waitcnt vmcnt(8) lgkmcnt(1)
	v_fma_f64 v[73:74], v[105:106], v[73:74], v[81:82]
	s_waitcnt vmcnt(7)
	v_fma_f64 v[73:74], v[103:104], v[75:76], v[73:74]
	ds_read_b64 v[75:76], v72 offset:560
	s_waitcnt vmcnt(6) lgkmcnt(1)
	v_fma_f64 v[73:74], v[97:98], v[77:78], v[73:74]
	s_waitcnt vmcnt(3)
	v_fma_f64 v[73:74], v[83:84], v[79:80], v[73:74]
	s_waitcnt vmcnt(2) lgkmcnt(0)
	v_fma_f64 v[73:74], v[85:86], v[75:76], v[73:74]
	s_waitcnt vmcnt(0)
	v_add_f64 v[73:74], v[87:88], -v[73:74]
	buffer_store_dword v74, off, s[0:3], 0 offset:44
	buffer_store_dword v73, off, s[0:3], 0 offset:40
	s_and_saveexec_b64 s[4:5], vcc
	s_cbranch_execz .LBB98_209
; %bb.208:
	buffer_load_dword v73, off, s[0:3], 0 offset:32
	buffer_load_dword v74, off, s[0:3], 0 offset:36
	s_waitcnt vmcnt(0)
	ds_write_b64 v71, v[73:74]
	buffer_store_dword v72, off, s[0:3], 0 offset:32
	buffer_store_dword v72, off, s[0:3], 0 offset:36
.LBB98_209:
	s_or_b64 exec, exec, s[4:5]
	s_waitcnt lgkmcnt(0)
	; wave barrier
	buffer_load_dword v81, off, s[0:3], 0 offset:40
	buffer_load_dword v82, off, s[0:3], 0 offset:44
	;; [unrolled: 1-line block ×22, first 2 shown]
	ds_read2_b64 v[73:76], v72 offset0:41 offset1:42
	ds_read2_b64 v[77:80], v72 offset0:43 offset1:44
	v_cmp_lt_u32_e32 vcc, 3, v0
	s_waitcnt vmcnt(20) lgkmcnt(1)
	v_fma_f64 v[73:74], v[81:82], v[73:74], 0
	s_waitcnt vmcnt(18)
	v_fma_f64 v[73:74], v[83:84], v[75:76], v[73:74]
	buffer_load_dword v82, off, s[0:3], 0 offset:132
	buffer_load_dword v83, off, s[0:3], 0 offset:152
	;; [unrolled: 1-line block ×7, first 2 shown]
	s_waitcnt vmcnt(23) lgkmcnt(0)
	v_fma_f64 v[73:74], v[85:86], v[77:78], v[73:74]
	s_waitcnt vmcnt(21)
	v_fma_f64 v[84:85], v[87:88], v[79:80], v[73:74]
	ds_read2_b64 v[73:76], v72 offset0:45 offset1:46
	ds_read2_b64 v[77:80], v72 offset0:47 offset1:48
	s_waitcnt vmcnt(19) lgkmcnt(1)
	v_fma_f64 v[73:74], v[89:90], v[73:74], v[84:85]
	buffer_load_dword v84, off, s[0:3], 0 offset:156
	s_waitcnt vmcnt(18)
	v_fma_f64 v[73:74], v[91:92], v[75:76], v[73:74]
	buffer_load_dword v86, off, s[0:3], 0 offset:164
	buffer_load_dword v87, off, s[0:3], 0 offset:184
	;; [unrolled: 1-line block ×7, first 2 shown]
	s_waitcnt vmcnt(23) lgkmcnt(0)
	v_fma_f64 v[73:74], v[93:94], v[77:78], v[73:74]
	s_waitcnt vmcnt(18)
	v_fma_f64 v[93:94], v[95:96], v[79:80], v[73:74]
	ds_read2_b64 v[73:76], v72 offset0:49 offset1:50
	ds_read2_b64 v[77:80], v72 offset0:51 offset1:52
	buffer_load_dword v88, off, s[0:3], 0 offset:188
	s_waitcnt vmcnt(18) lgkmcnt(1)
	v_fma_f64 v[73:74], v[101:102], v[73:74], v[93:94]
	s_waitcnt vmcnt(17)
	v_fma_f64 v[73:74], v[99:100], v[75:76], v[73:74]
	buffer_load_dword v94, off, s[0:3], 0 offset:196
	buffer_load_dword v95, off, s[0:3], 0 offset:216
	;; [unrolled: 1-line block ×8, first 2 shown]
	s_waitcnt vmcnt(24) lgkmcnt(0)
	v_fma_f64 v[73:74], v[97:98], v[77:78], v[73:74]
	s_waitcnt vmcnt(19)
	v_fma_f64 v[81:82], v[81:82], v[79:80], v[73:74]
	ds_read2_b64 v[73:76], v72 offset0:53 offset1:54
	ds_read2_b64 v[77:80], v72 offset0:55 offset1:56
	s_waitcnt vmcnt(18) lgkmcnt(1)
	v_fma_f64 v[73:74], v[105:106], v[73:74], v[81:82]
	s_waitcnt vmcnt(17)
	v_fma_f64 v[73:74], v[103:104], v[75:76], v[73:74]
	buffer_load_dword v82, off, s[0:3], 0 offset:228
	buffer_load_dword v97, off, s[0:3], 0 offset:248
	buffer_load_dword v103, off, s[0:3], 0 offset:240
	buffer_load_dword v105, off, s[0:3], 0 offset:232
	buffer_load_dword v81, off, s[0:3], 0 offset:224
	buffer_load_dword v106, off, s[0:3], 0 offset:236
	buffer_load_dword v104, off, s[0:3], 0 offset:244
	buffer_load_dword v98, off, s[0:3], 0 offset:252
	s_waitcnt vmcnt(24) lgkmcnt(0)
	v_fma_f64 v[73:74], v[83:84], v[77:78], v[73:74]
	s_waitcnt vmcnt(19)
	v_fma_f64 v[83:84], v[85:86], v[79:80], v[73:74]
	ds_read2_b64 v[73:76], v72 offset0:57 offset1:58
	ds_read2_b64 v[77:80], v72 offset0:59 offset1:60
	s_waitcnt vmcnt(18) lgkmcnt(1)
	v_fma_f64 v[73:74], v[91:92], v[73:74], v[83:84]
	s_waitcnt vmcnt(17)
	v_fma_f64 v[73:74], v[89:90], v[75:76], v[73:74]
	buffer_load_dword v84, off, s[0:3], 0 offset:260
	buffer_load_dword v85, off, s[0:3], 0 offset:272
	;; [unrolled: 1-line block ×6, first 2 shown]
	s_waitcnt vmcnt(22) lgkmcnt(0)
	v_fma_f64 v[73:74], v[87:88], v[77:78], v[73:74]
	s_waitcnt vmcnt(17)
	v_fma_f64 v[87:88], v[93:94], v[79:80], v[73:74]
	ds_read2_b64 v[73:76], v72 offset0:61 offset1:62
	buffer_load_dword v91, off, s[0:3], 0 offset:32
	buffer_load_dword v92, off, s[0:3], 0 offset:36
	ds_read2_b64 v[77:80], v72 offset0:63 offset1:64
	s_waitcnt vmcnt(18) lgkmcnt(1)
	v_fma_f64 v[73:74], v[101:102], v[73:74], v[87:88]
	s_waitcnt vmcnt(17)
	v_fma_f64 v[73:74], v[99:100], v[75:76], v[73:74]
	s_waitcnt vmcnt(16) lgkmcnt(0)
	v_fma_f64 v[73:74], v[95:96], v[77:78], v[73:74]
	s_waitcnt vmcnt(11)
	v_fma_f64 v[81:82], v[81:82], v[79:80], v[73:74]
	ds_read2_b64 v[73:76], v72 offset0:65 offset1:66
	ds_read2_b64 v[77:80], v72 offset0:67 offset1:68
	s_waitcnt vmcnt(10) lgkmcnt(1)
	v_fma_f64 v[73:74], v[105:106], v[73:74], v[81:82]
	s_waitcnt vmcnt(9)
	v_fma_f64 v[73:74], v[103:104], v[75:76], v[73:74]
	s_waitcnt vmcnt(8) lgkmcnt(0)
	v_fma_f64 v[73:74], v[97:98], v[77:78], v[73:74]
	s_waitcnt vmcnt(4)
	v_fma_f64 v[76:77], v[83:84], v[79:80], v[73:74]
	ds_read2_b64 v[72:75], v72 offset0:69 offset1:70
	s_waitcnt vmcnt(3) lgkmcnt(0)
	v_fma_f64 v[72:73], v[89:90], v[72:73], v[76:77]
	s_waitcnt vmcnt(2)
	v_fma_f64 v[72:73], v[85:86], v[74:75], v[72:73]
	s_waitcnt vmcnt(0)
	v_add_f64 v[72:73], v[91:92], -v[72:73]
	buffer_store_dword v73, off, s[0:3], 0 offset:36
	buffer_store_dword v72, off, s[0:3], 0 offset:32
	s_and_saveexec_b64 s[4:5], vcc
	s_cbranch_execz .LBB98_211
; %bb.210:
	buffer_load_dword v72, off, s[0:3], 0 offset:24
	buffer_load_dword v73, off, s[0:3], 0 offset:28
	v_mov_b32_e32 v74, 0
	buffer_store_dword v74, off, s[0:3], 0 offset:24
	buffer_store_dword v74, off, s[0:3], 0 offset:28
	s_waitcnt vmcnt(2)
	ds_write_b64 v71, v[72:73]
.LBB98_211:
	s_or_b64 exec, exec, s[4:5]
	s_waitcnt lgkmcnt(0)
	; wave barrier
	buffer_load_dword v81, off, s[0:3], 0 offset:32
	buffer_load_dword v82, off, s[0:3], 0 offset:36
	;; [unrolled: 1-line block ×22, first 2 shown]
	v_mov_b32_e32 v72, 0
	ds_read_b128 v[73:76], v72 offset:320
	ds_read_b128 v[77:80], v72 offset:336
	v_cmp_lt_u32_e32 vcc, 2, v0
	s_waitcnt vmcnt(20) lgkmcnt(1)
	v_fma_f64 v[73:74], v[81:82], v[73:74], 0
	s_waitcnt vmcnt(18)
	v_fma_f64 v[73:74], v[83:84], v[75:76], v[73:74]
	buffer_load_dword v82, off, s[0:3], 0 offset:124
	buffer_load_dword v83, off, s[0:3], 0 offset:144
	;; [unrolled: 1-line block ×7, first 2 shown]
	s_waitcnt vmcnt(23) lgkmcnt(0)
	v_fma_f64 v[73:74], v[85:86], v[77:78], v[73:74]
	s_waitcnt vmcnt(21)
	v_fma_f64 v[84:85], v[87:88], v[79:80], v[73:74]
	ds_read_b128 v[73:76], v72 offset:352
	ds_read_b128 v[77:80], v72 offset:368
	s_waitcnt vmcnt(19) lgkmcnt(1)
	v_fma_f64 v[73:74], v[89:90], v[73:74], v[84:85]
	buffer_load_dword v84, off, s[0:3], 0 offset:148
	s_waitcnt vmcnt(18)
	v_fma_f64 v[73:74], v[91:92], v[75:76], v[73:74]
	buffer_load_dword v86, off, s[0:3], 0 offset:156
	buffer_load_dword v87, off, s[0:3], 0 offset:176
	;; [unrolled: 1-line block ×7, first 2 shown]
	s_waitcnt vmcnt(23) lgkmcnt(0)
	v_fma_f64 v[73:74], v[93:94], v[77:78], v[73:74]
	s_waitcnt vmcnt(18)
	v_fma_f64 v[93:94], v[95:96], v[79:80], v[73:74]
	ds_read_b128 v[73:76], v72 offset:384
	ds_read_b128 v[77:80], v72 offset:400
	buffer_load_dword v88, off, s[0:3], 0 offset:180
	s_waitcnt vmcnt(18) lgkmcnt(1)
	v_fma_f64 v[73:74], v[101:102], v[73:74], v[93:94]
	s_waitcnt vmcnt(17)
	v_fma_f64 v[73:74], v[99:100], v[75:76], v[73:74]
	buffer_load_dword v94, off, s[0:3], 0 offset:188
	buffer_load_dword v95, off, s[0:3], 0 offset:208
	buffer_load_dword v99, off, s[0:3], 0 offset:200
	buffer_load_dword v101, off, s[0:3], 0 offset:192
	buffer_load_dword v93, off, s[0:3], 0 offset:184
	buffer_load_dword v102, off, s[0:3], 0 offset:196
	buffer_load_dword v100, off, s[0:3], 0 offset:204
	buffer_load_dword v96, off, s[0:3], 0 offset:212
	s_waitcnt vmcnt(24) lgkmcnt(0)
	v_fma_f64 v[73:74], v[97:98], v[77:78], v[73:74]
	s_waitcnt vmcnt(19)
	v_fma_f64 v[81:82], v[81:82], v[79:80], v[73:74]
	ds_read_b128 v[73:76], v72 offset:416
	ds_read_b128 v[77:80], v72 offset:432
	s_waitcnt vmcnt(18) lgkmcnt(1)
	v_fma_f64 v[73:74], v[105:106], v[73:74], v[81:82]
	s_waitcnt vmcnt(17)
	v_fma_f64 v[73:74], v[103:104], v[75:76], v[73:74]
	buffer_load_dword v82, off, s[0:3], 0 offset:220
	buffer_load_dword v97, off, s[0:3], 0 offset:240
	buffer_load_dword v103, off, s[0:3], 0 offset:232
	buffer_load_dword v105, off, s[0:3], 0 offset:224
	buffer_load_dword v81, off, s[0:3], 0 offset:216
	buffer_load_dword v106, off, s[0:3], 0 offset:228
	buffer_load_dword v104, off, s[0:3], 0 offset:236
	buffer_load_dword v98, off, s[0:3], 0 offset:244
	s_waitcnt vmcnt(24) lgkmcnt(0)
	v_fma_f64 v[73:74], v[83:84], v[77:78], v[73:74]
	s_waitcnt vmcnt(19)
	v_fma_f64 v[83:84], v[85:86], v[79:80], v[73:74]
	ds_read_b128 v[73:76], v72 offset:448
	ds_read_b128 v[77:80], v72 offset:464
	;; [unrolled: 18-line block ×3, first 2 shown]
	s_waitcnt vmcnt(18) lgkmcnt(1)
	v_fma_f64 v[73:74], v[101:102], v[73:74], v[87:88]
	buffer_load_dword v87, off, s[0:3], 0 offset:24
	buffer_load_dword v88, off, s[0:3], 0 offset:28
	s_waitcnt vmcnt(19)
	v_fma_f64 v[73:74], v[99:100], v[75:76], v[73:74]
	s_waitcnt vmcnt(18) lgkmcnt(0)
	v_fma_f64 v[73:74], v[95:96], v[77:78], v[73:74]
	s_waitcnt vmcnt(13)
	v_fma_f64 v[81:82], v[81:82], v[79:80], v[73:74]
	ds_read_b128 v[73:76], v72 offset:512
	ds_read_b128 v[77:80], v72 offset:528
	s_waitcnt vmcnt(12) lgkmcnt(1)
	v_fma_f64 v[73:74], v[105:106], v[73:74], v[81:82]
	s_waitcnt vmcnt(11)
	v_fma_f64 v[73:74], v[103:104], v[75:76], v[73:74]
	s_waitcnt vmcnt(10) lgkmcnt(0)
	v_fma_f64 v[73:74], v[97:98], v[77:78], v[73:74]
	s_waitcnt vmcnt(5)
	v_fma_f64 v[77:78], v[83:84], v[79:80], v[73:74]
	ds_read_b128 v[73:76], v72 offset:544
	ds_read_b64 v[79:80], v72 offset:560
	s_waitcnt vmcnt(4) lgkmcnt(1)
	v_fma_f64 v[73:74], v[91:92], v[73:74], v[77:78]
	s_waitcnt vmcnt(3)
	v_fma_f64 v[73:74], v[89:90], v[75:76], v[73:74]
	s_waitcnt vmcnt(2) lgkmcnt(0)
	v_fma_f64 v[73:74], v[85:86], v[79:80], v[73:74]
	s_waitcnt vmcnt(0)
	v_add_f64 v[73:74], v[87:88], -v[73:74]
	buffer_store_dword v74, off, s[0:3], 0 offset:28
	buffer_store_dword v73, off, s[0:3], 0 offset:24
	s_and_saveexec_b64 s[4:5], vcc
	s_cbranch_execz .LBB98_213
; %bb.212:
	buffer_load_dword v73, off, s[0:3], 0 offset:16
	buffer_load_dword v74, off, s[0:3], 0 offset:20
	s_waitcnt vmcnt(0)
	ds_write_b64 v71, v[73:74]
	buffer_store_dword v72, off, s[0:3], 0 offset:16
	buffer_store_dword v72, off, s[0:3], 0 offset:20
.LBB98_213:
	s_or_b64 exec, exec, s[4:5]
	s_waitcnt lgkmcnt(0)
	; wave barrier
	buffer_load_dword v81, off, s[0:3], 0 offset:24
	buffer_load_dword v82, off, s[0:3], 0 offset:28
	buffer_load_dword v83, off, s[0:3], 0 offset:32
	buffer_load_dword v84, off, s[0:3], 0 offset:36
	buffer_load_dword v85, off, s[0:3], 0 offset:40
	buffer_load_dword v86, off, s[0:3], 0 offset:44
	buffer_load_dword v87, off, s[0:3], 0 offset:48
	buffer_load_dword v88, off, s[0:3], 0 offset:52
	buffer_load_dword v89, off, s[0:3], 0 offset:56
	buffer_load_dword v90, off, s[0:3], 0 offset:60
	buffer_load_dword v91, off, s[0:3], 0 offset:64
	buffer_load_dword v92, off, s[0:3], 0 offset:68
	buffer_load_dword v93, off, s[0:3], 0 offset:72
	buffer_load_dword v94, off, s[0:3], 0 offset:76
	buffer_load_dword v96, off, s[0:3], 0 offset:84
	buffer_load_dword v97, off, s[0:3], 0 offset:104
	buffer_load_dword v99, off, s[0:3], 0 offset:96
	buffer_load_dword v101, off, s[0:3], 0 offset:88
	buffer_load_dword v95, off, s[0:3], 0 offset:80
	buffer_load_dword v102, off, s[0:3], 0 offset:92
	buffer_load_dword v100, off, s[0:3], 0 offset:100
	buffer_load_dword v98, off, s[0:3], 0 offset:108
	ds_read2_b64 v[73:76], v72 offset0:39 offset1:40
	ds_read2_b64 v[77:80], v72 offset0:41 offset1:42
	v_cmp_lt_u32_e32 vcc, 1, v0
	s_waitcnt vmcnt(20) lgkmcnt(1)
	v_fma_f64 v[73:74], v[81:82], v[73:74], 0
	s_waitcnt vmcnt(18)
	v_fma_f64 v[73:74], v[83:84], v[75:76], v[73:74]
	buffer_load_dword v82, off, s[0:3], 0 offset:116
	buffer_load_dword v83, off, s[0:3], 0 offset:136
	;; [unrolled: 1-line block ×7, first 2 shown]
	s_waitcnt vmcnt(23) lgkmcnt(0)
	v_fma_f64 v[73:74], v[85:86], v[77:78], v[73:74]
	s_waitcnt vmcnt(21)
	v_fma_f64 v[84:85], v[87:88], v[79:80], v[73:74]
	ds_read2_b64 v[73:76], v72 offset0:43 offset1:44
	ds_read2_b64 v[77:80], v72 offset0:45 offset1:46
	s_waitcnt vmcnt(19) lgkmcnt(1)
	v_fma_f64 v[73:74], v[89:90], v[73:74], v[84:85]
	buffer_load_dword v84, off, s[0:3], 0 offset:140
	s_waitcnt vmcnt(18)
	v_fma_f64 v[73:74], v[91:92], v[75:76], v[73:74]
	buffer_load_dword v86, off, s[0:3], 0 offset:148
	buffer_load_dword v87, off, s[0:3], 0 offset:168
	;; [unrolled: 1-line block ×7, first 2 shown]
	s_waitcnt vmcnt(23) lgkmcnt(0)
	v_fma_f64 v[73:74], v[93:94], v[77:78], v[73:74]
	s_waitcnt vmcnt(18)
	v_fma_f64 v[93:94], v[95:96], v[79:80], v[73:74]
	ds_read2_b64 v[73:76], v72 offset0:47 offset1:48
	ds_read2_b64 v[77:80], v72 offset0:49 offset1:50
	buffer_load_dword v88, off, s[0:3], 0 offset:172
	s_waitcnt vmcnt(18) lgkmcnt(1)
	v_fma_f64 v[73:74], v[101:102], v[73:74], v[93:94]
	s_waitcnt vmcnt(17)
	v_fma_f64 v[73:74], v[99:100], v[75:76], v[73:74]
	buffer_load_dword v94, off, s[0:3], 0 offset:180
	buffer_load_dword v95, off, s[0:3], 0 offset:200
	buffer_load_dword v99, off, s[0:3], 0 offset:192
	buffer_load_dword v101, off, s[0:3], 0 offset:184
	buffer_load_dword v93, off, s[0:3], 0 offset:176
	buffer_load_dword v102, off, s[0:3], 0 offset:188
	buffer_load_dword v100, off, s[0:3], 0 offset:196
	buffer_load_dword v96, off, s[0:3], 0 offset:204
	s_waitcnt vmcnt(24) lgkmcnt(0)
	v_fma_f64 v[73:74], v[97:98], v[77:78], v[73:74]
	s_waitcnt vmcnt(19)
	v_fma_f64 v[81:82], v[81:82], v[79:80], v[73:74]
	ds_read2_b64 v[73:76], v72 offset0:51 offset1:52
	ds_read2_b64 v[77:80], v72 offset0:53 offset1:54
	s_waitcnt vmcnt(18) lgkmcnt(1)
	v_fma_f64 v[73:74], v[105:106], v[73:74], v[81:82]
	s_waitcnt vmcnt(17)
	v_fma_f64 v[73:74], v[103:104], v[75:76], v[73:74]
	buffer_load_dword v82, off, s[0:3], 0 offset:212
	buffer_load_dword v97, off, s[0:3], 0 offset:232
	buffer_load_dword v103, off, s[0:3], 0 offset:224
	buffer_load_dword v105, off, s[0:3], 0 offset:216
	buffer_load_dword v81, off, s[0:3], 0 offset:208
	buffer_load_dword v106, off, s[0:3], 0 offset:220
	buffer_load_dword v104, off, s[0:3], 0 offset:228
	buffer_load_dword v98, off, s[0:3], 0 offset:236
	s_waitcnt vmcnt(24) lgkmcnt(0)
	v_fma_f64 v[73:74], v[83:84], v[77:78], v[73:74]
	s_waitcnt vmcnt(19)
	v_fma_f64 v[83:84], v[85:86], v[79:80], v[73:74]
	ds_read2_b64 v[73:76], v72 offset0:55 offset1:56
	ds_read2_b64 v[77:80], v72 offset0:57 offset1:58
	;; [unrolled: 18-line block ×3, first 2 shown]
	s_waitcnt vmcnt(18) lgkmcnt(1)
	v_fma_f64 v[73:74], v[101:102], v[73:74], v[87:88]
	buffer_load_dword v88, off, s[0:3], 0 offset:276
	buffer_load_dword v87, off, s[0:3], 0 offset:272
	;; [unrolled: 1-line block ×4, first 2 shown]
	s_waitcnt vmcnt(21)
	v_fma_f64 v[73:74], v[99:100], v[75:76], v[73:74]
	s_waitcnt vmcnt(20) lgkmcnt(0)
	v_fma_f64 v[73:74], v[95:96], v[77:78], v[73:74]
	s_waitcnt vmcnt(15)
	v_fma_f64 v[81:82], v[81:82], v[79:80], v[73:74]
	ds_read2_b64 v[73:76], v72 offset0:63 offset1:64
	ds_read2_b64 v[77:80], v72 offset0:65 offset1:66
	s_waitcnt vmcnt(14) lgkmcnt(1)
	v_fma_f64 v[73:74], v[105:106], v[73:74], v[81:82]
	s_waitcnt vmcnt(13)
	v_fma_f64 v[73:74], v[103:104], v[75:76], v[73:74]
	s_waitcnt vmcnt(12) lgkmcnt(0)
	v_fma_f64 v[73:74], v[97:98], v[77:78], v[73:74]
	s_waitcnt vmcnt(7)
	v_fma_f64 v[81:82], v[83:84], v[79:80], v[73:74]
	ds_read2_b64 v[73:76], v72 offset0:67 offset1:68
	ds_read2_b64 v[77:80], v72 offset0:69 offset1:70
	s_waitcnt vmcnt(6) lgkmcnt(1)
	v_fma_f64 v[72:73], v[91:92], v[73:74], v[81:82]
	s_waitcnt vmcnt(5)
	v_fma_f64 v[72:73], v[89:90], v[75:76], v[72:73]
	s_waitcnt vmcnt(4) lgkmcnt(0)
	v_fma_f64 v[72:73], v[85:86], v[77:78], v[72:73]
	s_waitcnt vmcnt(2)
	v_fma_f64 v[72:73], v[87:88], v[79:80], v[72:73]
	s_waitcnt vmcnt(0)
	v_add_f64 v[72:73], v[93:94], -v[72:73]
	buffer_store_dword v73, off, s[0:3], 0 offset:20
	buffer_store_dword v72, off, s[0:3], 0 offset:16
	s_and_saveexec_b64 s[4:5], vcc
	s_cbranch_execz .LBB98_215
; %bb.214:
	buffer_load_dword v72, off, s[0:3], 0 offset:8
	buffer_load_dword v73, off, s[0:3], 0 offset:12
	v_mov_b32_e32 v74, 0
	buffer_store_dword v74, off, s[0:3], 0 offset:8
	buffer_store_dword v74, off, s[0:3], 0 offset:12
	s_waitcnt vmcnt(2)
	ds_write_b64 v71, v[72:73]
.LBB98_215:
	s_or_b64 exec, exec, s[4:5]
	s_waitcnt lgkmcnt(0)
	; wave barrier
	buffer_load_dword v82, off, s[0:3], 0 offset:16
	buffer_load_dword v83, off, s[0:3], 0 offset:20
	;; [unrolled: 1-line block ×21, first 2 shown]
	v_mov_b32_e32 v73, 0
	ds_read_b128 v[74:77], v73 offset:304
	ds_read_b128 v[78:81], v73 offset:320
	buffer_load_dword v99, off, s[0:3], 0 offset:100
	v_cmp_ne_u32_e32 vcc, 0, v0
	s_waitcnt vmcnt(20) lgkmcnt(1)
	v_fma_f64 v[74:75], v[82:83], v[74:75], 0
	s_waitcnt vmcnt(18)
	v_fma_f64 v[74:75], v[84:85], v[76:77], v[74:75]
	buffer_load_dword v83, off, s[0:3], 0 offset:108
	buffer_load_dword v84, off, s[0:3], 0 offset:128
	;; [unrolled: 1-line block ×7, first 2 shown]
	s_waitcnt vmcnt(23) lgkmcnt(0)
	v_fma_f64 v[74:75], v[86:87], v[78:79], v[74:75]
	s_waitcnt vmcnt(21)
	v_fma_f64 v[85:86], v[88:89], v[80:81], v[74:75]
	ds_read_b128 v[74:77], v73 offset:336
	ds_read_b128 v[78:81], v73 offset:352
	s_waitcnt vmcnt(19) lgkmcnt(1)
	v_fma_f64 v[74:75], v[90:91], v[74:75], v[85:86]
	buffer_load_dword v85, off, s[0:3], 0 offset:132
	s_waitcnt vmcnt(18)
	v_fma_f64 v[74:75], v[92:93], v[76:77], v[74:75]
	buffer_load_dword v87, off, s[0:3], 0 offset:140
	buffer_load_dword v88, off, s[0:3], 0 offset:160
	;; [unrolled: 1-line block ×7, first 2 shown]
	s_waitcnt vmcnt(23) lgkmcnt(0)
	v_fma_f64 v[74:75], v[94:95], v[78:79], v[74:75]
	s_waitcnt vmcnt(18)
	v_fma_f64 v[94:95], v[96:97], v[80:81], v[74:75]
	ds_read_b128 v[74:77], v73 offset:368
	ds_read_b128 v[78:81], v73 offset:384
	buffer_load_dword v89, off, s[0:3], 0 offset:164
	s_waitcnt vmcnt(18) lgkmcnt(1)
	v_fma_f64 v[74:75], v[102:103], v[74:75], v[94:95]
	s_waitcnt vmcnt(17)
	v_fma_f64 v[74:75], v[100:101], v[76:77], v[74:75]
	buffer_load_dword v95, off, s[0:3], 0 offset:172
	buffer_load_dword v96, off, s[0:3], 0 offset:192
	;; [unrolled: 1-line block ×7, first 2 shown]
	s_waitcnt vmcnt(23) lgkmcnt(0)
	v_fma_f64 v[74:75], v[98:99], v[78:79], v[74:75]
	s_waitcnt vmcnt(18)
	v_fma_f64 v[82:83], v[82:83], v[80:81], v[74:75]
	ds_read_b128 v[74:77], v73 offset:400
	ds_read_b128 v[78:81], v73 offset:416
	buffer_load_dword v97, off, s[0:3], 0 offset:196
	s_waitcnt vmcnt(18) lgkmcnt(1)
	v_fma_f64 v[74:75], v[106:107], v[74:75], v[82:83]
	s_waitcnt vmcnt(17)
	v_fma_f64 v[74:75], v[104:105], v[76:77], v[74:75]
	buffer_load_dword v83, off, s[0:3], 0 offset:204
	buffer_load_dword v98, off, s[0:3], 0 offset:224
	;; [unrolled: 1-line block ×8, first 2 shown]
	s_waitcnt vmcnt(24) lgkmcnt(0)
	v_fma_f64 v[74:75], v[84:85], v[78:79], v[74:75]
	s_waitcnt vmcnt(19)
	v_fma_f64 v[84:85], v[86:87], v[80:81], v[74:75]
	ds_read_b128 v[74:77], v73 offset:432
	ds_read_b128 v[78:81], v73 offset:448
	s_waitcnt vmcnt(18) lgkmcnt(1)
	v_fma_f64 v[74:75], v[92:93], v[74:75], v[84:85]
	s_waitcnt vmcnt(17)
	v_fma_f64 v[74:75], v[90:91], v[76:77], v[74:75]
	buffer_load_dword v85, off, s[0:3], 0 offset:236
	buffer_load_dword v86, off, s[0:3], 0 offset:256
	;; [unrolled: 1-line block ×7, first 2 shown]
	s_waitcnt vmcnt(23) lgkmcnt(0)
	v_fma_f64 v[74:75], v[88:89], v[78:79], v[74:75]
	s_waitcnt vmcnt(18)
	v_fma_f64 v[87:88], v[94:95], v[80:81], v[74:75]
	ds_read_b128 v[74:77], v73 offset:464
	ds_read_b128 v[78:81], v73 offset:480
	s_waitcnt vmcnt(17) lgkmcnt(1)
	v_fma_f64 v[74:75], v[102:103], v[74:75], v[87:88]
	buffer_load_dword v87, off, s[0:3], 0 offset:260
	buffer_load_dword v89, off, s[0:3], 0 offset:268
	;; [unrolled: 1-line block ×5, first 2 shown]
	s_waitcnt vmcnt(21)
	v_fma_f64 v[74:75], v[100:101], v[76:77], v[74:75]
	s_waitcnt vmcnt(20) lgkmcnt(0)
	v_fma_f64 v[74:75], v[96:97], v[78:79], v[74:75]
	buffer_load_dword v96, off, s[0:3], 0 offset:8
	buffer_load_dword v97, off, s[0:3], 0 offset:12
	s_waitcnt vmcnt(17)
	v_fma_f64 v[82:83], v[82:83], v[80:81], v[74:75]
	ds_read_b128 v[74:77], v73 offset:496
	ds_read_b128 v[78:81], v73 offset:512
	s_waitcnt vmcnt(16) lgkmcnt(1)
	v_fma_f64 v[74:75], v[106:107], v[74:75], v[82:83]
	s_waitcnt vmcnt(15)
	v_fma_f64 v[74:75], v[104:105], v[76:77], v[74:75]
	s_waitcnt vmcnt(14) lgkmcnt(0)
	v_fma_f64 v[74:75], v[98:99], v[78:79], v[74:75]
	s_waitcnt vmcnt(9)
	v_fma_f64 v[82:83], v[84:85], v[80:81], v[74:75]
	ds_read_b128 v[74:77], v73 offset:528
	ds_read_b128 v[78:81], v73 offset:544
	s_waitcnt vmcnt(8) lgkmcnt(1)
	v_fma_f64 v[74:75], v[92:93], v[74:75], v[82:83]
	s_waitcnt vmcnt(7)
	v_fma_f64 v[74:75], v[90:91], v[76:77], v[74:75]
	ds_read_b64 v[76:77], v73 offset:560
	s_waitcnt vmcnt(6) lgkmcnt(1)
	v_fma_f64 v[74:75], v[86:87], v[78:79], v[74:75]
	s_waitcnt vmcnt(3)
	v_fma_f64 v[74:75], v[88:89], v[80:81], v[74:75]
	s_waitcnt vmcnt(2) lgkmcnt(0)
	v_fma_f64 v[74:75], v[94:95], v[76:77], v[74:75]
	s_waitcnt vmcnt(0)
	v_add_f64 v[74:75], v[96:97], -v[74:75]
	buffer_store_dword v75, off, s[0:3], 0 offset:12
	buffer_store_dword v74, off, s[0:3], 0 offset:8
	s_and_saveexec_b64 s[4:5], vcc
	s_cbranch_execz .LBB98_217
; %bb.216:
	buffer_load_dword v74, off, s[0:3], 0
	buffer_load_dword v75, off, s[0:3], 0 offset:4
	s_waitcnt vmcnt(0)
	ds_write_b64 v71, v[74:75]
	buffer_store_dword v73, off, s[0:3], 0
	buffer_store_dword v73, off, s[0:3], 0 offset:4
.LBB98_217:
	s_or_b64 exec, exec, s[4:5]
	s_waitcnt lgkmcnt(0)
	; wave barrier
	buffer_load_dword v71, off, s[0:3], 0 offset:8
	buffer_load_dword v72, off, s[0:3], 0 offset:12
	;; [unrolled: 1-line block ×21, first 2 shown]
	ds_read2_b64 v[74:77], v73 offset0:37 offset1:38
	ds_read2_b64 v[78:81], v73 offset0:39 offset1:40
	buffer_load_dword v97, off, s[0:3], 0 offset:92
	s_and_b64 vcc, exec, s[14:15]
	s_waitcnt vmcnt(20) lgkmcnt(1)
	v_fma_f64 v[71:72], v[71:72], v[74:75], 0
	s_waitcnt vmcnt(18)
	v_fma_f64 v[71:72], v[82:83], v[76:77], v[71:72]
	buffer_load_dword v83, off, s[0:3], 0 offset:100
	buffer_load_dword v102, off, s[0:3], 0 offset:120
	;; [unrolled: 1-line block ×8, first 2 shown]
	ds_read2_b64 v[74:77], v73 offset0:41 offset1:42
	s_waitcnt vmcnt(24) lgkmcnt(1)
	v_fma_f64 v[71:72], v[84:85], v[78:79], v[71:72]
	s_waitcnt vmcnt(22)
	v_fma_f64 v[71:72], v[86:87], v[80:81], v[71:72]
	ds_read2_b64 v[78:81], v73 offset0:43 offset1:44
	s_waitcnt vmcnt(20) lgkmcnt(1)
	v_fma_f64 v[71:72], v[88:89], v[74:75], v[71:72]
	s_waitcnt vmcnt(18)
	v_fma_f64 v[71:72], v[90:91], v[76:77], v[71:72]
	buffer_load_dword v85, off, s[0:3], 0 offset:132
	buffer_load_dword v86, off, s[0:3], 0 offset:152
	buffer_load_dword v88, off, s[0:3], 0 offset:144
	buffer_load_dword v90, off, s[0:3], 0 offset:136
	buffer_load_dword v84, off, s[0:3], 0 offset:128
	buffer_load_dword v91, off, s[0:3], 0 offset:140
	buffer_load_dword v89, off, s[0:3], 0 offset:148
	buffer_load_dword v87, off, s[0:3], 0 offset:156
	ds_read2_b64 v[74:77], v73 offset0:45 offset1:46
	s_waitcnt vmcnt(24) lgkmcnt(1)
	v_fma_f64 v[71:72], v[92:93], v[78:79], v[71:72]
	s_waitcnt vmcnt(19)
	v_fma_f64 v[71:72], v[94:95], v[80:81], v[71:72]
	ds_read2_b64 v[78:81], v73 offset0:47 offset1:48
	s_waitcnt vmcnt(18) lgkmcnt(1)
	v_fma_f64 v[71:72], v[100:101], v[74:75], v[71:72]
	s_waitcnt vmcnt(17)
	v_fma_f64 v[71:72], v[98:99], v[76:77], v[71:72]
	buffer_load_dword v93, off, s[0:3], 0 offset:164
	buffer_load_dword v94, off, s[0:3], 0 offset:184
	;; [unrolled: 1-line block ×7, first 2 shown]
	s_waitcnt vmcnt(23) lgkmcnt(0)
	v_fma_f64 v[71:72], v[96:97], v[78:79], v[71:72]
	s_waitcnt vmcnt(18)
	v_fma_f64 v[71:72], v[82:83], v[80:81], v[71:72]
	ds_read2_b64 v[74:77], v73 offset0:49 offset1:50
	ds_read2_b64 v[78:81], v73 offset0:51 offset1:52
	buffer_load_dword v95, off, s[0:3], 0 offset:188
	s_waitcnt vmcnt(18) lgkmcnt(1)
	v_fma_f64 v[71:72], v[106:107], v[74:75], v[71:72]
	s_waitcnt vmcnt(17)
	v_fma_f64 v[71:72], v[104:105], v[76:77], v[71:72]
	buffer_load_dword v83, off, s[0:3], 0 offset:196
	buffer_load_dword v96, off, s[0:3], 0 offset:216
	;; [unrolled: 1-line block ×8, first 2 shown]
	ds_read2_b64 v[74:77], v73 offset0:53 offset1:54
	s_waitcnt vmcnt(24) lgkmcnt(1)
	v_fma_f64 v[71:72], v[102:103], v[78:79], v[71:72]
	s_waitcnt vmcnt(19)
	v_fma_f64 v[71:72], v[84:85], v[80:81], v[71:72]
	ds_read2_b64 v[78:81], v73 offset0:55 offset1:56
	s_waitcnt vmcnt(18) lgkmcnt(1)
	v_fma_f64 v[71:72], v[90:91], v[74:75], v[71:72]
	s_waitcnt vmcnt(17)
	v_fma_f64 v[71:72], v[88:89], v[76:77], v[71:72]
	buffer_load_dword v85, off, s[0:3], 0 offset:228
	buffer_load_dword v88, off, s[0:3], 0 offset:248
	;; [unrolled: 1-line block ×8, first 2 shown]
	ds_read2_b64 v[74:77], v73 offset0:57 offset1:58
	s_waitcnt vmcnt(24) lgkmcnt(1)
	v_fma_f64 v[71:72], v[86:87], v[78:79], v[71:72]
	s_waitcnt vmcnt(19)
	v_fma_f64 v[71:72], v[92:93], v[80:81], v[71:72]
	ds_read2_b64 v[78:81], v73 offset0:59 offset1:60
	s_waitcnt vmcnt(18) lgkmcnt(1)
	v_fma_f64 v[71:72], v[100:101], v[74:75], v[71:72]
	s_waitcnt vmcnt(17)
	v_fma_f64 v[74:75], v[98:99], v[76:77], v[71:72]
	buffer_load_dword v87, off, s[0:3], 0 offset:260
	buffer_load_dword v92, off, s[0:3], 0 offset:272
	;; [unrolled: 1-line block ×6, first 2 shown]
	s_waitcnt vmcnt(22) lgkmcnt(0)
	v_fma_f64 v[74:75], v[94:95], v[78:79], v[74:75]
	s_waitcnt vmcnt(17)
	v_fma_f64 v[82:83], v[82:83], v[80:81], v[74:75]
	ds_read2_b64 v[74:77], v73 offset0:61 offset1:62
	buffer_load_dword v94, off, s[0:3], 0
	buffer_load_dword v95, off, s[0:3], 0 offset:4
	ds_read2_b64 v[78:81], v73 offset0:63 offset1:64
	s_waitcnt vmcnt(18) lgkmcnt(1)
	v_fma_f64 v[74:75], v[106:107], v[74:75], v[82:83]
	s_waitcnt vmcnt(17)
	v_fma_f64 v[74:75], v[104:105], v[76:77], v[74:75]
	s_waitcnt vmcnt(16) lgkmcnt(0)
	v_fma_f64 v[74:75], v[96:97], v[78:79], v[74:75]
	s_waitcnt vmcnt(11)
	v_fma_f64 v[82:83], v[84:85], v[80:81], v[74:75]
	ds_read2_b64 v[74:77], v73 offset0:65 offset1:66
	ds_read2_b64 v[78:81], v73 offset0:67 offset1:68
	s_waitcnt vmcnt(10) lgkmcnt(1)
	v_fma_f64 v[74:75], v[102:103], v[74:75], v[82:83]
	s_waitcnt vmcnt(9)
	v_fma_f64 v[74:75], v[90:91], v[76:77], v[74:75]
	s_waitcnt vmcnt(8) lgkmcnt(0)
	v_fma_f64 v[74:75], v[88:89], v[78:79], v[74:75]
	s_waitcnt vmcnt(4)
	v_fma_f64 v[77:78], v[86:87], v[80:81], v[74:75]
	ds_read2_b64 v[73:76], v73 offset0:69 offset1:70
	s_waitcnt vmcnt(3) lgkmcnt(0)
	v_fma_f64 v[73:74], v[71:72], v[73:74], v[77:78]
	s_waitcnt vmcnt(2)
	v_fma_f64 v[73:74], v[92:93], v[75:76], v[73:74]
	s_waitcnt vmcnt(0)
	v_add_f64 v[73:74], v[94:95], -v[73:74]
	buffer_store_dword v74, off, s[0:3], 0 offset:4
	buffer_store_dword v73, off, s[0:3], 0
	s_cbranch_vccz .LBB98_286
; %bb.218:
	v_mov_b32_e32 v0, 0
	global_load_dword v73, v0, s[12:13] offset:132
	s_waitcnt vmcnt(0)
	v_add_u32_e32 v73, -1, v73
	v_cmp_ne_u32_e32 vcc, 33, v73
	s_cbranch_vccz .LBB98_220
; %bb.219:
	v_lshlrev_b32_e32 v73, 3, v73
	buffer_load_dword v74, v73, s[0:3], 0 offen
	buffer_load_dword v75, v73, s[0:3], 0 offen offset:4
	s_waitcnt vmcnt(1)
	buffer_store_dword v74, off, s[0:3], 0 offset:264
	s_waitcnt vmcnt(1)
	buffer_store_dword v75, off, s[0:3], 0 offset:268
	buffer_store_dword v71, v73, s[0:3], 0 offen
	buffer_store_dword v72, v73, s[0:3], 0 offen offset:4
.LBB98_220:
	global_load_dword v0, v0, s[12:13] offset:128
	s_waitcnt vmcnt(0)
	v_add_u32_e32 v0, -1, v0
	v_cmp_eq_u32_e32 vcc, 32, v0
	s_cbranch_vccnz .LBB98_222
; %bb.221:
	v_lshlrev_b32_e32 v0, 3, v0
	buffer_load_dword v71, v0, s[0:3], 0 offen
	buffer_load_dword v72, v0, s[0:3], 0 offen offset:4
	buffer_load_dword v73, off, s[0:3], 0 offset:260
	buffer_load_dword v74, off, s[0:3], 0 offset:256
	s_waitcnt vmcnt(3)
	buffer_store_dword v71, off, s[0:3], 0 offset:256
	s_waitcnt vmcnt(3)
	buffer_store_dword v72, off, s[0:3], 0 offset:260
	s_waitcnt vmcnt(3)
	buffer_store_dword v73, v0, s[0:3], 0 offen offset:4
	s_waitcnt vmcnt(3)
	buffer_store_dword v74, v0, s[0:3], 0 offen
.LBB98_222:
	v_mov_b32_e32 v0, 0
	global_load_dword v71, v0, s[12:13] offset:124
	s_waitcnt vmcnt(0)
	v_add_u32_e32 v71, -1, v71
	v_cmp_eq_u32_e32 vcc, 31, v71
	s_cbranch_vccnz .LBB98_224
; %bb.223:
	v_lshlrev_b32_e32 v71, 3, v71
	buffer_load_dword v72, v71, s[0:3], 0 offen
	buffer_load_dword v73, v71, s[0:3], 0 offen offset:4
	buffer_load_dword v74, off, s[0:3], 0 offset:248
	buffer_load_dword v75, off, s[0:3], 0 offset:252
	s_waitcnt vmcnt(3)
	buffer_store_dword v72, off, s[0:3], 0 offset:248
	s_waitcnt vmcnt(3)
	buffer_store_dword v73, off, s[0:3], 0 offset:252
	s_waitcnt vmcnt(3)
	buffer_store_dword v74, v71, s[0:3], 0 offen
	s_waitcnt vmcnt(3)
	buffer_store_dword v75, v71, s[0:3], 0 offen offset:4
.LBB98_224:
	global_load_dword v0, v0, s[12:13] offset:120
	s_waitcnt vmcnt(0)
	v_add_u32_e32 v0, -1, v0
	v_cmp_eq_u32_e32 vcc, 30, v0
	s_cbranch_vccnz .LBB98_226
; %bb.225:
	v_lshlrev_b32_e32 v0, 3, v0
	buffer_load_dword v71, v0, s[0:3], 0 offen
	buffer_load_dword v72, v0, s[0:3], 0 offen offset:4
	buffer_load_dword v73, off, s[0:3], 0 offset:244
	buffer_load_dword v74, off, s[0:3], 0 offset:240
	s_waitcnt vmcnt(3)
	buffer_store_dword v71, off, s[0:3], 0 offset:240
	s_waitcnt vmcnt(3)
	buffer_store_dword v72, off, s[0:3], 0 offset:244
	s_waitcnt vmcnt(3)
	buffer_store_dword v73, v0, s[0:3], 0 offen offset:4
	s_waitcnt vmcnt(3)
	buffer_store_dword v74, v0, s[0:3], 0 offen
.LBB98_226:
	v_mov_b32_e32 v0, 0
	global_load_dword v71, v0, s[12:13] offset:116
	s_waitcnt vmcnt(0)
	v_add_u32_e32 v71, -1, v71
	v_cmp_eq_u32_e32 vcc, 29, v71
	s_cbranch_vccnz .LBB98_228
; %bb.227:
	v_lshlrev_b32_e32 v71, 3, v71
	buffer_load_dword v72, v71, s[0:3], 0 offen
	buffer_load_dword v73, v71, s[0:3], 0 offen offset:4
	buffer_load_dword v74, off, s[0:3], 0 offset:232
	buffer_load_dword v75, off, s[0:3], 0 offset:236
	s_waitcnt vmcnt(3)
	buffer_store_dword v72, off, s[0:3], 0 offset:232
	s_waitcnt vmcnt(3)
	buffer_store_dword v73, off, s[0:3], 0 offset:236
	s_waitcnt vmcnt(3)
	buffer_store_dword v74, v71, s[0:3], 0 offen
	s_waitcnt vmcnt(3)
	buffer_store_dword v75, v71, s[0:3], 0 offen offset:4
.LBB98_228:
	;; [unrolled: 41-line block ×16, first 2 shown]
	global_load_dword v0, v0, s[12:13]
	s_nop 0
	buffer_load_dword v73, off, s[0:3], 0
	buffer_load_dword v74, off, s[0:3], 0 offset:4
	s_waitcnt vmcnt(2)
	v_add_u32_e32 v0, -1, v0
	v_cmp_eq_u32_e32 vcc, 0, v0
	s_cbranch_vccnz .LBB98_286
; %bb.285:
	v_lshlrev_b32_e32 v0, 3, v0
	buffer_load_dword v71, v0, s[0:3], 0 offen offset:4
	buffer_load_dword v72, v0, s[0:3], 0 offen
	s_waitcnt vmcnt(1)
	buffer_store_dword v71, off, s[0:3], 0 offset:4
	s_waitcnt vmcnt(1)
	buffer_store_dword v72, off, s[0:3], 0
	buffer_store_dword v74, v0, s[0:3], 0 offen offset:4
	buffer_store_dword v73, v0, s[0:3], 0 offen
	buffer_load_dword v73, off, s[0:3], 0
	s_nop 0
	buffer_load_dword v74, off, s[0:3], 0 offset:4
.LBB98_286:
	s_waitcnt vmcnt(0)
	flat_store_dwordx2 v[1:2], v[73:74]
	buffer_load_dword v0, off, s[0:3], 0 offset:8
	s_nop 0
	buffer_load_dword v1, off, s[0:3], 0 offset:12
	s_waitcnt vmcnt(0)
	flat_store_dwordx2 v[3:4], v[0:1]
	buffer_load_dword v0, off, s[0:3], 0 offset:16
	s_nop 0
	buffer_load_dword v1, off, s[0:3], 0 offset:20
	;; [unrolled: 5-line block ×34, first 2 shown]
	s_waitcnt vmcnt(0)
	flat_store_dwordx2 v[69:70], v[0:1]
	s_endpgm
	.section	.rodata,"a",@progbits
	.p2align	6, 0x0
	.amdhsa_kernel _ZN9rocsolver6v33100L18getri_kernel_smallILi35EdPKPdEEvT1_iilPiilS6_bb
		.amdhsa_group_segment_fixed_size 568
		.amdhsa_private_segment_fixed_size 288
		.amdhsa_kernarg_size 60
		.amdhsa_user_sgpr_count 6
		.amdhsa_user_sgpr_private_segment_buffer 1
		.amdhsa_user_sgpr_dispatch_ptr 0
		.amdhsa_user_sgpr_queue_ptr 0
		.amdhsa_user_sgpr_kernarg_segment_ptr 1
		.amdhsa_user_sgpr_dispatch_id 0
		.amdhsa_user_sgpr_flat_scratch_init 0
		.amdhsa_user_sgpr_private_segment_size 0
		.amdhsa_uses_dynamic_stack 0
		.amdhsa_system_sgpr_private_segment_wavefront_offset 1
		.amdhsa_system_sgpr_workgroup_id_x 1
		.amdhsa_system_sgpr_workgroup_id_y 0
		.amdhsa_system_sgpr_workgroup_id_z 0
		.amdhsa_system_sgpr_workgroup_info 0
		.amdhsa_system_vgpr_workitem_id 0
		.amdhsa_next_free_vgpr 108
		.amdhsa_next_free_sgpr 21
		.amdhsa_reserve_vcc 1
		.amdhsa_reserve_flat_scratch 0
		.amdhsa_float_round_mode_32 0
		.amdhsa_float_round_mode_16_64 0
		.amdhsa_float_denorm_mode_32 3
		.amdhsa_float_denorm_mode_16_64 3
		.amdhsa_dx10_clamp 1
		.amdhsa_ieee_mode 1
		.amdhsa_fp16_overflow 0
		.amdhsa_exception_fp_ieee_invalid_op 0
		.amdhsa_exception_fp_denorm_src 0
		.amdhsa_exception_fp_ieee_div_zero 0
		.amdhsa_exception_fp_ieee_overflow 0
		.amdhsa_exception_fp_ieee_underflow 0
		.amdhsa_exception_fp_ieee_inexact 0
		.amdhsa_exception_int_div_zero 0
	.end_amdhsa_kernel
	.section	.text._ZN9rocsolver6v33100L18getri_kernel_smallILi35EdPKPdEEvT1_iilPiilS6_bb,"axG",@progbits,_ZN9rocsolver6v33100L18getri_kernel_smallILi35EdPKPdEEvT1_iilPiilS6_bb,comdat
.Lfunc_end98:
	.size	_ZN9rocsolver6v33100L18getri_kernel_smallILi35EdPKPdEEvT1_iilPiilS6_bb, .Lfunc_end98-_ZN9rocsolver6v33100L18getri_kernel_smallILi35EdPKPdEEvT1_iilPiilS6_bb
                                        ; -- End function
	.set _ZN9rocsolver6v33100L18getri_kernel_smallILi35EdPKPdEEvT1_iilPiilS6_bb.num_vgpr, 108
	.set _ZN9rocsolver6v33100L18getri_kernel_smallILi35EdPKPdEEvT1_iilPiilS6_bb.num_agpr, 0
	.set _ZN9rocsolver6v33100L18getri_kernel_smallILi35EdPKPdEEvT1_iilPiilS6_bb.numbered_sgpr, 21
	.set _ZN9rocsolver6v33100L18getri_kernel_smallILi35EdPKPdEEvT1_iilPiilS6_bb.num_named_barrier, 0
	.set _ZN9rocsolver6v33100L18getri_kernel_smallILi35EdPKPdEEvT1_iilPiilS6_bb.private_seg_size, 288
	.set _ZN9rocsolver6v33100L18getri_kernel_smallILi35EdPKPdEEvT1_iilPiilS6_bb.uses_vcc, 1
	.set _ZN9rocsolver6v33100L18getri_kernel_smallILi35EdPKPdEEvT1_iilPiilS6_bb.uses_flat_scratch, 0
	.set _ZN9rocsolver6v33100L18getri_kernel_smallILi35EdPKPdEEvT1_iilPiilS6_bb.has_dyn_sized_stack, 0
	.set _ZN9rocsolver6v33100L18getri_kernel_smallILi35EdPKPdEEvT1_iilPiilS6_bb.has_recursion, 0
	.set _ZN9rocsolver6v33100L18getri_kernel_smallILi35EdPKPdEEvT1_iilPiilS6_bb.has_indirect_call, 0
	.section	.AMDGPU.csdata,"",@progbits
; Kernel info:
; codeLenInByte = 36548
; TotalNumSgprs: 25
; NumVgprs: 108
; ScratchSize: 288
; MemoryBound: 1
; FloatMode: 240
; IeeeMode: 1
; LDSByteSize: 568 bytes/workgroup (compile time only)
; SGPRBlocks: 3
; VGPRBlocks: 26
; NumSGPRsForWavesPerEU: 25
; NumVGPRsForWavesPerEU: 108
; Occupancy: 2
; WaveLimiterHint : 1
; COMPUTE_PGM_RSRC2:SCRATCH_EN: 1
; COMPUTE_PGM_RSRC2:USER_SGPR: 6
; COMPUTE_PGM_RSRC2:TRAP_HANDLER: 0
; COMPUTE_PGM_RSRC2:TGID_X_EN: 1
; COMPUTE_PGM_RSRC2:TGID_Y_EN: 0
; COMPUTE_PGM_RSRC2:TGID_Z_EN: 0
; COMPUTE_PGM_RSRC2:TIDIG_COMP_CNT: 0
	.section	.text._ZN9rocsolver6v33100L18getri_kernel_smallILi36EdPKPdEEvT1_iilPiilS6_bb,"axG",@progbits,_ZN9rocsolver6v33100L18getri_kernel_smallILi36EdPKPdEEvT1_iilPiilS6_bb,comdat
	.globl	_ZN9rocsolver6v33100L18getri_kernel_smallILi36EdPKPdEEvT1_iilPiilS6_bb ; -- Begin function _ZN9rocsolver6v33100L18getri_kernel_smallILi36EdPKPdEEvT1_iilPiilS6_bb
	.p2align	8
	.type	_ZN9rocsolver6v33100L18getri_kernel_smallILi36EdPKPdEEvT1_iilPiilS6_bb,@function
_ZN9rocsolver6v33100L18getri_kernel_smallILi36EdPKPdEEvT1_iilPiilS6_bb: ; @_ZN9rocsolver6v33100L18getri_kernel_smallILi36EdPKPdEEvT1_iilPiilS6_bb
; %bb.0:
	s_add_u32 s0, s0, s7
	s_addc_u32 s1, s1, 0
	v_cmp_gt_u32_e32 vcc, 36, v0
	s_and_saveexec_b64 s[8:9], vcc
	s_cbranch_execz .LBB99_152
; %bb.1:
	s_load_dword s18, s[4:5], 0x38
	s_load_dwordx2 s[12:13], s[4:5], 0x0
	s_load_dwordx4 s[8:11], s[4:5], 0x28
	s_waitcnt lgkmcnt(0)
	s_bitcmp1_b32 s18, 8
	s_cselect_b64 s[14:15], -1, 0
	s_ashr_i32 s7, s6, 31
	s_lshl_b64 s[16:17], s[6:7], 3
	s_add_u32 s12, s12, s16
	s_addc_u32 s13, s13, s17
	s_load_dwordx2 s[16:17], s[12:13], 0x0
	s_bfe_u32 s12, s18, 0x10008
	s_cmp_eq_u32 s12, 0
                                        ; implicit-def: $sgpr12_sgpr13
	s_cbranch_scc1 .LBB99_3
; %bb.2:
	s_load_dword s12, s[4:5], 0x20
	s_load_dwordx2 s[18:19], s[4:5], 0x18
	s_mul_i32 s13, s8, s7
	s_mul_hi_u32 s20, s8, s6
	s_add_i32 s20, s20, s13
	s_mul_i32 s9, s9, s6
	s_add_i32 s9, s20, s9
	s_mul_i32 s8, s8, s6
	s_waitcnt lgkmcnt(0)
	s_ashr_i32 s13, s12, 31
	s_lshl_b64 s[8:9], s[8:9], 2
	s_add_u32 s18, s18, s8
	s_addc_u32 s19, s19, s9
	s_lshl_b64 s[8:9], s[12:13], 2
	s_add_u32 s12, s18, s8
	s_addc_u32 s13, s19, s9
.LBB99_3:
	s_load_dwordx2 s[8:9], s[4:5], 0x8
	s_load_dword s18, s[4:5], 0x38
	v_lshlrev_b32_e32 v75, 3, v0
	s_waitcnt lgkmcnt(0)
	s_ashr_i32 s5, s8, 31
	s_mov_b32 s4, s8
	s_lshl_b64 s[4:5], s[4:5], 3
	s_add_u32 s4, s16, s4
	s_addc_u32 s5, s17, s5
	v_mov_b32_e32 v2, s5
	v_add_co_u32_e32 v1, vcc, s4, v75
	v_addc_co_u32_e32 v2, vcc, 0, v2, vcc
	flat_load_dwordx2 v[5:6], v[1:2]
	s_mov_b32 s16, s9
	s_ashr_i32 s17, s9, 31
	s_lshl_b64 s[16:17], s[16:17], 3
	v_mov_b32_e32 v4, s17
	v_add_co_u32_e32 v3, vcc, s16, v1
	v_addc_co_u32_e32 v4, vcc, v2, v4, vcc
	s_add_i32 s8, s9, s9
	v_add_u32_e32 v9, s8, v0
	v_ashrrev_i32_e32 v10, 31, v9
	v_mov_b32_e32 v11, s5
	v_add_u32_e32 v12, s9, v9
	v_ashrrev_i32_e32 v13, 31, v12
	v_mov_b32_e32 v14, s5
	v_mov_b32_e32 v15, s5
	;; [unrolled: 1-line block ×32, first 2 shown]
	s_bitcmp0_b32 s18, 0
	s_waitcnt vmcnt(0) lgkmcnt(0)
	buffer_store_dword v6, off, s[0:3], 0 offset:4
	buffer_store_dword v5, off, s[0:3], 0
	flat_load_dwordx2 v[7:8], v[3:4]
	v_lshlrev_b64 v[5:6], 3, v[9:10]
	s_waitcnt vmcnt(0) lgkmcnt(0)
	buffer_store_dword v8, off, s[0:3], 0 offset:12
	buffer_store_dword v7, off, s[0:3], 0 offset:8
	v_add_co_u32_e32 v5, vcc, s4, v5
	v_addc_co_u32_e32 v6, vcc, v11, v6, vcc
	flat_load_dwordx2 v[10:11], v[5:6]
	v_lshlrev_b64 v[7:8], 3, v[12:13]
	s_waitcnt vmcnt(0) lgkmcnt(0)
	buffer_store_dword v11, off, s[0:3], 0 offset:20
	buffer_store_dword v10, off, s[0:3], 0 offset:16
	v_add_co_u32_e32 v7, vcc, s4, v7
	v_addc_co_u32_e32 v8, vcc, v14, v8, vcc
	flat_load_dwordx2 v[13:14], v[7:8]
	v_add_u32_e32 v11, s9, v12
	v_ashrrev_i32_e32 v12, 31, v11
	v_lshlrev_b64 v[9:10], 3, v[11:12]
	s_waitcnt vmcnt(0) lgkmcnt(0)
	buffer_store_dword v14, off, s[0:3], 0 offset:28
	buffer_store_dword v13, off, s[0:3], 0 offset:24
	v_add_co_u32_e32 v9, vcc, s4, v9
	v_addc_co_u32_e32 v10, vcc, v15, v10, vcc
	flat_load_dwordx2 v[13:14], v[9:10]
	v_add_u32_e32 v15, s9, v11
	v_ashrrev_i32_e32 v16, 31, v15
	v_lshlrev_b64 v[11:12], 3, v[15:16]
	v_add_u32_e32 v18, s9, v15
	v_add_co_u32_e32 v11, vcc, s4, v11
	v_addc_co_u32_e32 v12, vcc, v17, v12, vcc
	v_ashrrev_i32_e32 v19, 31, v18
	s_waitcnt vmcnt(0) lgkmcnt(0)
	buffer_store_dword v14, off, s[0:3], 0 offset:36
	buffer_store_dword v13, off, s[0:3], 0 offset:32
	flat_load_dwordx2 v[16:17], v[11:12]
	v_lshlrev_b64 v[13:14], 3, v[18:19]
	s_waitcnt vmcnt(0) lgkmcnt(0)
	buffer_store_dword v17, off, s[0:3], 0 offset:44
	buffer_store_dword v16, off, s[0:3], 0 offset:40
	v_add_co_u32_e32 v13, vcc, s4, v13
	v_addc_co_u32_e32 v14, vcc, v20, v14, vcc
	flat_load_dwordx2 v[19:20], v[13:14]
	v_add_u32_e32 v17, s9, v18
	v_ashrrev_i32_e32 v18, 31, v17
	v_lshlrev_b64 v[15:16], 3, v[17:18]
	s_waitcnt vmcnt(0) lgkmcnt(0)
	buffer_store_dword v20, off, s[0:3], 0 offset:52
	buffer_store_dword v19, off, s[0:3], 0 offset:48
	v_add_co_u32_e32 v15, vcc, s4, v15
	v_addc_co_u32_e32 v16, vcc, v21, v16, vcc
	flat_load_dwordx2 v[19:20], v[15:16]
	v_add_u32_e32 v21, s9, v17
	v_ashrrev_i32_e32 v22, 31, v21
	v_lshlrev_b64 v[17:18], 3, v[21:22]
	v_add_u32_e32 v24, s9, v21
	v_add_co_u32_e32 v17, vcc, s4, v17
	v_addc_co_u32_e32 v18, vcc, v23, v18, vcc
	v_ashrrev_i32_e32 v25, 31, v24
	s_waitcnt vmcnt(0) lgkmcnt(0)
	buffer_store_dword v20, off, s[0:3], 0 offset:60
	buffer_store_dword v19, off, s[0:3], 0 offset:56
	;; [unrolled: 27-line block ×7, first 2 shown]
	flat_load_dwordx2 v[52:53], v[47:48]
	v_lshlrev_b64 v[49:50], 3, v[54:55]
	s_waitcnt vmcnt(0) lgkmcnt(0)
	buffer_store_dword v53, off, s[0:3], 0 offset:188
	buffer_store_dword v52, off, s[0:3], 0 offset:184
	v_add_co_u32_e32 v49, vcc, s4, v49
	v_addc_co_u32_e32 v50, vcc, v56, v50, vcc
	flat_load_dwordx2 v[55:56], v[49:50]
	v_add_u32_e32 v53, s9, v54
	v_ashrrev_i32_e32 v54, 31, v53
	v_lshlrev_b64 v[51:52], 3, v[53:54]
	s_waitcnt vmcnt(0) lgkmcnt(0)
	buffer_store_dword v56, off, s[0:3], 0 offset:196
	buffer_store_dword v55, off, s[0:3], 0 offset:192
	v_add_co_u32_e32 v51, vcc, s4, v51
	v_addc_co_u32_e32 v52, vcc, v57, v52, vcc
	flat_load_dwordx2 v[55:56], v[51:52]
	v_add_u32_e32 v57, s9, v53
	v_ashrrev_i32_e32 v58, 31, v57
	v_lshlrev_b64 v[53:54], 3, v[57:58]
	v_add_u32_e32 v60, s9, v57
	v_add_co_u32_e32 v53, vcc, s4, v53
	v_addc_co_u32_e32 v54, vcc, v59, v54, vcc
	s_waitcnt vmcnt(0) lgkmcnt(0)
	buffer_store_dword v56, off, s[0:3], 0 offset:204
	buffer_store_dword v55, off, s[0:3], 0 offset:200
	flat_load_dwordx2 v[58:59], v[53:54]
	v_ashrrev_i32_e32 v61, 31, v60
	v_lshlrev_b64 v[55:56], 3, v[60:61]
	s_waitcnt vmcnt(0) lgkmcnt(0)
	buffer_store_dword v59, off, s[0:3], 0 offset:212
	buffer_store_dword v58, off, s[0:3], 0 offset:208
	v_add_co_u32_e32 v55, vcc, s4, v55
	v_addc_co_u32_e32 v56, vcc, v62, v56, vcc
	flat_load_dwordx2 v[61:62], v[55:56]
	v_add_u32_e32 v59, s9, v60
	v_ashrrev_i32_e32 v60, 31, v59
	v_lshlrev_b64 v[57:58], 3, v[59:60]
	s_waitcnt vmcnt(0) lgkmcnt(0)
	buffer_store_dword v62, off, s[0:3], 0 offset:220
	buffer_store_dword v61, off, s[0:3], 0 offset:216
	v_add_co_u32_e32 v57, vcc, s4, v57
	v_addc_co_u32_e32 v58, vcc, v63, v58, vcc
	flat_load_dwordx2 v[61:62], v[57:58]
	v_add_u32_e32 v63, s9, v59
	v_ashrrev_i32_e32 v64, 31, v63
	v_lshlrev_b64 v[59:60], 3, v[63:64]
	s_waitcnt vmcnt(0) lgkmcnt(0)
	buffer_store_dword v62, off, s[0:3], 0 offset:228
	buffer_store_dword v61, off, s[0:3], 0 offset:224
	v_add_co_u32_e32 v59, vcc, s4, v59
	v_addc_co_u32_e32 v60, vcc, v65, v60, vcc
	flat_load_dwordx2 v[64:65], v[59:60]
	v_add_u32_e32 v66, s9, v63
	v_ashrrev_i32_e32 v67, 31, v66
	v_lshlrev_b64 v[61:62], 3, v[66:67]
	s_waitcnt vmcnt(0) lgkmcnt(0)
	buffer_store_dword v65, off, s[0:3], 0 offset:236
	buffer_store_dword v64, off, s[0:3], 0 offset:232
	v_add_co_u32_e32 v61, vcc, s4, v61
	v_addc_co_u32_e32 v62, vcc, v68, v62, vcc
	flat_load_dwordx2 v[67:68], v[61:62]
	v_add_u32_e32 v65, s9, v66
	v_ashrrev_i32_e32 v66, 31, v65
	v_lshlrev_b64 v[63:64], 3, v[65:66]
	s_waitcnt vmcnt(0) lgkmcnt(0)
	buffer_store_dword v68, off, s[0:3], 0 offset:244
	buffer_store_dword v67, off, s[0:3], 0 offset:240
	v_add_co_u32_e32 v63, vcc, s4, v63
	v_addc_co_u32_e32 v64, vcc, v69, v64, vcc
	flat_load_dwordx2 v[67:68], v[63:64]
	v_add_u32_e32 v69, s9, v65
	v_ashrrev_i32_e32 v70, 31, v69
	v_lshlrev_b64 v[65:66], 3, v[69:70]
	s_waitcnt vmcnt(0) lgkmcnt(0)
	buffer_store_dword v68, off, s[0:3], 0 offset:252
	buffer_store_dword v67, off, s[0:3], 0 offset:248
	v_add_co_u32_e32 v65, vcc, s4, v65
	v_addc_co_u32_e32 v66, vcc, v71, v66, vcc
	flat_load_dwordx2 v[70:71], v[65:66]
	v_add_u32_e32 v72, s9, v69
	v_ashrrev_i32_e32 v73, 31, v72
	v_lshlrev_b64 v[67:68], 3, v[72:73]
	s_waitcnt vmcnt(0) lgkmcnt(0)
	buffer_store_dword v71, off, s[0:3], 0 offset:260
	buffer_store_dword v70, off, s[0:3], 0 offset:256
	v_add_co_u32_e32 v67, vcc, s4, v67
	v_addc_co_u32_e32 v68, vcc, v74, v68, vcc
	flat_load_dwordx2 v[73:74], v[67:68]
	v_add_u32_e32 v71, s9, v72
	v_ashrrev_i32_e32 v72, 31, v71
	v_lshlrev_b64 v[69:70], 3, v[71:72]
	s_waitcnt vmcnt(0) lgkmcnt(0)
	buffer_store_dword v74, off, s[0:3], 0 offset:268
	buffer_store_dword v73, off, s[0:3], 0 offset:264
	v_add_co_u32_e32 v69, vcc, s4, v69
	v_addc_co_u32_e32 v70, vcc, v76, v70, vcc
	flat_load_dwordx2 v[73:74], v[69:70]
	v_add_u32_e32 v71, s9, v71
	v_ashrrev_i32_e32 v72, 31, v71
	v_lshlrev_b64 v[71:72], 3, v[71:72]
	s_waitcnt vmcnt(0) lgkmcnt(0)
	buffer_store_dword v74, off, s[0:3], 0 offset:276
	buffer_store_dword v73, off, s[0:3], 0 offset:272
	v_add_co_u32_e32 v71, vcc, s4, v71
	v_addc_co_u32_e32 v72, vcc, v76, v72, vcc
	flat_load_dwordx2 v[73:74], v[71:72]
	s_mov_b64 s[8:9], -1
	s_waitcnt vmcnt(0) lgkmcnt(0)
	buffer_store_dword v74, off, s[0:3], 0 offset:284
	buffer_store_dword v73, off, s[0:3], 0 offset:280
	s_cbranch_scc1 .LBB99_150
; %bb.4:
	v_cmp_eq_u32_e64 s[4:5], 0, v0
	s_and_saveexec_b64 s[8:9], s[4:5]
; %bb.5:
	v_mov_b32_e32 v73, 0
	ds_write_b32 v73, v73 offset:576
; %bb.6:
	s_or_b64 exec, exec, s[8:9]
	v_mov_b32_e32 v73, 0
	v_lshl_add_u32 v73, v0, 3, v73
	s_waitcnt lgkmcnt(0)
	; wave barrier
	buffer_load_dword v76, v73, s[0:3], 0 offen
	buffer_load_dword v77, v73, s[0:3], 0 offen offset:4
	s_waitcnt vmcnt(0)
	v_cmp_eq_f64_e32 vcc, 0, v[76:77]
	s_and_saveexec_b64 s[16:17], vcc
	s_cbranch_execz .LBB99_10
; %bb.7:
	v_mov_b32_e32 v74, 0
	ds_read_b32 v77, v74 offset:576
	v_add_u32_e32 v76, 1, v0
	s_waitcnt lgkmcnt(0)
	v_readfirstlane_b32 s8, v77
	s_cmp_eq_u32 s8, 0
	s_cselect_b64 s[18:19], -1, 0
	v_cmp_gt_i32_e32 vcc, s8, v76
	s_or_b64 s[18:19], s[18:19], vcc
	s_and_b64 exec, exec, s[18:19]
	s_cbranch_execz .LBB99_10
; %bb.8:
	s_mov_b64 s[18:19], 0
	v_mov_b32_e32 v77, s8
.LBB99_9:                               ; =>This Inner Loop Header: Depth=1
	ds_cmpst_rtn_b32 v77, v74, v77, v76 offset:576
	s_waitcnt lgkmcnt(0)
	v_cmp_ne_u32_e32 vcc, 0, v77
	v_cmp_le_i32_e64 s[8:9], v77, v76
	s_and_b64 s[8:9], vcc, s[8:9]
	s_and_b64 s[8:9], exec, s[8:9]
	s_or_b64 s[18:19], s[8:9], s[18:19]
	s_andn2_b64 exec, exec, s[18:19]
	s_cbranch_execnz .LBB99_9
.LBB99_10:
	s_or_b64 exec, exec, s[16:17]
	v_mov_b32_e32 v76, 0
	; wave barrier
	ds_read_b32 v74, v76 offset:576
	s_and_saveexec_b64 s[8:9], s[4:5]
	s_cbranch_execz .LBB99_12
; %bb.11:
	s_lshl_b64 s[16:17], s[6:7], 2
	s_add_u32 s16, s10, s16
	s_addc_u32 s17, s11, s17
	s_waitcnt lgkmcnt(0)
	global_store_dword v76, v74, s[16:17]
.LBB99_12:
	s_or_b64 exec, exec, s[8:9]
	s_waitcnt lgkmcnt(0)
	v_cmp_ne_u32_e32 vcc, 0, v74
	s_mov_b64 s[8:9], 0
	s_cbranch_vccnz .LBB99_150
; %bb.13:
	buffer_load_dword v76, v73, s[0:3], 0 offen
	buffer_load_dword v77, v73, s[0:3], 0 offen offset:4
	s_waitcnt vmcnt(0)
	v_div_scale_f64 v[78:79], s[8:9], v[76:77], v[76:77], 1.0
	v_rcp_f64_e32 v[80:81], v[78:79]
	v_fma_f64 v[82:83], -v[78:79], v[80:81], 1.0
	v_fma_f64 v[80:81], v[80:81], v[82:83], v[80:81]
	v_div_scale_f64 v[82:83], vcc, 1.0, v[76:77], 1.0
	v_fma_f64 v[84:85], -v[78:79], v[80:81], 1.0
	v_fma_f64 v[80:81], v[80:81], v[84:85], v[80:81]
	v_mul_f64 v[84:85], v[82:83], v[80:81]
	v_fma_f64 v[78:79], -v[78:79], v[84:85], v[82:83]
	v_div_fmas_f64 v[78:79], v[78:79], v[80:81], v[84:85]
	v_div_fixup_f64 v[77:78], v[78:79], v[76:77], 1.0
	v_add_u32_e32 v76, 0x120, v75
	buffer_store_dword v78, v73, s[0:3], 0 offen offset:4
	buffer_store_dword v77, v73, s[0:3], 0 offen
	buffer_load_dword v80, off, s[0:3], 0 offset:12
	buffer_load_dword v79, off, s[0:3], 0 offset:8
	v_xor_b32_e32 v78, 0x80000000, v78
	s_waitcnt vmcnt(0)
	ds_write2_b64 v75, v[77:78], v[79:80] offset1:36
	s_waitcnt lgkmcnt(0)
	; wave barrier
	s_and_saveexec_b64 s[8:9], s[4:5]
	s_cbranch_execz .LBB99_15
; %bb.14:
	buffer_load_dword v77, v73, s[0:3], 0 offen
	buffer_load_dword v78, v73, s[0:3], 0 offen offset:4
	ds_read_b64 v[79:80], v76
	v_mov_b32_e32 v74, 0
	ds_read_b64 v[81:82], v74 offset:8
	s_waitcnt vmcnt(0) lgkmcnt(1)
	v_fma_f64 v[77:78], v[77:78], v[79:80], 0
	s_waitcnt lgkmcnt(0)
	v_mul_f64 v[77:78], v[77:78], v[81:82]
	buffer_store_dword v77, off, s[0:3], 0 offset:8
	buffer_store_dword v78, off, s[0:3], 0 offset:12
.LBB99_15:
	s_or_b64 exec, exec, s[8:9]
	; wave barrier
	buffer_load_dword v77, off, s[0:3], 0 offset:16
	buffer_load_dword v78, off, s[0:3], 0 offset:20
	v_cmp_gt_u32_e32 vcc, 2, v0
	s_waitcnt vmcnt(0)
	ds_write_b64 v76, v[77:78]
	s_waitcnt lgkmcnt(0)
	; wave barrier
	s_and_saveexec_b64 s[8:9], vcc
	s_cbranch_execz .LBB99_17
; %bb.16:
	buffer_load_dword v77, v73, s[0:3], 0 offen
	buffer_load_dword v78, v73, s[0:3], 0 offen offset:4
                                        ; kill: killed $vgpr73
	s_nop 0
	buffer_load_dword v73, off, s[0:3], 0 offset:8
	buffer_load_dword v74, off, s[0:3], 0 offset:12
	ds_read_b64 v[79:80], v76
	s_waitcnt vmcnt(2) lgkmcnt(0)
	v_fma_f64 v[81:82], v[77:78], v[79:80], 0
	v_mov_b32_e32 v77, 0
	ds_read2_b64 v[77:80], v77 offset0:2 offset1:37
	s_waitcnt vmcnt(0) lgkmcnt(0)
	v_fma_f64 v[73:74], v[73:74], v[79:80], v[81:82]
	v_cndmask_b32_e64 v74, v82, v74, s[4:5]
	v_cndmask_b32_e64 v73, v81, v73, s[4:5]
	v_mul_f64 v[73:74], v[73:74], v[77:78]
	buffer_store_dword v74, off, s[0:3], 0 offset:20
	buffer_store_dword v73, off, s[0:3], 0 offset:16
.LBB99_17:
	s_or_b64 exec, exec, s[8:9]
	; wave barrier
	buffer_load_dword v73, off, s[0:3], 0 offset:24
	buffer_load_dword v74, off, s[0:3], 0 offset:28
	v_cmp_gt_u32_e32 vcc, 3, v0
	v_add_u32_e32 v77, -1, v0
	s_waitcnt vmcnt(0)
	ds_write_b64 v76, v[73:74]
	s_waitcnt lgkmcnt(0)
	; wave barrier
	s_and_saveexec_b64 s[4:5], vcc
	s_cbranch_execz .LBB99_21
; %bb.18:
	v_mov_b32_e32 v73, 0
	v_add_u32_e32 v78, -1, v0
	v_add_u32_e32 v79, 0x120, v75
	v_mov_b32_e32 v80, v75
	v_mov_b32_e32 v74, 0
	s_mov_b64 s[8:9], 0
.LBB99_19:                              ; =>This Inner Loop Header: Depth=1
	buffer_load_dword v81, v80, s[0:3], 0 offen
	buffer_load_dword v82, v80, s[0:3], 0 offen offset:4
	ds_read_b64 v[83:84], v79
	v_add_u32_e32 v78, 1, v78
	v_cmp_lt_u32_e32 vcc, 1, v78
	v_add_u32_e32 v79, 8, v79
	s_or_b64 s[8:9], vcc, s[8:9]
	v_add_u32_e32 v80, 8, v80
	s_waitcnt vmcnt(0) lgkmcnt(0)
	v_fma_f64 v[73:74], v[81:82], v[83:84], v[73:74]
	s_andn2_b64 exec, exec, s[8:9]
	s_cbranch_execnz .LBB99_19
; %bb.20:
	s_or_b64 exec, exec, s[8:9]
	v_mov_b32_e32 v78, 0
	ds_read_b64 v[78:79], v78 offset:24
	s_waitcnt lgkmcnt(0)
	v_mul_f64 v[73:74], v[73:74], v[78:79]
	buffer_store_dword v74, off, s[0:3], 0 offset:28
	buffer_store_dword v73, off, s[0:3], 0 offset:24
.LBB99_21:
	s_or_b64 exec, exec, s[4:5]
	; wave barrier
	buffer_load_dword v73, off, s[0:3], 0 offset:32
	buffer_load_dword v74, off, s[0:3], 0 offset:36
	v_cmp_gt_u32_e32 vcc, 4, v0
	s_waitcnt vmcnt(0)
	ds_write_b64 v76, v[73:74]
	s_waitcnt lgkmcnt(0)
	; wave barrier
	s_and_saveexec_b64 s[4:5], vcc
	s_cbranch_execz .LBB99_25
; %bb.22:
	v_mov_b32_e32 v73, 0
	v_add_u32_e32 v78, -1, v0
	v_add_u32_e32 v79, 0x120, v75
	v_mov_b32_e32 v80, v75
	v_mov_b32_e32 v74, 0
	s_mov_b64 s[8:9], 0
.LBB99_23:                              ; =>This Inner Loop Header: Depth=1
	buffer_load_dword v81, v80, s[0:3], 0 offen
	buffer_load_dword v82, v80, s[0:3], 0 offen offset:4
	ds_read_b64 v[83:84], v79
	v_add_u32_e32 v78, 1, v78
	v_cmp_lt_u32_e32 vcc, 2, v78
	v_add_u32_e32 v79, 8, v79
	s_or_b64 s[8:9], vcc, s[8:9]
	v_add_u32_e32 v80, 8, v80
	s_waitcnt vmcnt(0) lgkmcnt(0)
	v_fma_f64 v[73:74], v[81:82], v[83:84], v[73:74]
	s_andn2_b64 exec, exec, s[8:9]
	s_cbranch_execnz .LBB99_23
; %bb.24:
	s_or_b64 exec, exec, s[8:9]
	v_mov_b32_e32 v78, 0
	ds_read_b64 v[78:79], v78 offset:32
	s_waitcnt lgkmcnt(0)
	v_mul_f64 v[73:74], v[73:74], v[78:79]
	buffer_store_dword v74, off, s[0:3], 0 offset:36
	buffer_store_dword v73, off, s[0:3], 0 offset:32
.LBB99_25:
	s_or_b64 exec, exec, s[4:5]
	; wave barrier
	buffer_load_dword v73, off, s[0:3], 0 offset:40
	buffer_load_dword v74, off, s[0:3], 0 offset:44
	v_cmp_gt_u32_e32 vcc, 5, v0
	;; [unrolled: 40-line block ×21, first 2 shown]
	s_waitcnt vmcnt(0)
	ds_write_b64 v76, v[73:74]
	s_waitcnt lgkmcnt(0)
	; wave barrier
	s_and_saveexec_b64 s[4:5], vcc
	s_cbranch_execz .LBB99_105
; %bb.102:
	v_mov_b32_e32 v73, 0
	v_add_u32_e32 v78, -1, v0
	v_add_u32_e32 v79, 0x120, v75
	v_mov_b32_e32 v80, v75
	v_mov_b32_e32 v74, 0
	s_mov_b64 s[8:9], 0
.LBB99_103:                             ; =>This Inner Loop Header: Depth=1
	buffer_load_dword v81, v80, s[0:3], 0 offen
	buffer_load_dword v82, v80, s[0:3], 0 offen offset:4
	ds_read_b64 v[83:84], v79
	v_add_u32_e32 v78, 1, v78
	v_cmp_lt_u32_e32 vcc, 22, v78
	v_add_u32_e32 v79, 8, v79
	s_or_b64 s[8:9], vcc, s[8:9]
	v_add_u32_e32 v80, 8, v80
	s_waitcnt vmcnt(0) lgkmcnt(0)
	v_fma_f64 v[73:74], v[81:82], v[83:84], v[73:74]
	s_andn2_b64 exec, exec, s[8:9]
	s_cbranch_execnz .LBB99_103
; %bb.104:
	s_or_b64 exec, exec, s[8:9]
	v_mov_b32_e32 v78, 0
	ds_read_b64 v[78:79], v78 offset:192
	s_waitcnt lgkmcnt(0)
	v_mul_f64 v[73:74], v[73:74], v[78:79]
	buffer_store_dword v74, off, s[0:3], 0 offset:196
	buffer_store_dword v73, off, s[0:3], 0 offset:192
.LBB99_105:
	s_or_b64 exec, exec, s[4:5]
	; wave barrier
	buffer_load_dword v73, off, s[0:3], 0 offset:200
	buffer_load_dword v74, off, s[0:3], 0 offset:204
	v_cmp_gt_u32_e32 vcc, 25, v0
	s_waitcnt vmcnt(0)
	ds_write_b64 v76, v[73:74]
	s_waitcnt lgkmcnt(0)
	; wave barrier
	s_and_saveexec_b64 s[4:5], vcc
	s_cbranch_execz .LBB99_109
; %bb.106:
	v_mov_b32_e32 v73, 0
	v_add_u32_e32 v78, -1, v0
	v_add_u32_e32 v79, 0x120, v75
	v_mov_b32_e32 v80, v75
	v_mov_b32_e32 v74, 0
	s_mov_b64 s[8:9], 0
.LBB99_107:                             ; =>This Inner Loop Header: Depth=1
	buffer_load_dword v81, v80, s[0:3], 0 offen
	buffer_load_dword v82, v80, s[0:3], 0 offen offset:4
	ds_read_b64 v[83:84], v79
	v_add_u32_e32 v78, 1, v78
	v_cmp_lt_u32_e32 vcc, 23, v78
	v_add_u32_e32 v79, 8, v79
	s_or_b64 s[8:9], vcc, s[8:9]
	v_add_u32_e32 v80, 8, v80
	s_waitcnt vmcnt(0) lgkmcnt(0)
	v_fma_f64 v[73:74], v[81:82], v[83:84], v[73:74]
	s_andn2_b64 exec, exec, s[8:9]
	s_cbranch_execnz .LBB99_107
; %bb.108:
	s_or_b64 exec, exec, s[8:9]
	v_mov_b32_e32 v78, 0
	ds_read_b64 v[78:79], v78 offset:200
	s_waitcnt lgkmcnt(0)
	v_mul_f64 v[73:74], v[73:74], v[78:79]
	buffer_store_dword v74, off, s[0:3], 0 offset:204
	buffer_store_dword v73, off, s[0:3], 0 offset:200
.LBB99_109:
	s_or_b64 exec, exec, s[4:5]
	; wave barrier
	buffer_load_dword v73, off, s[0:3], 0 offset:208
	buffer_load_dword v74, off, s[0:3], 0 offset:212
	v_cmp_gt_u32_e32 vcc, 26, v0
	;; [unrolled: 40-line block ×10, first 2 shown]
	s_waitcnt vmcnt(0)
	ds_write_b64 v76, v[73:74]
	s_waitcnt lgkmcnt(0)
	; wave barrier
	s_and_saveexec_b64 s[4:5], vcc
	s_cbranch_execz .LBB99_145
; %bb.142:
	v_mov_b32_e32 v73, 0
	v_add_u32_e32 v78, -1, v0
	v_add_u32_e32 v79, 0x120, v75
	v_mov_b32_e32 v80, v75
	v_mov_b32_e32 v74, 0
	s_mov_b64 s[8:9], 0
.LBB99_143:                             ; =>This Inner Loop Header: Depth=1
	buffer_load_dword v81, v80, s[0:3], 0 offen
	buffer_load_dword v82, v80, s[0:3], 0 offen offset:4
	ds_read_b64 v[83:84], v79
	v_add_u32_e32 v78, 1, v78
	v_cmp_lt_u32_e32 vcc, 32, v78
	v_add_u32_e32 v79, 8, v79
	s_or_b64 s[8:9], vcc, s[8:9]
	v_add_u32_e32 v80, 8, v80
	s_waitcnt vmcnt(0) lgkmcnt(0)
	v_fma_f64 v[73:74], v[81:82], v[83:84], v[73:74]
	s_andn2_b64 exec, exec, s[8:9]
	s_cbranch_execnz .LBB99_143
; %bb.144:
	s_or_b64 exec, exec, s[8:9]
	v_mov_b32_e32 v78, 0
	ds_read_b64 v[78:79], v78 offset:272
	s_waitcnt lgkmcnt(0)
	v_mul_f64 v[73:74], v[73:74], v[78:79]
	buffer_store_dword v74, off, s[0:3], 0 offset:276
	buffer_store_dword v73, off, s[0:3], 0 offset:272
.LBB99_145:
	s_or_b64 exec, exec, s[4:5]
	; wave barrier
	buffer_load_dword v73, off, s[0:3], 0 offset:280
	buffer_load_dword v74, off, s[0:3], 0 offset:284
	v_cmp_ne_u32_e32 vcc, 35, v0
	s_waitcnt vmcnt(0)
	ds_write_b64 v76, v[73:74]
	s_waitcnt lgkmcnt(0)
	; wave barrier
	s_and_saveexec_b64 s[4:5], vcc
	s_cbranch_execz .LBB99_149
; %bb.146:
	v_mov_b32_e32 v73, 0
	v_add_u32_e32 v76, 0x120, v75
	v_mov_b32_e32 v74, 0
	s_mov_b64 s[8:9], 0
.LBB99_147:                             ; =>This Inner Loop Header: Depth=1
	buffer_load_dword v78, v75, s[0:3], 0 offen
	buffer_load_dword v79, v75, s[0:3], 0 offen offset:4
	ds_read_b64 v[80:81], v76
	v_add_u32_e32 v77, 1, v77
	v_cmp_lt_u32_e32 vcc, 33, v77
	v_add_u32_e32 v76, 8, v76
	s_or_b64 s[8:9], vcc, s[8:9]
	v_add_u32_e32 v75, 8, v75
	s_waitcnt vmcnt(0) lgkmcnt(0)
	v_fma_f64 v[73:74], v[78:79], v[80:81], v[73:74]
	s_andn2_b64 exec, exec, s[8:9]
	s_cbranch_execnz .LBB99_147
; %bb.148:
	s_or_b64 exec, exec, s[8:9]
	v_mov_b32_e32 v75, 0
	ds_read_b64 v[75:76], v75 offset:280
	s_waitcnt lgkmcnt(0)
	v_mul_f64 v[73:74], v[73:74], v[75:76]
	buffer_store_dword v74, off, s[0:3], 0 offset:284
	buffer_store_dword v73, off, s[0:3], 0 offset:280
.LBB99_149:
	s_or_b64 exec, exec, s[4:5]
	s_mov_b64 s[8:9], -1
	; wave barrier
.LBB99_150:
	s_and_b64 vcc, exec, s[8:9]
	s_cbranch_vccz .LBB99_152
; %bb.151:
	s_lshl_b64 s[4:5], s[6:7], 2
	s_add_u32 s4, s10, s4
	s_addc_u32 s5, s11, s5
	v_mov_b32_e32 v73, 0
	global_load_dword v73, v73, s[4:5]
	s_waitcnt vmcnt(0)
	v_cmp_ne_u32_e32 vcc, 0, v73
	s_cbranch_vccz .LBB99_153
.LBB99_152:
	s_endpgm
.LBB99_153:
	v_mov_b32_e32 v73, 0x120
	v_lshl_add_u32 v73, v0, 3, v73
	v_cmp_eq_u32_e32 vcc, 35, v0
	s_and_saveexec_b64 s[4:5], vcc
	s_cbranch_execz .LBB99_155
; %bb.154:
	buffer_load_dword v74, off, s[0:3], 0 offset:272
	buffer_load_dword v75, off, s[0:3], 0 offset:276
	v_mov_b32_e32 v76, 0
	buffer_store_dword v76, off, s[0:3], 0 offset:272
	buffer_store_dword v76, off, s[0:3], 0 offset:276
	s_waitcnt vmcnt(2)
	ds_write_b64 v73, v[74:75]
.LBB99_155:
	s_or_b64 exec, exec, s[4:5]
	s_waitcnt lgkmcnt(0)
	; wave barrier
	buffer_load_dword v75, off, s[0:3], 0 offset:280
	buffer_load_dword v76, off, s[0:3], 0 offset:284
	;; [unrolled: 1-line block ×4, first 2 shown]
	v_mov_b32_e32 v74, 0
	ds_read_b64 v[79:80], v74 offset:568
	v_cmp_lt_u32_e32 vcc, 33, v0
	s_waitcnt vmcnt(2) lgkmcnt(0)
	v_fma_f64 v[75:76], v[75:76], v[79:80], 0
	s_waitcnt vmcnt(0)
	v_add_f64 v[75:76], v[77:78], -v[75:76]
	buffer_store_dword v75, off, s[0:3], 0 offset:272
	buffer_store_dword v76, off, s[0:3], 0 offset:276
	s_and_saveexec_b64 s[4:5], vcc
	s_cbranch_execz .LBB99_157
; %bb.156:
	buffer_load_dword v75, off, s[0:3], 0 offset:264
	buffer_load_dword v76, off, s[0:3], 0 offset:268
	s_waitcnt vmcnt(0)
	ds_write_b64 v73, v[75:76]
	buffer_store_dword v74, off, s[0:3], 0 offset:264
	buffer_store_dword v74, off, s[0:3], 0 offset:268
.LBB99_157:
	s_or_b64 exec, exec, s[4:5]
	s_waitcnt lgkmcnt(0)
	; wave barrier
	buffer_load_dword v78, off, s[0:3], 0 offset:272
	buffer_load_dword v79, off, s[0:3], 0 offset:276
	;; [unrolled: 1-line block ×6, first 2 shown]
	ds_read_b128 v[74:77], v74 offset:560
	v_cmp_lt_u32_e32 vcc, 32, v0
	s_waitcnt vmcnt(4) lgkmcnt(0)
	v_fma_f64 v[74:75], v[78:79], v[74:75], 0
	s_waitcnt vmcnt(2)
	v_fma_f64 v[74:75], v[80:81], v[76:77], v[74:75]
	s_waitcnt vmcnt(0)
	v_add_f64 v[74:75], v[82:83], -v[74:75]
	buffer_store_dword v74, off, s[0:3], 0 offset:264
	buffer_store_dword v75, off, s[0:3], 0 offset:268
	s_and_saveexec_b64 s[4:5], vcc
	s_cbranch_execz .LBB99_159
; %bb.158:
	buffer_load_dword v74, off, s[0:3], 0 offset:256
	buffer_load_dword v75, off, s[0:3], 0 offset:260
	v_mov_b32_e32 v76, 0
	buffer_store_dword v76, off, s[0:3], 0 offset:256
	buffer_store_dword v76, off, s[0:3], 0 offset:260
	s_waitcnt vmcnt(2)
	ds_write_b64 v73, v[74:75]
.LBB99_159:
	s_or_b64 exec, exec, s[4:5]
	s_waitcnt lgkmcnt(0)
	; wave barrier
	buffer_load_dword v79, off, s[0:3], 0 offset:264
	buffer_load_dword v80, off, s[0:3], 0 offset:268
	;; [unrolled: 1-line block ×8, first 2 shown]
	v_mov_b32_e32 v74, 0
	ds_read2_b64 v[75:78], v74 offset0:69 offset1:70
	ds_read_b64 v[87:88], v74 offset:568
	v_cmp_lt_u32_e32 vcc, 31, v0
	s_waitcnt vmcnt(6) lgkmcnt(1)
	v_fma_f64 v[75:76], v[79:80], v[75:76], 0
	s_waitcnt vmcnt(4)
	v_fma_f64 v[75:76], v[81:82], v[77:78], v[75:76]
	s_waitcnt vmcnt(2) lgkmcnt(0)
	v_fma_f64 v[75:76], v[83:84], v[87:88], v[75:76]
	s_waitcnt vmcnt(0)
	v_add_f64 v[75:76], v[85:86], -v[75:76]
	buffer_store_dword v75, off, s[0:3], 0 offset:256
	buffer_store_dword v76, off, s[0:3], 0 offset:260
	s_and_saveexec_b64 s[4:5], vcc
	s_cbranch_execz .LBB99_161
; %bb.160:
	buffer_load_dword v75, off, s[0:3], 0 offset:248
	buffer_load_dword v76, off, s[0:3], 0 offset:252
	s_waitcnt vmcnt(0)
	ds_write_b64 v73, v[75:76]
	buffer_store_dword v74, off, s[0:3], 0 offset:248
	buffer_store_dword v74, off, s[0:3], 0 offset:252
.LBB99_161:
	s_or_b64 exec, exec, s[4:5]
	s_waitcnt lgkmcnt(0)
	; wave barrier
	buffer_load_dword v83, off, s[0:3], 0 offset:256
	buffer_load_dword v84, off, s[0:3], 0 offset:260
	buffer_load_dword v85, off, s[0:3], 0 offset:264
	buffer_load_dword v86, off, s[0:3], 0 offset:268
	buffer_load_dword v87, off, s[0:3], 0 offset:272
	buffer_load_dword v88, off, s[0:3], 0 offset:276
	buffer_load_dword v89, off, s[0:3], 0 offset:280
	buffer_load_dword v90, off, s[0:3], 0 offset:284
	buffer_load_dword v91, off, s[0:3], 0 offset:248
	buffer_load_dword v92, off, s[0:3], 0 offset:252
	ds_read_b128 v[75:78], v74 offset:544
	ds_read_b128 v[79:82], v74 offset:560
	v_cmp_lt_u32_e32 vcc, 30, v0
	s_waitcnt vmcnt(8) lgkmcnt(1)
	v_fma_f64 v[74:75], v[83:84], v[75:76], 0
	s_waitcnt vmcnt(6)
	v_fma_f64 v[74:75], v[85:86], v[77:78], v[74:75]
	s_waitcnt vmcnt(4) lgkmcnt(0)
	v_fma_f64 v[74:75], v[87:88], v[79:80], v[74:75]
	s_waitcnt vmcnt(2)
	v_fma_f64 v[74:75], v[89:90], v[81:82], v[74:75]
	s_waitcnt vmcnt(0)
	v_add_f64 v[74:75], v[91:92], -v[74:75]
	buffer_store_dword v74, off, s[0:3], 0 offset:248
	buffer_store_dword v75, off, s[0:3], 0 offset:252
	s_and_saveexec_b64 s[4:5], vcc
	s_cbranch_execz .LBB99_163
; %bb.162:
	buffer_load_dword v74, off, s[0:3], 0 offset:240
	buffer_load_dword v75, off, s[0:3], 0 offset:244
	v_mov_b32_e32 v76, 0
	buffer_store_dword v76, off, s[0:3], 0 offset:240
	buffer_store_dword v76, off, s[0:3], 0 offset:244
	s_waitcnt vmcnt(2)
	ds_write_b64 v73, v[74:75]
.LBB99_163:
	s_or_b64 exec, exec, s[4:5]
	s_waitcnt lgkmcnt(0)
	; wave barrier
	buffer_load_dword v83, off, s[0:3], 0 offset:248
	buffer_load_dword v84, off, s[0:3], 0 offset:252
	;; [unrolled: 1-line block ×12, first 2 shown]
	v_mov_b32_e32 v74, 0
	ds_read2_b64 v[75:78], v74 offset0:67 offset1:68
	ds_read2_b64 v[79:82], v74 offset0:69 offset1:70
	v_cmp_lt_u32_e32 vcc, 29, v0
	s_waitcnt vmcnt(10) lgkmcnt(1)
	v_fma_f64 v[75:76], v[83:84], v[75:76], 0
	s_waitcnt vmcnt(8)
	v_fma_f64 v[75:76], v[85:86], v[77:78], v[75:76]
	ds_read_b64 v[77:78], v74 offset:568
	s_waitcnt vmcnt(6) lgkmcnt(1)
	v_fma_f64 v[75:76], v[87:88], v[79:80], v[75:76]
	s_waitcnt vmcnt(4)
	v_fma_f64 v[75:76], v[89:90], v[81:82], v[75:76]
	s_waitcnt vmcnt(2) lgkmcnt(0)
	v_fma_f64 v[75:76], v[91:92], v[77:78], v[75:76]
	s_waitcnt vmcnt(0)
	v_add_f64 v[75:76], v[93:94], -v[75:76]
	buffer_store_dword v75, off, s[0:3], 0 offset:240
	buffer_store_dword v76, off, s[0:3], 0 offset:244
	s_and_saveexec_b64 s[4:5], vcc
	s_cbranch_execz .LBB99_165
; %bb.164:
	buffer_load_dword v75, off, s[0:3], 0 offset:232
	buffer_load_dword v76, off, s[0:3], 0 offset:236
	s_waitcnt vmcnt(0)
	ds_write_b64 v73, v[75:76]
	buffer_store_dword v74, off, s[0:3], 0 offset:232
	buffer_store_dword v74, off, s[0:3], 0 offset:236
.LBB99_165:
	s_or_b64 exec, exec, s[4:5]
	s_waitcnt lgkmcnt(0)
	; wave barrier
	buffer_load_dword v83, off, s[0:3], 0 offset:240
	buffer_load_dword v84, off, s[0:3], 0 offset:244
	;; [unrolled: 1-line block ×14, first 2 shown]
	ds_read_b128 v[75:78], v74 offset:528
	ds_read_b128 v[79:82], v74 offset:544
	v_cmp_lt_u32_e32 vcc, 28, v0
	s_waitcnt vmcnt(12) lgkmcnt(1)
	v_fma_f64 v[75:76], v[83:84], v[75:76], 0
	s_waitcnt vmcnt(10)
	v_fma_f64 v[75:76], v[85:86], v[77:78], v[75:76]
	s_waitcnt vmcnt(8) lgkmcnt(0)
	v_fma_f64 v[75:76], v[87:88], v[79:80], v[75:76]
	s_waitcnt vmcnt(6)
	v_fma_f64 v[78:79], v[89:90], v[81:82], v[75:76]
	ds_read_b128 v[74:77], v74 offset:560
	s_waitcnt vmcnt(4) lgkmcnt(0)
	v_fma_f64 v[74:75], v[91:92], v[74:75], v[78:79]
	s_waitcnt vmcnt(2)
	v_fma_f64 v[74:75], v[93:94], v[76:77], v[74:75]
	s_waitcnt vmcnt(0)
	v_add_f64 v[74:75], v[95:96], -v[74:75]
	buffer_store_dword v74, off, s[0:3], 0 offset:232
	buffer_store_dword v75, off, s[0:3], 0 offset:236
	s_and_saveexec_b64 s[4:5], vcc
	s_cbranch_execz .LBB99_167
; %bb.166:
	buffer_load_dword v74, off, s[0:3], 0 offset:224
	buffer_load_dword v75, off, s[0:3], 0 offset:228
	v_mov_b32_e32 v76, 0
	buffer_store_dword v76, off, s[0:3], 0 offset:224
	buffer_store_dword v76, off, s[0:3], 0 offset:228
	s_waitcnt vmcnt(2)
	ds_write_b64 v73, v[74:75]
.LBB99_167:
	s_or_b64 exec, exec, s[4:5]
	s_waitcnt lgkmcnt(0)
	; wave barrier
	buffer_load_dword v83, off, s[0:3], 0 offset:232
	buffer_load_dword v84, off, s[0:3], 0 offset:236
	;; [unrolled: 1-line block ×16, first 2 shown]
	v_mov_b32_e32 v74, 0
	ds_read2_b64 v[75:78], v74 offset0:65 offset1:66
	ds_read2_b64 v[79:82], v74 offset0:67 offset1:68
	v_cmp_lt_u32_e32 vcc, 27, v0
	s_waitcnt vmcnt(14) lgkmcnt(1)
	v_fma_f64 v[75:76], v[83:84], v[75:76], 0
	s_waitcnt vmcnt(12)
	v_fma_f64 v[75:76], v[85:86], v[77:78], v[75:76]
	s_waitcnt vmcnt(10) lgkmcnt(0)
	v_fma_f64 v[75:76], v[87:88], v[79:80], v[75:76]
	s_waitcnt vmcnt(8)
	v_fma_f64 v[79:80], v[89:90], v[81:82], v[75:76]
	ds_read2_b64 v[75:78], v74 offset0:69 offset1:70
	ds_read_b64 v[81:82], v74 offset:568
	s_waitcnt vmcnt(6) lgkmcnt(1)
	v_fma_f64 v[75:76], v[91:92], v[75:76], v[79:80]
	s_waitcnt vmcnt(4)
	v_fma_f64 v[75:76], v[93:94], v[77:78], v[75:76]
	s_waitcnt vmcnt(2) lgkmcnt(0)
	v_fma_f64 v[75:76], v[95:96], v[81:82], v[75:76]
	s_waitcnt vmcnt(0)
	v_add_f64 v[75:76], v[97:98], -v[75:76]
	buffer_store_dword v75, off, s[0:3], 0 offset:224
	buffer_store_dword v76, off, s[0:3], 0 offset:228
	s_and_saveexec_b64 s[4:5], vcc
	s_cbranch_execz .LBB99_169
; %bb.168:
	buffer_load_dword v75, off, s[0:3], 0 offset:216
	buffer_load_dword v76, off, s[0:3], 0 offset:220
	s_waitcnt vmcnt(0)
	ds_write_b64 v73, v[75:76]
	buffer_store_dword v74, off, s[0:3], 0 offset:216
	buffer_store_dword v74, off, s[0:3], 0 offset:220
.LBB99_169:
	s_or_b64 exec, exec, s[4:5]
	s_waitcnt lgkmcnt(0)
	; wave barrier
	buffer_load_dword v83, off, s[0:3], 0 offset:224
	buffer_load_dword v84, off, s[0:3], 0 offset:228
	;; [unrolled: 1-line block ×18, first 2 shown]
	ds_read_b128 v[75:78], v74 offset:512
	ds_read_b128 v[79:82], v74 offset:528
	v_cmp_lt_u32_e32 vcc, 26, v0
	s_waitcnt vmcnt(16) lgkmcnt(1)
	v_fma_f64 v[75:76], v[83:84], v[75:76], 0
	s_waitcnt vmcnt(14)
	v_fma_f64 v[75:76], v[85:86], v[77:78], v[75:76]
	s_waitcnt vmcnt(12) lgkmcnt(0)
	v_fma_f64 v[75:76], v[87:88], v[79:80], v[75:76]
	s_waitcnt vmcnt(10)
	v_fma_f64 v[83:84], v[89:90], v[81:82], v[75:76]
	ds_read_b128 v[75:78], v74 offset:544
	ds_read_b128 v[79:82], v74 offset:560
	s_waitcnt vmcnt(8) lgkmcnt(1)
	v_fma_f64 v[74:75], v[91:92], v[75:76], v[83:84]
	s_waitcnt vmcnt(6)
	v_fma_f64 v[74:75], v[93:94], v[77:78], v[74:75]
	s_waitcnt vmcnt(4) lgkmcnt(0)
	v_fma_f64 v[74:75], v[95:96], v[79:80], v[74:75]
	s_waitcnt vmcnt(2)
	v_fma_f64 v[74:75], v[97:98], v[81:82], v[74:75]
	s_waitcnt vmcnt(0)
	v_add_f64 v[74:75], v[99:100], -v[74:75]
	buffer_store_dword v74, off, s[0:3], 0 offset:216
	buffer_store_dword v75, off, s[0:3], 0 offset:220
	s_and_saveexec_b64 s[4:5], vcc
	s_cbranch_execz .LBB99_171
; %bb.170:
	buffer_load_dword v74, off, s[0:3], 0 offset:208
	buffer_load_dword v75, off, s[0:3], 0 offset:212
	v_mov_b32_e32 v76, 0
	buffer_store_dword v76, off, s[0:3], 0 offset:208
	buffer_store_dword v76, off, s[0:3], 0 offset:212
	s_waitcnt vmcnt(2)
	ds_write_b64 v73, v[74:75]
.LBB99_171:
	s_or_b64 exec, exec, s[4:5]
	s_waitcnt lgkmcnt(0)
	; wave barrier
	buffer_load_dword v83, off, s[0:3], 0 offset:216
	buffer_load_dword v84, off, s[0:3], 0 offset:220
	;; [unrolled: 1-line block ×20, first 2 shown]
	v_mov_b32_e32 v74, 0
	ds_read2_b64 v[75:78], v74 offset0:63 offset1:64
	ds_read2_b64 v[79:82], v74 offset0:65 offset1:66
	v_cmp_lt_u32_e32 vcc, 25, v0
	s_waitcnt vmcnt(18) lgkmcnt(1)
	v_fma_f64 v[75:76], v[83:84], v[75:76], 0
	s_waitcnt vmcnt(16)
	v_fma_f64 v[75:76], v[85:86], v[77:78], v[75:76]
	s_waitcnt vmcnt(14) lgkmcnt(0)
	v_fma_f64 v[75:76], v[87:88], v[79:80], v[75:76]
	s_waitcnt vmcnt(12)
	v_fma_f64 v[83:84], v[89:90], v[81:82], v[75:76]
	ds_read2_b64 v[75:78], v74 offset0:67 offset1:68
	ds_read2_b64 v[79:82], v74 offset0:69 offset1:70
	s_waitcnt vmcnt(10) lgkmcnt(1)
	v_fma_f64 v[75:76], v[91:92], v[75:76], v[83:84]
	s_waitcnt vmcnt(8)
	v_fma_f64 v[75:76], v[93:94], v[77:78], v[75:76]
	ds_read_b64 v[77:78], v74 offset:568
	s_waitcnt vmcnt(6) lgkmcnt(1)
	v_fma_f64 v[75:76], v[95:96], v[79:80], v[75:76]
	s_waitcnt vmcnt(3)
	v_fma_f64 v[75:76], v[97:98], v[81:82], v[75:76]
	s_waitcnt vmcnt(2) lgkmcnt(0)
	v_fma_f64 v[75:76], v[99:100], v[77:78], v[75:76]
	s_waitcnt vmcnt(0)
	v_add_f64 v[75:76], v[101:102], -v[75:76]
	buffer_store_dword v75, off, s[0:3], 0 offset:208
	buffer_store_dword v76, off, s[0:3], 0 offset:212
	s_and_saveexec_b64 s[4:5], vcc
	s_cbranch_execz .LBB99_173
; %bb.172:
	buffer_load_dword v75, off, s[0:3], 0 offset:200
	buffer_load_dword v76, off, s[0:3], 0 offset:204
	s_waitcnt vmcnt(0)
	ds_write_b64 v73, v[75:76]
	buffer_store_dword v74, off, s[0:3], 0 offset:200
	buffer_store_dword v74, off, s[0:3], 0 offset:204
.LBB99_173:
	s_or_b64 exec, exec, s[4:5]
	s_waitcnt lgkmcnt(0)
	; wave barrier
	buffer_load_dword v83, off, s[0:3], 0 offset:208
	buffer_load_dword v84, off, s[0:3], 0 offset:212
	;; [unrolled: 1-line block ×20, first 2 shown]
	ds_read_b128 v[75:78], v74 offset:496
	buffer_load_dword v103, off, s[0:3], 0 offset:200
	buffer_load_dword v104, off, s[0:3], 0 offset:204
	ds_read_b128 v[79:82], v74 offset:512
	v_cmp_lt_u32_e32 vcc, 24, v0
	s_waitcnt vmcnt(20) lgkmcnt(1)
	v_fma_f64 v[75:76], v[83:84], v[75:76], 0
	s_waitcnt vmcnt(18)
	v_fma_f64 v[75:76], v[85:86], v[77:78], v[75:76]
	s_waitcnt vmcnt(16) lgkmcnt(0)
	v_fma_f64 v[75:76], v[87:88], v[79:80], v[75:76]
	s_waitcnt vmcnt(14)
	v_fma_f64 v[83:84], v[89:90], v[81:82], v[75:76]
	ds_read_b128 v[75:78], v74 offset:528
	ds_read_b128 v[79:82], v74 offset:544
	s_waitcnt vmcnt(12) lgkmcnt(1)
	v_fma_f64 v[75:76], v[91:92], v[75:76], v[83:84]
	s_waitcnt vmcnt(10)
	v_fma_f64 v[75:76], v[93:94], v[77:78], v[75:76]
	s_waitcnt vmcnt(8) lgkmcnt(0)
	v_fma_f64 v[75:76], v[95:96], v[79:80], v[75:76]
	s_waitcnt vmcnt(4)
	v_fma_f64 v[78:79], v[97:98], v[81:82], v[75:76]
	ds_read_b128 v[74:77], v74 offset:560
	s_waitcnt vmcnt(3) lgkmcnt(0)
	v_fma_f64 v[74:75], v[101:102], v[74:75], v[78:79]
	s_waitcnt vmcnt(2)
	v_fma_f64 v[74:75], v[99:100], v[76:77], v[74:75]
	s_waitcnt vmcnt(0)
	v_add_f64 v[74:75], v[103:104], -v[74:75]
	buffer_store_dword v74, off, s[0:3], 0 offset:200
	buffer_store_dword v75, off, s[0:3], 0 offset:204
	s_and_saveexec_b64 s[4:5], vcc
	s_cbranch_execz .LBB99_175
; %bb.174:
	buffer_load_dword v74, off, s[0:3], 0 offset:192
	buffer_load_dword v75, off, s[0:3], 0 offset:196
	v_mov_b32_e32 v76, 0
	buffer_store_dword v76, off, s[0:3], 0 offset:192
	buffer_store_dword v76, off, s[0:3], 0 offset:196
	s_waitcnt vmcnt(2)
	ds_write_b64 v73, v[74:75]
.LBB99_175:
	s_or_b64 exec, exec, s[4:5]
	s_waitcnt lgkmcnt(0)
	; wave barrier
	buffer_load_dword v83, off, s[0:3], 0 offset:200
	buffer_load_dword v84, off, s[0:3], 0 offset:204
	;; [unrolled: 1-line block ×21, first 2 shown]
	v_mov_b32_e32 v74, 0
	ds_read2_b64 v[75:78], v74 offset0:61 offset1:62
	ds_read2_b64 v[79:82], v74 offset0:63 offset1:64
	buffer_load_dword v100, off, s[0:3], 0 offset:284
	v_cmp_lt_u32_e32 vcc, 23, v0
	s_waitcnt vmcnt(20) lgkmcnt(1)
	v_fma_f64 v[75:76], v[83:84], v[75:76], 0
	buffer_load_dword v83, off, s[0:3], 0 offset:192
	buffer_load_dword v84, off, s[0:3], 0 offset:196
	s_waitcnt vmcnt(20)
	v_fma_f64 v[75:76], v[85:86], v[77:78], v[75:76]
	s_waitcnt vmcnt(18) lgkmcnt(0)
	v_fma_f64 v[75:76], v[87:88], v[79:80], v[75:76]
	s_waitcnt vmcnt(16)
	v_fma_f64 v[85:86], v[89:90], v[81:82], v[75:76]
	ds_read2_b64 v[75:78], v74 offset0:65 offset1:66
	ds_read2_b64 v[79:82], v74 offset0:67 offset1:68
	s_waitcnt vmcnt(14) lgkmcnt(1)
	v_fma_f64 v[75:76], v[91:92], v[75:76], v[85:86]
	s_waitcnt vmcnt(12)
	v_fma_f64 v[75:76], v[93:94], v[77:78], v[75:76]
	s_waitcnt vmcnt(10) lgkmcnt(0)
	v_fma_f64 v[75:76], v[95:96], v[79:80], v[75:76]
	s_waitcnt vmcnt(5)
	v_fma_f64 v[79:80], v[97:98], v[81:82], v[75:76]
	ds_read2_b64 v[75:78], v74 offset0:69 offset1:70
	ds_read_b64 v[81:82], v74 offset:568
	s_waitcnt vmcnt(4) lgkmcnt(1)
	v_fma_f64 v[75:76], v[103:104], v[75:76], v[79:80]
	s_waitcnt vmcnt(3)
	v_fma_f64 v[75:76], v[101:102], v[77:78], v[75:76]
	s_waitcnt vmcnt(2) lgkmcnt(0)
	v_fma_f64 v[75:76], v[99:100], v[81:82], v[75:76]
	s_waitcnt vmcnt(0)
	v_add_f64 v[75:76], v[83:84], -v[75:76]
	buffer_store_dword v76, off, s[0:3], 0 offset:196
	buffer_store_dword v75, off, s[0:3], 0 offset:192
	s_and_saveexec_b64 s[4:5], vcc
	s_cbranch_execz .LBB99_177
; %bb.176:
	buffer_load_dword v75, off, s[0:3], 0 offset:184
	buffer_load_dword v76, off, s[0:3], 0 offset:188
	s_waitcnt vmcnt(0)
	ds_write_b64 v73, v[75:76]
	buffer_store_dword v74, off, s[0:3], 0 offset:184
	buffer_store_dword v74, off, s[0:3], 0 offset:188
.LBB99_177:
	s_or_b64 exec, exec, s[4:5]
	s_waitcnt lgkmcnt(0)
	; wave barrier
	buffer_load_dword v83, off, s[0:3], 0 offset:192
	buffer_load_dword v84, off, s[0:3], 0 offset:196
	;; [unrolled: 1-line block ×21, first 2 shown]
	ds_read_b128 v[75:78], v74 offset:480
	ds_read_b128 v[79:82], v74 offset:496
	buffer_load_dword v100, off, s[0:3], 0 offset:276
	v_cmp_lt_u32_e32 vcc, 22, v0
	s_waitcnt vmcnt(20) lgkmcnt(1)
	v_fma_f64 v[75:76], v[83:84], v[75:76], 0
	buffer_load_dword v84, off, s[0:3], 0 offset:284
	buffer_load_dword v83, off, s[0:3], 0 offset:280
	s_waitcnt vmcnt(20)
	v_fma_f64 v[75:76], v[85:86], v[77:78], v[75:76]
	buffer_load_dword v85, off, s[0:3], 0 offset:184
	buffer_load_dword v86, off, s[0:3], 0 offset:188
	s_waitcnt vmcnt(20) lgkmcnt(0)
	v_fma_f64 v[75:76], v[87:88], v[79:80], v[75:76]
	s_waitcnt vmcnt(18)
	v_fma_f64 v[87:88], v[89:90], v[81:82], v[75:76]
	ds_read_b128 v[75:78], v74 offset:512
	ds_read_b128 v[79:82], v74 offset:528
	s_waitcnt vmcnt(16) lgkmcnt(1)
	v_fma_f64 v[75:76], v[91:92], v[75:76], v[87:88]
	s_waitcnt vmcnt(14)
	v_fma_f64 v[75:76], v[93:94], v[77:78], v[75:76]
	s_waitcnt vmcnt(12) lgkmcnt(0)
	v_fma_f64 v[75:76], v[95:96], v[79:80], v[75:76]
	s_waitcnt vmcnt(7)
	v_fma_f64 v[87:88], v[97:98], v[81:82], v[75:76]
	ds_read_b128 v[75:78], v74 offset:544
	ds_read_b128 v[79:82], v74 offset:560
	s_waitcnt vmcnt(6) lgkmcnt(1)
	v_fma_f64 v[74:75], v[103:104], v[75:76], v[87:88]
	s_waitcnt vmcnt(5)
	v_fma_f64 v[74:75], v[101:102], v[77:78], v[74:75]
	s_waitcnt vmcnt(4) lgkmcnt(0)
	v_fma_f64 v[74:75], v[99:100], v[79:80], v[74:75]
	s_waitcnt vmcnt(2)
	v_fma_f64 v[74:75], v[83:84], v[81:82], v[74:75]
	s_waitcnt vmcnt(0)
	v_add_f64 v[74:75], v[85:86], -v[74:75]
	buffer_store_dword v75, off, s[0:3], 0 offset:188
	buffer_store_dword v74, off, s[0:3], 0 offset:184
	s_and_saveexec_b64 s[4:5], vcc
	s_cbranch_execz .LBB99_179
; %bb.178:
	buffer_load_dword v74, off, s[0:3], 0 offset:176
	buffer_load_dword v75, off, s[0:3], 0 offset:180
	v_mov_b32_e32 v76, 0
	buffer_store_dword v76, off, s[0:3], 0 offset:176
	buffer_store_dword v76, off, s[0:3], 0 offset:180
	s_waitcnt vmcnt(2)
	ds_write_b64 v73, v[74:75]
.LBB99_179:
	s_or_b64 exec, exec, s[4:5]
	s_waitcnt lgkmcnt(0)
	; wave barrier
	buffer_load_dword v83, off, s[0:3], 0 offset:184
	buffer_load_dword v84, off, s[0:3], 0 offset:188
	;; [unrolled: 1-line block ×21, first 2 shown]
	v_mov_b32_e32 v74, 0
	ds_read2_b64 v[75:78], v74 offset0:59 offset1:60
	ds_read2_b64 v[79:82], v74 offset0:61 offset1:62
	buffer_load_dword v100, off, s[0:3], 0 offset:268
	v_cmp_lt_u32_e32 vcc, 21, v0
	s_waitcnt vmcnt(20) lgkmcnt(1)
	v_fma_f64 v[75:76], v[83:84], v[75:76], 0
	s_waitcnt vmcnt(18)
	v_fma_f64 v[75:76], v[85:86], v[77:78], v[75:76]
	buffer_load_dword v84, off, s[0:3], 0 offset:276
	buffer_load_dword v85, off, s[0:3], 0 offset:280
	;; [unrolled: 1-line block ×4, first 2 shown]
	s_waitcnt vmcnt(20) lgkmcnt(0)
	v_fma_f64 v[75:76], v[87:88], v[79:80], v[75:76]
	buffer_load_dword v87, off, s[0:3], 0 offset:176
	buffer_load_dword v88, off, s[0:3], 0 offset:180
	s_waitcnt vmcnt(20)
	v_fma_f64 v[89:90], v[89:90], v[81:82], v[75:76]
	ds_read2_b64 v[75:78], v74 offset0:63 offset1:64
	ds_read2_b64 v[79:82], v74 offset0:65 offset1:66
	s_waitcnt vmcnt(18) lgkmcnt(1)
	v_fma_f64 v[75:76], v[91:92], v[75:76], v[89:90]
	s_waitcnt vmcnt(16)
	v_fma_f64 v[75:76], v[93:94], v[77:78], v[75:76]
	s_waitcnt vmcnt(14) lgkmcnt(0)
	v_fma_f64 v[75:76], v[95:96], v[79:80], v[75:76]
	s_waitcnt vmcnt(9)
	v_fma_f64 v[89:90], v[97:98], v[81:82], v[75:76]
	ds_read2_b64 v[75:78], v74 offset0:67 offset1:68
	ds_read2_b64 v[79:82], v74 offset0:69 offset1:70
	s_waitcnt vmcnt(8) lgkmcnt(1)
	v_fma_f64 v[75:76], v[103:104], v[75:76], v[89:90]
	s_waitcnt vmcnt(7)
	v_fma_f64 v[75:76], v[101:102], v[77:78], v[75:76]
	ds_read_b64 v[77:78], v74 offset:568
	s_waitcnt vmcnt(6) lgkmcnt(1)
	v_fma_f64 v[75:76], v[99:100], v[79:80], v[75:76]
	s_waitcnt vmcnt(3)
	v_fma_f64 v[75:76], v[83:84], v[81:82], v[75:76]
	s_waitcnt vmcnt(2) lgkmcnt(0)
	v_fma_f64 v[75:76], v[85:86], v[77:78], v[75:76]
	s_waitcnt vmcnt(0)
	v_add_f64 v[75:76], v[87:88], -v[75:76]
	buffer_store_dword v76, off, s[0:3], 0 offset:180
	buffer_store_dword v75, off, s[0:3], 0 offset:176
	s_and_saveexec_b64 s[4:5], vcc
	s_cbranch_execz .LBB99_181
; %bb.180:
	buffer_load_dword v75, off, s[0:3], 0 offset:168
	buffer_load_dword v76, off, s[0:3], 0 offset:172
	s_waitcnt vmcnt(0)
	ds_write_b64 v73, v[75:76]
	buffer_store_dword v74, off, s[0:3], 0 offset:168
	buffer_store_dword v74, off, s[0:3], 0 offset:172
.LBB99_181:
	s_or_b64 exec, exec, s[4:5]
	s_waitcnt lgkmcnt(0)
	; wave barrier
	buffer_load_dword v83, off, s[0:3], 0 offset:176
	buffer_load_dword v84, off, s[0:3], 0 offset:180
	;; [unrolled: 1-line block ×22, first 2 shown]
	ds_read_b128 v[75:78], v74 offset:464
	ds_read_b128 v[79:82], v74 offset:480
	v_cmp_lt_u32_e32 vcc, 20, v0
	s_waitcnt vmcnt(20) lgkmcnt(1)
	v_fma_f64 v[75:76], v[83:84], v[75:76], 0
	s_waitcnt vmcnt(18)
	v_fma_f64 v[75:76], v[85:86], v[77:78], v[75:76]
	buffer_load_dword v84, off, s[0:3], 0 offset:268
	buffer_load_dword v85, off, s[0:3], 0 offset:280
	;; [unrolled: 1-line block ×6, first 2 shown]
	s_waitcnt vmcnt(22) lgkmcnt(0)
	v_fma_f64 v[75:76], v[87:88], v[79:80], v[75:76]
	s_waitcnt vmcnt(20)
	v_fma_f64 v[87:88], v[89:90], v[81:82], v[75:76]
	ds_read_b128 v[75:78], v74 offset:496
	buffer_load_dword v89, off, s[0:3], 0 offset:168
	buffer_load_dword v90, off, s[0:3], 0 offset:172
	ds_read_b128 v[79:82], v74 offset:512
	s_waitcnt vmcnt(20) lgkmcnt(1)
	v_fma_f64 v[75:76], v[91:92], v[75:76], v[87:88]
	s_waitcnt vmcnt(18)
	v_fma_f64 v[75:76], v[93:94], v[77:78], v[75:76]
	s_waitcnt vmcnt(16) lgkmcnt(0)
	v_fma_f64 v[75:76], v[95:96], v[79:80], v[75:76]
	s_waitcnt vmcnt(11)
	v_fma_f64 v[87:88], v[97:98], v[81:82], v[75:76]
	ds_read_b128 v[75:78], v74 offset:528
	ds_read_b128 v[79:82], v74 offset:544
	s_waitcnt vmcnt(10) lgkmcnt(1)
	v_fma_f64 v[75:76], v[103:104], v[75:76], v[87:88]
	s_waitcnt vmcnt(9)
	v_fma_f64 v[75:76], v[101:102], v[77:78], v[75:76]
	s_waitcnt vmcnt(8) lgkmcnt(0)
	v_fma_f64 v[75:76], v[99:100], v[79:80], v[75:76]
	s_waitcnt vmcnt(4)
	v_fma_f64 v[78:79], v[83:84], v[81:82], v[75:76]
	ds_read_b128 v[74:77], v74 offset:560
	s_waitcnt vmcnt(3) lgkmcnt(0)
	v_fma_f64 v[74:75], v[105:106], v[74:75], v[78:79]
	s_waitcnt vmcnt(2)
	v_fma_f64 v[74:75], v[85:86], v[76:77], v[74:75]
	s_waitcnt vmcnt(0)
	v_add_f64 v[74:75], v[89:90], -v[74:75]
	buffer_store_dword v75, off, s[0:3], 0 offset:172
	buffer_store_dword v74, off, s[0:3], 0 offset:168
	s_and_saveexec_b64 s[4:5], vcc
	s_cbranch_execz .LBB99_183
; %bb.182:
	buffer_load_dword v74, off, s[0:3], 0 offset:160
	buffer_load_dword v75, off, s[0:3], 0 offset:164
	v_mov_b32_e32 v76, 0
	buffer_store_dword v76, off, s[0:3], 0 offset:160
	buffer_store_dword v76, off, s[0:3], 0 offset:164
	s_waitcnt vmcnt(2)
	ds_write_b64 v73, v[74:75]
.LBB99_183:
	s_or_b64 exec, exec, s[4:5]
	s_waitcnt lgkmcnt(0)
	; wave barrier
	buffer_load_dword v83, off, s[0:3], 0 offset:168
	buffer_load_dword v84, off, s[0:3], 0 offset:172
	;; [unrolled: 1-line block ×22, first 2 shown]
	v_mov_b32_e32 v74, 0
	ds_read2_b64 v[75:78], v74 offset0:57 offset1:58
	ds_read2_b64 v[79:82], v74 offset0:59 offset1:60
	v_cmp_lt_u32_e32 vcc, 19, v0
	s_waitcnt vmcnt(20) lgkmcnt(1)
	v_fma_f64 v[75:76], v[83:84], v[75:76], 0
	s_waitcnt vmcnt(18)
	v_fma_f64 v[75:76], v[85:86], v[77:78], v[75:76]
	buffer_load_dword v84, off, s[0:3], 0 offset:260
	buffer_load_dword v85, off, s[0:3], 0 offset:280
	buffer_load_dword v105, off, s[0:3], 0 offset:272
	buffer_load_dword v107, off, s[0:3], 0 offset:264
	buffer_load_dword v83, off, s[0:3], 0 offset:256
	buffer_load_dword v108, off, s[0:3], 0 offset:268
	buffer_load_dword v106, off, s[0:3], 0 offset:276
	buffer_load_dword v86, off, s[0:3], 0 offset:284
	s_waitcnt vmcnt(24) lgkmcnt(0)
	v_fma_f64 v[75:76], v[87:88], v[79:80], v[75:76]
	s_waitcnt vmcnt(22)
	v_fma_f64 v[87:88], v[89:90], v[81:82], v[75:76]
	ds_read2_b64 v[75:78], v74 offset0:61 offset1:62
	ds_read2_b64 v[79:82], v74 offset0:63 offset1:64
	s_waitcnt vmcnt(20) lgkmcnt(1)
	v_fma_f64 v[75:76], v[91:92], v[75:76], v[87:88]
	buffer_load_dword v87, off, s[0:3], 0 offset:160
	buffer_load_dword v88, off, s[0:3], 0 offset:164
	s_waitcnt vmcnt(20)
	v_fma_f64 v[75:76], v[93:94], v[77:78], v[75:76]
	s_waitcnt vmcnt(18) lgkmcnt(0)
	v_fma_f64 v[75:76], v[95:96], v[79:80], v[75:76]
	s_waitcnt vmcnt(13)
	v_fma_f64 v[89:90], v[97:98], v[81:82], v[75:76]
	ds_read2_b64 v[75:78], v74 offset0:65 offset1:66
	ds_read2_b64 v[79:82], v74 offset0:67 offset1:68
	s_waitcnt vmcnt(12) lgkmcnt(1)
	v_fma_f64 v[75:76], v[103:104], v[75:76], v[89:90]
	s_waitcnt vmcnt(11)
	v_fma_f64 v[75:76], v[101:102], v[77:78], v[75:76]
	s_waitcnt vmcnt(10) lgkmcnt(0)
	v_fma_f64 v[75:76], v[99:100], v[79:80], v[75:76]
	s_waitcnt vmcnt(5)
	v_fma_f64 v[79:80], v[83:84], v[81:82], v[75:76]
	ds_read2_b64 v[75:78], v74 offset0:69 offset1:70
	ds_read_b64 v[81:82], v74 offset:568
	s_waitcnt vmcnt(4) lgkmcnt(1)
	v_fma_f64 v[75:76], v[107:108], v[75:76], v[79:80]
	s_waitcnt vmcnt(3)
	v_fma_f64 v[75:76], v[105:106], v[77:78], v[75:76]
	s_waitcnt vmcnt(2) lgkmcnt(0)
	v_fma_f64 v[75:76], v[85:86], v[81:82], v[75:76]
	s_waitcnt vmcnt(0)
	v_add_f64 v[75:76], v[87:88], -v[75:76]
	buffer_store_dword v76, off, s[0:3], 0 offset:164
	buffer_store_dword v75, off, s[0:3], 0 offset:160
	s_and_saveexec_b64 s[4:5], vcc
	s_cbranch_execz .LBB99_185
; %bb.184:
	buffer_load_dword v75, off, s[0:3], 0 offset:152
	buffer_load_dword v76, off, s[0:3], 0 offset:156
	s_waitcnt vmcnt(0)
	ds_write_b64 v73, v[75:76]
	buffer_store_dword v74, off, s[0:3], 0 offset:152
	buffer_store_dword v74, off, s[0:3], 0 offset:156
.LBB99_185:
	s_or_b64 exec, exec, s[4:5]
	s_waitcnt lgkmcnt(0)
	; wave barrier
	buffer_load_dword v83, off, s[0:3], 0 offset:160
	buffer_load_dword v84, off, s[0:3], 0 offset:164
	;; [unrolled: 1-line block ×22, first 2 shown]
	ds_read_b128 v[75:78], v74 offset:448
	ds_read_b128 v[79:82], v74 offset:464
	v_cmp_lt_u32_e32 vcc, 18, v0
	s_waitcnt vmcnt(20) lgkmcnt(1)
	v_fma_f64 v[75:76], v[83:84], v[75:76], 0
	s_waitcnt vmcnt(18)
	v_fma_f64 v[75:76], v[85:86], v[77:78], v[75:76]
	buffer_load_dword v84, off, s[0:3], 0 offset:252
	buffer_load_dword v85, off, s[0:3], 0 offset:272
	;; [unrolled: 1-line block ×8, first 2 shown]
	s_waitcnt vmcnt(24) lgkmcnt(0)
	v_fma_f64 v[75:76], v[87:88], v[79:80], v[75:76]
	s_waitcnt vmcnt(22)
	v_fma_f64 v[87:88], v[89:90], v[81:82], v[75:76]
	ds_read_b128 v[75:78], v74 offset:480
	ds_read_b128 v[79:82], v74 offset:496
	s_waitcnt vmcnt(20) lgkmcnt(1)
	v_fma_f64 v[75:76], v[91:92], v[75:76], v[87:88]
	buffer_load_dword v88, off, s[0:3], 0 offset:284
	buffer_load_dword v87, off, s[0:3], 0 offset:280
	;; [unrolled: 1-line block ×4, first 2 shown]
	s_waitcnt vmcnt(22)
	v_fma_f64 v[75:76], v[93:94], v[77:78], v[75:76]
	s_waitcnt vmcnt(20) lgkmcnt(0)
	v_fma_f64 v[75:76], v[95:96], v[79:80], v[75:76]
	s_waitcnt vmcnt(15)
	v_fma_f64 v[91:92], v[97:98], v[81:82], v[75:76]
	ds_read_b128 v[75:78], v74 offset:512
	ds_read_b128 v[79:82], v74 offset:528
	s_waitcnt vmcnt(14) lgkmcnt(1)
	v_fma_f64 v[75:76], v[103:104], v[75:76], v[91:92]
	s_waitcnt vmcnt(13)
	v_fma_f64 v[75:76], v[101:102], v[77:78], v[75:76]
	s_waitcnt vmcnt(12) lgkmcnt(0)
	v_fma_f64 v[75:76], v[99:100], v[79:80], v[75:76]
	s_waitcnt vmcnt(7)
	v_fma_f64 v[83:84], v[83:84], v[81:82], v[75:76]
	ds_read_b128 v[75:78], v74 offset:544
	ds_read_b128 v[79:82], v74 offset:560
	s_waitcnt vmcnt(6) lgkmcnt(1)
	v_fma_f64 v[74:75], v[107:108], v[75:76], v[83:84]
	s_waitcnt vmcnt(5)
	v_fma_f64 v[74:75], v[105:106], v[77:78], v[74:75]
	s_waitcnt vmcnt(4) lgkmcnt(0)
	v_fma_f64 v[74:75], v[85:86], v[79:80], v[74:75]
	s_waitcnt vmcnt(2)
	v_fma_f64 v[74:75], v[87:88], v[81:82], v[74:75]
	s_waitcnt vmcnt(0)
	v_add_f64 v[74:75], v[89:90], -v[74:75]
	buffer_store_dword v75, off, s[0:3], 0 offset:156
	buffer_store_dword v74, off, s[0:3], 0 offset:152
	s_and_saveexec_b64 s[4:5], vcc
	s_cbranch_execz .LBB99_187
; %bb.186:
	buffer_load_dword v74, off, s[0:3], 0 offset:144
	buffer_load_dword v75, off, s[0:3], 0 offset:148
	v_mov_b32_e32 v76, 0
	buffer_store_dword v76, off, s[0:3], 0 offset:144
	buffer_store_dword v76, off, s[0:3], 0 offset:148
	s_waitcnt vmcnt(2)
	ds_write_b64 v73, v[74:75]
.LBB99_187:
	s_or_b64 exec, exec, s[4:5]
	s_waitcnt lgkmcnt(0)
	; wave barrier
	buffer_load_dword v83, off, s[0:3], 0 offset:152
	buffer_load_dword v84, off, s[0:3], 0 offset:156
	;; [unrolled: 1-line block ×22, first 2 shown]
	v_mov_b32_e32 v74, 0
	ds_read2_b64 v[75:78], v74 offset0:55 offset1:56
	ds_read2_b64 v[79:82], v74 offset0:57 offset1:58
	v_cmp_lt_u32_e32 vcc, 17, v0
	s_waitcnt vmcnt(20) lgkmcnt(1)
	v_fma_f64 v[75:76], v[83:84], v[75:76], 0
	s_waitcnt vmcnt(18)
	v_fma_f64 v[75:76], v[85:86], v[77:78], v[75:76]
	buffer_load_dword v84, off, s[0:3], 0 offset:244
	buffer_load_dword v85, off, s[0:3], 0 offset:264
	;; [unrolled: 1-line block ×7, first 2 shown]
	s_waitcnt vmcnt(23) lgkmcnt(0)
	v_fma_f64 v[75:76], v[87:88], v[79:80], v[75:76]
	s_waitcnt vmcnt(21)
	v_fma_f64 v[86:87], v[89:90], v[81:82], v[75:76]
	ds_read2_b64 v[75:78], v74 offset0:59 offset1:60
	ds_read2_b64 v[79:82], v74 offset0:61 offset1:62
	s_waitcnt vmcnt(19) lgkmcnt(1)
	v_fma_f64 v[75:76], v[91:92], v[75:76], v[86:87]
	buffer_load_dword v86, off, s[0:3], 0 offset:268
	buffer_load_dword v88, off, s[0:3], 0 offset:276
	;; [unrolled: 1-line block ×7, first 2 shown]
	s_waitcnt vmcnt(24)
	v_fma_f64 v[75:76], v[93:94], v[77:78], v[75:76]
	s_waitcnt vmcnt(22) lgkmcnt(0)
	v_fma_f64 v[75:76], v[95:96], v[79:80], v[75:76]
	s_waitcnt vmcnt(17)
	v_fma_f64 v[93:94], v[97:98], v[81:82], v[75:76]
	ds_read2_b64 v[75:78], v74 offset0:63 offset1:64
	ds_read2_b64 v[79:82], v74 offset0:65 offset1:66
	s_waitcnt vmcnt(16) lgkmcnt(1)
	v_fma_f64 v[75:76], v[103:104], v[75:76], v[93:94]
	s_waitcnt vmcnt(15)
	v_fma_f64 v[75:76], v[101:102], v[77:78], v[75:76]
	s_waitcnt vmcnt(14) lgkmcnt(0)
	v_fma_f64 v[75:76], v[99:100], v[79:80], v[75:76]
	s_waitcnt vmcnt(9)
	v_fma_f64 v[83:84], v[83:84], v[81:82], v[75:76]
	ds_read2_b64 v[75:78], v74 offset0:67 offset1:68
	ds_read2_b64 v[79:82], v74 offset0:69 offset1:70
	s_waitcnt vmcnt(8) lgkmcnt(1)
	v_fma_f64 v[75:76], v[107:108], v[75:76], v[83:84]
	s_waitcnt vmcnt(7)
	v_fma_f64 v[75:76], v[105:106], v[77:78], v[75:76]
	ds_read_b64 v[77:78], v74 offset:568
	s_waitcnt vmcnt(6) lgkmcnt(1)
	v_fma_f64 v[75:76], v[85:86], v[79:80], v[75:76]
	s_waitcnt vmcnt(3)
	v_fma_f64 v[75:76], v[87:88], v[81:82], v[75:76]
	s_waitcnt vmcnt(2) lgkmcnt(0)
	v_fma_f64 v[75:76], v[89:90], v[77:78], v[75:76]
	s_waitcnt vmcnt(0)
	v_add_f64 v[75:76], v[91:92], -v[75:76]
	buffer_store_dword v76, off, s[0:3], 0 offset:148
	buffer_store_dword v75, off, s[0:3], 0 offset:144
	s_and_saveexec_b64 s[4:5], vcc
	s_cbranch_execz .LBB99_189
; %bb.188:
	buffer_load_dword v75, off, s[0:3], 0 offset:136
	buffer_load_dword v76, off, s[0:3], 0 offset:140
	s_waitcnt vmcnt(0)
	ds_write_b64 v73, v[75:76]
	buffer_store_dword v74, off, s[0:3], 0 offset:136
	buffer_store_dword v74, off, s[0:3], 0 offset:140
.LBB99_189:
	s_or_b64 exec, exec, s[4:5]
	s_waitcnt lgkmcnt(0)
	; wave barrier
	buffer_load_dword v83, off, s[0:3], 0 offset:144
	buffer_load_dword v84, off, s[0:3], 0 offset:148
	;; [unrolled: 1-line block ×22, first 2 shown]
	ds_read_b128 v[75:78], v74 offset:432
	ds_read_b128 v[79:82], v74 offset:448
	v_cmp_lt_u32_e32 vcc, 16, v0
	s_waitcnt vmcnt(20) lgkmcnt(1)
	v_fma_f64 v[75:76], v[83:84], v[75:76], 0
	s_waitcnt vmcnt(18)
	v_fma_f64 v[75:76], v[85:86], v[77:78], v[75:76]
	buffer_load_dword v84, off, s[0:3], 0 offset:236
	buffer_load_dword v85, off, s[0:3], 0 offset:256
	;; [unrolled: 1-line block ×7, first 2 shown]
	s_waitcnt vmcnt(23) lgkmcnt(0)
	v_fma_f64 v[75:76], v[87:88], v[79:80], v[75:76]
	s_waitcnt vmcnt(21)
	v_fma_f64 v[86:87], v[89:90], v[81:82], v[75:76]
	ds_read_b128 v[75:78], v74 offset:464
	ds_read_b128 v[79:82], v74 offset:480
	s_waitcnt vmcnt(19) lgkmcnt(1)
	v_fma_f64 v[75:76], v[91:92], v[75:76], v[86:87]
	buffer_load_dword v86, off, s[0:3], 0 offset:260
	buffer_load_dword v88, off, s[0:3], 0 offset:268
	;; [unrolled: 1-line block ×7, first 2 shown]
	s_waitcnt vmcnt(24)
	v_fma_f64 v[75:76], v[93:94], v[77:78], v[75:76]
	s_waitcnt vmcnt(22) lgkmcnt(0)
	v_fma_f64 v[75:76], v[95:96], v[79:80], v[75:76]
	s_waitcnt vmcnt(17)
	v_fma_f64 v[93:94], v[97:98], v[81:82], v[75:76]
	ds_read_b128 v[75:78], v74 offset:496
	buffer_load_dword v95, off, s[0:3], 0 offset:136
	buffer_load_dword v96, off, s[0:3], 0 offset:140
	ds_read_b128 v[79:82], v74 offset:512
	s_waitcnt vmcnt(18) lgkmcnt(1)
	v_fma_f64 v[75:76], v[103:104], v[75:76], v[93:94]
	s_waitcnt vmcnt(17)
	v_fma_f64 v[75:76], v[101:102], v[77:78], v[75:76]
	s_waitcnt vmcnt(16) lgkmcnt(0)
	v_fma_f64 v[75:76], v[99:100], v[79:80], v[75:76]
	s_waitcnt vmcnt(11)
	v_fma_f64 v[83:84], v[83:84], v[81:82], v[75:76]
	ds_read_b128 v[75:78], v74 offset:528
	ds_read_b128 v[79:82], v74 offset:544
	s_waitcnt vmcnt(10) lgkmcnt(1)
	v_fma_f64 v[75:76], v[107:108], v[75:76], v[83:84]
	s_waitcnt vmcnt(9)
	v_fma_f64 v[75:76], v[105:106], v[77:78], v[75:76]
	s_waitcnt vmcnt(8) lgkmcnt(0)
	v_fma_f64 v[75:76], v[85:86], v[79:80], v[75:76]
	s_waitcnt vmcnt(4)
	v_fma_f64 v[78:79], v[87:88], v[81:82], v[75:76]
	ds_read_b128 v[74:77], v74 offset:560
	s_waitcnt vmcnt(3) lgkmcnt(0)
	v_fma_f64 v[74:75], v[91:92], v[74:75], v[78:79]
	s_waitcnt vmcnt(2)
	v_fma_f64 v[74:75], v[89:90], v[76:77], v[74:75]
	s_waitcnt vmcnt(0)
	v_add_f64 v[74:75], v[95:96], -v[74:75]
	buffer_store_dword v75, off, s[0:3], 0 offset:140
	buffer_store_dword v74, off, s[0:3], 0 offset:136
	s_and_saveexec_b64 s[4:5], vcc
	s_cbranch_execz .LBB99_191
; %bb.190:
	buffer_load_dword v74, off, s[0:3], 0 offset:128
	buffer_load_dword v75, off, s[0:3], 0 offset:132
	v_mov_b32_e32 v76, 0
	buffer_store_dword v76, off, s[0:3], 0 offset:128
	buffer_store_dword v76, off, s[0:3], 0 offset:132
	s_waitcnt vmcnt(2)
	ds_write_b64 v73, v[74:75]
.LBB99_191:
	s_or_b64 exec, exec, s[4:5]
	s_waitcnt lgkmcnt(0)
	; wave barrier
	buffer_load_dword v83, off, s[0:3], 0 offset:136
	buffer_load_dword v84, off, s[0:3], 0 offset:140
	;; [unrolled: 1-line block ×22, first 2 shown]
	v_mov_b32_e32 v74, 0
	ds_read2_b64 v[75:78], v74 offset0:53 offset1:54
	ds_read2_b64 v[79:82], v74 offset0:55 offset1:56
	v_cmp_lt_u32_e32 vcc, 15, v0
	s_waitcnt vmcnt(20) lgkmcnt(1)
	v_fma_f64 v[75:76], v[83:84], v[75:76], 0
	s_waitcnt vmcnt(18)
	v_fma_f64 v[75:76], v[85:86], v[77:78], v[75:76]
	buffer_load_dword v84, off, s[0:3], 0 offset:228
	buffer_load_dword v85, off, s[0:3], 0 offset:248
	buffer_load_dword v105, off, s[0:3], 0 offset:240
	buffer_load_dword v107, off, s[0:3], 0 offset:232
	buffer_load_dword v83, off, s[0:3], 0 offset:224
	buffer_load_dword v108, off, s[0:3], 0 offset:236
	buffer_load_dword v106, off, s[0:3], 0 offset:244
	s_waitcnt vmcnt(23) lgkmcnt(0)
	v_fma_f64 v[75:76], v[87:88], v[79:80], v[75:76]
	s_waitcnt vmcnt(21)
	v_fma_f64 v[86:87], v[89:90], v[81:82], v[75:76]
	ds_read2_b64 v[75:78], v74 offset0:57 offset1:58
	ds_read2_b64 v[79:82], v74 offset0:59 offset1:60
	s_waitcnt vmcnt(19) lgkmcnt(1)
	v_fma_f64 v[75:76], v[91:92], v[75:76], v[86:87]
	buffer_load_dword v86, off, s[0:3], 0 offset:252
	s_waitcnt vmcnt(18)
	v_fma_f64 v[75:76], v[93:94], v[77:78], v[75:76]
	buffer_load_dword v88, off, s[0:3], 0 offset:260
	buffer_load_dword v89, off, s[0:3], 0 offset:280
	;; [unrolled: 1-line block ×8, first 2 shown]
	s_waitcnt vmcnt(24) lgkmcnt(0)
	v_fma_f64 v[75:76], v[95:96], v[79:80], v[75:76]
	s_waitcnt vmcnt(19)
	v_fma_f64 v[95:96], v[97:98], v[81:82], v[75:76]
	ds_read2_b64 v[75:78], v74 offset0:61 offset1:62
	ds_read2_b64 v[79:82], v74 offset0:63 offset1:64
	s_waitcnt vmcnt(18) lgkmcnt(1)
	v_fma_f64 v[75:76], v[103:104], v[75:76], v[95:96]
	buffer_load_dword v95, off, s[0:3], 0 offset:128
	buffer_load_dword v96, off, s[0:3], 0 offset:132
	s_waitcnt vmcnt(19)
	v_fma_f64 v[75:76], v[101:102], v[77:78], v[75:76]
	s_waitcnt vmcnt(18) lgkmcnt(0)
	v_fma_f64 v[75:76], v[99:100], v[79:80], v[75:76]
	s_waitcnt vmcnt(13)
	v_fma_f64 v[83:84], v[83:84], v[81:82], v[75:76]
	ds_read2_b64 v[75:78], v74 offset0:65 offset1:66
	ds_read2_b64 v[79:82], v74 offset0:67 offset1:68
	s_waitcnt vmcnt(12) lgkmcnt(1)
	v_fma_f64 v[75:76], v[107:108], v[75:76], v[83:84]
	s_waitcnt vmcnt(11)
	v_fma_f64 v[75:76], v[105:106], v[77:78], v[75:76]
	s_waitcnt vmcnt(10) lgkmcnt(0)
	v_fma_f64 v[75:76], v[85:86], v[79:80], v[75:76]
	s_waitcnt vmcnt(5)
	v_fma_f64 v[79:80], v[87:88], v[81:82], v[75:76]
	ds_read2_b64 v[75:78], v74 offset0:69 offset1:70
	ds_read_b64 v[81:82], v74 offset:568
	s_waitcnt vmcnt(4) lgkmcnt(1)
	v_fma_f64 v[75:76], v[93:94], v[75:76], v[79:80]
	s_waitcnt vmcnt(3)
	v_fma_f64 v[75:76], v[91:92], v[77:78], v[75:76]
	s_waitcnt vmcnt(2) lgkmcnt(0)
	v_fma_f64 v[75:76], v[89:90], v[81:82], v[75:76]
	s_waitcnt vmcnt(0)
	v_add_f64 v[75:76], v[95:96], -v[75:76]
	buffer_store_dword v76, off, s[0:3], 0 offset:132
	buffer_store_dword v75, off, s[0:3], 0 offset:128
	s_and_saveexec_b64 s[4:5], vcc
	s_cbranch_execz .LBB99_193
; %bb.192:
	buffer_load_dword v75, off, s[0:3], 0 offset:120
	buffer_load_dword v76, off, s[0:3], 0 offset:124
	s_waitcnt vmcnt(0)
	ds_write_b64 v73, v[75:76]
	buffer_store_dword v74, off, s[0:3], 0 offset:120
	buffer_store_dword v74, off, s[0:3], 0 offset:124
.LBB99_193:
	s_or_b64 exec, exec, s[4:5]
	s_waitcnt lgkmcnt(0)
	; wave barrier
	buffer_load_dword v83, off, s[0:3], 0 offset:128
	buffer_load_dword v84, off, s[0:3], 0 offset:132
	buffer_load_dword v85, off, s[0:3], 0 offset:136
	buffer_load_dword v86, off, s[0:3], 0 offset:140
	buffer_load_dword v87, off, s[0:3], 0 offset:144
	buffer_load_dword v88, off, s[0:3], 0 offset:148
	buffer_load_dword v89, off, s[0:3], 0 offset:152
	buffer_load_dword v90, off, s[0:3], 0 offset:156
	buffer_load_dword v91, off, s[0:3], 0 offset:160
	buffer_load_dword v92, off, s[0:3], 0 offset:164
	buffer_load_dword v93, off, s[0:3], 0 offset:168
	buffer_load_dword v94, off, s[0:3], 0 offset:172
	buffer_load_dword v95, off, s[0:3], 0 offset:176
	buffer_load_dword v96, off, s[0:3], 0 offset:180
	buffer_load_dword v98, off, s[0:3], 0 offset:188
	buffer_load_dword v99, off, s[0:3], 0 offset:208
	buffer_load_dword v101, off, s[0:3], 0 offset:200
	buffer_load_dword v103, off, s[0:3], 0 offset:192
	buffer_load_dword v97, off, s[0:3], 0 offset:184
	buffer_load_dword v104, off, s[0:3], 0 offset:196
	buffer_load_dword v102, off, s[0:3], 0 offset:204
	buffer_load_dword v100, off, s[0:3], 0 offset:212
	ds_read_b128 v[75:78], v74 offset:416
	ds_read_b128 v[79:82], v74 offset:432
	v_cmp_lt_u32_e32 vcc, 14, v0
	s_waitcnt vmcnt(20) lgkmcnt(1)
	v_fma_f64 v[75:76], v[83:84], v[75:76], 0
	s_waitcnt vmcnt(18)
	v_fma_f64 v[75:76], v[85:86], v[77:78], v[75:76]
	buffer_load_dword v84, off, s[0:3], 0 offset:220
	buffer_load_dword v85, off, s[0:3], 0 offset:240
	;; [unrolled: 1-line block ×7, first 2 shown]
	s_waitcnt vmcnt(23) lgkmcnt(0)
	v_fma_f64 v[75:76], v[87:88], v[79:80], v[75:76]
	s_waitcnt vmcnt(21)
	v_fma_f64 v[86:87], v[89:90], v[81:82], v[75:76]
	ds_read_b128 v[75:78], v74 offset:448
	ds_read_b128 v[79:82], v74 offset:464
	s_waitcnt vmcnt(19) lgkmcnt(1)
	v_fma_f64 v[75:76], v[91:92], v[75:76], v[86:87]
	buffer_load_dword v86, off, s[0:3], 0 offset:244
	s_waitcnt vmcnt(18)
	v_fma_f64 v[75:76], v[93:94], v[77:78], v[75:76]
	buffer_load_dword v88, off, s[0:3], 0 offset:252
	buffer_load_dword v89, off, s[0:3], 0 offset:272
	buffer_load_dword v91, off, s[0:3], 0 offset:264
	buffer_load_dword v93, off, s[0:3], 0 offset:256
	buffer_load_dword v87, off, s[0:3], 0 offset:248
	buffer_load_dword v94, off, s[0:3], 0 offset:260
	buffer_load_dword v92, off, s[0:3], 0 offset:268
	buffer_load_dword v90, off, s[0:3], 0 offset:276
	s_waitcnt vmcnt(24) lgkmcnt(0)
	v_fma_f64 v[75:76], v[95:96], v[79:80], v[75:76]
	s_waitcnt vmcnt(19)
	v_fma_f64 v[95:96], v[97:98], v[81:82], v[75:76]
	ds_read_b128 v[75:78], v74 offset:480
	ds_read_b128 v[79:82], v74 offset:496
	s_waitcnt vmcnt(18) lgkmcnt(1)
	v_fma_f64 v[75:76], v[103:104], v[75:76], v[95:96]
	buffer_load_dword v96, off, s[0:3], 0 offset:284
	buffer_load_dword v95, off, s[0:3], 0 offset:280
	;; [unrolled: 1-line block ×4, first 2 shown]
	s_waitcnt vmcnt(21)
	v_fma_f64 v[75:76], v[101:102], v[77:78], v[75:76]
	s_waitcnt vmcnt(20) lgkmcnt(0)
	v_fma_f64 v[75:76], v[99:100], v[79:80], v[75:76]
	s_waitcnt vmcnt(15)
	v_fma_f64 v[83:84], v[83:84], v[81:82], v[75:76]
	ds_read_b128 v[75:78], v74 offset:512
	ds_read_b128 v[79:82], v74 offset:528
	s_waitcnt vmcnt(14) lgkmcnt(1)
	v_fma_f64 v[75:76], v[107:108], v[75:76], v[83:84]
	s_waitcnt vmcnt(13)
	v_fma_f64 v[75:76], v[105:106], v[77:78], v[75:76]
	s_waitcnt vmcnt(12) lgkmcnt(0)
	v_fma_f64 v[75:76], v[85:86], v[79:80], v[75:76]
	s_waitcnt vmcnt(7)
	v_fma_f64 v[83:84], v[87:88], v[81:82], v[75:76]
	ds_read_b128 v[75:78], v74 offset:544
	ds_read_b128 v[79:82], v74 offset:560
	s_waitcnt vmcnt(6) lgkmcnt(1)
	v_fma_f64 v[74:75], v[93:94], v[75:76], v[83:84]
	s_waitcnt vmcnt(5)
	v_fma_f64 v[74:75], v[91:92], v[77:78], v[74:75]
	s_waitcnt vmcnt(4) lgkmcnt(0)
	v_fma_f64 v[74:75], v[89:90], v[79:80], v[74:75]
	s_waitcnt vmcnt(2)
	v_fma_f64 v[74:75], v[95:96], v[81:82], v[74:75]
	s_waitcnt vmcnt(0)
	v_add_f64 v[74:75], v[97:98], -v[74:75]
	buffer_store_dword v75, off, s[0:3], 0 offset:124
	buffer_store_dword v74, off, s[0:3], 0 offset:120
	s_and_saveexec_b64 s[4:5], vcc
	s_cbranch_execz .LBB99_195
; %bb.194:
	buffer_load_dword v74, off, s[0:3], 0 offset:112
	buffer_load_dword v75, off, s[0:3], 0 offset:116
	v_mov_b32_e32 v76, 0
	buffer_store_dword v76, off, s[0:3], 0 offset:112
	buffer_store_dword v76, off, s[0:3], 0 offset:116
	s_waitcnt vmcnt(2)
	ds_write_b64 v73, v[74:75]
.LBB99_195:
	s_or_b64 exec, exec, s[4:5]
	s_waitcnt lgkmcnt(0)
	; wave barrier
	buffer_load_dword v83, off, s[0:3], 0 offset:120
	buffer_load_dword v84, off, s[0:3], 0 offset:124
	;; [unrolled: 1-line block ×21, first 2 shown]
	v_mov_b32_e32 v74, 0
	ds_read2_b64 v[75:78], v74 offset0:51 offset1:52
	ds_read2_b64 v[79:82], v74 offset0:53 offset1:54
	buffer_load_dword v100, off, s[0:3], 0 offset:204
	v_cmp_lt_u32_e32 vcc, 13, v0
	s_waitcnt vmcnt(20) lgkmcnt(1)
	v_fma_f64 v[75:76], v[83:84], v[75:76], 0
	s_waitcnt vmcnt(18)
	v_fma_f64 v[75:76], v[85:86], v[77:78], v[75:76]
	buffer_load_dword v84, off, s[0:3], 0 offset:212
	buffer_load_dword v85, off, s[0:3], 0 offset:232
	;; [unrolled: 1-line block ×7, first 2 shown]
	s_waitcnt vmcnt(23) lgkmcnt(0)
	v_fma_f64 v[75:76], v[87:88], v[79:80], v[75:76]
	s_waitcnt vmcnt(21)
	v_fma_f64 v[86:87], v[89:90], v[81:82], v[75:76]
	ds_read2_b64 v[75:78], v74 offset0:55 offset1:56
	ds_read2_b64 v[79:82], v74 offset0:57 offset1:58
	s_waitcnt vmcnt(19) lgkmcnt(1)
	v_fma_f64 v[75:76], v[91:92], v[75:76], v[86:87]
	buffer_load_dword v86, off, s[0:3], 0 offset:236
	s_waitcnt vmcnt(18)
	v_fma_f64 v[75:76], v[93:94], v[77:78], v[75:76]
	buffer_load_dword v88, off, s[0:3], 0 offset:244
	buffer_load_dword v89, off, s[0:3], 0 offset:264
	;; [unrolled: 1-line block ×7, first 2 shown]
	s_waitcnt vmcnt(23) lgkmcnt(0)
	v_fma_f64 v[75:76], v[95:96], v[79:80], v[75:76]
	s_waitcnt vmcnt(18)
	v_fma_f64 v[95:96], v[97:98], v[81:82], v[75:76]
	ds_read2_b64 v[75:78], v74 offset0:59 offset1:60
	ds_read2_b64 v[79:82], v74 offset0:61 offset1:62
	buffer_load_dword v90, off, s[0:3], 0 offset:268
	s_waitcnt vmcnt(18) lgkmcnt(1)
	v_fma_f64 v[75:76], v[103:104], v[75:76], v[95:96]
	buffer_load_dword v96, off, s[0:3], 0 offset:276
	buffer_load_dword v97, off, s[0:3], 0 offset:280
	;; [unrolled: 1-line block ×4, first 2 shown]
	s_waitcnt vmcnt(21)
	v_fma_f64 v[75:76], v[101:102], v[77:78], v[75:76]
	s_waitcnt vmcnt(20) lgkmcnt(0)
	v_fma_f64 v[75:76], v[99:100], v[79:80], v[75:76]
	buffer_load_dword v99, off, s[0:3], 0 offset:112
	buffer_load_dword v100, off, s[0:3], 0 offset:116
	s_waitcnt vmcnt(17)
	v_fma_f64 v[83:84], v[83:84], v[81:82], v[75:76]
	ds_read2_b64 v[75:78], v74 offset0:63 offset1:64
	ds_read2_b64 v[79:82], v74 offset0:65 offset1:66
	s_waitcnt vmcnt(16) lgkmcnt(1)
	v_fma_f64 v[75:76], v[107:108], v[75:76], v[83:84]
	s_waitcnt vmcnt(15)
	v_fma_f64 v[75:76], v[105:106], v[77:78], v[75:76]
	s_waitcnt vmcnt(14) lgkmcnt(0)
	v_fma_f64 v[75:76], v[85:86], v[79:80], v[75:76]
	s_waitcnt vmcnt(9)
	v_fma_f64 v[83:84], v[87:88], v[81:82], v[75:76]
	ds_read2_b64 v[75:78], v74 offset0:67 offset1:68
	ds_read2_b64 v[79:82], v74 offset0:69 offset1:70
	s_waitcnt vmcnt(8) lgkmcnt(1)
	v_fma_f64 v[75:76], v[93:94], v[75:76], v[83:84]
	s_waitcnt vmcnt(7)
	v_fma_f64 v[75:76], v[91:92], v[77:78], v[75:76]
	ds_read_b64 v[77:78], v74 offset:568
	s_waitcnt vmcnt(6) lgkmcnt(1)
	v_fma_f64 v[75:76], v[89:90], v[79:80], v[75:76]
	s_waitcnt vmcnt(3)
	v_fma_f64 v[75:76], v[95:96], v[81:82], v[75:76]
	s_waitcnt vmcnt(2) lgkmcnt(0)
	v_fma_f64 v[75:76], v[97:98], v[77:78], v[75:76]
	s_waitcnt vmcnt(0)
	v_add_f64 v[75:76], v[99:100], -v[75:76]
	buffer_store_dword v76, off, s[0:3], 0 offset:116
	buffer_store_dword v75, off, s[0:3], 0 offset:112
	s_and_saveexec_b64 s[4:5], vcc
	s_cbranch_execz .LBB99_197
; %bb.196:
	buffer_load_dword v75, off, s[0:3], 0 offset:104
	buffer_load_dword v76, off, s[0:3], 0 offset:108
	s_waitcnt vmcnt(0)
	ds_write_b64 v73, v[75:76]
	buffer_store_dword v74, off, s[0:3], 0 offset:104
	buffer_store_dword v74, off, s[0:3], 0 offset:108
.LBB99_197:
	s_or_b64 exec, exec, s[4:5]
	s_waitcnt lgkmcnt(0)
	; wave barrier
	buffer_load_dword v83, off, s[0:3], 0 offset:112
	buffer_load_dword v84, off, s[0:3], 0 offset:116
	;; [unrolled: 1-line block ×21, first 2 shown]
	ds_read_b128 v[75:78], v74 offset:400
	ds_read_b128 v[79:82], v74 offset:416
	buffer_load_dword v100, off, s[0:3], 0 offset:196
	v_cmp_lt_u32_e32 vcc, 12, v0
	s_waitcnt vmcnt(20) lgkmcnt(1)
	v_fma_f64 v[75:76], v[83:84], v[75:76], 0
	s_waitcnt vmcnt(18)
	v_fma_f64 v[75:76], v[85:86], v[77:78], v[75:76]
	buffer_load_dword v84, off, s[0:3], 0 offset:204
	buffer_load_dword v85, off, s[0:3], 0 offset:224
	;; [unrolled: 1-line block ×7, first 2 shown]
	s_waitcnt vmcnt(23) lgkmcnt(0)
	v_fma_f64 v[75:76], v[87:88], v[79:80], v[75:76]
	s_waitcnt vmcnt(21)
	v_fma_f64 v[86:87], v[89:90], v[81:82], v[75:76]
	ds_read_b128 v[75:78], v74 offset:432
	ds_read_b128 v[79:82], v74 offset:448
	s_waitcnt vmcnt(19) lgkmcnt(1)
	v_fma_f64 v[75:76], v[91:92], v[75:76], v[86:87]
	buffer_load_dword v86, off, s[0:3], 0 offset:228
	s_waitcnt vmcnt(18)
	v_fma_f64 v[75:76], v[93:94], v[77:78], v[75:76]
	buffer_load_dword v88, off, s[0:3], 0 offset:236
	buffer_load_dword v89, off, s[0:3], 0 offset:256
	;; [unrolled: 1-line block ×8, first 2 shown]
	s_waitcnt vmcnt(24) lgkmcnt(0)
	v_fma_f64 v[75:76], v[95:96], v[79:80], v[75:76]
	s_waitcnt vmcnt(19)
	v_fma_f64 v[95:96], v[97:98], v[81:82], v[75:76]
	ds_read_b128 v[75:78], v74 offset:464
	ds_read_b128 v[79:82], v74 offset:480
	s_waitcnt vmcnt(18) lgkmcnt(1)
	v_fma_f64 v[75:76], v[103:104], v[75:76], v[95:96]
	s_waitcnt vmcnt(17)
	v_fma_f64 v[75:76], v[101:102], v[77:78], v[75:76]
	buffer_load_dword v96, off, s[0:3], 0 offset:268
	buffer_load_dword v97, off, s[0:3], 0 offset:280
	;; [unrolled: 1-line block ×6, first 2 shown]
	s_waitcnt vmcnt(22) lgkmcnt(0)
	v_fma_f64 v[75:76], v[99:100], v[79:80], v[75:76]
	s_waitcnt vmcnt(17)
	v_fma_f64 v[83:84], v[83:84], v[81:82], v[75:76]
	ds_read_b128 v[75:78], v74 offset:496
	buffer_load_dword v99, off, s[0:3], 0 offset:104
	buffer_load_dword v100, off, s[0:3], 0 offset:108
	ds_read_b128 v[79:82], v74 offset:512
	s_waitcnt vmcnt(18) lgkmcnt(1)
	v_fma_f64 v[75:76], v[107:108], v[75:76], v[83:84]
	s_waitcnt vmcnt(17)
	v_fma_f64 v[75:76], v[105:106], v[77:78], v[75:76]
	s_waitcnt vmcnt(16) lgkmcnt(0)
	v_fma_f64 v[75:76], v[85:86], v[79:80], v[75:76]
	s_waitcnt vmcnt(11)
	v_fma_f64 v[83:84], v[87:88], v[81:82], v[75:76]
	ds_read_b128 v[75:78], v74 offset:528
	ds_read_b128 v[79:82], v74 offset:544
	s_waitcnt vmcnt(10) lgkmcnt(1)
	v_fma_f64 v[75:76], v[93:94], v[75:76], v[83:84]
	s_waitcnt vmcnt(9)
	v_fma_f64 v[75:76], v[91:92], v[77:78], v[75:76]
	s_waitcnt vmcnt(8) lgkmcnt(0)
	v_fma_f64 v[75:76], v[89:90], v[79:80], v[75:76]
	s_waitcnt vmcnt(4)
	v_fma_f64 v[78:79], v[95:96], v[81:82], v[75:76]
	ds_read_b128 v[74:77], v74 offset:560
	s_waitcnt vmcnt(3) lgkmcnt(0)
	v_fma_f64 v[74:75], v[101:102], v[74:75], v[78:79]
	s_waitcnt vmcnt(2)
	v_fma_f64 v[74:75], v[97:98], v[76:77], v[74:75]
	s_waitcnt vmcnt(0)
	v_add_f64 v[74:75], v[99:100], -v[74:75]
	buffer_store_dword v75, off, s[0:3], 0 offset:108
	buffer_store_dword v74, off, s[0:3], 0 offset:104
	s_and_saveexec_b64 s[4:5], vcc
	s_cbranch_execz .LBB99_199
; %bb.198:
	buffer_load_dword v74, off, s[0:3], 0 offset:96
	buffer_load_dword v75, off, s[0:3], 0 offset:100
	v_mov_b32_e32 v76, 0
	buffer_store_dword v76, off, s[0:3], 0 offset:96
	buffer_store_dword v76, off, s[0:3], 0 offset:100
	s_waitcnt vmcnt(2)
	ds_write_b64 v73, v[74:75]
.LBB99_199:
	s_or_b64 exec, exec, s[4:5]
	s_waitcnt lgkmcnt(0)
	; wave barrier
	buffer_load_dword v83, off, s[0:3], 0 offset:104
	buffer_load_dword v84, off, s[0:3], 0 offset:108
	;; [unrolled: 1-line block ×21, first 2 shown]
	v_mov_b32_e32 v74, 0
	ds_read2_b64 v[75:78], v74 offset0:49 offset1:50
	ds_read2_b64 v[79:82], v74 offset0:51 offset1:52
	buffer_load_dword v100, off, s[0:3], 0 offset:188
	v_cmp_lt_u32_e32 vcc, 11, v0
	s_waitcnt vmcnt(20) lgkmcnt(1)
	v_fma_f64 v[75:76], v[83:84], v[75:76], 0
	s_waitcnt vmcnt(18)
	v_fma_f64 v[75:76], v[85:86], v[77:78], v[75:76]
	buffer_load_dword v84, off, s[0:3], 0 offset:196
	buffer_load_dword v85, off, s[0:3], 0 offset:216
	;; [unrolled: 1-line block ×7, first 2 shown]
	s_waitcnt vmcnt(23) lgkmcnt(0)
	v_fma_f64 v[75:76], v[87:88], v[79:80], v[75:76]
	s_waitcnt vmcnt(21)
	v_fma_f64 v[86:87], v[89:90], v[81:82], v[75:76]
	ds_read2_b64 v[75:78], v74 offset0:53 offset1:54
	ds_read2_b64 v[79:82], v74 offset0:55 offset1:56
	s_waitcnt vmcnt(19) lgkmcnt(1)
	v_fma_f64 v[75:76], v[91:92], v[75:76], v[86:87]
	buffer_load_dword v86, off, s[0:3], 0 offset:220
	s_waitcnt vmcnt(18)
	v_fma_f64 v[75:76], v[93:94], v[77:78], v[75:76]
	buffer_load_dword v88, off, s[0:3], 0 offset:228
	buffer_load_dword v89, off, s[0:3], 0 offset:248
	;; [unrolled: 1-line block ×8, first 2 shown]
	s_waitcnt vmcnt(24) lgkmcnt(0)
	v_fma_f64 v[75:76], v[95:96], v[79:80], v[75:76]
	s_waitcnt vmcnt(19)
	v_fma_f64 v[95:96], v[97:98], v[81:82], v[75:76]
	ds_read2_b64 v[75:78], v74 offset0:57 offset1:58
	ds_read2_b64 v[79:82], v74 offset0:59 offset1:60
	s_waitcnt vmcnt(18) lgkmcnt(1)
	v_fma_f64 v[75:76], v[103:104], v[75:76], v[95:96]
	s_waitcnt vmcnt(17)
	v_fma_f64 v[75:76], v[101:102], v[77:78], v[75:76]
	buffer_load_dword v96, off, s[0:3], 0 offset:260
	buffer_load_dword v97, off, s[0:3], 0 offset:280
	;; [unrolled: 1-line block ×8, first 2 shown]
	s_waitcnt vmcnt(24) lgkmcnt(0)
	v_fma_f64 v[75:76], v[99:100], v[79:80], v[75:76]
	s_waitcnt vmcnt(19)
	v_fma_f64 v[83:84], v[83:84], v[81:82], v[75:76]
	ds_read2_b64 v[75:78], v74 offset0:61 offset1:62
	ds_read2_b64 v[79:82], v74 offset0:63 offset1:64
	s_waitcnt vmcnt(18) lgkmcnt(1)
	v_fma_f64 v[75:76], v[107:108], v[75:76], v[83:84]
	buffer_load_dword v83, off, s[0:3], 0 offset:96
	buffer_load_dword v84, off, s[0:3], 0 offset:100
	s_waitcnt vmcnt(19)
	v_fma_f64 v[75:76], v[105:106], v[77:78], v[75:76]
	s_waitcnt vmcnt(18) lgkmcnt(0)
	v_fma_f64 v[75:76], v[85:86], v[79:80], v[75:76]
	s_waitcnt vmcnt(13)
	v_fma_f64 v[85:86], v[87:88], v[81:82], v[75:76]
	ds_read2_b64 v[75:78], v74 offset0:65 offset1:66
	ds_read2_b64 v[79:82], v74 offset0:67 offset1:68
	s_waitcnt vmcnt(12) lgkmcnt(1)
	v_fma_f64 v[75:76], v[93:94], v[75:76], v[85:86]
	s_waitcnt vmcnt(11)
	v_fma_f64 v[75:76], v[91:92], v[77:78], v[75:76]
	s_waitcnt vmcnt(10) lgkmcnt(0)
	v_fma_f64 v[75:76], v[89:90], v[79:80], v[75:76]
	s_waitcnt vmcnt(5)
	v_fma_f64 v[79:80], v[95:96], v[81:82], v[75:76]
	ds_read2_b64 v[75:78], v74 offset0:69 offset1:70
	ds_read_b64 v[81:82], v74 offset:568
	s_waitcnt vmcnt(4) lgkmcnt(1)
	v_fma_f64 v[75:76], v[103:104], v[75:76], v[79:80]
	s_waitcnt vmcnt(3)
	v_fma_f64 v[75:76], v[101:102], v[77:78], v[75:76]
	s_waitcnt vmcnt(2) lgkmcnt(0)
	v_fma_f64 v[75:76], v[97:98], v[81:82], v[75:76]
	s_waitcnt vmcnt(0)
	v_add_f64 v[75:76], v[83:84], -v[75:76]
	buffer_store_dword v76, off, s[0:3], 0 offset:100
	buffer_store_dword v75, off, s[0:3], 0 offset:96
	s_and_saveexec_b64 s[4:5], vcc
	s_cbranch_execz .LBB99_201
; %bb.200:
	buffer_load_dword v75, off, s[0:3], 0 offset:88
	buffer_load_dword v76, off, s[0:3], 0 offset:92
	s_waitcnt vmcnt(0)
	ds_write_b64 v73, v[75:76]
	buffer_store_dword v74, off, s[0:3], 0 offset:88
	buffer_store_dword v74, off, s[0:3], 0 offset:92
.LBB99_201:
	s_or_b64 exec, exec, s[4:5]
	s_waitcnt lgkmcnt(0)
	; wave barrier
	buffer_load_dword v83, off, s[0:3], 0 offset:96
	buffer_load_dword v84, off, s[0:3], 0 offset:100
	;; [unrolled: 1-line block ×21, first 2 shown]
	ds_read_b128 v[75:78], v74 offset:384
	ds_read_b128 v[79:82], v74 offset:400
	buffer_load_dword v100, off, s[0:3], 0 offset:180
	v_cmp_lt_u32_e32 vcc, 10, v0
	s_waitcnt vmcnt(20) lgkmcnt(1)
	v_fma_f64 v[75:76], v[83:84], v[75:76], 0
	s_waitcnt vmcnt(18)
	v_fma_f64 v[75:76], v[85:86], v[77:78], v[75:76]
	buffer_load_dword v84, off, s[0:3], 0 offset:188
	buffer_load_dword v85, off, s[0:3], 0 offset:208
	buffer_load_dword v105, off, s[0:3], 0 offset:200
	buffer_load_dword v107, off, s[0:3], 0 offset:192
	buffer_load_dword v83, off, s[0:3], 0 offset:184
	buffer_load_dword v108, off, s[0:3], 0 offset:196
	buffer_load_dword v106, off, s[0:3], 0 offset:204
	s_waitcnt vmcnt(23) lgkmcnt(0)
	v_fma_f64 v[75:76], v[87:88], v[79:80], v[75:76]
	s_waitcnt vmcnt(21)
	v_fma_f64 v[86:87], v[89:90], v[81:82], v[75:76]
	ds_read_b128 v[75:78], v74 offset:416
	ds_read_b128 v[79:82], v74 offset:432
	s_waitcnt vmcnt(19) lgkmcnt(1)
	v_fma_f64 v[75:76], v[91:92], v[75:76], v[86:87]
	buffer_load_dword v86, off, s[0:3], 0 offset:212
	s_waitcnt vmcnt(18)
	v_fma_f64 v[75:76], v[93:94], v[77:78], v[75:76]
	buffer_load_dword v88, off, s[0:3], 0 offset:220
	buffer_load_dword v89, off, s[0:3], 0 offset:240
	;; [unrolled: 1-line block ×8, first 2 shown]
	s_waitcnt vmcnt(24) lgkmcnt(0)
	v_fma_f64 v[75:76], v[95:96], v[79:80], v[75:76]
	s_waitcnt vmcnt(19)
	v_fma_f64 v[95:96], v[97:98], v[81:82], v[75:76]
	ds_read_b128 v[75:78], v74 offset:448
	ds_read_b128 v[79:82], v74 offset:464
	s_waitcnt vmcnt(18) lgkmcnt(1)
	v_fma_f64 v[75:76], v[103:104], v[75:76], v[95:96]
	s_waitcnt vmcnt(17)
	v_fma_f64 v[75:76], v[101:102], v[77:78], v[75:76]
	buffer_load_dword v96, off, s[0:3], 0 offset:252
	buffer_load_dword v97, off, s[0:3], 0 offset:272
	;; [unrolled: 1-line block ×8, first 2 shown]
	s_waitcnt vmcnt(24) lgkmcnt(0)
	v_fma_f64 v[75:76], v[99:100], v[79:80], v[75:76]
	s_waitcnt vmcnt(19)
	v_fma_f64 v[83:84], v[83:84], v[81:82], v[75:76]
	ds_read_b128 v[75:78], v74 offset:480
	ds_read_b128 v[79:82], v74 offset:496
	s_waitcnt vmcnt(18) lgkmcnt(1)
	v_fma_f64 v[75:76], v[107:108], v[75:76], v[83:84]
	buffer_load_dword v84, off, s[0:3], 0 offset:284
	buffer_load_dword v83, off, s[0:3], 0 offset:280
	;; [unrolled: 1-line block ×4, first 2 shown]
	s_waitcnt vmcnt(21)
	v_fma_f64 v[75:76], v[105:106], v[77:78], v[75:76]
	s_waitcnt vmcnt(20) lgkmcnt(0)
	v_fma_f64 v[75:76], v[85:86], v[79:80], v[75:76]
	s_waitcnt vmcnt(15)
	v_fma_f64 v[85:86], v[87:88], v[81:82], v[75:76]
	ds_read_b128 v[75:78], v74 offset:512
	ds_read_b128 v[79:82], v74 offset:528
	s_waitcnt vmcnt(14) lgkmcnt(1)
	v_fma_f64 v[75:76], v[93:94], v[75:76], v[85:86]
	s_waitcnt vmcnt(13)
	v_fma_f64 v[75:76], v[91:92], v[77:78], v[75:76]
	s_waitcnt vmcnt(12) lgkmcnt(0)
	v_fma_f64 v[75:76], v[89:90], v[79:80], v[75:76]
	s_waitcnt vmcnt(7)
	v_fma_f64 v[85:86], v[95:96], v[81:82], v[75:76]
	ds_read_b128 v[75:78], v74 offset:544
	ds_read_b128 v[79:82], v74 offset:560
	s_waitcnt vmcnt(6) lgkmcnt(1)
	v_fma_f64 v[74:75], v[103:104], v[75:76], v[85:86]
	s_waitcnt vmcnt(5)
	v_fma_f64 v[74:75], v[101:102], v[77:78], v[74:75]
	s_waitcnt vmcnt(4) lgkmcnt(0)
	v_fma_f64 v[74:75], v[97:98], v[79:80], v[74:75]
	s_waitcnt vmcnt(2)
	v_fma_f64 v[74:75], v[83:84], v[81:82], v[74:75]
	s_waitcnt vmcnt(0)
	v_add_f64 v[74:75], v[99:100], -v[74:75]
	buffer_store_dword v75, off, s[0:3], 0 offset:92
	buffer_store_dword v74, off, s[0:3], 0 offset:88
	s_and_saveexec_b64 s[4:5], vcc
	s_cbranch_execz .LBB99_203
; %bb.202:
	buffer_load_dword v74, off, s[0:3], 0 offset:80
	buffer_load_dword v75, off, s[0:3], 0 offset:84
	v_mov_b32_e32 v76, 0
	buffer_store_dword v76, off, s[0:3], 0 offset:80
	buffer_store_dword v76, off, s[0:3], 0 offset:84
	s_waitcnt vmcnt(2)
	ds_write_b64 v73, v[74:75]
.LBB99_203:
	s_or_b64 exec, exec, s[4:5]
	s_waitcnt lgkmcnt(0)
	; wave barrier
	buffer_load_dword v83, off, s[0:3], 0 offset:88
	buffer_load_dword v84, off, s[0:3], 0 offset:92
	buffer_load_dword v85, off, s[0:3], 0 offset:96
	buffer_load_dword v86, off, s[0:3], 0 offset:100
	buffer_load_dword v87, off, s[0:3], 0 offset:104
	buffer_load_dword v88, off, s[0:3], 0 offset:108
	buffer_load_dword v89, off, s[0:3], 0 offset:112
	buffer_load_dword v90, off, s[0:3], 0 offset:116
	buffer_load_dword v91, off, s[0:3], 0 offset:120
	buffer_load_dword v92, off, s[0:3], 0 offset:124
	buffer_load_dword v93, off, s[0:3], 0 offset:128
	buffer_load_dword v94, off, s[0:3], 0 offset:132
	buffer_load_dword v95, off, s[0:3], 0 offset:136
	buffer_load_dword v96, off, s[0:3], 0 offset:140
	buffer_load_dword v98, off, s[0:3], 0 offset:148
	buffer_load_dword v99, off, s[0:3], 0 offset:168
	buffer_load_dword v101, off, s[0:3], 0 offset:160
	buffer_load_dword v103, off, s[0:3], 0 offset:152
	buffer_load_dword v97, off, s[0:3], 0 offset:144
	buffer_load_dword v104, off, s[0:3], 0 offset:156
	buffer_load_dword v102, off, s[0:3], 0 offset:164
	v_mov_b32_e32 v74, 0
	ds_read2_b64 v[75:78], v74 offset0:47 offset1:48
	ds_read2_b64 v[79:82], v74 offset0:49 offset1:50
	buffer_load_dword v100, off, s[0:3], 0 offset:172
	v_cmp_lt_u32_e32 vcc, 9, v0
	s_waitcnt vmcnt(20) lgkmcnt(1)
	v_fma_f64 v[75:76], v[83:84], v[75:76], 0
	s_waitcnt vmcnt(18)
	v_fma_f64 v[75:76], v[85:86], v[77:78], v[75:76]
	buffer_load_dword v84, off, s[0:3], 0 offset:180
	buffer_load_dword v85, off, s[0:3], 0 offset:200
	buffer_load_dword v105, off, s[0:3], 0 offset:192
	buffer_load_dword v107, off, s[0:3], 0 offset:184
	buffer_load_dword v83, off, s[0:3], 0 offset:176
	buffer_load_dword v108, off, s[0:3], 0 offset:188
	buffer_load_dword v106, off, s[0:3], 0 offset:196
	s_waitcnt vmcnt(23) lgkmcnt(0)
	v_fma_f64 v[75:76], v[87:88], v[79:80], v[75:76]
	s_waitcnt vmcnt(21)
	v_fma_f64 v[86:87], v[89:90], v[81:82], v[75:76]
	ds_read2_b64 v[75:78], v74 offset0:51 offset1:52
	ds_read2_b64 v[79:82], v74 offset0:53 offset1:54
	s_waitcnt vmcnt(19) lgkmcnt(1)
	v_fma_f64 v[75:76], v[91:92], v[75:76], v[86:87]
	buffer_load_dword v86, off, s[0:3], 0 offset:204
	s_waitcnt vmcnt(18)
	v_fma_f64 v[75:76], v[93:94], v[77:78], v[75:76]
	buffer_load_dword v88, off, s[0:3], 0 offset:212
	buffer_load_dword v89, off, s[0:3], 0 offset:232
	;; [unrolled: 1-line block ×8, first 2 shown]
	s_waitcnt vmcnt(24) lgkmcnt(0)
	v_fma_f64 v[75:76], v[95:96], v[79:80], v[75:76]
	s_waitcnt vmcnt(19)
	v_fma_f64 v[95:96], v[97:98], v[81:82], v[75:76]
	ds_read2_b64 v[75:78], v74 offset0:55 offset1:56
	ds_read2_b64 v[79:82], v74 offset0:57 offset1:58
	s_waitcnt vmcnt(18) lgkmcnt(1)
	v_fma_f64 v[75:76], v[103:104], v[75:76], v[95:96]
	s_waitcnt vmcnt(17)
	v_fma_f64 v[75:76], v[101:102], v[77:78], v[75:76]
	buffer_load_dword v96, off, s[0:3], 0 offset:244
	buffer_load_dword v97, off, s[0:3], 0 offset:264
	;; [unrolled: 1-line block ×7, first 2 shown]
	s_waitcnt vmcnt(23) lgkmcnt(0)
	v_fma_f64 v[75:76], v[99:100], v[79:80], v[75:76]
	s_waitcnt vmcnt(18)
	v_fma_f64 v[83:84], v[83:84], v[81:82], v[75:76]
	ds_read2_b64 v[75:78], v74 offset0:59 offset1:60
	ds_read2_b64 v[79:82], v74 offset0:61 offset1:62
	buffer_load_dword v98, off, s[0:3], 0 offset:268
	s_waitcnt vmcnt(18) lgkmcnt(1)
	v_fma_f64 v[75:76], v[107:108], v[75:76], v[83:84]
	buffer_load_dword v84, off, s[0:3], 0 offset:276
	buffer_load_dword v99, off, s[0:3], 0 offset:280
	;; [unrolled: 1-line block ×4, first 2 shown]
	s_waitcnt vmcnt(21)
	v_fma_f64 v[75:76], v[105:106], v[77:78], v[75:76]
	s_waitcnt vmcnt(20) lgkmcnt(0)
	v_fma_f64 v[75:76], v[85:86], v[79:80], v[75:76]
	buffer_load_dword v85, off, s[0:3], 0 offset:80
	buffer_load_dword v86, off, s[0:3], 0 offset:84
	s_waitcnt vmcnt(17)
	v_fma_f64 v[87:88], v[87:88], v[81:82], v[75:76]
	ds_read2_b64 v[75:78], v74 offset0:63 offset1:64
	ds_read2_b64 v[79:82], v74 offset0:65 offset1:66
	s_waitcnt vmcnt(16) lgkmcnt(1)
	v_fma_f64 v[75:76], v[93:94], v[75:76], v[87:88]
	s_waitcnt vmcnt(15)
	v_fma_f64 v[75:76], v[91:92], v[77:78], v[75:76]
	s_waitcnt vmcnt(14) lgkmcnt(0)
	v_fma_f64 v[75:76], v[89:90], v[79:80], v[75:76]
	s_waitcnt vmcnt(9)
	v_fma_f64 v[87:88], v[95:96], v[81:82], v[75:76]
	ds_read2_b64 v[75:78], v74 offset0:67 offset1:68
	ds_read2_b64 v[79:82], v74 offset0:69 offset1:70
	s_waitcnt vmcnt(8) lgkmcnt(1)
	v_fma_f64 v[75:76], v[103:104], v[75:76], v[87:88]
	s_waitcnt vmcnt(7)
	v_fma_f64 v[75:76], v[101:102], v[77:78], v[75:76]
	ds_read_b64 v[77:78], v74 offset:568
	s_waitcnt vmcnt(6) lgkmcnt(1)
	v_fma_f64 v[75:76], v[97:98], v[79:80], v[75:76]
	s_waitcnt vmcnt(3)
	v_fma_f64 v[75:76], v[83:84], v[81:82], v[75:76]
	s_waitcnt vmcnt(2) lgkmcnt(0)
	v_fma_f64 v[75:76], v[99:100], v[77:78], v[75:76]
	s_waitcnt vmcnt(0)
	v_add_f64 v[75:76], v[85:86], -v[75:76]
	buffer_store_dword v76, off, s[0:3], 0 offset:84
	buffer_store_dword v75, off, s[0:3], 0 offset:80
	s_and_saveexec_b64 s[4:5], vcc
	s_cbranch_execz .LBB99_205
; %bb.204:
	buffer_load_dword v75, off, s[0:3], 0 offset:72
	buffer_load_dword v76, off, s[0:3], 0 offset:76
	s_waitcnt vmcnt(0)
	ds_write_b64 v73, v[75:76]
	buffer_store_dword v74, off, s[0:3], 0 offset:72
	buffer_store_dword v74, off, s[0:3], 0 offset:76
.LBB99_205:
	s_or_b64 exec, exec, s[4:5]
	s_waitcnt lgkmcnt(0)
	; wave barrier
	buffer_load_dword v83, off, s[0:3], 0 offset:80
	buffer_load_dword v84, off, s[0:3], 0 offset:84
	;; [unrolled: 1-line block ×22, first 2 shown]
	ds_read_b128 v[75:78], v74 offset:368
	ds_read_b128 v[79:82], v74 offset:384
	v_cmp_lt_u32_e32 vcc, 8, v0
	s_waitcnt vmcnt(20) lgkmcnt(1)
	v_fma_f64 v[75:76], v[83:84], v[75:76], 0
	s_waitcnt vmcnt(18)
	v_fma_f64 v[75:76], v[85:86], v[77:78], v[75:76]
	buffer_load_dword v84, off, s[0:3], 0 offset:172
	buffer_load_dword v85, off, s[0:3], 0 offset:192
	;; [unrolled: 1-line block ×7, first 2 shown]
	s_waitcnt vmcnt(23) lgkmcnt(0)
	v_fma_f64 v[75:76], v[87:88], v[79:80], v[75:76]
	s_waitcnt vmcnt(21)
	v_fma_f64 v[86:87], v[89:90], v[81:82], v[75:76]
	ds_read_b128 v[75:78], v74 offset:400
	ds_read_b128 v[79:82], v74 offset:416
	s_waitcnt vmcnt(19) lgkmcnt(1)
	v_fma_f64 v[75:76], v[91:92], v[75:76], v[86:87]
	buffer_load_dword v86, off, s[0:3], 0 offset:196
	s_waitcnt vmcnt(18)
	v_fma_f64 v[75:76], v[93:94], v[77:78], v[75:76]
	buffer_load_dword v88, off, s[0:3], 0 offset:204
	buffer_load_dword v89, off, s[0:3], 0 offset:224
	;; [unrolled: 1-line block ×8, first 2 shown]
	s_waitcnt vmcnt(24) lgkmcnt(0)
	v_fma_f64 v[75:76], v[95:96], v[79:80], v[75:76]
	s_waitcnt vmcnt(19)
	v_fma_f64 v[95:96], v[97:98], v[81:82], v[75:76]
	ds_read_b128 v[75:78], v74 offset:432
	ds_read_b128 v[79:82], v74 offset:448
	s_waitcnt vmcnt(18) lgkmcnt(1)
	v_fma_f64 v[75:76], v[103:104], v[75:76], v[95:96]
	s_waitcnt vmcnt(17)
	v_fma_f64 v[75:76], v[101:102], v[77:78], v[75:76]
	buffer_load_dword v96, off, s[0:3], 0 offset:236
	buffer_load_dword v97, off, s[0:3], 0 offset:256
	;; [unrolled: 1-line block ×8, first 2 shown]
	s_waitcnt vmcnt(24) lgkmcnt(0)
	v_fma_f64 v[75:76], v[99:100], v[79:80], v[75:76]
	s_waitcnt vmcnt(19)
	v_fma_f64 v[83:84], v[83:84], v[81:82], v[75:76]
	ds_read_b128 v[75:78], v74 offset:464
	ds_read_b128 v[79:82], v74 offset:480
	s_waitcnt vmcnt(18) lgkmcnt(1)
	v_fma_f64 v[75:76], v[107:108], v[75:76], v[83:84]
	s_waitcnt vmcnt(17)
	v_fma_f64 v[75:76], v[105:106], v[77:78], v[75:76]
	buffer_load_dword v84, off, s[0:3], 0 offset:268
	buffer_load_dword v99, off, s[0:3], 0 offset:280
	;; [unrolled: 1-line block ×6, first 2 shown]
	s_waitcnt vmcnt(22) lgkmcnt(0)
	v_fma_f64 v[75:76], v[85:86], v[79:80], v[75:76]
	s_waitcnt vmcnt(17)
	v_fma_f64 v[85:86], v[87:88], v[81:82], v[75:76]
	ds_read_b128 v[75:78], v74 offset:496
	buffer_load_dword v87, off, s[0:3], 0 offset:72
	buffer_load_dword v88, off, s[0:3], 0 offset:76
	ds_read_b128 v[79:82], v74 offset:512
	s_waitcnt vmcnt(18) lgkmcnt(1)
	v_fma_f64 v[75:76], v[93:94], v[75:76], v[85:86]
	s_waitcnt vmcnt(17)
	v_fma_f64 v[75:76], v[91:92], v[77:78], v[75:76]
	s_waitcnt vmcnt(16) lgkmcnt(0)
	v_fma_f64 v[75:76], v[89:90], v[79:80], v[75:76]
	s_waitcnt vmcnt(11)
	v_fma_f64 v[85:86], v[95:96], v[81:82], v[75:76]
	ds_read_b128 v[75:78], v74 offset:528
	ds_read_b128 v[79:82], v74 offset:544
	s_waitcnt vmcnt(10) lgkmcnt(1)
	v_fma_f64 v[75:76], v[103:104], v[75:76], v[85:86]
	s_waitcnt vmcnt(9)
	v_fma_f64 v[75:76], v[101:102], v[77:78], v[75:76]
	s_waitcnt vmcnt(8) lgkmcnt(0)
	v_fma_f64 v[75:76], v[97:98], v[79:80], v[75:76]
	s_waitcnt vmcnt(4)
	v_fma_f64 v[78:79], v[83:84], v[81:82], v[75:76]
	ds_read_b128 v[74:77], v74 offset:560
	s_waitcnt vmcnt(3) lgkmcnt(0)
	v_fma_f64 v[74:75], v[105:106], v[74:75], v[78:79]
	s_waitcnt vmcnt(2)
	v_fma_f64 v[74:75], v[99:100], v[76:77], v[74:75]
	s_waitcnt vmcnt(0)
	v_add_f64 v[74:75], v[87:88], -v[74:75]
	buffer_store_dword v75, off, s[0:3], 0 offset:76
	buffer_store_dword v74, off, s[0:3], 0 offset:72
	s_and_saveexec_b64 s[4:5], vcc
	s_cbranch_execz .LBB99_207
; %bb.206:
	buffer_load_dword v74, off, s[0:3], 0 offset:64
	buffer_load_dword v75, off, s[0:3], 0 offset:68
	v_mov_b32_e32 v76, 0
	buffer_store_dword v76, off, s[0:3], 0 offset:64
	buffer_store_dword v76, off, s[0:3], 0 offset:68
	s_waitcnt vmcnt(2)
	ds_write_b64 v73, v[74:75]
.LBB99_207:
	s_or_b64 exec, exec, s[4:5]
	s_waitcnt lgkmcnt(0)
	; wave barrier
	buffer_load_dword v83, off, s[0:3], 0 offset:72
	buffer_load_dword v84, off, s[0:3], 0 offset:76
	;; [unrolled: 1-line block ×22, first 2 shown]
	v_mov_b32_e32 v74, 0
	ds_read2_b64 v[75:78], v74 offset0:45 offset1:46
	ds_read2_b64 v[79:82], v74 offset0:47 offset1:48
	v_cmp_lt_u32_e32 vcc, 7, v0
	s_waitcnt vmcnt(20) lgkmcnt(1)
	v_fma_f64 v[75:76], v[83:84], v[75:76], 0
	s_waitcnt vmcnt(18)
	v_fma_f64 v[75:76], v[85:86], v[77:78], v[75:76]
	buffer_load_dword v84, off, s[0:3], 0 offset:164
	buffer_load_dword v85, off, s[0:3], 0 offset:184
	;; [unrolled: 1-line block ×7, first 2 shown]
	s_waitcnt vmcnt(23) lgkmcnt(0)
	v_fma_f64 v[75:76], v[87:88], v[79:80], v[75:76]
	s_waitcnt vmcnt(21)
	v_fma_f64 v[86:87], v[89:90], v[81:82], v[75:76]
	ds_read2_b64 v[75:78], v74 offset0:49 offset1:50
	ds_read2_b64 v[79:82], v74 offset0:51 offset1:52
	s_waitcnt vmcnt(19) lgkmcnt(1)
	v_fma_f64 v[75:76], v[91:92], v[75:76], v[86:87]
	buffer_load_dword v86, off, s[0:3], 0 offset:188
	s_waitcnt vmcnt(18)
	v_fma_f64 v[75:76], v[93:94], v[77:78], v[75:76]
	buffer_load_dword v88, off, s[0:3], 0 offset:196
	buffer_load_dword v89, off, s[0:3], 0 offset:216
	buffer_load_dword v91, off, s[0:3], 0 offset:208
	buffer_load_dword v93, off, s[0:3], 0 offset:200
	buffer_load_dword v87, off, s[0:3], 0 offset:192
	buffer_load_dword v94, off, s[0:3], 0 offset:204
	buffer_load_dword v92, off, s[0:3], 0 offset:212
	buffer_load_dword v90, off, s[0:3], 0 offset:220
	s_waitcnt vmcnt(24) lgkmcnt(0)
	v_fma_f64 v[75:76], v[95:96], v[79:80], v[75:76]
	s_waitcnt vmcnt(19)
	v_fma_f64 v[95:96], v[97:98], v[81:82], v[75:76]
	ds_read2_b64 v[75:78], v74 offset0:53 offset1:54
	ds_read2_b64 v[79:82], v74 offset0:55 offset1:56
	s_waitcnt vmcnt(18) lgkmcnt(1)
	v_fma_f64 v[75:76], v[103:104], v[75:76], v[95:96]
	s_waitcnt vmcnt(17)
	v_fma_f64 v[75:76], v[101:102], v[77:78], v[75:76]
	buffer_load_dword v96, off, s[0:3], 0 offset:228
	buffer_load_dword v97, off, s[0:3], 0 offset:248
	buffer_load_dword v101, off, s[0:3], 0 offset:240
	buffer_load_dword v103, off, s[0:3], 0 offset:232
	buffer_load_dword v95, off, s[0:3], 0 offset:224
	buffer_load_dword v104, off, s[0:3], 0 offset:236
	buffer_load_dword v102, off, s[0:3], 0 offset:244
	buffer_load_dword v98, off, s[0:3], 0 offset:252
	s_waitcnt vmcnt(24) lgkmcnt(0)
	v_fma_f64 v[75:76], v[99:100], v[79:80], v[75:76]
	s_waitcnt vmcnt(19)
	v_fma_f64 v[83:84], v[83:84], v[81:82], v[75:76]
	ds_read2_b64 v[75:78], v74 offset0:57 offset1:58
	ds_read2_b64 v[79:82], v74 offset0:59 offset1:60
	s_waitcnt vmcnt(18) lgkmcnt(1)
	v_fma_f64 v[75:76], v[107:108], v[75:76], v[83:84]
	;; [unrolled: 18-line block ×3, first 2 shown]
	buffer_load_dword v85, off, s[0:3], 0 offset:64
	buffer_load_dword v86, off, s[0:3], 0 offset:68
	s_waitcnt vmcnt(19)
	v_fma_f64 v[75:76], v[91:92], v[77:78], v[75:76]
	s_waitcnt vmcnt(18) lgkmcnt(0)
	v_fma_f64 v[75:76], v[89:90], v[79:80], v[75:76]
	s_waitcnt vmcnt(13)
	v_fma_f64 v[87:88], v[95:96], v[81:82], v[75:76]
	ds_read2_b64 v[75:78], v74 offset0:65 offset1:66
	ds_read2_b64 v[79:82], v74 offset0:67 offset1:68
	s_waitcnt vmcnt(12) lgkmcnt(1)
	v_fma_f64 v[75:76], v[103:104], v[75:76], v[87:88]
	s_waitcnt vmcnt(11)
	v_fma_f64 v[75:76], v[101:102], v[77:78], v[75:76]
	s_waitcnt vmcnt(10) lgkmcnt(0)
	v_fma_f64 v[75:76], v[97:98], v[79:80], v[75:76]
	s_waitcnt vmcnt(5)
	v_fma_f64 v[79:80], v[83:84], v[81:82], v[75:76]
	ds_read2_b64 v[75:78], v74 offset0:69 offset1:70
	ds_read_b64 v[81:82], v74 offset:568
	s_waitcnt vmcnt(4) lgkmcnt(1)
	v_fma_f64 v[75:76], v[107:108], v[75:76], v[79:80]
	s_waitcnt vmcnt(3)
	v_fma_f64 v[75:76], v[105:106], v[77:78], v[75:76]
	s_waitcnt vmcnt(2) lgkmcnt(0)
	v_fma_f64 v[75:76], v[99:100], v[81:82], v[75:76]
	s_waitcnt vmcnt(0)
	v_add_f64 v[75:76], v[85:86], -v[75:76]
	buffer_store_dword v76, off, s[0:3], 0 offset:68
	buffer_store_dword v75, off, s[0:3], 0 offset:64
	s_and_saveexec_b64 s[4:5], vcc
	s_cbranch_execz .LBB99_209
; %bb.208:
	buffer_load_dword v75, off, s[0:3], 0 offset:56
	buffer_load_dword v76, off, s[0:3], 0 offset:60
	s_waitcnt vmcnt(0)
	ds_write_b64 v73, v[75:76]
	buffer_store_dword v74, off, s[0:3], 0 offset:56
	buffer_store_dword v74, off, s[0:3], 0 offset:60
.LBB99_209:
	s_or_b64 exec, exec, s[4:5]
	s_waitcnt lgkmcnt(0)
	; wave barrier
	buffer_load_dword v83, off, s[0:3], 0 offset:64
	buffer_load_dword v84, off, s[0:3], 0 offset:68
	;; [unrolled: 1-line block ×22, first 2 shown]
	ds_read_b128 v[75:78], v74 offset:352
	ds_read_b128 v[79:82], v74 offset:368
	v_cmp_lt_u32_e32 vcc, 6, v0
	s_waitcnt vmcnt(20) lgkmcnt(1)
	v_fma_f64 v[75:76], v[83:84], v[75:76], 0
	s_waitcnt vmcnt(18)
	v_fma_f64 v[75:76], v[85:86], v[77:78], v[75:76]
	buffer_load_dword v84, off, s[0:3], 0 offset:156
	buffer_load_dword v85, off, s[0:3], 0 offset:176
	;; [unrolled: 1-line block ×7, first 2 shown]
	s_waitcnt vmcnt(23) lgkmcnt(0)
	v_fma_f64 v[75:76], v[87:88], v[79:80], v[75:76]
	s_waitcnt vmcnt(21)
	v_fma_f64 v[86:87], v[89:90], v[81:82], v[75:76]
	ds_read_b128 v[75:78], v74 offset:384
	ds_read_b128 v[79:82], v74 offset:400
	s_waitcnt vmcnt(19) lgkmcnt(1)
	v_fma_f64 v[75:76], v[91:92], v[75:76], v[86:87]
	buffer_load_dword v86, off, s[0:3], 0 offset:180
	s_waitcnt vmcnt(18)
	v_fma_f64 v[75:76], v[93:94], v[77:78], v[75:76]
	buffer_load_dword v88, off, s[0:3], 0 offset:188
	buffer_load_dword v89, off, s[0:3], 0 offset:208
	buffer_load_dword v91, off, s[0:3], 0 offset:200
	buffer_load_dword v93, off, s[0:3], 0 offset:192
	buffer_load_dword v87, off, s[0:3], 0 offset:184
	buffer_load_dword v94, off, s[0:3], 0 offset:196
	buffer_load_dword v92, off, s[0:3], 0 offset:204
	buffer_load_dword v90, off, s[0:3], 0 offset:212
	s_waitcnt vmcnt(24) lgkmcnt(0)
	v_fma_f64 v[75:76], v[95:96], v[79:80], v[75:76]
	s_waitcnt vmcnt(19)
	v_fma_f64 v[95:96], v[97:98], v[81:82], v[75:76]
	ds_read_b128 v[75:78], v74 offset:416
	ds_read_b128 v[79:82], v74 offset:432
	s_waitcnt vmcnt(18) lgkmcnt(1)
	v_fma_f64 v[75:76], v[103:104], v[75:76], v[95:96]
	s_waitcnt vmcnt(17)
	v_fma_f64 v[75:76], v[101:102], v[77:78], v[75:76]
	buffer_load_dword v96, off, s[0:3], 0 offset:220
	buffer_load_dword v97, off, s[0:3], 0 offset:240
	buffer_load_dword v101, off, s[0:3], 0 offset:232
	buffer_load_dword v103, off, s[0:3], 0 offset:224
	buffer_load_dword v95, off, s[0:3], 0 offset:216
	buffer_load_dword v104, off, s[0:3], 0 offset:228
	buffer_load_dword v102, off, s[0:3], 0 offset:236
	buffer_load_dword v98, off, s[0:3], 0 offset:244
	s_waitcnt vmcnt(24) lgkmcnt(0)
	v_fma_f64 v[75:76], v[99:100], v[79:80], v[75:76]
	s_waitcnt vmcnt(19)
	v_fma_f64 v[83:84], v[83:84], v[81:82], v[75:76]
	ds_read_b128 v[75:78], v74 offset:448
	ds_read_b128 v[79:82], v74 offset:464
	s_waitcnt vmcnt(18) lgkmcnt(1)
	v_fma_f64 v[75:76], v[107:108], v[75:76], v[83:84]
	s_waitcnt vmcnt(17)
	v_fma_f64 v[75:76], v[105:106], v[77:78], v[75:76]
	buffer_load_dword v84, off, s[0:3], 0 offset:252
	buffer_load_dword v99, off, s[0:3], 0 offset:272
	buffer_load_dword v105, off, s[0:3], 0 offset:264
	buffer_load_dword v107, off, s[0:3], 0 offset:256
	buffer_load_dword v83, off, s[0:3], 0 offset:248
	buffer_load_dword v108, off, s[0:3], 0 offset:260
	buffer_load_dword v106, off, s[0:3], 0 offset:268
	buffer_load_dword v100, off, s[0:3], 0 offset:276
	s_waitcnt vmcnt(24) lgkmcnt(0)
	v_fma_f64 v[75:76], v[85:86], v[79:80], v[75:76]
	s_waitcnt vmcnt(19)
	v_fma_f64 v[85:86], v[87:88], v[81:82], v[75:76]
	ds_read_b128 v[75:78], v74 offset:480
	ds_read_b128 v[79:82], v74 offset:496
	s_waitcnt vmcnt(18) lgkmcnt(1)
	v_fma_f64 v[75:76], v[93:94], v[75:76], v[85:86]
	buffer_load_dword v86, off, s[0:3], 0 offset:284
	buffer_load_dword v85, off, s[0:3], 0 offset:280
	;; [unrolled: 1-line block ×4, first 2 shown]
	s_waitcnt vmcnt(21)
	v_fma_f64 v[75:76], v[91:92], v[77:78], v[75:76]
	s_waitcnt vmcnt(20) lgkmcnt(0)
	v_fma_f64 v[75:76], v[89:90], v[79:80], v[75:76]
	s_waitcnt vmcnt(15)
	v_fma_f64 v[89:90], v[95:96], v[81:82], v[75:76]
	ds_read_b128 v[75:78], v74 offset:512
	ds_read_b128 v[79:82], v74 offset:528
	s_waitcnt vmcnt(14) lgkmcnt(1)
	v_fma_f64 v[75:76], v[103:104], v[75:76], v[89:90]
	s_waitcnt vmcnt(13)
	v_fma_f64 v[75:76], v[101:102], v[77:78], v[75:76]
	s_waitcnt vmcnt(12) lgkmcnt(0)
	v_fma_f64 v[75:76], v[97:98], v[79:80], v[75:76]
	s_waitcnt vmcnt(7)
	v_fma_f64 v[83:84], v[83:84], v[81:82], v[75:76]
	ds_read_b128 v[75:78], v74 offset:544
	ds_read_b128 v[79:82], v74 offset:560
	s_waitcnt vmcnt(6) lgkmcnt(1)
	v_fma_f64 v[74:75], v[107:108], v[75:76], v[83:84]
	s_waitcnt vmcnt(5)
	v_fma_f64 v[74:75], v[105:106], v[77:78], v[74:75]
	s_waitcnt vmcnt(4) lgkmcnt(0)
	v_fma_f64 v[74:75], v[99:100], v[79:80], v[74:75]
	s_waitcnt vmcnt(2)
	v_fma_f64 v[74:75], v[85:86], v[81:82], v[74:75]
	s_waitcnt vmcnt(0)
	v_add_f64 v[74:75], v[87:88], -v[74:75]
	buffer_store_dword v75, off, s[0:3], 0 offset:60
	buffer_store_dword v74, off, s[0:3], 0 offset:56
	s_and_saveexec_b64 s[4:5], vcc
	s_cbranch_execz .LBB99_211
; %bb.210:
	buffer_load_dword v74, off, s[0:3], 0 offset:48
	buffer_load_dword v75, off, s[0:3], 0 offset:52
	v_mov_b32_e32 v76, 0
	buffer_store_dword v76, off, s[0:3], 0 offset:48
	buffer_store_dword v76, off, s[0:3], 0 offset:52
	s_waitcnt vmcnt(2)
	ds_write_b64 v73, v[74:75]
.LBB99_211:
	s_or_b64 exec, exec, s[4:5]
	s_waitcnt lgkmcnt(0)
	; wave barrier
	buffer_load_dword v83, off, s[0:3], 0 offset:56
	buffer_load_dword v84, off, s[0:3], 0 offset:60
	;; [unrolled: 1-line block ×22, first 2 shown]
	v_mov_b32_e32 v74, 0
	ds_read2_b64 v[75:78], v74 offset0:43 offset1:44
	ds_read2_b64 v[79:82], v74 offset0:45 offset1:46
	v_cmp_lt_u32_e32 vcc, 5, v0
	s_waitcnt vmcnt(20) lgkmcnt(1)
	v_fma_f64 v[75:76], v[83:84], v[75:76], 0
	s_waitcnt vmcnt(18)
	v_fma_f64 v[75:76], v[85:86], v[77:78], v[75:76]
	buffer_load_dword v84, off, s[0:3], 0 offset:148
	buffer_load_dword v85, off, s[0:3], 0 offset:168
	;; [unrolled: 1-line block ×7, first 2 shown]
	s_waitcnt vmcnt(23) lgkmcnt(0)
	v_fma_f64 v[75:76], v[87:88], v[79:80], v[75:76]
	s_waitcnt vmcnt(21)
	v_fma_f64 v[86:87], v[89:90], v[81:82], v[75:76]
	ds_read2_b64 v[75:78], v74 offset0:47 offset1:48
	ds_read2_b64 v[79:82], v74 offset0:49 offset1:50
	s_waitcnt vmcnt(19) lgkmcnt(1)
	v_fma_f64 v[75:76], v[91:92], v[75:76], v[86:87]
	buffer_load_dword v86, off, s[0:3], 0 offset:172
	s_waitcnt vmcnt(18)
	v_fma_f64 v[75:76], v[93:94], v[77:78], v[75:76]
	buffer_load_dword v88, off, s[0:3], 0 offset:180
	buffer_load_dword v89, off, s[0:3], 0 offset:200
	buffer_load_dword v91, off, s[0:3], 0 offset:192
	buffer_load_dword v93, off, s[0:3], 0 offset:184
	buffer_load_dword v87, off, s[0:3], 0 offset:176
	buffer_load_dword v94, off, s[0:3], 0 offset:188
	buffer_load_dword v92, off, s[0:3], 0 offset:196
	s_waitcnt vmcnt(23) lgkmcnt(0)
	v_fma_f64 v[75:76], v[95:96], v[79:80], v[75:76]
	s_waitcnt vmcnt(18)
	v_fma_f64 v[95:96], v[97:98], v[81:82], v[75:76]
	ds_read2_b64 v[75:78], v74 offset0:51 offset1:52
	ds_read2_b64 v[79:82], v74 offset0:53 offset1:54
	buffer_load_dword v90, off, s[0:3], 0 offset:204
	s_waitcnt vmcnt(18) lgkmcnt(1)
	v_fma_f64 v[75:76], v[103:104], v[75:76], v[95:96]
	s_waitcnt vmcnt(17)
	v_fma_f64 v[75:76], v[101:102], v[77:78], v[75:76]
	buffer_load_dword v96, off, s[0:3], 0 offset:212
	buffer_load_dword v97, off, s[0:3], 0 offset:232
	;; [unrolled: 1-line block ×8, first 2 shown]
	s_waitcnt vmcnt(24) lgkmcnt(0)
	v_fma_f64 v[75:76], v[99:100], v[79:80], v[75:76]
	s_waitcnt vmcnt(19)
	v_fma_f64 v[83:84], v[83:84], v[81:82], v[75:76]
	ds_read2_b64 v[75:78], v74 offset0:55 offset1:56
	ds_read2_b64 v[79:82], v74 offset0:57 offset1:58
	s_waitcnt vmcnt(18) lgkmcnt(1)
	v_fma_f64 v[75:76], v[107:108], v[75:76], v[83:84]
	s_waitcnt vmcnt(17)
	v_fma_f64 v[75:76], v[105:106], v[77:78], v[75:76]
	buffer_load_dword v84, off, s[0:3], 0 offset:244
	buffer_load_dword v99, off, s[0:3], 0 offset:264
	;; [unrolled: 1-line block ×7, first 2 shown]
	s_waitcnt vmcnt(23) lgkmcnt(0)
	v_fma_f64 v[75:76], v[85:86], v[79:80], v[75:76]
	s_waitcnt vmcnt(18)
	v_fma_f64 v[85:86], v[87:88], v[81:82], v[75:76]
	ds_read2_b64 v[75:78], v74 offset0:59 offset1:60
	ds_read2_b64 v[79:82], v74 offset0:61 offset1:62
	buffer_load_dword v100, off, s[0:3], 0 offset:268
	s_waitcnt vmcnt(18) lgkmcnt(1)
	v_fma_f64 v[75:76], v[93:94], v[75:76], v[85:86]
	buffer_load_dword v86, off, s[0:3], 0 offset:276
	buffer_load_dword v87, off, s[0:3], 0 offset:280
	;; [unrolled: 1-line block ×4, first 2 shown]
	s_waitcnt vmcnt(21)
	v_fma_f64 v[75:76], v[91:92], v[77:78], v[75:76]
	s_waitcnt vmcnt(20) lgkmcnt(0)
	v_fma_f64 v[75:76], v[89:90], v[79:80], v[75:76]
	buffer_load_dword v89, off, s[0:3], 0 offset:48
	buffer_load_dword v90, off, s[0:3], 0 offset:52
	s_waitcnt vmcnt(17)
	v_fma_f64 v[91:92], v[95:96], v[81:82], v[75:76]
	ds_read2_b64 v[75:78], v74 offset0:63 offset1:64
	ds_read2_b64 v[79:82], v74 offset0:65 offset1:66
	s_waitcnt vmcnt(16) lgkmcnt(1)
	v_fma_f64 v[75:76], v[103:104], v[75:76], v[91:92]
	s_waitcnt vmcnt(15)
	v_fma_f64 v[75:76], v[101:102], v[77:78], v[75:76]
	s_waitcnt vmcnt(14) lgkmcnt(0)
	v_fma_f64 v[75:76], v[97:98], v[79:80], v[75:76]
	s_waitcnt vmcnt(9)
	v_fma_f64 v[83:84], v[83:84], v[81:82], v[75:76]
	ds_read2_b64 v[75:78], v74 offset0:67 offset1:68
	ds_read2_b64 v[79:82], v74 offset0:69 offset1:70
	s_waitcnt vmcnt(8) lgkmcnt(1)
	v_fma_f64 v[75:76], v[107:108], v[75:76], v[83:84]
	s_waitcnt vmcnt(7)
	v_fma_f64 v[75:76], v[105:106], v[77:78], v[75:76]
	ds_read_b64 v[77:78], v74 offset:568
	s_waitcnt vmcnt(6) lgkmcnt(1)
	v_fma_f64 v[75:76], v[99:100], v[79:80], v[75:76]
	s_waitcnt vmcnt(3)
	v_fma_f64 v[75:76], v[85:86], v[81:82], v[75:76]
	s_waitcnt vmcnt(2) lgkmcnt(0)
	v_fma_f64 v[75:76], v[87:88], v[77:78], v[75:76]
	s_waitcnt vmcnt(0)
	v_add_f64 v[75:76], v[89:90], -v[75:76]
	buffer_store_dword v76, off, s[0:3], 0 offset:52
	buffer_store_dword v75, off, s[0:3], 0 offset:48
	s_and_saveexec_b64 s[4:5], vcc
	s_cbranch_execz .LBB99_213
; %bb.212:
	buffer_load_dword v75, off, s[0:3], 0 offset:40
	buffer_load_dword v76, off, s[0:3], 0 offset:44
	s_waitcnt vmcnt(0)
	ds_write_b64 v73, v[75:76]
	buffer_store_dword v74, off, s[0:3], 0 offset:40
	buffer_store_dword v74, off, s[0:3], 0 offset:44
.LBB99_213:
	s_or_b64 exec, exec, s[4:5]
	s_waitcnt lgkmcnt(0)
	; wave barrier
	buffer_load_dword v83, off, s[0:3], 0 offset:48
	buffer_load_dword v84, off, s[0:3], 0 offset:52
	;; [unrolled: 1-line block ×22, first 2 shown]
	ds_read_b128 v[75:78], v74 offset:336
	ds_read_b128 v[79:82], v74 offset:352
	v_cmp_lt_u32_e32 vcc, 4, v0
	s_waitcnt vmcnt(20) lgkmcnt(1)
	v_fma_f64 v[75:76], v[83:84], v[75:76], 0
	s_waitcnt vmcnt(18)
	v_fma_f64 v[75:76], v[85:86], v[77:78], v[75:76]
	buffer_load_dword v84, off, s[0:3], 0 offset:140
	buffer_load_dword v85, off, s[0:3], 0 offset:160
	;; [unrolled: 1-line block ×7, first 2 shown]
	s_waitcnt vmcnt(23) lgkmcnt(0)
	v_fma_f64 v[75:76], v[87:88], v[79:80], v[75:76]
	s_waitcnt vmcnt(21)
	v_fma_f64 v[86:87], v[89:90], v[81:82], v[75:76]
	ds_read_b128 v[75:78], v74 offset:368
	ds_read_b128 v[79:82], v74 offset:384
	s_waitcnt vmcnt(19) lgkmcnt(1)
	v_fma_f64 v[75:76], v[91:92], v[75:76], v[86:87]
	buffer_load_dword v86, off, s[0:3], 0 offset:164
	s_waitcnt vmcnt(18)
	v_fma_f64 v[75:76], v[93:94], v[77:78], v[75:76]
	buffer_load_dword v88, off, s[0:3], 0 offset:172
	buffer_load_dword v89, off, s[0:3], 0 offset:192
	;; [unrolled: 1-line block ×7, first 2 shown]
	s_waitcnt vmcnt(23) lgkmcnt(0)
	v_fma_f64 v[75:76], v[95:96], v[79:80], v[75:76]
	s_waitcnt vmcnt(18)
	v_fma_f64 v[95:96], v[97:98], v[81:82], v[75:76]
	ds_read_b128 v[75:78], v74 offset:400
	ds_read_b128 v[79:82], v74 offset:416
	buffer_load_dword v90, off, s[0:3], 0 offset:196
	s_waitcnt vmcnt(18) lgkmcnt(1)
	v_fma_f64 v[75:76], v[103:104], v[75:76], v[95:96]
	s_waitcnt vmcnt(17)
	v_fma_f64 v[75:76], v[101:102], v[77:78], v[75:76]
	buffer_load_dword v96, off, s[0:3], 0 offset:204
	buffer_load_dword v97, off, s[0:3], 0 offset:224
	;; [unrolled: 1-line block ×8, first 2 shown]
	s_waitcnt vmcnt(24) lgkmcnt(0)
	v_fma_f64 v[75:76], v[99:100], v[79:80], v[75:76]
	s_waitcnt vmcnt(19)
	v_fma_f64 v[83:84], v[83:84], v[81:82], v[75:76]
	ds_read_b128 v[75:78], v74 offset:432
	ds_read_b128 v[79:82], v74 offset:448
	s_waitcnt vmcnt(18) lgkmcnt(1)
	v_fma_f64 v[75:76], v[107:108], v[75:76], v[83:84]
	s_waitcnt vmcnt(17)
	v_fma_f64 v[75:76], v[105:106], v[77:78], v[75:76]
	buffer_load_dword v84, off, s[0:3], 0 offset:236
	buffer_load_dword v99, off, s[0:3], 0 offset:256
	;; [unrolled: 1-line block ×8, first 2 shown]
	s_waitcnt vmcnt(24) lgkmcnt(0)
	v_fma_f64 v[75:76], v[85:86], v[79:80], v[75:76]
	s_waitcnt vmcnt(19)
	v_fma_f64 v[85:86], v[87:88], v[81:82], v[75:76]
	ds_read_b128 v[75:78], v74 offset:464
	ds_read_b128 v[79:82], v74 offset:480
	s_waitcnt vmcnt(18) lgkmcnt(1)
	v_fma_f64 v[75:76], v[93:94], v[75:76], v[85:86]
	s_waitcnt vmcnt(17)
	v_fma_f64 v[75:76], v[91:92], v[77:78], v[75:76]
	buffer_load_dword v86, off, s[0:3], 0 offset:268
	buffer_load_dword v87, off, s[0:3], 0 offset:280
	;; [unrolled: 1-line block ×6, first 2 shown]
	s_waitcnt vmcnt(22) lgkmcnt(0)
	v_fma_f64 v[75:76], v[89:90], v[79:80], v[75:76]
	s_waitcnt vmcnt(17)
	v_fma_f64 v[89:90], v[95:96], v[81:82], v[75:76]
	ds_read_b128 v[75:78], v74 offset:496
	buffer_load_dword v93, off, s[0:3], 0 offset:40
	buffer_load_dword v94, off, s[0:3], 0 offset:44
	ds_read_b128 v[79:82], v74 offset:512
	s_waitcnt vmcnt(18) lgkmcnt(1)
	v_fma_f64 v[75:76], v[103:104], v[75:76], v[89:90]
	s_waitcnt vmcnt(17)
	v_fma_f64 v[75:76], v[101:102], v[77:78], v[75:76]
	s_waitcnt vmcnt(16) lgkmcnt(0)
	v_fma_f64 v[75:76], v[97:98], v[79:80], v[75:76]
	s_waitcnt vmcnt(11)
	v_fma_f64 v[83:84], v[83:84], v[81:82], v[75:76]
	ds_read_b128 v[75:78], v74 offset:528
	ds_read_b128 v[79:82], v74 offset:544
	s_waitcnt vmcnt(10) lgkmcnt(1)
	v_fma_f64 v[75:76], v[107:108], v[75:76], v[83:84]
	s_waitcnt vmcnt(9)
	v_fma_f64 v[75:76], v[105:106], v[77:78], v[75:76]
	s_waitcnt vmcnt(8) lgkmcnt(0)
	v_fma_f64 v[75:76], v[99:100], v[79:80], v[75:76]
	s_waitcnt vmcnt(4)
	v_fma_f64 v[78:79], v[85:86], v[81:82], v[75:76]
	ds_read_b128 v[74:77], v74 offset:560
	s_waitcnt vmcnt(3) lgkmcnt(0)
	v_fma_f64 v[74:75], v[91:92], v[74:75], v[78:79]
	s_waitcnt vmcnt(2)
	v_fma_f64 v[74:75], v[87:88], v[76:77], v[74:75]
	s_waitcnt vmcnt(0)
	v_add_f64 v[74:75], v[93:94], -v[74:75]
	buffer_store_dword v75, off, s[0:3], 0 offset:44
	buffer_store_dword v74, off, s[0:3], 0 offset:40
	s_and_saveexec_b64 s[4:5], vcc
	s_cbranch_execz .LBB99_215
; %bb.214:
	buffer_load_dword v74, off, s[0:3], 0 offset:32
	buffer_load_dword v75, off, s[0:3], 0 offset:36
	v_mov_b32_e32 v76, 0
	buffer_store_dword v76, off, s[0:3], 0 offset:32
	buffer_store_dword v76, off, s[0:3], 0 offset:36
	s_waitcnt vmcnt(2)
	ds_write_b64 v73, v[74:75]
.LBB99_215:
	s_or_b64 exec, exec, s[4:5]
	s_waitcnt lgkmcnt(0)
	; wave barrier
	buffer_load_dword v83, off, s[0:3], 0 offset:40
	buffer_load_dword v84, off, s[0:3], 0 offset:44
	buffer_load_dword v85, off, s[0:3], 0 offset:48
	buffer_load_dword v86, off, s[0:3], 0 offset:52
	buffer_load_dword v87, off, s[0:3], 0 offset:56
	buffer_load_dword v88, off, s[0:3], 0 offset:60
	buffer_load_dword v89, off, s[0:3], 0 offset:64
	buffer_load_dword v90, off, s[0:3], 0 offset:68
	buffer_load_dword v91, off, s[0:3], 0 offset:72
	buffer_load_dword v92, off, s[0:3], 0 offset:76
	buffer_load_dword v93, off, s[0:3], 0 offset:80
	buffer_load_dword v94, off, s[0:3], 0 offset:84
	buffer_load_dword v95, off, s[0:3], 0 offset:88
	buffer_load_dword v96, off, s[0:3], 0 offset:92
	buffer_load_dword v98, off, s[0:3], 0 offset:100
	buffer_load_dword v99, off, s[0:3], 0 offset:120
	buffer_load_dword v101, off, s[0:3], 0 offset:112
	buffer_load_dword v103, off, s[0:3], 0 offset:104
	buffer_load_dword v97, off, s[0:3], 0 offset:96
	buffer_load_dword v104, off, s[0:3], 0 offset:108
	buffer_load_dword v102, off, s[0:3], 0 offset:116
	buffer_load_dword v100, off, s[0:3], 0 offset:124
	v_mov_b32_e32 v74, 0
	ds_read2_b64 v[75:78], v74 offset0:41 offset1:42
	ds_read2_b64 v[79:82], v74 offset0:43 offset1:44
	v_cmp_lt_u32_e32 vcc, 3, v0
	s_waitcnt vmcnt(20) lgkmcnt(1)
	v_fma_f64 v[75:76], v[83:84], v[75:76], 0
	s_waitcnt vmcnt(18)
	v_fma_f64 v[75:76], v[85:86], v[77:78], v[75:76]
	buffer_load_dword v84, off, s[0:3], 0 offset:132
	buffer_load_dword v85, off, s[0:3], 0 offset:152
	;; [unrolled: 1-line block ×7, first 2 shown]
	s_waitcnt vmcnt(23) lgkmcnt(0)
	v_fma_f64 v[75:76], v[87:88], v[79:80], v[75:76]
	s_waitcnt vmcnt(21)
	v_fma_f64 v[86:87], v[89:90], v[81:82], v[75:76]
	ds_read2_b64 v[75:78], v74 offset0:45 offset1:46
	ds_read2_b64 v[79:82], v74 offset0:47 offset1:48
	s_waitcnt vmcnt(19) lgkmcnt(1)
	v_fma_f64 v[75:76], v[91:92], v[75:76], v[86:87]
	buffer_load_dword v86, off, s[0:3], 0 offset:156
	s_waitcnt vmcnt(18)
	v_fma_f64 v[75:76], v[93:94], v[77:78], v[75:76]
	buffer_load_dword v88, off, s[0:3], 0 offset:164
	buffer_load_dword v89, off, s[0:3], 0 offset:184
	;; [unrolled: 1-line block ×7, first 2 shown]
	s_waitcnt vmcnt(23) lgkmcnt(0)
	v_fma_f64 v[75:76], v[95:96], v[79:80], v[75:76]
	s_waitcnt vmcnt(18)
	v_fma_f64 v[95:96], v[97:98], v[81:82], v[75:76]
	ds_read2_b64 v[75:78], v74 offset0:49 offset1:50
	ds_read2_b64 v[79:82], v74 offset0:51 offset1:52
	buffer_load_dword v90, off, s[0:3], 0 offset:188
	s_waitcnt vmcnt(18) lgkmcnt(1)
	v_fma_f64 v[75:76], v[103:104], v[75:76], v[95:96]
	s_waitcnt vmcnt(17)
	v_fma_f64 v[75:76], v[101:102], v[77:78], v[75:76]
	buffer_load_dword v96, off, s[0:3], 0 offset:196
	buffer_load_dword v97, off, s[0:3], 0 offset:216
	buffer_load_dword v101, off, s[0:3], 0 offset:208
	buffer_load_dword v103, off, s[0:3], 0 offset:200
	buffer_load_dword v95, off, s[0:3], 0 offset:192
	buffer_load_dword v104, off, s[0:3], 0 offset:204
	buffer_load_dword v102, off, s[0:3], 0 offset:212
	buffer_load_dword v98, off, s[0:3], 0 offset:220
	s_waitcnt vmcnt(24) lgkmcnt(0)
	v_fma_f64 v[75:76], v[99:100], v[79:80], v[75:76]
	s_waitcnt vmcnt(19)
	v_fma_f64 v[83:84], v[83:84], v[81:82], v[75:76]
	ds_read2_b64 v[75:78], v74 offset0:53 offset1:54
	ds_read2_b64 v[79:82], v74 offset0:55 offset1:56
	s_waitcnt vmcnt(18) lgkmcnt(1)
	v_fma_f64 v[75:76], v[107:108], v[75:76], v[83:84]
	s_waitcnt vmcnt(17)
	v_fma_f64 v[75:76], v[105:106], v[77:78], v[75:76]
	buffer_load_dword v84, off, s[0:3], 0 offset:228
	buffer_load_dword v99, off, s[0:3], 0 offset:248
	buffer_load_dword v105, off, s[0:3], 0 offset:240
	buffer_load_dword v107, off, s[0:3], 0 offset:232
	buffer_load_dword v83, off, s[0:3], 0 offset:224
	buffer_load_dword v108, off, s[0:3], 0 offset:236
	buffer_load_dword v106, off, s[0:3], 0 offset:244
	buffer_load_dword v100, off, s[0:3], 0 offset:252
	s_waitcnt vmcnt(24) lgkmcnt(0)
	v_fma_f64 v[75:76], v[85:86], v[79:80], v[75:76]
	s_waitcnt vmcnt(19)
	v_fma_f64 v[85:86], v[87:88], v[81:82], v[75:76]
	ds_read2_b64 v[75:78], v74 offset0:57 offset1:58
	ds_read2_b64 v[79:82], v74 offset0:59 offset1:60
	;; [unrolled: 18-line block ×3, first 2 shown]
	s_waitcnt vmcnt(18) lgkmcnt(1)
	v_fma_f64 v[75:76], v[103:104], v[75:76], v[89:90]
	buffer_load_dword v89, off, s[0:3], 0 offset:32
	buffer_load_dword v90, off, s[0:3], 0 offset:36
	s_waitcnt vmcnt(19)
	v_fma_f64 v[75:76], v[101:102], v[77:78], v[75:76]
	s_waitcnt vmcnt(18) lgkmcnt(0)
	v_fma_f64 v[75:76], v[97:98], v[79:80], v[75:76]
	s_waitcnt vmcnt(13)
	v_fma_f64 v[83:84], v[83:84], v[81:82], v[75:76]
	ds_read2_b64 v[75:78], v74 offset0:65 offset1:66
	ds_read2_b64 v[79:82], v74 offset0:67 offset1:68
	s_waitcnt vmcnt(12) lgkmcnt(1)
	v_fma_f64 v[75:76], v[107:108], v[75:76], v[83:84]
	s_waitcnt vmcnt(11)
	v_fma_f64 v[75:76], v[105:106], v[77:78], v[75:76]
	s_waitcnt vmcnt(10) lgkmcnt(0)
	v_fma_f64 v[75:76], v[99:100], v[79:80], v[75:76]
	s_waitcnt vmcnt(5)
	v_fma_f64 v[79:80], v[85:86], v[81:82], v[75:76]
	ds_read2_b64 v[75:78], v74 offset0:69 offset1:70
	ds_read_b64 v[81:82], v74 offset:568
	s_waitcnt vmcnt(4) lgkmcnt(1)
	v_fma_f64 v[75:76], v[93:94], v[75:76], v[79:80]
	s_waitcnt vmcnt(3)
	v_fma_f64 v[75:76], v[91:92], v[77:78], v[75:76]
	s_waitcnt vmcnt(2) lgkmcnt(0)
	v_fma_f64 v[75:76], v[87:88], v[81:82], v[75:76]
	s_waitcnt vmcnt(0)
	v_add_f64 v[75:76], v[89:90], -v[75:76]
	buffer_store_dword v76, off, s[0:3], 0 offset:36
	buffer_store_dword v75, off, s[0:3], 0 offset:32
	s_and_saveexec_b64 s[4:5], vcc
	s_cbranch_execz .LBB99_217
; %bb.216:
	buffer_load_dword v75, off, s[0:3], 0 offset:24
	buffer_load_dword v76, off, s[0:3], 0 offset:28
	s_waitcnt vmcnt(0)
	ds_write_b64 v73, v[75:76]
	buffer_store_dword v74, off, s[0:3], 0 offset:24
	buffer_store_dword v74, off, s[0:3], 0 offset:28
.LBB99_217:
	s_or_b64 exec, exec, s[4:5]
	s_waitcnt lgkmcnt(0)
	; wave barrier
	buffer_load_dword v83, off, s[0:3], 0 offset:32
	buffer_load_dword v84, off, s[0:3], 0 offset:36
	;; [unrolled: 1-line block ×22, first 2 shown]
	ds_read_b128 v[75:78], v74 offset:320
	ds_read_b128 v[79:82], v74 offset:336
	v_cmp_lt_u32_e32 vcc, 2, v0
	s_waitcnt vmcnt(20) lgkmcnt(1)
	v_fma_f64 v[75:76], v[83:84], v[75:76], 0
	s_waitcnt vmcnt(18)
	v_fma_f64 v[75:76], v[85:86], v[77:78], v[75:76]
	buffer_load_dword v84, off, s[0:3], 0 offset:124
	buffer_load_dword v85, off, s[0:3], 0 offset:144
	;; [unrolled: 1-line block ×7, first 2 shown]
	s_waitcnt vmcnt(23) lgkmcnt(0)
	v_fma_f64 v[75:76], v[87:88], v[79:80], v[75:76]
	s_waitcnt vmcnt(21)
	v_fma_f64 v[86:87], v[89:90], v[81:82], v[75:76]
	ds_read_b128 v[75:78], v74 offset:352
	ds_read_b128 v[79:82], v74 offset:368
	s_waitcnt vmcnt(19) lgkmcnt(1)
	v_fma_f64 v[75:76], v[91:92], v[75:76], v[86:87]
	buffer_load_dword v86, off, s[0:3], 0 offset:148
	s_waitcnt vmcnt(18)
	v_fma_f64 v[75:76], v[93:94], v[77:78], v[75:76]
	buffer_load_dword v88, off, s[0:3], 0 offset:156
	buffer_load_dword v89, off, s[0:3], 0 offset:176
	;; [unrolled: 1-line block ×7, first 2 shown]
	s_waitcnt vmcnt(23) lgkmcnt(0)
	v_fma_f64 v[75:76], v[95:96], v[79:80], v[75:76]
	s_waitcnt vmcnt(18)
	v_fma_f64 v[95:96], v[97:98], v[81:82], v[75:76]
	ds_read_b128 v[75:78], v74 offset:384
	ds_read_b128 v[79:82], v74 offset:400
	buffer_load_dword v90, off, s[0:3], 0 offset:180
	s_waitcnt vmcnt(18) lgkmcnt(1)
	v_fma_f64 v[75:76], v[103:104], v[75:76], v[95:96]
	s_waitcnt vmcnt(17)
	v_fma_f64 v[75:76], v[101:102], v[77:78], v[75:76]
	buffer_load_dword v96, off, s[0:3], 0 offset:188
	buffer_load_dword v97, off, s[0:3], 0 offset:208
	buffer_load_dword v101, off, s[0:3], 0 offset:200
	buffer_load_dword v103, off, s[0:3], 0 offset:192
	buffer_load_dword v95, off, s[0:3], 0 offset:184
	buffer_load_dword v104, off, s[0:3], 0 offset:196
	buffer_load_dword v102, off, s[0:3], 0 offset:204
	buffer_load_dword v98, off, s[0:3], 0 offset:212
	s_waitcnt vmcnt(24) lgkmcnt(0)
	v_fma_f64 v[75:76], v[99:100], v[79:80], v[75:76]
	s_waitcnt vmcnt(19)
	v_fma_f64 v[83:84], v[83:84], v[81:82], v[75:76]
	ds_read_b128 v[75:78], v74 offset:416
	ds_read_b128 v[79:82], v74 offset:432
	s_waitcnt vmcnt(18) lgkmcnt(1)
	v_fma_f64 v[75:76], v[107:108], v[75:76], v[83:84]
	s_waitcnt vmcnt(17)
	v_fma_f64 v[75:76], v[105:106], v[77:78], v[75:76]
	buffer_load_dword v84, off, s[0:3], 0 offset:220
	buffer_load_dword v99, off, s[0:3], 0 offset:240
	buffer_load_dword v105, off, s[0:3], 0 offset:232
	buffer_load_dword v107, off, s[0:3], 0 offset:224
	buffer_load_dword v83, off, s[0:3], 0 offset:216
	buffer_load_dword v108, off, s[0:3], 0 offset:228
	buffer_load_dword v106, off, s[0:3], 0 offset:236
	buffer_load_dword v100, off, s[0:3], 0 offset:244
	s_waitcnt vmcnt(24) lgkmcnt(0)
	v_fma_f64 v[75:76], v[85:86], v[79:80], v[75:76]
	s_waitcnt vmcnt(19)
	v_fma_f64 v[85:86], v[87:88], v[81:82], v[75:76]
	ds_read_b128 v[75:78], v74 offset:448
	ds_read_b128 v[79:82], v74 offset:464
	;; [unrolled: 18-line block ×3, first 2 shown]
	s_waitcnt vmcnt(18) lgkmcnt(1)
	v_fma_f64 v[75:76], v[103:104], v[75:76], v[89:90]
	buffer_load_dword v90, off, s[0:3], 0 offset:284
	buffer_load_dword v89, off, s[0:3], 0 offset:280
	;; [unrolled: 1-line block ×4, first 2 shown]
	s_waitcnt vmcnt(21)
	v_fma_f64 v[75:76], v[101:102], v[77:78], v[75:76]
	s_waitcnt vmcnt(20) lgkmcnt(0)
	v_fma_f64 v[75:76], v[97:98], v[79:80], v[75:76]
	s_waitcnt vmcnt(15)
	v_fma_f64 v[83:84], v[83:84], v[81:82], v[75:76]
	ds_read_b128 v[75:78], v74 offset:512
	ds_read_b128 v[79:82], v74 offset:528
	s_waitcnt vmcnt(14) lgkmcnt(1)
	v_fma_f64 v[75:76], v[107:108], v[75:76], v[83:84]
	s_waitcnt vmcnt(13)
	v_fma_f64 v[75:76], v[105:106], v[77:78], v[75:76]
	s_waitcnt vmcnt(12) lgkmcnt(0)
	v_fma_f64 v[75:76], v[99:100], v[79:80], v[75:76]
	s_waitcnt vmcnt(7)
	v_fma_f64 v[83:84], v[85:86], v[81:82], v[75:76]
	ds_read_b128 v[75:78], v74 offset:544
	ds_read_b128 v[79:82], v74 offset:560
	s_waitcnt vmcnt(6) lgkmcnt(1)
	v_fma_f64 v[74:75], v[93:94], v[75:76], v[83:84]
	s_waitcnt vmcnt(5)
	v_fma_f64 v[74:75], v[91:92], v[77:78], v[74:75]
	s_waitcnt vmcnt(4) lgkmcnt(0)
	v_fma_f64 v[74:75], v[87:88], v[79:80], v[74:75]
	s_waitcnt vmcnt(2)
	v_fma_f64 v[74:75], v[89:90], v[81:82], v[74:75]
	s_waitcnt vmcnt(0)
	v_add_f64 v[74:75], v[95:96], -v[74:75]
	buffer_store_dword v75, off, s[0:3], 0 offset:28
	buffer_store_dword v74, off, s[0:3], 0 offset:24
	s_and_saveexec_b64 s[4:5], vcc
	s_cbranch_execz .LBB99_219
; %bb.218:
	buffer_load_dword v74, off, s[0:3], 0 offset:16
	buffer_load_dword v75, off, s[0:3], 0 offset:20
	v_mov_b32_e32 v76, 0
	buffer_store_dword v76, off, s[0:3], 0 offset:16
	buffer_store_dword v76, off, s[0:3], 0 offset:20
	s_waitcnt vmcnt(2)
	ds_write_b64 v73, v[74:75]
.LBB99_219:
	s_or_b64 exec, exec, s[4:5]
	s_waitcnt lgkmcnt(0)
	; wave barrier
	buffer_load_dword v83, off, s[0:3], 0 offset:24
	buffer_load_dword v84, off, s[0:3], 0 offset:28
	;; [unrolled: 1-line block ×21, first 2 shown]
	v_mov_b32_e32 v74, 0
	ds_read2_b64 v[75:78], v74 offset0:39 offset1:40
	ds_read2_b64 v[79:82], v74 offset0:41 offset1:42
	buffer_load_dword v100, off, s[0:3], 0 offset:108
	v_cmp_lt_u32_e32 vcc, 1, v0
	s_waitcnt vmcnt(20) lgkmcnt(1)
	v_fma_f64 v[75:76], v[83:84], v[75:76], 0
	s_waitcnt vmcnt(18)
	v_fma_f64 v[75:76], v[85:86], v[77:78], v[75:76]
	buffer_load_dword v84, off, s[0:3], 0 offset:116
	buffer_load_dword v85, off, s[0:3], 0 offset:136
	;; [unrolled: 1-line block ×7, first 2 shown]
	s_waitcnt vmcnt(23) lgkmcnt(0)
	v_fma_f64 v[75:76], v[87:88], v[79:80], v[75:76]
	s_waitcnt vmcnt(21)
	v_fma_f64 v[86:87], v[89:90], v[81:82], v[75:76]
	ds_read2_b64 v[75:78], v74 offset0:43 offset1:44
	ds_read2_b64 v[79:82], v74 offset0:45 offset1:46
	s_waitcnt vmcnt(19) lgkmcnt(1)
	v_fma_f64 v[75:76], v[91:92], v[75:76], v[86:87]
	buffer_load_dword v86, off, s[0:3], 0 offset:140
	s_waitcnt vmcnt(18)
	v_fma_f64 v[75:76], v[93:94], v[77:78], v[75:76]
	buffer_load_dword v88, off, s[0:3], 0 offset:148
	buffer_load_dword v89, off, s[0:3], 0 offset:168
	;; [unrolled: 1-line block ×7, first 2 shown]
	s_waitcnt vmcnt(23) lgkmcnt(0)
	v_fma_f64 v[75:76], v[95:96], v[79:80], v[75:76]
	s_waitcnt vmcnt(18)
	v_fma_f64 v[95:96], v[97:98], v[81:82], v[75:76]
	ds_read2_b64 v[75:78], v74 offset0:47 offset1:48
	ds_read2_b64 v[79:82], v74 offset0:49 offset1:50
	buffer_load_dword v90, off, s[0:3], 0 offset:172
	s_waitcnt vmcnt(18) lgkmcnt(1)
	v_fma_f64 v[75:76], v[103:104], v[75:76], v[95:96]
	s_waitcnt vmcnt(17)
	v_fma_f64 v[75:76], v[101:102], v[77:78], v[75:76]
	buffer_load_dword v96, off, s[0:3], 0 offset:180
	buffer_load_dword v97, off, s[0:3], 0 offset:200
	;; [unrolled: 1-line block ×7, first 2 shown]
	s_waitcnt vmcnt(23) lgkmcnt(0)
	v_fma_f64 v[75:76], v[99:100], v[79:80], v[75:76]
	s_waitcnt vmcnt(18)
	v_fma_f64 v[83:84], v[83:84], v[81:82], v[75:76]
	ds_read2_b64 v[75:78], v74 offset0:51 offset1:52
	ds_read2_b64 v[79:82], v74 offset0:53 offset1:54
	buffer_load_dword v98, off, s[0:3], 0 offset:204
	s_waitcnt vmcnt(18) lgkmcnt(1)
	v_fma_f64 v[75:76], v[107:108], v[75:76], v[83:84]
	s_waitcnt vmcnt(17)
	v_fma_f64 v[75:76], v[105:106], v[77:78], v[75:76]
	buffer_load_dword v84, off, s[0:3], 0 offset:212
	buffer_load_dword v99, off, s[0:3], 0 offset:232
	buffer_load_dword v105, off, s[0:3], 0 offset:224
	buffer_load_dword v107, off, s[0:3], 0 offset:216
	buffer_load_dword v83, off, s[0:3], 0 offset:208
	buffer_load_dword v108, off, s[0:3], 0 offset:220
	buffer_load_dword v106, off, s[0:3], 0 offset:228
	buffer_load_dword v100, off, s[0:3], 0 offset:236
	s_waitcnt vmcnt(24) lgkmcnt(0)
	v_fma_f64 v[75:76], v[85:86], v[79:80], v[75:76]
	s_waitcnt vmcnt(19)
	v_fma_f64 v[85:86], v[87:88], v[81:82], v[75:76]
	ds_read2_b64 v[75:78], v74 offset0:55 offset1:56
	ds_read2_b64 v[79:82], v74 offset0:57 offset1:58
	s_waitcnt vmcnt(18) lgkmcnt(1)
	v_fma_f64 v[75:76], v[93:94], v[75:76], v[85:86]
	s_waitcnt vmcnt(17)
	v_fma_f64 v[75:76], v[91:92], v[77:78], v[75:76]
	buffer_load_dword v86, off, s[0:3], 0 offset:244
	buffer_load_dword v87, off, s[0:3], 0 offset:264
	;; [unrolled: 1-line block ×7, first 2 shown]
	s_waitcnt vmcnt(23) lgkmcnt(0)
	v_fma_f64 v[75:76], v[89:90], v[79:80], v[75:76]
	s_waitcnt vmcnt(18)
	v_fma_f64 v[88:89], v[95:96], v[81:82], v[75:76]
	ds_read2_b64 v[75:78], v74 offset0:59 offset1:60
	ds_read2_b64 v[79:82], v74 offset0:61 offset1:62
	s_waitcnt vmcnt(17) lgkmcnt(1)
	v_fma_f64 v[75:76], v[103:104], v[75:76], v[88:89]
	buffer_load_dword v88, off, s[0:3], 0 offset:268
	buffer_load_dword v90, off, s[0:3], 0 offset:276
	;; [unrolled: 1-line block ×5, first 2 shown]
	s_waitcnt vmcnt(21)
	v_fma_f64 v[75:76], v[101:102], v[77:78], v[75:76]
	s_waitcnt vmcnt(20) lgkmcnt(0)
	v_fma_f64 v[75:76], v[97:98], v[79:80], v[75:76]
	buffer_load_dword v97, off, s[0:3], 0 offset:16
	buffer_load_dword v98, off, s[0:3], 0 offset:20
	s_waitcnt vmcnt(17)
	v_fma_f64 v[83:84], v[83:84], v[81:82], v[75:76]
	ds_read2_b64 v[75:78], v74 offset0:63 offset1:64
	ds_read2_b64 v[79:82], v74 offset0:65 offset1:66
	s_waitcnt vmcnt(16) lgkmcnt(1)
	v_fma_f64 v[75:76], v[107:108], v[75:76], v[83:84]
	s_waitcnt vmcnt(15)
	v_fma_f64 v[75:76], v[105:106], v[77:78], v[75:76]
	s_waitcnt vmcnt(14) lgkmcnt(0)
	v_fma_f64 v[75:76], v[99:100], v[79:80], v[75:76]
	s_waitcnt vmcnt(9)
	v_fma_f64 v[83:84], v[85:86], v[81:82], v[75:76]
	ds_read2_b64 v[75:78], v74 offset0:67 offset1:68
	ds_read2_b64 v[79:82], v74 offset0:69 offset1:70
	s_waitcnt vmcnt(8) lgkmcnt(1)
	v_fma_f64 v[75:76], v[93:94], v[75:76], v[83:84]
	s_waitcnt vmcnt(7)
	v_fma_f64 v[75:76], v[91:92], v[77:78], v[75:76]
	ds_read_b64 v[77:78], v74 offset:568
	s_waitcnt vmcnt(6) lgkmcnt(1)
	v_fma_f64 v[75:76], v[87:88], v[79:80], v[75:76]
	s_waitcnt vmcnt(3)
	v_fma_f64 v[75:76], v[89:90], v[81:82], v[75:76]
	s_waitcnt vmcnt(2) lgkmcnt(0)
	v_fma_f64 v[75:76], v[95:96], v[77:78], v[75:76]
	s_waitcnt vmcnt(0)
	v_add_f64 v[75:76], v[97:98], -v[75:76]
	buffer_store_dword v76, off, s[0:3], 0 offset:20
	buffer_store_dword v75, off, s[0:3], 0 offset:16
	s_and_saveexec_b64 s[4:5], vcc
	s_cbranch_execz .LBB99_221
; %bb.220:
	buffer_load_dword v75, off, s[0:3], 0 offset:8
	buffer_load_dword v76, off, s[0:3], 0 offset:12
	s_waitcnt vmcnt(0)
	ds_write_b64 v73, v[75:76]
	buffer_store_dword v74, off, s[0:3], 0 offset:8
	buffer_store_dword v74, off, s[0:3], 0 offset:12
.LBB99_221:
	s_or_b64 exec, exec, s[4:5]
	s_waitcnt lgkmcnt(0)
	; wave barrier
	buffer_load_dword v83, off, s[0:3], 0 offset:16
	buffer_load_dword v84, off, s[0:3], 0 offset:20
	;; [unrolled: 1-line block ×21, first 2 shown]
	ds_read_b128 v[75:78], v74 offset:304
	ds_read_b128 v[79:82], v74 offset:320
	buffer_load_dword v100, off, s[0:3], 0 offset:100
	v_cmp_ne_u32_e32 vcc, 0, v0
	s_waitcnt vmcnt(20) lgkmcnt(1)
	v_fma_f64 v[75:76], v[83:84], v[75:76], 0
	s_waitcnt vmcnt(18)
	v_fma_f64 v[75:76], v[85:86], v[77:78], v[75:76]
	buffer_load_dword v84, off, s[0:3], 0 offset:108
	buffer_load_dword v85, off, s[0:3], 0 offset:128
	;; [unrolled: 1-line block ×7, first 2 shown]
	s_waitcnt vmcnt(23) lgkmcnt(0)
	v_fma_f64 v[75:76], v[87:88], v[79:80], v[75:76]
	s_waitcnt vmcnt(21)
	v_fma_f64 v[86:87], v[89:90], v[81:82], v[75:76]
	ds_read_b128 v[75:78], v74 offset:336
	ds_read_b128 v[79:82], v74 offset:352
	s_waitcnt vmcnt(19) lgkmcnt(1)
	v_fma_f64 v[75:76], v[91:92], v[75:76], v[86:87]
	buffer_load_dword v86, off, s[0:3], 0 offset:132
	s_waitcnt vmcnt(18)
	v_fma_f64 v[75:76], v[93:94], v[77:78], v[75:76]
	buffer_load_dword v88, off, s[0:3], 0 offset:140
	buffer_load_dword v89, off, s[0:3], 0 offset:160
	;; [unrolled: 1-line block ×8, first 2 shown]
	s_waitcnt vmcnt(24) lgkmcnt(0)
	v_fma_f64 v[75:76], v[95:96], v[79:80], v[75:76]
	s_waitcnt vmcnt(19)
	v_fma_f64 v[95:96], v[97:98], v[81:82], v[75:76]
	ds_read_b128 v[75:78], v74 offset:368
	ds_read_b128 v[79:82], v74 offset:384
	s_waitcnt vmcnt(18) lgkmcnt(1)
	v_fma_f64 v[75:76], v[103:104], v[75:76], v[95:96]
	s_waitcnt vmcnt(17)
	v_fma_f64 v[75:76], v[101:102], v[77:78], v[75:76]
	buffer_load_dword v96, off, s[0:3], 0 offset:172
	buffer_load_dword v97, off, s[0:3], 0 offset:192
	;; [unrolled: 1-line block ×7, first 2 shown]
	s_waitcnt vmcnt(23) lgkmcnt(0)
	v_fma_f64 v[75:76], v[99:100], v[79:80], v[75:76]
	s_waitcnt vmcnt(18)
	v_fma_f64 v[83:84], v[83:84], v[81:82], v[75:76]
	ds_read_b128 v[75:78], v74 offset:400
	ds_read_b128 v[79:82], v74 offset:416
	buffer_load_dword v98, off, s[0:3], 0 offset:196
	s_waitcnt vmcnt(18) lgkmcnt(1)
	v_fma_f64 v[75:76], v[107:108], v[75:76], v[83:84]
	s_waitcnt vmcnt(17)
	v_fma_f64 v[75:76], v[105:106], v[77:78], v[75:76]
	buffer_load_dword v84, off, s[0:3], 0 offset:204
	buffer_load_dword v99, off, s[0:3], 0 offset:224
	;; [unrolled: 1-line block ×8, first 2 shown]
	s_waitcnt vmcnt(24) lgkmcnt(0)
	v_fma_f64 v[75:76], v[85:86], v[79:80], v[75:76]
	s_waitcnt vmcnt(19)
	v_fma_f64 v[85:86], v[87:88], v[81:82], v[75:76]
	ds_read_b128 v[75:78], v74 offset:432
	ds_read_b128 v[79:82], v74 offset:448
	s_waitcnt vmcnt(18) lgkmcnt(1)
	v_fma_f64 v[75:76], v[93:94], v[75:76], v[85:86]
	s_waitcnt vmcnt(17)
	v_fma_f64 v[75:76], v[91:92], v[77:78], v[75:76]
	buffer_load_dword v86, off, s[0:3], 0 offset:236
	buffer_load_dword v87, off, s[0:3], 0 offset:256
	;; [unrolled: 1-line block ×7, first 2 shown]
	s_waitcnt vmcnt(23) lgkmcnt(0)
	v_fma_f64 v[75:76], v[89:90], v[79:80], v[75:76]
	s_waitcnt vmcnt(18)
	v_fma_f64 v[88:89], v[95:96], v[81:82], v[75:76]
	ds_read_b128 v[75:78], v74 offset:464
	ds_read_b128 v[79:82], v74 offset:480
	s_waitcnt vmcnt(17) lgkmcnt(1)
	v_fma_f64 v[75:76], v[103:104], v[75:76], v[88:89]
	buffer_load_dword v88, off, s[0:3], 0 offset:260
	s_waitcnt vmcnt(17)
	v_fma_f64 v[75:76], v[101:102], v[77:78], v[75:76]
	buffer_load_dword v90, off, s[0:3], 0 offset:268
	buffer_load_dword v95, off, s[0:3], 0 offset:280
	;; [unrolled: 1-line block ×6, first 2 shown]
	s_waitcnt vmcnt(22) lgkmcnt(0)
	v_fma_f64 v[75:76], v[97:98], v[79:80], v[75:76]
	s_waitcnt vmcnt(17)
	v_fma_f64 v[83:84], v[83:84], v[81:82], v[75:76]
	ds_read_b128 v[75:78], v74 offset:496
	buffer_load_dword v97, off, s[0:3], 0 offset:8
	buffer_load_dword v98, off, s[0:3], 0 offset:12
	ds_read_b128 v[79:82], v74 offset:512
	s_waitcnt vmcnt(18) lgkmcnt(1)
	v_fma_f64 v[75:76], v[107:108], v[75:76], v[83:84]
	s_waitcnt vmcnt(17)
	v_fma_f64 v[75:76], v[105:106], v[77:78], v[75:76]
	s_waitcnt vmcnt(16) lgkmcnt(0)
	v_fma_f64 v[75:76], v[99:100], v[79:80], v[75:76]
	s_waitcnt vmcnt(11)
	v_fma_f64 v[83:84], v[85:86], v[81:82], v[75:76]
	ds_read_b128 v[75:78], v74 offset:528
	ds_read_b128 v[79:82], v74 offset:544
	s_waitcnt vmcnt(10) lgkmcnt(1)
	v_fma_f64 v[75:76], v[93:94], v[75:76], v[83:84]
	s_waitcnt vmcnt(9)
	v_fma_f64 v[75:76], v[91:92], v[77:78], v[75:76]
	s_waitcnt vmcnt(8) lgkmcnt(0)
	v_fma_f64 v[75:76], v[87:88], v[79:80], v[75:76]
	s_waitcnt vmcnt(4)
	v_fma_f64 v[78:79], v[89:90], v[81:82], v[75:76]
	ds_read_b128 v[74:77], v74 offset:560
	s_waitcnt vmcnt(3) lgkmcnt(0)
	v_fma_f64 v[74:75], v[101:102], v[74:75], v[78:79]
	s_waitcnt vmcnt(2)
	v_fma_f64 v[74:75], v[95:96], v[76:77], v[74:75]
	s_waitcnt vmcnt(0)
	v_add_f64 v[74:75], v[97:98], -v[74:75]
	buffer_store_dword v75, off, s[0:3], 0 offset:12
	buffer_store_dword v74, off, s[0:3], 0 offset:8
	s_and_saveexec_b64 s[4:5], vcc
	s_cbranch_execz .LBB99_223
; %bb.222:
	buffer_load_dword v74, off, s[0:3], 0
	buffer_load_dword v75, off, s[0:3], 0 offset:4
	v_mov_b32_e32 v0, 0
	buffer_store_dword v0, off, s[0:3], 0
	buffer_store_dword v0, off, s[0:3], 0 offset:4
	s_waitcnt vmcnt(2)
	ds_write_b64 v73, v[74:75]
.LBB99_223:
	s_or_b64 exec, exec, s[4:5]
	s_waitcnt lgkmcnt(0)
	; wave barrier
	buffer_load_dword v81, off, s[0:3], 0 offset:8
	buffer_load_dword v82, off, s[0:3], 0 offset:12
	;; [unrolled: 1-line block ×21, first 2 shown]
	v_mov_b32_e32 v0, 0
	ds_read2_b64 v[73:76], v0 offset0:37 offset1:38
	ds_read2_b64 v[77:80], v0 offset0:39 offset1:40
	buffer_load_dword v98, off, s[0:3], 0 offset:92
	s_and_b64 vcc, exec, s[14:15]
	s_waitcnt vmcnt(20) lgkmcnt(1)
	v_fma_f64 v[73:74], v[81:82], v[73:74], 0
	s_waitcnt vmcnt(18)
	v_fma_f64 v[73:74], v[83:84], v[75:76], v[73:74]
	buffer_load_dword v82, off, s[0:3], 0 offset:100
	buffer_load_dword v83, off, s[0:3], 0 offset:120
	;; [unrolled: 1-line block ×7, first 2 shown]
	s_waitcnt vmcnt(23) lgkmcnt(0)
	v_fma_f64 v[73:74], v[85:86], v[77:78], v[73:74]
	s_waitcnt vmcnt(21)
	v_fma_f64 v[84:85], v[87:88], v[79:80], v[73:74]
	ds_read2_b64 v[73:76], v0 offset0:41 offset1:42
	ds_read2_b64 v[77:80], v0 offset0:43 offset1:44
	s_waitcnt vmcnt(19) lgkmcnt(1)
	v_fma_f64 v[73:74], v[89:90], v[73:74], v[84:85]
	buffer_load_dword v84, off, s[0:3], 0 offset:124
	s_waitcnt vmcnt(18)
	v_fma_f64 v[73:74], v[91:92], v[75:76], v[73:74]
	buffer_load_dword v86, off, s[0:3], 0 offset:132
	buffer_load_dword v87, off, s[0:3], 0 offset:152
	;; [unrolled: 1-line block ×8, first 2 shown]
	s_waitcnt vmcnt(24) lgkmcnt(0)
	v_fma_f64 v[73:74], v[93:94], v[77:78], v[73:74]
	s_waitcnt vmcnt(19)
	v_fma_f64 v[93:94], v[95:96], v[79:80], v[73:74]
	ds_read2_b64 v[73:76], v0 offset0:45 offset1:46
	ds_read2_b64 v[77:80], v0 offset0:47 offset1:48
	s_waitcnt vmcnt(18) lgkmcnt(1)
	v_fma_f64 v[73:74], v[101:102], v[73:74], v[93:94]
	s_waitcnt vmcnt(17)
	v_fma_f64 v[73:74], v[99:100], v[75:76], v[73:74]
	buffer_load_dword v94, off, s[0:3], 0 offset:164
	buffer_load_dword v95, off, s[0:3], 0 offset:184
	;; [unrolled: 1-line block ×7, first 2 shown]
	s_waitcnt vmcnt(23) lgkmcnt(0)
	v_fma_f64 v[73:74], v[97:98], v[77:78], v[73:74]
	s_waitcnt vmcnt(18)
	v_fma_f64 v[81:82], v[81:82], v[79:80], v[73:74]
	ds_read2_b64 v[73:76], v0 offset0:49 offset1:50
	ds_read2_b64 v[77:80], v0 offset0:51 offset1:52
	buffer_load_dword v96, off, s[0:3], 0 offset:188
	s_waitcnt vmcnt(18) lgkmcnt(1)
	v_fma_f64 v[73:74], v[105:106], v[73:74], v[81:82]
	s_waitcnt vmcnt(17)
	v_fma_f64 v[73:74], v[103:104], v[75:76], v[73:74]
	buffer_load_dword v82, off, s[0:3], 0 offset:196
	buffer_load_dword v97, off, s[0:3], 0 offset:216
	;; [unrolled: 1-line block ×8, first 2 shown]
	s_waitcnt vmcnt(24) lgkmcnt(0)
	v_fma_f64 v[73:74], v[83:84], v[77:78], v[73:74]
	s_waitcnt vmcnt(19)
	v_fma_f64 v[83:84], v[85:86], v[79:80], v[73:74]
	ds_read2_b64 v[73:76], v0 offset0:53 offset1:54
	ds_read2_b64 v[77:80], v0 offset0:55 offset1:56
	s_waitcnt vmcnt(18) lgkmcnt(1)
	v_fma_f64 v[73:74], v[91:92], v[73:74], v[83:84]
	s_waitcnt vmcnt(17)
	v_fma_f64 v[73:74], v[89:90], v[75:76], v[73:74]
	buffer_load_dword v84, off, s[0:3], 0 offset:228
	buffer_load_dword v85, off, s[0:3], 0 offset:248
	;; [unrolled: 1-line block ×7, first 2 shown]
	s_waitcnt vmcnt(23) lgkmcnt(0)
	v_fma_f64 v[73:74], v[87:88], v[77:78], v[73:74]
	s_waitcnt vmcnt(18)
	v_fma_f64 v[86:87], v[93:94], v[79:80], v[73:74]
	ds_read2_b64 v[73:76], v0 offset0:57 offset1:58
	ds_read2_b64 v[77:80], v0 offset0:59 offset1:60
	s_waitcnt vmcnt(17) lgkmcnt(1)
	v_fma_f64 v[73:74], v[101:102], v[73:74], v[86:87]
	buffer_load_dword v86, off, s[0:3], 0 offset:252
	s_waitcnt vmcnt(17)
	v_fma_f64 v[74:75], v[99:100], v[75:76], v[73:74]
	buffer_load_dword v88, off, s[0:3], 0 offset:260
	buffer_load_dword v93, off, s[0:3], 0 offset:280
	;; [unrolled: 1-line block ×5, first 2 shown]
	s_waitcnt vmcnt(21) lgkmcnt(0)
	v_fma_f64 v[75:76], v[95:96], v[77:78], v[74:75]
	buffer_load_dword v100, off, s[0:3], 0 offset:268
	buffer_load_dword v74, off, s[0:3], 0 offset:276
	;; [unrolled: 1-line block ×3, first 2 shown]
	s_waitcnt vmcnt(19)
	v_fma_f64 v[95:96], v[81:82], v[79:80], v[75:76]
	ds_read2_b64 v[75:78], v0 offset0:61 offset1:62
	ds_read2_b64 v[79:82], v0 offset0:63 offset1:64
	s_waitcnt vmcnt(18) lgkmcnt(1)
	v_fma_f64 v[75:76], v[105:106], v[75:76], v[95:96]
	buffer_load_dword v95, off, s[0:3], 0
	buffer_load_dword v96, off, s[0:3], 0 offset:4
	s_waitcnt vmcnt(19)
	v_fma_f64 v[75:76], v[103:104], v[77:78], v[75:76]
	s_waitcnt vmcnt(18) lgkmcnt(0)
	v_fma_f64 v[75:76], v[97:98], v[79:80], v[75:76]
	s_waitcnt vmcnt(13)
	v_fma_f64 v[83:84], v[83:84], v[81:82], v[75:76]
	ds_read2_b64 v[75:78], v0 offset0:65 offset1:66
	ds_read2_b64 v[79:82], v0 offset0:67 offset1:68
	s_waitcnt vmcnt(12) lgkmcnt(1)
	v_fma_f64 v[75:76], v[91:92], v[75:76], v[83:84]
	s_waitcnt vmcnt(11)
	v_fma_f64 v[75:76], v[89:90], v[77:78], v[75:76]
	s_waitcnt vmcnt(10) lgkmcnt(0)
	v_fma_f64 v[75:76], v[85:86], v[79:80], v[75:76]
	s_waitcnt vmcnt(5)
	v_fma_f64 v[79:80], v[87:88], v[81:82], v[75:76]
	ds_read2_b64 v[75:78], v0 offset0:69 offset1:70
	ds_read_b64 v[81:82], v0 offset:568
	s_waitcnt vmcnt(4) lgkmcnt(1)
	v_fma_f64 v[75:76], v[99:100], v[75:76], v[79:80]
	s_waitcnt vmcnt(3)
	v_fma_f64 v[75:76], v[73:74], v[77:78], v[75:76]
	s_waitcnt vmcnt(2) lgkmcnt(0)
	v_fma_f64 v[75:76], v[93:94], v[81:82], v[75:76]
	s_waitcnt vmcnt(0)
	v_add_f64 v[75:76], v[95:96], -v[75:76]
	buffer_store_dword v76, off, s[0:3], 0 offset:4
	buffer_store_dword v75, off, s[0:3], 0
	s_cbranch_vccz .LBB99_294
; %bb.224:
	global_load_dword v0, v0, s[12:13] offset:136
	s_waitcnt vmcnt(0)
	v_add_u32_e32 v0, -1, v0
	v_cmp_ne_u32_e32 vcc, 34, v0
	s_cbranch_vccz .LBB99_226
; %bb.225:
	v_lshlrev_b32_e32 v0, 3, v0
	buffer_load_dword v75, v0, s[0:3], 0 offen offset:4
	buffer_load_dword v76, v0, s[0:3], 0 offen
	s_waitcnt vmcnt(1)
	buffer_store_dword v75, off, s[0:3], 0 offset:276
	s_waitcnt vmcnt(1)
	buffer_store_dword v76, off, s[0:3], 0 offset:272
	buffer_store_dword v74, v0, s[0:3], 0 offen offset:4
	buffer_store_dword v73, v0, s[0:3], 0 offen
.LBB99_226:
	v_mov_b32_e32 v0, 0
	global_load_dword v73, v0, s[12:13] offset:132
	s_waitcnt vmcnt(0)
	v_add_u32_e32 v73, -1, v73
	v_cmp_eq_u32_e32 vcc, 33, v73
	s_cbranch_vccnz .LBB99_228
; %bb.227:
	v_lshlrev_b32_e32 v73, 3, v73
	buffer_load_dword v74, v73, s[0:3], 0 offen
	buffer_load_dword v75, v73, s[0:3], 0 offen offset:4
	buffer_load_dword v76, off, s[0:3], 0 offset:264
	buffer_load_dword v77, off, s[0:3], 0 offset:268
	s_waitcnt vmcnt(3)
	buffer_store_dword v74, off, s[0:3], 0 offset:264
	s_waitcnt vmcnt(3)
	buffer_store_dword v75, off, s[0:3], 0 offset:268
	s_waitcnt vmcnt(3)
	buffer_store_dword v76, v73, s[0:3], 0 offen
	s_waitcnt vmcnt(3)
	buffer_store_dword v77, v73, s[0:3], 0 offen offset:4
.LBB99_228:
	global_load_dword v0, v0, s[12:13] offset:128
	s_waitcnt vmcnt(0)
	v_add_u32_e32 v0, -1, v0
	v_cmp_eq_u32_e32 vcc, 32, v0
	s_cbranch_vccnz .LBB99_230
; %bb.229:
	v_lshlrev_b32_e32 v0, 3, v0
	buffer_load_dword v73, v0, s[0:3], 0 offen
	buffer_load_dword v74, v0, s[0:3], 0 offen offset:4
	buffer_load_dword v75, off, s[0:3], 0 offset:260
	buffer_load_dword v76, off, s[0:3], 0 offset:256
	s_waitcnt vmcnt(3)
	buffer_store_dword v73, off, s[0:3], 0 offset:256
	s_waitcnt vmcnt(3)
	buffer_store_dword v74, off, s[0:3], 0 offset:260
	s_waitcnt vmcnt(3)
	buffer_store_dword v75, v0, s[0:3], 0 offen offset:4
	s_waitcnt vmcnt(3)
	buffer_store_dword v76, v0, s[0:3], 0 offen
.LBB99_230:
	v_mov_b32_e32 v0, 0
	global_load_dword v73, v0, s[12:13] offset:124
	s_waitcnt vmcnt(0)
	v_add_u32_e32 v73, -1, v73
	v_cmp_eq_u32_e32 vcc, 31, v73
	s_cbranch_vccnz .LBB99_232
; %bb.231:
	v_lshlrev_b32_e32 v73, 3, v73
	buffer_load_dword v74, v73, s[0:3], 0 offen
	buffer_load_dword v75, v73, s[0:3], 0 offen offset:4
	buffer_load_dword v76, off, s[0:3], 0 offset:248
	buffer_load_dword v77, off, s[0:3], 0 offset:252
	s_waitcnt vmcnt(3)
	buffer_store_dword v74, off, s[0:3], 0 offset:248
	s_waitcnt vmcnt(3)
	buffer_store_dword v75, off, s[0:3], 0 offset:252
	s_waitcnt vmcnt(3)
	buffer_store_dword v76, v73, s[0:3], 0 offen
	s_waitcnt vmcnt(3)
	buffer_store_dword v77, v73, s[0:3], 0 offen offset:4
.LBB99_232:
	global_load_dword v0, v0, s[12:13] offset:120
	s_waitcnt vmcnt(0)
	v_add_u32_e32 v0, -1, v0
	v_cmp_eq_u32_e32 vcc, 30, v0
	s_cbranch_vccnz .LBB99_234
; %bb.233:
	v_lshlrev_b32_e32 v0, 3, v0
	buffer_load_dword v73, v0, s[0:3], 0 offen
	buffer_load_dword v74, v0, s[0:3], 0 offen offset:4
	buffer_load_dword v75, off, s[0:3], 0 offset:244
	buffer_load_dword v76, off, s[0:3], 0 offset:240
	s_waitcnt vmcnt(3)
	buffer_store_dword v73, off, s[0:3], 0 offset:240
	s_waitcnt vmcnt(3)
	buffer_store_dword v74, off, s[0:3], 0 offset:244
	s_waitcnt vmcnt(3)
	buffer_store_dword v75, v0, s[0:3], 0 offen offset:4
	s_waitcnt vmcnt(3)
	buffer_store_dword v76, v0, s[0:3], 0 offen
.LBB99_234:
	;; [unrolled: 41-line block ×16, first 2 shown]
	v_mov_b32_e32 v0, 0
	global_load_dword v73, v0, s[12:13] offset:4
	s_waitcnt vmcnt(0)
	v_add_u32_e32 v73, -1, v73
	v_cmp_eq_u32_e32 vcc, 1, v73
	s_cbranch_vccnz .LBB99_292
; %bb.291:
	v_lshlrev_b32_e32 v73, 3, v73
	buffer_load_dword v74, v73, s[0:3], 0 offen
	buffer_load_dword v75, v73, s[0:3], 0 offen offset:4
	buffer_load_dword v76, off, s[0:3], 0 offset:8
	buffer_load_dword v77, off, s[0:3], 0 offset:12
	s_waitcnt vmcnt(3)
	buffer_store_dword v74, off, s[0:3], 0 offset:8
	s_waitcnt vmcnt(3)
	buffer_store_dword v75, off, s[0:3], 0 offset:12
	s_waitcnt vmcnt(3)
	buffer_store_dword v76, v73, s[0:3], 0 offen
	s_waitcnt vmcnt(3)
	buffer_store_dword v77, v73, s[0:3], 0 offen offset:4
.LBB99_292:
	global_load_dword v0, v0, s[12:13]
	s_nop 0
	buffer_load_dword v75, off, s[0:3], 0
	buffer_load_dword v76, off, s[0:3], 0 offset:4
	s_waitcnt vmcnt(2)
	v_add_u32_e32 v0, -1, v0
	v_cmp_eq_u32_e32 vcc, 0, v0
	s_cbranch_vccnz .LBB99_294
; %bb.293:
	v_lshlrev_b32_e32 v0, 3, v0
	buffer_load_dword v73, v0, s[0:3], 0 offen offset:4
	buffer_load_dword v74, v0, s[0:3], 0 offen
	s_waitcnt vmcnt(1)
	buffer_store_dword v73, off, s[0:3], 0 offset:4
	s_waitcnt vmcnt(1)
	buffer_store_dword v74, off, s[0:3], 0
	buffer_store_dword v76, v0, s[0:3], 0 offen offset:4
	buffer_store_dword v75, v0, s[0:3], 0 offen
	buffer_load_dword v75, off, s[0:3], 0
	s_nop 0
	buffer_load_dword v76, off, s[0:3], 0 offset:4
.LBB99_294:
	s_waitcnt vmcnt(0)
	flat_store_dwordx2 v[1:2], v[75:76]
	buffer_load_dword v0, off, s[0:3], 0 offset:8
	s_nop 0
	buffer_load_dword v1, off, s[0:3], 0 offset:12
	s_waitcnt vmcnt(0)
	flat_store_dwordx2 v[3:4], v[0:1]
	buffer_load_dword v0, off, s[0:3], 0 offset:16
	s_nop 0
	buffer_load_dword v1, off, s[0:3], 0 offset:20
	;; [unrolled: 5-line block ×35, first 2 shown]
	s_waitcnt vmcnt(0)
	flat_store_dwordx2 v[71:72], v[0:1]
	s_endpgm
	.section	.rodata,"a",@progbits
	.p2align	6, 0x0
	.amdhsa_kernel _ZN9rocsolver6v33100L18getri_kernel_smallILi36EdPKPdEEvT1_iilPiilS6_bb
		.amdhsa_group_segment_fixed_size 584
		.amdhsa_private_segment_fixed_size 304
		.amdhsa_kernarg_size 60
		.amdhsa_user_sgpr_count 6
		.amdhsa_user_sgpr_private_segment_buffer 1
		.amdhsa_user_sgpr_dispatch_ptr 0
		.amdhsa_user_sgpr_queue_ptr 0
		.amdhsa_user_sgpr_kernarg_segment_ptr 1
		.amdhsa_user_sgpr_dispatch_id 0
		.amdhsa_user_sgpr_flat_scratch_init 0
		.amdhsa_user_sgpr_private_segment_size 0
		.amdhsa_uses_dynamic_stack 0
		.amdhsa_system_sgpr_private_segment_wavefront_offset 1
		.amdhsa_system_sgpr_workgroup_id_x 1
		.amdhsa_system_sgpr_workgroup_id_y 0
		.amdhsa_system_sgpr_workgroup_id_z 0
		.amdhsa_system_sgpr_workgroup_info 0
		.amdhsa_system_vgpr_workitem_id 0
		.amdhsa_next_free_vgpr 109
		.amdhsa_next_free_sgpr 21
		.amdhsa_reserve_vcc 1
		.amdhsa_reserve_flat_scratch 0
		.amdhsa_float_round_mode_32 0
		.amdhsa_float_round_mode_16_64 0
		.amdhsa_float_denorm_mode_32 3
		.amdhsa_float_denorm_mode_16_64 3
		.amdhsa_dx10_clamp 1
		.amdhsa_ieee_mode 1
		.amdhsa_fp16_overflow 0
		.amdhsa_exception_fp_ieee_invalid_op 0
		.amdhsa_exception_fp_denorm_src 0
		.amdhsa_exception_fp_ieee_div_zero 0
		.amdhsa_exception_fp_ieee_overflow 0
		.amdhsa_exception_fp_ieee_underflow 0
		.amdhsa_exception_fp_ieee_inexact 0
		.amdhsa_exception_int_div_zero 0
	.end_amdhsa_kernel
	.section	.text._ZN9rocsolver6v33100L18getri_kernel_smallILi36EdPKPdEEvT1_iilPiilS6_bb,"axG",@progbits,_ZN9rocsolver6v33100L18getri_kernel_smallILi36EdPKPdEEvT1_iilPiilS6_bb,comdat
.Lfunc_end99:
	.size	_ZN9rocsolver6v33100L18getri_kernel_smallILi36EdPKPdEEvT1_iilPiilS6_bb, .Lfunc_end99-_ZN9rocsolver6v33100L18getri_kernel_smallILi36EdPKPdEEvT1_iilPiilS6_bb
                                        ; -- End function
	.set _ZN9rocsolver6v33100L18getri_kernel_smallILi36EdPKPdEEvT1_iilPiilS6_bb.num_vgpr, 109
	.set _ZN9rocsolver6v33100L18getri_kernel_smallILi36EdPKPdEEvT1_iilPiilS6_bb.num_agpr, 0
	.set _ZN9rocsolver6v33100L18getri_kernel_smallILi36EdPKPdEEvT1_iilPiilS6_bb.numbered_sgpr, 21
	.set _ZN9rocsolver6v33100L18getri_kernel_smallILi36EdPKPdEEvT1_iilPiilS6_bb.num_named_barrier, 0
	.set _ZN9rocsolver6v33100L18getri_kernel_smallILi36EdPKPdEEvT1_iilPiilS6_bb.private_seg_size, 304
	.set _ZN9rocsolver6v33100L18getri_kernel_smallILi36EdPKPdEEvT1_iilPiilS6_bb.uses_vcc, 1
	.set _ZN9rocsolver6v33100L18getri_kernel_smallILi36EdPKPdEEvT1_iilPiilS6_bb.uses_flat_scratch, 0
	.set _ZN9rocsolver6v33100L18getri_kernel_smallILi36EdPKPdEEvT1_iilPiilS6_bb.has_dyn_sized_stack, 0
	.set _ZN9rocsolver6v33100L18getri_kernel_smallILi36EdPKPdEEvT1_iilPiilS6_bb.has_recursion, 0
	.set _ZN9rocsolver6v33100L18getri_kernel_smallILi36EdPKPdEEvT1_iilPiilS6_bb.has_indirect_call, 0
	.section	.AMDGPU.csdata,"",@progbits
; Kernel info:
; codeLenInByte = 38164
; TotalNumSgprs: 25
; NumVgprs: 109
; ScratchSize: 304
; MemoryBound: 1
; FloatMode: 240
; IeeeMode: 1
; LDSByteSize: 584 bytes/workgroup (compile time only)
; SGPRBlocks: 3
; VGPRBlocks: 27
; NumSGPRsForWavesPerEU: 25
; NumVGPRsForWavesPerEU: 109
; Occupancy: 2
; WaveLimiterHint : 1
; COMPUTE_PGM_RSRC2:SCRATCH_EN: 1
; COMPUTE_PGM_RSRC2:USER_SGPR: 6
; COMPUTE_PGM_RSRC2:TRAP_HANDLER: 0
; COMPUTE_PGM_RSRC2:TGID_X_EN: 1
; COMPUTE_PGM_RSRC2:TGID_Y_EN: 0
; COMPUTE_PGM_RSRC2:TGID_Z_EN: 0
; COMPUTE_PGM_RSRC2:TIDIG_COMP_CNT: 0
	.section	.text._ZN9rocsolver6v33100L18getri_kernel_smallILi37EdPKPdEEvT1_iilPiilS6_bb,"axG",@progbits,_ZN9rocsolver6v33100L18getri_kernel_smallILi37EdPKPdEEvT1_iilPiilS6_bb,comdat
	.globl	_ZN9rocsolver6v33100L18getri_kernel_smallILi37EdPKPdEEvT1_iilPiilS6_bb ; -- Begin function _ZN9rocsolver6v33100L18getri_kernel_smallILi37EdPKPdEEvT1_iilPiilS6_bb
	.p2align	8
	.type	_ZN9rocsolver6v33100L18getri_kernel_smallILi37EdPKPdEEvT1_iilPiilS6_bb,@function
_ZN9rocsolver6v33100L18getri_kernel_smallILi37EdPKPdEEvT1_iilPiilS6_bb: ; @_ZN9rocsolver6v33100L18getri_kernel_smallILi37EdPKPdEEvT1_iilPiilS6_bb
; %bb.0:
	s_add_u32 s0, s0, s7
	s_addc_u32 s1, s1, 0
	v_cmp_gt_u32_e32 vcc, 37, v0
	s_and_saveexec_b64 s[8:9], vcc
	s_cbranch_execz .LBB100_156
; %bb.1:
	s_load_dword s18, s[4:5], 0x38
	s_load_dwordx2 s[12:13], s[4:5], 0x0
	s_load_dwordx4 s[8:11], s[4:5], 0x28
	s_waitcnt lgkmcnt(0)
	s_bitcmp1_b32 s18, 8
	s_cselect_b64 s[14:15], -1, 0
	s_ashr_i32 s7, s6, 31
	s_lshl_b64 s[16:17], s[6:7], 3
	s_add_u32 s12, s12, s16
	s_addc_u32 s13, s13, s17
	s_load_dwordx2 s[16:17], s[12:13], 0x0
	s_bfe_u32 s12, s18, 0x10008
	s_cmp_eq_u32 s12, 0
                                        ; implicit-def: $sgpr12_sgpr13
	s_cbranch_scc1 .LBB100_3
; %bb.2:
	s_load_dword s12, s[4:5], 0x20
	s_load_dwordx2 s[18:19], s[4:5], 0x18
	s_mul_i32 s13, s8, s7
	s_mul_hi_u32 s20, s8, s6
	s_add_i32 s20, s20, s13
	s_mul_i32 s9, s9, s6
	s_add_i32 s9, s20, s9
	s_mul_i32 s8, s8, s6
	s_waitcnt lgkmcnt(0)
	s_ashr_i32 s13, s12, 31
	s_lshl_b64 s[8:9], s[8:9], 2
	s_add_u32 s18, s18, s8
	s_addc_u32 s19, s19, s9
	s_lshl_b64 s[8:9], s[12:13], 2
	s_add_u32 s12, s18, s8
	s_addc_u32 s13, s19, s9
.LBB100_3:
	s_load_dwordx2 s[8:9], s[4:5], 0x8
	s_load_dword s18, s[4:5], 0x38
	v_lshlrev_b32_e32 v77, 3, v0
	s_waitcnt lgkmcnt(0)
	s_ashr_i32 s5, s8, 31
	s_mov_b32 s4, s8
	s_lshl_b64 s[4:5], s[4:5], 3
	s_add_u32 s4, s16, s4
	s_addc_u32 s5, s17, s5
	v_mov_b32_e32 v2, s5
	v_add_co_u32_e32 v1, vcc, s4, v77
	v_addc_co_u32_e32 v2, vcc, 0, v2, vcc
	flat_load_dwordx2 v[5:6], v[1:2]
	s_mov_b32 s16, s9
	s_ashr_i32 s17, s9, 31
	s_lshl_b64 s[16:17], s[16:17], 3
	v_mov_b32_e32 v4, s17
	v_add_co_u32_e32 v3, vcc, s16, v1
	v_addc_co_u32_e32 v4, vcc, v2, v4, vcc
	s_add_i32 s8, s9, s9
	v_add_u32_e32 v9, s8, v0
	v_ashrrev_i32_e32 v10, 31, v9
	v_mov_b32_e32 v11, s5
	v_add_u32_e32 v12, s9, v9
	v_ashrrev_i32_e32 v13, 31, v12
	v_mov_b32_e32 v14, s5
	v_mov_b32_e32 v15, s5
	;; [unrolled: 1-line block ×33, first 2 shown]
	s_bitcmp0_b32 s18, 0
	s_waitcnt vmcnt(0) lgkmcnt(0)
	buffer_store_dword v6, off, s[0:3], 0 offset:4
	buffer_store_dword v5, off, s[0:3], 0
	flat_load_dwordx2 v[7:8], v[3:4]
	v_lshlrev_b64 v[5:6], 3, v[9:10]
	s_waitcnt vmcnt(0) lgkmcnt(0)
	buffer_store_dword v8, off, s[0:3], 0 offset:12
	buffer_store_dword v7, off, s[0:3], 0 offset:8
	v_add_co_u32_e32 v5, vcc, s4, v5
	v_addc_co_u32_e32 v6, vcc, v11, v6, vcc
	flat_load_dwordx2 v[10:11], v[5:6]
	v_lshlrev_b64 v[7:8], 3, v[12:13]
	s_waitcnt vmcnt(0) lgkmcnt(0)
	buffer_store_dword v11, off, s[0:3], 0 offset:20
	buffer_store_dword v10, off, s[0:3], 0 offset:16
	v_add_co_u32_e32 v7, vcc, s4, v7
	v_addc_co_u32_e32 v8, vcc, v14, v8, vcc
	flat_load_dwordx2 v[13:14], v[7:8]
	v_add_u32_e32 v11, s9, v12
	v_ashrrev_i32_e32 v12, 31, v11
	v_lshlrev_b64 v[9:10], 3, v[11:12]
	s_waitcnt vmcnt(0) lgkmcnt(0)
	buffer_store_dword v14, off, s[0:3], 0 offset:28
	buffer_store_dword v13, off, s[0:3], 0 offset:24
	v_add_co_u32_e32 v9, vcc, s4, v9
	v_addc_co_u32_e32 v10, vcc, v15, v10, vcc
	flat_load_dwordx2 v[13:14], v[9:10]
	v_add_u32_e32 v15, s9, v11
	v_ashrrev_i32_e32 v16, 31, v15
	v_lshlrev_b64 v[11:12], 3, v[15:16]
	v_add_u32_e32 v18, s9, v15
	v_add_co_u32_e32 v11, vcc, s4, v11
	v_addc_co_u32_e32 v12, vcc, v17, v12, vcc
	v_ashrrev_i32_e32 v19, 31, v18
	s_waitcnt vmcnt(0) lgkmcnt(0)
	buffer_store_dword v14, off, s[0:3], 0 offset:36
	buffer_store_dword v13, off, s[0:3], 0 offset:32
	flat_load_dwordx2 v[16:17], v[11:12]
	v_lshlrev_b64 v[13:14], 3, v[18:19]
	s_waitcnt vmcnt(0) lgkmcnt(0)
	buffer_store_dword v17, off, s[0:3], 0 offset:44
	buffer_store_dword v16, off, s[0:3], 0 offset:40
	v_add_co_u32_e32 v13, vcc, s4, v13
	v_addc_co_u32_e32 v14, vcc, v20, v14, vcc
	flat_load_dwordx2 v[19:20], v[13:14]
	v_add_u32_e32 v17, s9, v18
	v_ashrrev_i32_e32 v18, 31, v17
	v_lshlrev_b64 v[15:16], 3, v[17:18]
	s_waitcnt vmcnt(0) lgkmcnt(0)
	buffer_store_dword v20, off, s[0:3], 0 offset:52
	buffer_store_dword v19, off, s[0:3], 0 offset:48
	v_add_co_u32_e32 v15, vcc, s4, v15
	v_addc_co_u32_e32 v16, vcc, v21, v16, vcc
	flat_load_dwordx2 v[19:20], v[15:16]
	v_add_u32_e32 v21, s9, v17
	v_ashrrev_i32_e32 v22, 31, v21
	v_lshlrev_b64 v[17:18], 3, v[21:22]
	v_add_u32_e32 v24, s9, v21
	v_add_co_u32_e32 v17, vcc, s4, v17
	v_addc_co_u32_e32 v18, vcc, v23, v18, vcc
	v_ashrrev_i32_e32 v25, 31, v24
	s_waitcnt vmcnt(0) lgkmcnt(0)
	buffer_store_dword v20, off, s[0:3], 0 offset:60
	buffer_store_dword v19, off, s[0:3], 0 offset:56
	flat_load_dwordx2 v[22:23], v[17:18]
	v_lshlrev_b64 v[19:20], 3, v[24:25]
	s_waitcnt vmcnt(0) lgkmcnt(0)
	buffer_store_dword v23, off, s[0:3], 0 offset:68
	buffer_store_dword v22, off, s[0:3], 0 offset:64
	v_add_co_u32_e32 v19, vcc, s4, v19
	v_addc_co_u32_e32 v20, vcc, v26, v20, vcc
	flat_load_dwordx2 v[25:26], v[19:20]
	v_add_u32_e32 v23, s9, v24
	v_ashrrev_i32_e32 v24, 31, v23
	v_lshlrev_b64 v[21:22], 3, v[23:24]
	s_waitcnt vmcnt(0) lgkmcnt(0)
	buffer_store_dword v26, off, s[0:3], 0 offset:76
	buffer_store_dword v25, off, s[0:3], 0 offset:72
	v_add_co_u32_e32 v21, vcc, s4, v21
	v_addc_co_u32_e32 v22, vcc, v27, v22, vcc
	flat_load_dwordx2 v[25:26], v[21:22]
	v_add_u32_e32 v27, s9, v23
	v_ashrrev_i32_e32 v28, 31, v27
	v_lshlrev_b64 v[23:24], 3, v[27:28]
	v_add_u32_e32 v30, s9, v27
	v_add_co_u32_e32 v23, vcc, s4, v23
	v_addc_co_u32_e32 v24, vcc, v29, v24, vcc
	v_ashrrev_i32_e32 v31, 31, v30
	s_waitcnt vmcnt(0) lgkmcnt(0)
	buffer_store_dword v26, off, s[0:3], 0 offset:84
	buffer_store_dword v25, off, s[0:3], 0 offset:80
	flat_load_dwordx2 v[28:29], v[23:24]
	v_lshlrev_b64 v[25:26], 3, v[30:31]
	s_waitcnt vmcnt(0) lgkmcnt(0)
	buffer_store_dword v29, off, s[0:3], 0 offset:92
	buffer_store_dword v28, off, s[0:3], 0 offset:88
	v_add_co_u32_e32 v25, vcc, s4, v25
	v_addc_co_u32_e32 v26, vcc, v32, v26, vcc
	flat_load_dwordx2 v[31:32], v[25:26]
	v_add_u32_e32 v29, s9, v30
	v_ashrrev_i32_e32 v30, 31, v29
	v_lshlrev_b64 v[27:28], 3, v[29:30]
	s_waitcnt vmcnt(0) lgkmcnt(0)
	buffer_store_dword v32, off, s[0:3], 0 offset:100
	buffer_store_dword v31, off, s[0:3], 0 offset:96
	v_add_co_u32_e32 v27, vcc, s4, v27
	v_addc_co_u32_e32 v28, vcc, v33, v28, vcc
	flat_load_dwordx2 v[31:32], v[27:28]
	v_add_u32_e32 v33, s9, v29
	v_ashrrev_i32_e32 v34, 31, v33
	v_lshlrev_b64 v[29:30], 3, v[33:34]
	v_add_u32_e32 v36, s9, v33
	v_add_co_u32_e32 v29, vcc, s4, v29
	v_addc_co_u32_e32 v30, vcc, v35, v30, vcc
	v_ashrrev_i32_e32 v37, 31, v36
	s_waitcnt vmcnt(0) lgkmcnt(0)
	buffer_store_dword v32, off, s[0:3], 0 offset:108
	buffer_store_dword v31, off, s[0:3], 0 offset:104
	flat_load_dwordx2 v[34:35], v[29:30]
	v_lshlrev_b64 v[31:32], 3, v[36:37]
	s_waitcnt vmcnt(0) lgkmcnt(0)
	buffer_store_dword v35, off, s[0:3], 0 offset:116
	buffer_store_dword v34, off, s[0:3], 0 offset:112
	v_add_co_u32_e32 v31, vcc, s4, v31
	v_addc_co_u32_e32 v32, vcc, v38, v32, vcc
	flat_load_dwordx2 v[37:38], v[31:32]
	v_add_u32_e32 v35, s9, v36
	v_ashrrev_i32_e32 v36, 31, v35
	v_lshlrev_b64 v[33:34], 3, v[35:36]
	s_waitcnt vmcnt(0) lgkmcnt(0)
	buffer_store_dword v38, off, s[0:3], 0 offset:124
	buffer_store_dword v37, off, s[0:3], 0 offset:120
	v_add_co_u32_e32 v33, vcc, s4, v33
	v_addc_co_u32_e32 v34, vcc, v39, v34, vcc
	flat_load_dwordx2 v[37:38], v[33:34]
	v_add_u32_e32 v39, s9, v35
	v_ashrrev_i32_e32 v40, 31, v39
	v_lshlrev_b64 v[35:36], 3, v[39:40]
	v_add_u32_e32 v42, s9, v39
	v_add_co_u32_e32 v35, vcc, s4, v35
	v_addc_co_u32_e32 v36, vcc, v41, v36, vcc
	v_ashrrev_i32_e32 v43, 31, v42
	s_waitcnt vmcnt(0) lgkmcnt(0)
	buffer_store_dword v38, off, s[0:3], 0 offset:132
	buffer_store_dword v37, off, s[0:3], 0 offset:128
	flat_load_dwordx2 v[40:41], v[35:36]
	v_lshlrev_b64 v[37:38], 3, v[42:43]
	s_waitcnt vmcnt(0) lgkmcnt(0)
	buffer_store_dword v41, off, s[0:3], 0 offset:140
	buffer_store_dword v40, off, s[0:3], 0 offset:136
	v_add_co_u32_e32 v37, vcc, s4, v37
	v_addc_co_u32_e32 v38, vcc, v44, v38, vcc
	flat_load_dwordx2 v[43:44], v[37:38]
	v_add_u32_e32 v41, s9, v42
	v_ashrrev_i32_e32 v42, 31, v41
	v_lshlrev_b64 v[39:40], 3, v[41:42]
	s_waitcnt vmcnt(0) lgkmcnt(0)
	buffer_store_dword v44, off, s[0:3], 0 offset:148
	buffer_store_dword v43, off, s[0:3], 0 offset:144
	v_add_co_u32_e32 v39, vcc, s4, v39
	v_addc_co_u32_e32 v40, vcc, v45, v40, vcc
	flat_load_dwordx2 v[43:44], v[39:40]
	v_add_u32_e32 v45, s9, v41
	v_ashrrev_i32_e32 v46, 31, v45
	v_lshlrev_b64 v[41:42], 3, v[45:46]
	v_add_u32_e32 v48, s9, v45
	v_add_co_u32_e32 v41, vcc, s4, v41
	v_addc_co_u32_e32 v42, vcc, v47, v42, vcc
	v_ashrrev_i32_e32 v49, 31, v48
	s_waitcnt vmcnt(0) lgkmcnt(0)
	buffer_store_dword v44, off, s[0:3], 0 offset:156
	buffer_store_dword v43, off, s[0:3], 0 offset:152
	flat_load_dwordx2 v[46:47], v[41:42]
	v_lshlrev_b64 v[43:44], 3, v[48:49]
	s_waitcnt vmcnt(0) lgkmcnt(0)
	buffer_store_dword v47, off, s[0:3], 0 offset:164
	buffer_store_dword v46, off, s[0:3], 0 offset:160
	v_add_co_u32_e32 v43, vcc, s4, v43
	v_addc_co_u32_e32 v44, vcc, v50, v44, vcc
	flat_load_dwordx2 v[49:50], v[43:44]
	v_add_u32_e32 v47, s9, v48
	v_ashrrev_i32_e32 v48, 31, v47
	v_lshlrev_b64 v[45:46], 3, v[47:48]
	s_waitcnt vmcnt(0) lgkmcnt(0)
	buffer_store_dword v50, off, s[0:3], 0 offset:172
	buffer_store_dword v49, off, s[0:3], 0 offset:168
	v_add_co_u32_e32 v45, vcc, s4, v45
	v_addc_co_u32_e32 v46, vcc, v51, v46, vcc
	flat_load_dwordx2 v[49:50], v[45:46]
	v_add_u32_e32 v51, s9, v47
	v_ashrrev_i32_e32 v52, 31, v51
	v_lshlrev_b64 v[47:48], 3, v[51:52]
	v_add_u32_e32 v54, s9, v51
	v_add_co_u32_e32 v47, vcc, s4, v47
	v_addc_co_u32_e32 v48, vcc, v53, v48, vcc
	v_ashrrev_i32_e32 v55, 31, v54
	s_waitcnt vmcnt(0) lgkmcnt(0)
	buffer_store_dword v50, off, s[0:3], 0 offset:180
	buffer_store_dword v49, off, s[0:3], 0 offset:176
	flat_load_dwordx2 v[52:53], v[47:48]
	v_lshlrev_b64 v[49:50], 3, v[54:55]
	s_waitcnt vmcnt(0) lgkmcnt(0)
	buffer_store_dword v53, off, s[0:3], 0 offset:188
	buffer_store_dword v52, off, s[0:3], 0 offset:184
	v_add_co_u32_e32 v49, vcc, s4, v49
	v_addc_co_u32_e32 v50, vcc, v56, v50, vcc
	flat_load_dwordx2 v[55:56], v[49:50]
	v_add_u32_e32 v53, s9, v54
	v_ashrrev_i32_e32 v54, 31, v53
	v_lshlrev_b64 v[51:52], 3, v[53:54]
	s_waitcnt vmcnt(0) lgkmcnt(0)
	buffer_store_dword v56, off, s[0:3], 0 offset:196
	buffer_store_dword v55, off, s[0:3], 0 offset:192
	v_add_co_u32_e32 v51, vcc, s4, v51
	v_addc_co_u32_e32 v52, vcc, v57, v52, vcc
	flat_load_dwordx2 v[55:56], v[51:52]
	v_add_u32_e32 v57, s9, v53
	v_ashrrev_i32_e32 v58, 31, v57
	v_lshlrev_b64 v[53:54], 3, v[57:58]
	v_add_u32_e32 v60, s9, v57
	v_add_co_u32_e32 v53, vcc, s4, v53
	v_addc_co_u32_e32 v54, vcc, v59, v54, vcc
	s_waitcnt vmcnt(0) lgkmcnt(0)
	buffer_store_dword v56, off, s[0:3], 0 offset:204
	buffer_store_dword v55, off, s[0:3], 0 offset:200
	flat_load_dwordx2 v[58:59], v[53:54]
	v_ashrrev_i32_e32 v61, 31, v60
	v_lshlrev_b64 v[55:56], 3, v[60:61]
	s_waitcnt vmcnt(0) lgkmcnt(0)
	buffer_store_dword v59, off, s[0:3], 0 offset:212
	buffer_store_dword v58, off, s[0:3], 0 offset:208
	v_add_co_u32_e32 v55, vcc, s4, v55
	v_addc_co_u32_e32 v56, vcc, v62, v56, vcc
	flat_load_dwordx2 v[61:62], v[55:56]
	v_add_u32_e32 v59, s9, v60
	v_ashrrev_i32_e32 v60, 31, v59
	v_lshlrev_b64 v[57:58], 3, v[59:60]
	s_waitcnt vmcnt(0) lgkmcnt(0)
	buffer_store_dword v62, off, s[0:3], 0 offset:220
	buffer_store_dword v61, off, s[0:3], 0 offset:216
	v_add_co_u32_e32 v57, vcc, s4, v57
	v_addc_co_u32_e32 v58, vcc, v63, v58, vcc
	flat_load_dwordx2 v[61:62], v[57:58]
	v_add_u32_e32 v63, s9, v59
	;; [unrolled: 9-line block ×9, first 2 shown]
	v_ashrrev_i32_e32 v74, 31, v73
	v_lshlrev_b64 v[73:74], 3, v[73:74]
	v_mov_b32_e32 v76, s5
	v_add_co_u32_e32 v73, vcc, s4, v73
	v_addc_co_u32_e32 v74, vcc, v76, v74, vcc
	s_waitcnt vmcnt(0) lgkmcnt(0)
	buffer_store_dword v79, off, s[0:3], 0 offset:284
	buffer_store_dword v78, off, s[0:3], 0 offset:280
	flat_load_dwordx2 v[75:76], v[73:74]
	s_mov_b64 s[8:9], -1
	s_waitcnt vmcnt(0) lgkmcnt(0)
	buffer_store_dword v76, off, s[0:3], 0 offset:292
	buffer_store_dword v75, off, s[0:3], 0 offset:288
	s_cbranch_scc1 .LBB100_154
; %bb.4:
	v_cmp_eq_u32_e64 s[4:5], 0, v0
	s_and_saveexec_b64 s[8:9], s[4:5]
; %bb.5:
	v_mov_b32_e32 v75, 0
	ds_write_b32 v75, v75 offset:296
; %bb.6:
	s_or_b64 exec, exec, s[8:9]
	v_mov_b32_e32 v75, 0
	v_lshl_add_u32 v75, v0, 3, v75
	s_waitcnt lgkmcnt(0)
	; wave barrier
	buffer_load_dword v78, v75, s[0:3], 0 offen
	buffer_load_dword v79, v75, s[0:3], 0 offen offset:4
	s_waitcnt vmcnt(0)
	v_cmp_eq_f64_e32 vcc, 0, v[78:79]
	s_and_saveexec_b64 s[16:17], vcc
	s_cbranch_execz .LBB100_10
; %bb.7:
	v_mov_b32_e32 v76, 0
	ds_read_b32 v79, v76 offset:296
	v_add_u32_e32 v78, 1, v0
	s_waitcnt lgkmcnt(0)
	v_readfirstlane_b32 s8, v79
	s_cmp_eq_u32 s8, 0
	s_cselect_b64 s[18:19], -1, 0
	v_cmp_gt_i32_e32 vcc, s8, v78
	s_or_b64 s[18:19], s[18:19], vcc
	s_and_b64 exec, exec, s[18:19]
	s_cbranch_execz .LBB100_10
; %bb.8:
	s_mov_b64 s[18:19], 0
	v_mov_b32_e32 v79, s8
.LBB100_9:                              ; =>This Inner Loop Header: Depth=1
	ds_cmpst_rtn_b32 v79, v76, v79, v78 offset:296
	s_waitcnt lgkmcnt(0)
	v_cmp_ne_u32_e32 vcc, 0, v79
	v_cmp_le_i32_e64 s[8:9], v79, v78
	s_and_b64 s[8:9], vcc, s[8:9]
	s_and_b64 s[8:9], exec, s[8:9]
	s_or_b64 s[18:19], s[8:9], s[18:19]
	s_andn2_b64 exec, exec, s[18:19]
	s_cbranch_execnz .LBB100_9
.LBB100_10:
	s_or_b64 exec, exec, s[16:17]
	v_mov_b32_e32 v78, 0
	; wave barrier
	ds_read_b32 v76, v78 offset:296
	s_and_saveexec_b64 s[8:9], s[4:5]
	s_cbranch_execz .LBB100_12
; %bb.11:
	s_lshl_b64 s[16:17], s[6:7], 2
	s_add_u32 s16, s10, s16
	s_addc_u32 s17, s11, s17
	s_waitcnt lgkmcnt(0)
	global_store_dword v78, v76, s[16:17]
.LBB100_12:
	s_or_b64 exec, exec, s[8:9]
	s_waitcnt lgkmcnt(0)
	v_cmp_ne_u32_e32 vcc, 0, v76
	s_mov_b64 s[8:9], 0
	s_cbranch_vccnz .LBB100_154
; %bb.13:
	buffer_load_dword v78, v75, s[0:3], 0 offen
	buffer_load_dword v79, v75, s[0:3], 0 offen offset:4
	s_waitcnt vmcnt(0)
	v_div_scale_f64 v[80:81], s[8:9], v[78:79], v[78:79], 1.0
	v_rcp_f64_e32 v[82:83], v[80:81]
	v_fma_f64 v[84:85], -v[80:81], v[82:83], 1.0
	v_fma_f64 v[82:83], v[82:83], v[84:85], v[82:83]
	v_div_scale_f64 v[84:85], vcc, 1.0, v[78:79], 1.0
	v_fma_f64 v[86:87], -v[80:81], v[82:83], 1.0
	v_fma_f64 v[82:83], v[82:83], v[86:87], v[82:83]
	v_mul_f64 v[86:87], v[84:85], v[82:83]
	v_fma_f64 v[80:81], -v[80:81], v[86:87], v[84:85]
	v_div_fmas_f64 v[80:81], v[80:81], v[82:83], v[86:87]
	v_div_fixup_f64 v[79:80], v[80:81], v[78:79], 1.0
	v_add_u32_e32 v78, 0x130, v77
	buffer_store_dword v80, v75, s[0:3], 0 offen offset:4
	buffer_store_dword v79, v75, s[0:3], 0 offen
	buffer_load_dword v82, off, s[0:3], 0 offset:12
	buffer_load_dword v81, off, s[0:3], 0 offset:8
	v_xor_b32_e32 v80, 0x80000000, v80
	s_waitcnt vmcnt(0)
	ds_write2_b64 v77, v[79:80], v[81:82] offset1:38
	s_waitcnt lgkmcnt(0)
	; wave barrier
	s_and_saveexec_b64 s[8:9], s[4:5]
	s_cbranch_execz .LBB100_15
; %bb.14:
	buffer_load_dword v79, v75, s[0:3], 0 offen
	buffer_load_dword v80, v75, s[0:3], 0 offen offset:4
	ds_read_b64 v[81:82], v78
	v_mov_b32_e32 v76, 0
	ds_read_b64 v[83:84], v76 offset:8
	s_waitcnt vmcnt(0) lgkmcnt(1)
	v_fma_f64 v[79:80], v[79:80], v[81:82], 0
	s_waitcnt lgkmcnt(0)
	v_mul_f64 v[79:80], v[79:80], v[83:84]
	buffer_store_dword v79, off, s[0:3], 0 offset:8
	buffer_store_dword v80, off, s[0:3], 0 offset:12
.LBB100_15:
	s_or_b64 exec, exec, s[8:9]
	; wave barrier
	buffer_load_dword v79, off, s[0:3], 0 offset:16
	buffer_load_dword v80, off, s[0:3], 0 offset:20
	v_cmp_gt_u32_e32 vcc, 2, v0
	s_waitcnt vmcnt(0)
	ds_write_b64 v78, v[79:80]
	s_waitcnt lgkmcnt(0)
	; wave barrier
	s_and_saveexec_b64 s[8:9], vcc
	s_cbranch_execz .LBB100_17
; %bb.16:
	buffer_load_dword v79, v75, s[0:3], 0 offen
	buffer_load_dword v80, v75, s[0:3], 0 offen offset:4
                                        ; kill: killed $vgpr75
	s_nop 0
	buffer_load_dword v75, off, s[0:3], 0 offset:8
	buffer_load_dword v76, off, s[0:3], 0 offset:12
	ds_read_b64 v[81:82], v78
	s_waitcnt vmcnt(2) lgkmcnt(0)
	v_fma_f64 v[83:84], v[79:80], v[81:82], 0
	v_mov_b32_e32 v79, 0
	ds_read2_b64 v[79:82], v79 offset0:2 offset1:39
	s_waitcnt vmcnt(0) lgkmcnt(0)
	v_fma_f64 v[75:76], v[75:76], v[81:82], v[83:84]
	v_cndmask_b32_e64 v76, v84, v76, s[4:5]
	v_cndmask_b32_e64 v75, v83, v75, s[4:5]
	v_mul_f64 v[75:76], v[75:76], v[79:80]
	buffer_store_dword v76, off, s[0:3], 0 offset:20
	buffer_store_dword v75, off, s[0:3], 0 offset:16
.LBB100_17:
	s_or_b64 exec, exec, s[8:9]
	; wave barrier
	buffer_load_dword v75, off, s[0:3], 0 offset:24
	buffer_load_dword v76, off, s[0:3], 0 offset:28
	v_cmp_gt_u32_e32 vcc, 3, v0
	v_add_u32_e32 v79, -1, v0
	s_waitcnt vmcnt(0)
	ds_write_b64 v78, v[75:76]
	s_waitcnt lgkmcnt(0)
	; wave barrier
	s_and_saveexec_b64 s[4:5], vcc
	s_cbranch_execz .LBB100_21
; %bb.18:
	v_mov_b32_e32 v75, 0
	v_add_u32_e32 v80, -1, v0
	v_add_u32_e32 v81, 0x130, v77
	v_mov_b32_e32 v82, v77
	v_mov_b32_e32 v76, 0
	s_mov_b64 s[8:9], 0
.LBB100_19:                             ; =>This Inner Loop Header: Depth=1
	buffer_load_dword v83, v82, s[0:3], 0 offen
	buffer_load_dword v84, v82, s[0:3], 0 offen offset:4
	ds_read_b64 v[85:86], v81
	v_add_u32_e32 v80, 1, v80
	v_cmp_lt_u32_e32 vcc, 1, v80
	v_add_u32_e32 v81, 8, v81
	s_or_b64 s[8:9], vcc, s[8:9]
	v_add_u32_e32 v82, 8, v82
	s_waitcnt vmcnt(0) lgkmcnt(0)
	v_fma_f64 v[75:76], v[83:84], v[85:86], v[75:76]
	s_andn2_b64 exec, exec, s[8:9]
	s_cbranch_execnz .LBB100_19
; %bb.20:
	s_or_b64 exec, exec, s[8:9]
	v_mov_b32_e32 v80, 0
	ds_read_b64 v[80:81], v80 offset:24
	s_waitcnt lgkmcnt(0)
	v_mul_f64 v[75:76], v[75:76], v[80:81]
	buffer_store_dword v76, off, s[0:3], 0 offset:28
	buffer_store_dword v75, off, s[0:3], 0 offset:24
.LBB100_21:
	s_or_b64 exec, exec, s[4:5]
	; wave barrier
	buffer_load_dword v75, off, s[0:3], 0 offset:32
	buffer_load_dword v76, off, s[0:3], 0 offset:36
	v_cmp_gt_u32_e32 vcc, 4, v0
	s_waitcnt vmcnt(0)
	ds_write_b64 v78, v[75:76]
	s_waitcnt lgkmcnt(0)
	; wave barrier
	s_and_saveexec_b64 s[4:5], vcc
	s_cbranch_execz .LBB100_25
; %bb.22:
	v_mov_b32_e32 v75, 0
	v_add_u32_e32 v80, -1, v0
	v_add_u32_e32 v81, 0x130, v77
	v_mov_b32_e32 v82, v77
	v_mov_b32_e32 v76, 0
	s_mov_b64 s[8:9], 0
.LBB100_23:                             ; =>This Inner Loop Header: Depth=1
	buffer_load_dword v83, v82, s[0:3], 0 offen
	buffer_load_dword v84, v82, s[0:3], 0 offen offset:4
	ds_read_b64 v[85:86], v81
	v_add_u32_e32 v80, 1, v80
	v_cmp_lt_u32_e32 vcc, 2, v80
	v_add_u32_e32 v81, 8, v81
	s_or_b64 s[8:9], vcc, s[8:9]
	v_add_u32_e32 v82, 8, v82
	s_waitcnt vmcnt(0) lgkmcnt(0)
	v_fma_f64 v[75:76], v[83:84], v[85:86], v[75:76]
	s_andn2_b64 exec, exec, s[8:9]
	s_cbranch_execnz .LBB100_23
; %bb.24:
	s_or_b64 exec, exec, s[8:9]
	v_mov_b32_e32 v80, 0
	ds_read_b64 v[80:81], v80 offset:32
	s_waitcnt lgkmcnt(0)
	v_mul_f64 v[75:76], v[75:76], v[80:81]
	buffer_store_dword v76, off, s[0:3], 0 offset:36
	buffer_store_dword v75, off, s[0:3], 0 offset:32
.LBB100_25:
	s_or_b64 exec, exec, s[4:5]
	; wave barrier
	buffer_load_dword v75, off, s[0:3], 0 offset:40
	buffer_load_dword v76, off, s[0:3], 0 offset:44
	v_cmp_gt_u32_e32 vcc, 5, v0
	;; [unrolled: 40-line block ×21, first 2 shown]
	s_waitcnt vmcnt(0)
	ds_write_b64 v78, v[75:76]
	s_waitcnt lgkmcnt(0)
	; wave barrier
	s_and_saveexec_b64 s[4:5], vcc
	s_cbranch_execz .LBB100_105
; %bb.102:
	v_mov_b32_e32 v75, 0
	v_add_u32_e32 v80, -1, v0
	v_add_u32_e32 v81, 0x130, v77
	v_mov_b32_e32 v82, v77
	v_mov_b32_e32 v76, 0
	s_mov_b64 s[8:9], 0
.LBB100_103:                            ; =>This Inner Loop Header: Depth=1
	buffer_load_dword v83, v82, s[0:3], 0 offen
	buffer_load_dword v84, v82, s[0:3], 0 offen offset:4
	ds_read_b64 v[85:86], v81
	v_add_u32_e32 v80, 1, v80
	v_cmp_lt_u32_e32 vcc, 22, v80
	v_add_u32_e32 v81, 8, v81
	s_or_b64 s[8:9], vcc, s[8:9]
	v_add_u32_e32 v82, 8, v82
	s_waitcnt vmcnt(0) lgkmcnt(0)
	v_fma_f64 v[75:76], v[83:84], v[85:86], v[75:76]
	s_andn2_b64 exec, exec, s[8:9]
	s_cbranch_execnz .LBB100_103
; %bb.104:
	s_or_b64 exec, exec, s[8:9]
	v_mov_b32_e32 v80, 0
	ds_read_b64 v[80:81], v80 offset:192
	s_waitcnt lgkmcnt(0)
	v_mul_f64 v[75:76], v[75:76], v[80:81]
	buffer_store_dword v76, off, s[0:3], 0 offset:196
	buffer_store_dword v75, off, s[0:3], 0 offset:192
.LBB100_105:
	s_or_b64 exec, exec, s[4:5]
	; wave barrier
	buffer_load_dword v75, off, s[0:3], 0 offset:200
	buffer_load_dword v76, off, s[0:3], 0 offset:204
	v_cmp_gt_u32_e32 vcc, 25, v0
	s_waitcnt vmcnt(0)
	ds_write_b64 v78, v[75:76]
	s_waitcnt lgkmcnt(0)
	; wave barrier
	s_and_saveexec_b64 s[4:5], vcc
	s_cbranch_execz .LBB100_109
; %bb.106:
	v_mov_b32_e32 v75, 0
	v_add_u32_e32 v80, -1, v0
	v_add_u32_e32 v81, 0x130, v77
	v_mov_b32_e32 v82, v77
	v_mov_b32_e32 v76, 0
	s_mov_b64 s[8:9], 0
.LBB100_107:                            ; =>This Inner Loop Header: Depth=1
	buffer_load_dword v83, v82, s[0:3], 0 offen
	buffer_load_dword v84, v82, s[0:3], 0 offen offset:4
	ds_read_b64 v[85:86], v81
	v_add_u32_e32 v80, 1, v80
	v_cmp_lt_u32_e32 vcc, 23, v80
	v_add_u32_e32 v81, 8, v81
	s_or_b64 s[8:9], vcc, s[8:9]
	v_add_u32_e32 v82, 8, v82
	s_waitcnt vmcnt(0) lgkmcnt(0)
	v_fma_f64 v[75:76], v[83:84], v[85:86], v[75:76]
	s_andn2_b64 exec, exec, s[8:9]
	s_cbranch_execnz .LBB100_107
; %bb.108:
	s_or_b64 exec, exec, s[8:9]
	v_mov_b32_e32 v80, 0
	ds_read_b64 v[80:81], v80 offset:200
	s_waitcnt lgkmcnt(0)
	v_mul_f64 v[75:76], v[75:76], v[80:81]
	buffer_store_dword v76, off, s[0:3], 0 offset:204
	buffer_store_dword v75, off, s[0:3], 0 offset:200
.LBB100_109:
	s_or_b64 exec, exec, s[4:5]
	; wave barrier
	buffer_load_dword v75, off, s[0:3], 0 offset:208
	buffer_load_dword v76, off, s[0:3], 0 offset:212
	v_cmp_gt_u32_e32 vcc, 26, v0
	;; [unrolled: 40-line block ×11, first 2 shown]
	s_waitcnt vmcnt(0)
	ds_write_b64 v78, v[75:76]
	s_waitcnt lgkmcnt(0)
	; wave barrier
	s_and_saveexec_b64 s[4:5], vcc
	s_cbranch_execz .LBB100_149
; %bb.146:
	v_mov_b32_e32 v75, 0
	v_add_u32_e32 v80, -1, v0
	v_add_u32_e32 v81, 0x130, v77
	v_mov_b32_e32 v82, v77
	v_mov_b32_e32 v76, 0
	s_mov_b64 s[8:9], 0
.LBB100_147:                            ; =>This Inner Loop Header: Depth=1
	buffer_load_dword v83, v82, s[0:3], 0 offen
	buffer_load_dword v84, v82, s[0:3], 0 offen offset:4
	ds_read_b64 v[85:86], v81
	v_add_u32_e32 v80, 1, v80
	v_cmp_lt_u32_e32 vcc, 33, v80
	v_add_u32_e32 v81, 8, v81
	s_or_b64 s[8:9], vcc, s[8:9]
	v_add_u32_e32 v82, 8, v82
	s_waitcnt vmcnt(0) lgkmcnt(0)
	v_fma_f64 v[75:76], v[83:84], v[85:86], v[75:76]
	s_andn2_b64 exec, exec, s[8:9]
	s_cbranch_execnz .LBB100_147
; %bb.148:
	s_or_b64 exec, exec, s[8:9]
	v_mov_b32_e32 v80, 0
	ds_read_b64 v[80:81], v80 offset:280
	s_waitcnt lgkmcnt(0)
	v_mul_f64 v[75:76], v[75:76], v[80:81]
	buffer_store_dword v76, off, s[0:3], 0 offset:284
	buffer_store_dword v75, off, s[0:3], 0 offset:280
.LBB100_149:
	s_or_b64 exec, exec, s[4:5]
	; wave barrier
	buffer_load_dword v75, off, s[0:3], 0 offset:288
	buffer_load_dword v76, off, s[0:3], 0 offset:292
	v_cmp_ne_u32_e32 vcc, 36, v0
	s_waitcnt vmcnt(0)
	ds_write_b64 v78, v[75:76]
	s_waitcnt lgkmcnt(0)
	; wave barrier
	s_and_saveexec_b64 s[4:5], vcc
	s_cbranch_execz .LBB100_153
; %bb.150:
	v_mov_b32_e32 v75, 0
	v_add_u32_e32 v78, 0x130, v77
	v_mov_b32_e32 v76, 0
	s_mov_b64 s[8:9], 0
.LBB100_151:                            ; =>This Inner Loop Header: Depth=1
	buffer_load_dword v80, v77, s[0:3], 0 offen
	buffer_load_dword v81, v77, s[0:3], 0 offen offset:4
	ds_read_b64 v[82:83], v78
	v_add_u32_e32 v79, 1, v79
	v_cmp_lt_u32_e32 vcc, 34, v79
	v_add_u32_e32 v78, 8, v78
	s_or_b64 s[8:9], vcc, s[8:9]
	v_add_u32_e32 v77, 8, v77
	s_waitcnt vmcnt(0) lgkmcnt(0)
	v_fma_f64 v[75:76], v[80:81], v[82:83], v[75:76]
	s_andn2_b64 exec, exec, s[8:9]
	s_cbranch_execnz .LBB100_151
; %bb.152:
	s_or_b64 exec, exec, s[8:9]
	v_mov_b32_e32 v77, 0
	ds_read_b64 v[77:78], v77 offset:288
	s_waitcnt lgkmcnt(0)
	v_mul_f64 v[75:76], v[75:76], v[77:78]
	buffer_store_dword v76, off, s[0:3], 0 offset:292
	buffer_store_dword v75, off, s[0:3], 0 offset:288
.LBB100_153:
	s_or_b64 exec, exec, s[4:5]
	s_mov_b64 s[8:9], -1
	; wave barrier
.LBB100_154:
	s_and_b64 vcc, exec, s[8:9]
	s_cbranch_vccz .LBB100_156
; %bb.155:
	s_lshl_b64 s[4:5], s[6:7], 2
	s_add_u32 s4, s10, s4
	s_addc_u32 s5, s11, s5
	v_mov_b32_e32 v75, 0
	global_load_dword v75, v75, s[4:5]
	s_waitcnt vmcnt(0)
	v_cmp_ne_u32_e32 vcc, 0, v75
	s_cbranch_vccz .LBB100_157
.LBB100_156:
	s_endpgm
.LBB100_157:
	v_mov_b32_e32 v75, 0x130
	v_lshl_add_u32 v75, v0, 3, v75
	v_cmp_eq_u32_e32 vcc, 36, v0
	s_and_saveexec_b64 s[4:5], vcc
	s_cbranch_execz .LBB100_159
; %bb.158:
	buffer_load_dword v76, off, s[0:3], 0 offset:280
	buffer_load_dword v77, off, s[0:3], 0 offset:284
	v_mov_b32_e32 v78, 0
	buffer_store_dword v78, off, s[0:3], 0 offset:280
	buffer_store_dword v78, off, s[0:3], 0 offset:284
	s_waitcnt vmcnt(2)
	ds_write_b64 v75, v[76:77]
.LBB100_159:
	s_or_b64 exec, exec, s[4:5]
	s_waitcnt lgkmcnt(0)
	; wave barrier
	buffer_load_dword v77, off, s[0:3], 0 offset:288
	buffer_load_dword v78, off, s[0:3], 0 offset:292
	;; [unrolled: 1-line block ×4, first 2 shown]
	v_mov_b32_e32 v76, 0
	ds_read_b64 v[81:82], v76 offset:592
	v_cmp_lt_u32_e32 vcc, 34, v0
	s_waitcnt vmcnt(2) lgkmcnt(0)
	v_fma_f64 v[77:78], v[77:78], v[81:82], 0
	s_waitcnt vmcnt(0)
	v_add_f64 v[77:78], v[79:80], -v[77:78]
	buffer_store_dword v77, off, s[0:3], 0 offset:280
	buffer_store_dword v78, off, s[0:3], 0 offset:284
	s_and_saveexec_b64 s[4:5], vcc
	s_cbranch_execz .LBB100_161
; %bb.160:
	buffer_load_dword v77, off, s[0:3], 0 offset:272
	buffer_load_dword v78, off, s[0:3], 0 offset:276
	s_waitcnt vmcnt(0)
	ds_write_b64 v75, v[77:78]
	buffer_store_dword v76, off, s[0:3], 0 offset:272
	buffer_store_dword v76, off, s[0:3], 0 offset:276
.LBB100_161:
	s_or_b64 exec, exec, s[4:5]
	s_waitcnt lgkmcnt(0)
	; wave barrier
	buffer_load_dword v80, off, s[0:3], 0 offset:280
	buffer_load_dword v81, off, s[0:3], 0 offset:284
	buffer_load_dword v82, off, s[0:3], 0 offset:288
	buffer_load_dword v83, off, s[0:3], 0 offset:292
	buffer_load_dword v84, off, s[0:3], 0 offset:272
	buffer_load_dword v85, off, s[0:3], 0 offset:276
	ds_read2_b64 v[76:79], v76 offset0:73 offset1:74
	v_cmp_lt_u32_e32 vcc, 33, v0
	s_waitcnt vmcnt(4) lgkmcnt(0)
	v_fma_f64 v[76:77], v[80:81], v[76:77], 0
	s_waitcnt vmcnt(2)
	v_fma_f64 v[76:77], v[82:83], v[78:79], v[76:77]
	s_waitcnt vmcnt(0)
	v_add_f64 v[76:77], v[84:85], -v[76:77]
	buffer_store_dword v76, off, s[0:3], 0 offset:272
	buffer_store_dword v77, off, s[0:3], 0 offset:276
	s_and_saveexec_b64 s[4:5], vcc
	s_cbranch_execz .LBB100_163
; %bb.162:
	buffer_load_dword v76, off, s[0:3], 0 offset:264
	buffer_load_dword v77, off, s[0:3], 0 offset:268
	v_mov_b32_e32 v78, 0
	buffer_store_dword v78, off, s[0:3], 0 offset:264
	buffer_store_dword v78, off, s[0:3], 0 offset:268
	s_waitcnt vmcnt(2)
	ds_write_b64 v75, v[76:77]
.LBB100_163:
	s_or_b64 exec, exec, s[4:5]
	s_waitcnt lgkmcnt(0)
	; wave barrier
	buffer_load_dword v81, off, s[0:3], 0 offset:272
	buffer_load_dword v82, off, s[0:3], 0 offset:276
	;; [unrolled: 1-line block ×8, first 2 shown]
	v_mov_b32_e32 v76, 0
	ds_read_b128 v[77:80], v76 offset:576
	ds_read_b64 v[89:90], v76 offset:592
	v_cmp_lt_u32_e32 vcc, 32, v0
	s_waitcnt vmcnt(6) lgkmcnt(1)
	v_fma_f64 v[77:78], v[81:82], v[77:78], 0
	s_waitcnt vmcnt(4)
	v_fma_f64 v[77:78], v[83:84], v[79:80], v[77:78]
	s_waitcnt vmcnt(2) lgkmcnt(0)
	v_fma_f64 v[77:78], v[85:86], v[89:90], v[77:78]
	s_waitcnt vmcnt(0)
	v_add_f64 v[77:78], v[87:88], -v[77:78]
	buffer_store_dword v77, off, s[0:3], 0 offset:264
	buffer_store_dword v78, off, s[0:3], 0 offset:268
	s_and_saveexec_b64 s[4:5], vcc
	s_cbranch_execz .LBB100_165
; %bb.164:
	buffer_load_dword v77, off, s[0:3], 0 offset:256
	buffer_load_dword v78, off, s[0:3], 0 offset:260
	s_waitcnt vmcnt(0)
	ds_write_b64 v75, v[77:78]
	buffer_store_dword v76, off, s[0:3], 0 offset:256
	buffer_store_dword v76, off, s[0:3], 0 offset:260
.LBB100_165:
	s_or_b64 exec, exec, s[4:5]
	s_waitcnt lgkmcnt(0)
	; wave barrier
	buffer_load_dword v85, off, s[0:3], 0 offset:264
	buffer_load_dword v86, off, s[0:3], 0 offset:268
	buffer_load_dword v87, off, s[0:3], 0 offset:272
	buffer_load_dword v88, off, s[0:3], 0 offset:276
	buffer_load_dword v89, off, s[0:3], 0 offset:280
	buffer_load_dword v90, off, s[0:3], 0 offset:284
	buffer_load_dword v91, off, s[0:3], 0 offset:288
	buffer_load_dword v92, off, s[0:3], 0 offset:292
	buffer_load_dword v93, off, s[0:3], 0 offset:256
	buffer_load_dword v94, off, s[0:3], 0 offset:260
	ds_read2_b64 v[77:80], v76 offset0:71 offset1:72
	ds_read2_b64 v[81:84], v76 offset0:73 offset1:74
	v_cmp_lt_u32_e32 vcc, 31, v0
	s_waitcnt vmcnt(8) lgkmcnt(1)
	v_fma_f64 v[76:77], v[85:86], v[77:78], 0
	s_waitcnt vmcnt(6)
	v_fma_f64 v[76:77], v[87:88], v[79:80], v[76:77]
	s_waitcnt vmcnt(4) lgkmcnt(0)
	v_fma_f64 v[76:77], v[89:90], v[81:82], v[76:77]
	s_waitcnt vmcnt(2)
	v_fma_f64 v[76:77], v[91:92], v[83:84], v[76:77]
	s_waitcnt vmcnt(0)
	v_add_f64 v[76:77], v[93:94], -v[76:77]
	buffer_store_dword v76, off, s[0:3], 0 offset:256
	buffer_store_dword v77, off, s[0:3], 0 offset:260
	s_and_saveexec_b64 s[4:5], vcc
	s_cbranch_execz .LBB100_167
; %bb.166:
	buffer_load_dword v76, off, s[0:3], 0 offset:248
	buffer_load_dword v77, off, s[0:3], 0 offset:252
	v_mov_b32_e32 v78, 0
	buffer_store_dword v78, off, s[0:3], 0 offset:248
	buffer_store_dword v78, off, s[0:3], 0 offset:252
	s_waitcnt vmcnt(2)
	ds_write_b64 v75, v[76:77]
.LBB100_167:
	s_or_b64 exec, exec, s[4:5]
	s_waitcnt lgkmcnt(0)
	; wave barrier
	buffer_load_dword v85, off, s[0:3], 0 offset:256
	buffer_load_dword v86, off, s[0:3], 0 offset:260
	;; [unrolled: 1-line block ×12, first 2 shown]
	v_mov_b32_e32 v76, 0
	ds_read_b128 v[77:80], v76 offset:560
	ds_read_b128 v[81:84], v76 offset:576
	v_cmp_lt_u32_e32 vcc, 30, v0
	s_waitcnt vmcnt(10) lgkmcnt(1)
	v_fma_f64 v[77:78], v[85:86], v[77:78], 0
	s_waitcnt vmcnt(8)
	v_fma_f64 v[77:78], v[87:88], v[79:80], v[77:78]
	ds_read_b64 v[79:80], v76 offset:592
	s_waitcnt vmcnt(6) lgkmcnt(1)
	v_fma_f64 v[77:78], v[89:90], v[81:82], v[77:78]
	s_waitcnt vmcnt(4)
	v_fma_f64 v[77:78], v[91:92], v[83:84], v[77:78]
	s_waitcnt vmcnt(2) lgkmcnt(0)
	v_fma_f64 v[77:78], v[93:94], v[79:80], v[77:78]
	s_waitcnt vmcnt(0)
	v_add_f64 v[77:78], v[95:96], -v[77:78]
	buffer_store_dword v77, off, s[0:3], 0 offset:248
	buffer_store_dword v78, off, s[0:3], 0 offset:252
	s_and_saveexec_b64 s[4:5], vcc
	s_cbranch_execz .LBB100_169
; %bb.168:
	buffer_load_dword v77, off, s[0:3], 0 offset:240
	buffer_load_dword v78, off, s[0:3], 0 offset:244
	s_waitcnt vmcnt(0)
	ds_write_b64 v75, v[77:78]
	buffer_store_dword v76, off, s[0:3], 0 offset:240
	buffer_store_dword v76, off, s[0:3], 0 offset:244
.LBB100_169:
	s_or_b64 exec, exec, s[4:5]
	s_waitcnt lgkmcnt(0)
	; wave barrier
	buffer_load_dword v85, off, s[0:3], 0 offset:248
	buffer_load_dword v86, off, s[0:3], 0 offset:252
	;; [unrolled: 1-line block ×14, first 2 shown]
	ds_read2_b64 v[77:80], v76 offset0:69 offset1:70
	ds_read2_b64 v[81:84], v76 offset0:71 offset1:72
	v_cmp_lt_u32_e32 vcc, 29, v0
	s_waitcnt vmcnt(12) lgkmcnt(1)
	v_fma_f64 v[77:78], v[85:86], v[77:78], 0
	s_waitcnt vmcnt(10)
	v_fma_f64 v[77:78], v[87:88], v[79:80], v[77:78]
	s_waitcnt vmcnt(8) lgkmcnt(0)
	v_fma_f64 v[77:78], v[89:90], v[81:82], v[77:78]
	s_waitcnt vmcnt(6)
	v_fma_f64 v[80:81], v[91:92], v[83:84], v[77:78]
	ds_read2_b64 v[76:79], v76 offset0:73 offset1:74
	s_waitcnt vmcnt(4) lgkmcnt(0)
	v_fma_f64 v[76:77], v[93:94], v[76:77], v[80:81]
	s_waitcnt vmcnt(2)
	v_fma_f64 v[76:77], v[95:96], v[78:79], v[76:77]
	s_waitcnt vmcnt(0)
	v_add_f64 v[76:77], v[97:98], -v[76:77]
	buffer_store_dword v76, off, s[0:3], 0 offset:240
	buffer_store_dword v77, off, s[0:3], 0 offset:244
	s_and_saveexec_b64 s[4:5], vcc
	s_cbranch_execz .LBB100_171
; %bb.170:
	buffer_load_dword v76, off, s[0:3], 0 offset:232
	buffer_load_dword v77, off, s[0:3], 0 offset:236
	v_mov_b32_e32 v78, 0
	buffer_store_dword v78, off, s[0:3], 0 offset:232
	buffer_store_dword v78, off, s[0:3], 0 offset:236
	s_waitcnt vmcnt(2)
	ds_write_b64 v75, v[76:77]
.LBB100_171:
	s_or_b64 exec, exec, s[4:5]
	s_waitcnt lgkmcnt(0)
	; wave barrier
	buffer_load_dword v85, off, s[0:3], 0 offset:240
	buffer_load_dword v86, off, s[0:3], 0 offset:244
	buffer_load_dword v87, off, s[0:3], 0 offset:248
	buffer_load_dword v88, off, s[0:3], 0 offset:252
	buffer_load_dword v89, off, s[0:3], 0 offset:256
	buffer_load_dword v90, off, s[0:3], 0 offset:260
	buffer_load_dword v91, off, s[0:3], 0 offset:264
	buffer_load_dword v92, off, s[0:3], 0 offset:268
	buffer_load_dword v93, off, s[0:3], 0 offset:272
	buffer_load_dword v94, off, s[0:3], 0 offset:276
	buffer_load_dword v95, off, s[0:3], 0 offset:280
	buffer_load_dword v96, off, s[0:3], 0 offset:284
	buffer_load_dword v97, off, s[0:3], 0 offset:288
	buffer_load_dword v98, off, s[0:3], 0 offset:292
	buffer_load_dword v99, off, s[0:3], 0 offset:232
	buffer_load_dword v100, off, s[0:3], 0 offset:236
	v_mov_b32_e32 v76, 0
	ds_read_b128 v[77:80], v76 offset:544
	ds_read_b128 v[81:84], v76 offset:560
	v_cmp_lt_u32_e32 vcc, 28, v0
	s_waitcnt vmcnt(14) lgkmcnt(1)
	v_fma_f64 v[77:78], v[85:86], v[77:78], 0
	s_waitcnt vmcnt(12)
	v_fma_f64 v[77:78], v[87:88], v[79:80], v[77:78]
	s_waitcnt vmcnt(10) lgkmcnt(0)
	v_fma_f64 v[77:78], v[89:90], v[81:82], v[77:78]
	s_waitcnt vmcnt(8)
	v_fma_f64 v[81:82], v[91:92], v[83:84], v[77:78]
	ds_read_b128 v[77:80], v76 offset:576
	ds_read_b64 v[83:84], v76 offset:592
	s_waitcnt vmcnt(6) lgkmcnt(1)
	v_fma_f64 v[77:78], v[93:94], v[77:78], v[81:82]
	s_waitcnt vmcnt(4)
	v_fma_f64 v[77:78], v[95:96], v[79:80], v[77:78]
	s_waitcnt vmcnt(2) lgkmcnt(0)
	v_fma_f64 v[77:78], v[97:98], v[83:84], v[77:78]
	s_waitcnt vmcnt(0)
	v_add_f64 v[77:78], v[99:100], -v[77:78]
	buffer_store_dword v77, off, s[0:3], 0 offset:232
	buffer_store_dword v78, off, s[0:3], 0 offset:236
	s_and_saveexec_b64 s[4:5], vcc
	s_cbranch_execz .LBB100_173
; %bb.172:
	buffer_load_dword v77, off, s[0:3], 0 offset:224
	buffer_load_dword v78, off, s[0:3], 0 offset:228
	s_waitcnt vmcnt(0)
	ds_write_b64 v75, v[77:78]
	buffer_store_dword v76, off, s[0:3], 0 offset:224
	buffer_store_dword v76, off, s[0:3], 0 offset:228
.LBB100_173:
	s_or_b64 exec, exec, s[4:5]
	s_waitcnt lgkmcnt(0)
	; wave barrier
	buffer_load_dword v85, off, s[0:3], 0 offset:232
	buffer_load_dword v86, off, s[0:3], 0 offset:236
	;; [unrolled: 1-line block ×18, first 2 shown]
	ds_read2_b64 v[77:80], v76 offset0:67 offset1:68
	ds_read2_b64 v[81:84], v76 offset0:69 offset1:70
	v_cmp_lt_u32_e32 vcc, 27, v0
	s_waitcnt vmcnt(16) lgkmcnt(1)
	v_fma_f64 v[77:78], v[85:86], v[77:78], 0
	s_waitcnt vmcnt(14)
	v_fma_f64 v[77:78], v[87:88], v[79:80], v[77:78]
	s_waitcnt vmcnt(12) lgkmcnt(0)
	v_fma_f64 v[77:78], v[89:90], v[81:82], v[77:78]
	s_waitcnt vmcnt(10)
	v_fma_f64 v[85:86], v[91:92], v[83:84], v[77:78]
	ds_read2_b64 v[77:80], v76 offset0:71 offset1:72
	ds_read2_b64 v[81:84], v76 offset0:73 offset1:74
	s_waitcnt vmcnt(8) lgkmcnt(1)
	v_fma_f64 v[76:77], v[93:94], v[77:78], v[85:86]
	s_waitcnt vmcnt(6)
	v_fma_f64 v[76:77], v[95:96], v[79:80], v[76:77]
	s_waitcnt vmcnt(4) lgkmcnt(0)
	v_fma_f64 v[76:77], v[97:98], v[81:82], v[76:77]
	s_waitcnt vmcnt(2)
	v_fma_f64 v[76:77], v[99:100], v[83:84], v[76:77]
	s_waitcnt vmcnt(0)
	v_add_f64 v[76:77], v[101:102], -v[76:77]
	buffer_store_dword v76, off, s[0:3], 0 offset:224
	buffer_store_dword v77, off, s[0:3], 0 offset:228
	s_and_saveexec_b64 s[4:5], vcc
	s_cbranch_execz .LBB100_175
; %bb.174:
	buffer_load_dword v76, off, s[0:3], 0 offset:216
	buffer_load_dword v77, off, s[0:3], 0 offset:220
	v_mov_b32_e32 v78, 0
	buffer_store_dword v78, off, s[0:3], 0 offset:216
	buffer_store_dword v78, off, s[0:3], 0 offset:220
	s_waitcnt vmcnt(2)
	ds_write_b64 v75, v[76:77]
.LBB100_175:
	s_or_b64 exec, exec, s[4:5]
	s_waitcnt lgkmcnt(0)
	; wave barrier
	buffer_load_dword v85, off, s[0:3], 0 offset:224
	buffer_load_dword v86, off, s[0:3], 0 offset:228
	;; [unrolled: 1-line block ×20, first 2 shown]
	v_mov_b32_e32 v76, 0
	ds_read_b128 v[77:80], v76 offset:528
	ds_read_b128 v[81:84], v76 offset:544
	v_cmp_lt_u32_e32 vcc, 26, v0
	s_waitcnt vmcnt(18) lgkmcnt(1)
	v_fma_f64 v[77:78], v[85:86], v[77:78], 0
	s_waitcnt vmcnt(16)
	v_fma_f64 v[77:78], v[87:88], v[79:80], v[77:78]
	s_waitcnt vmcnt(14) lgkmcnt(0)
	v_fma_f64 v[77:78], v[89:90], v[81:82], v[77:78]
	s_waitcnt vmcnt(12)
	v_fma_f64 v[85:86], v[91:92], v[83:84], v[77:78]
	ds_read_b128 v[77:80], v76 offset:560
	ds_read_b128 v[81:84], v76 offset:576
	s_waitcnt vmcnt(10) lgkmcnt(1)
	v_fma_f64 v[77:78], v[93:94], v[77:78], v[85:86]
	s_waitcnt vmcnt(8)
	v_fma_f64 v[77:78], v[95:96], v[79:80], v[77:78]
	ds_read_b64 v[79:80], v76 offset:592
	s_waitcnt vmcnt(6) lgkmcnt(1)
	v_fma_f64 v[77:78], v[97:98], v[81:82], v[77:78]
	s_waitcnt vmcnt(3)
	v_fma_f64 v[77:78], v[99:100], v[83:84], v[77:78]
	s_waitcnt vmcnt(2) lgkmcnt(0)
	v_fma_f64 v[77:78], v[101:102], v[79:80], v[77:78]
	s_waitcnt vmcnt(0)
	v_add_f64 v[77:78], v[103:104], -v[77:78]
	buffer_store_dword v77, off, s[0:3], 0 offset:216
	buffer_store_dword v78, off, s[0:3], 0 offset:220
	s_and_saveexec_b64 s[4:5], vcc
	s_cbranch_execz .LBB100_177
; %bb.176:
	buffer_load_dword v77, off, s[0:3], 0 offset:208
	buffer_load_dword v78, off, s[0:3], 0 offset:212
	s_waitcnt vmcnt(0)
	ds_write_b64 v75, v[77:78]
	buffer_store_dword v76, off, s[0:3], 0 offset:208
	buffer_store_dword v76, off, s[0:3], 0 offset:212
.LBB100_177:
	s_or_b64 exec, exec, s[4:5]
	s_waitcnt lgkmcnt(0)
	; wave barrier
	buffer_load_dword v85, off, s[0:3], 0 offset:216
	buffer_load_dword v86, off, s[0:3], 0 offset:220
	;; [unrolled: 1-line block ×20, first 2 shown]
	ds_read2_b64 v[77:80], v76 offset0:65 offset1:66
	buffer_load_dword v105, off, s[0:3], 0 offset:208
	buffer_load_dword v106, off, s[0:3], 0 offset:212
	ds_read2_b64 v[81:84], v76 offset0:67 offset1:68
	v_cmp_lt_u32_e32 vcc, 25, v0
	s_waitcnt vmcnt(20) lgkmcnt(1)
	v_fma_f64 v[77:78], v[85:86], v[77:78], 0
	s_waitcnt vmcnt(18)
	v_fma_f64 v[77:78], v[87:88], v[79:80], v[77:78]
	s_waitcnt vmcnt(16) lgkmcnt(0)
	v_fma_f64 v[77:78], v[89:90], v[81:82], v[77:78]
	s_waitcnt vmcnt(14)
	v_fma_f64 v[85:86], v[91:92], v[83:84], v[77:78]
	ds_read2_b64 v[77:80], v76 offset0:69 offset1:70
	ds_read2_b64 v[81:84], v76 offset0:71 offset1:72
	s_waitcnt vmcnt(12) lgkmcnt(1)
	v_fma_f64 v[77:78], v[93:94], v[77:78], v[85:86]
	s_waitcnt vmcnt(10)
	v_fma_f64 v[77:78], v[95:96], v[79:80], v[77:78]
	s_waitcnt vmcnt(8) lgkmcnt(0)
	v_fma_f64 v[77:78], v[97:98], v[81:82], v[77:78]
	s_waitcnt vmcnt(4)
	v_fma_f64 v[80:81], v[99:100], v[83:84], v[77:78]
	ds_read2_b64 v[76:79], v76 offset0:73 offset1:74
	s_waitcnt vmcnt(3) lgkmcnt(0)
	v_fma_f64 v[76:77], v[103:104], v[76:77], v[80:81]
	s_waitcnt vmcnt(2)
	v_fma_f64 v[76:77], v[101:102], v[78:79], v[76:77]
	s_waitcnt vmcnt(0)
	v_add_f64 v[76:77], v[105:106], -v[76:77]
	buffer_store_dword v76, off, s[0:3], 0 offset:208
	buffer_store_dword v77, off, s[0:3], 0 offset:212
	s_and_saveexec_b64 s[4:5], vcc
	s_cbranch_execz .LBB100_179
; %bb.178:
	buffer_load_dword v76, off, s[0:3], 0 offset:200
	buffer_load_dword v77, off, s[0:3], 0 offset:204
	v_mov_b32_e32 v78, 0
	buffer_store_dword v78, off, s[0:3], 0 offset:200
	buffer_store_dword v78, off, s[0:3], 0 offset:204
	s_waitcnt vmcnt(2)
	ds_write_b64 v75, v[76:77]
.LBB100_179:
	s_or_b64 exec, exec, s[4:5]
	s_waitcnt lgkmcnt(0)
	; wave barrier
	buffer_load_dword v85, off, s[0:3], 0 offset:208
	buffer_load_dword v86, off, s[0:3], 0 offset:212
	;; [unrolled: 1-line block ×21, first 2 shown]
	v_mov_b32_e32 v76, 0
	ds_read_b128 v[77:80], v76 offset:512
	ds_read_b128 v[81:84], v76 offset:528
	buffer_load_dword v102, off, s[0:3], 0 offset:292
	v_cmp_lt_u32_e32 vcc, 24, v0
	s_waitcnt vmcnt(20) lgkmcnt(1)
	v_fma_f64 v[77:78], v[85:86], v[77:78], 0
	buffer_load_dword v85, off, s[0:3], 0 offset:200
	buffer_load_dword v86, off, s[0:3], 0 offset:204
	s_waitcnt vmcnt(20)
	v_fma_f64 v[77:78], v[87:88], v[79:80], v[77:78]
	s_waitcnt vmcnt(18) lgkmcnt(0)
	v_fma_f64 v[77:78], v[89:90], v[81:82], v[77:78]
	s_waitcnt vmcnt(16)
	v_fma_f64 v[87:88], v[91:92], v[83:84], v[77:78]
	ds_read_b128 v[77:80], v76 offset:544
	ds_read_b128 v[81:84], v76 offset:560
	s_waitcnt vmcnt(14) lgkmcnt(1)
	v_fma_f64 v[77:78], v[93:94], v[77:78], v[87:88]
	s_waitcnt vmcnt(12)
	v_fma_f64 v[77:78], v[95:96], v[79:80], v[77:78]
	s_waitcnt vmcnt(10) lgkmcnt(0)
	v_fma_f64 v[77:78], v[97:98], v[81:82], v[77:78]
	s_waitcnt vmcnt(5)
	v_fma_f64 v[81:82], v[99:100], v[83:84], v[77:78]
	ds_read_b128 v[77:80], v76 offset:576
	ds_read_b64 v[83:84], v76 offset:592
	s_waitcnt vmcnt(4) lgkmcnt(1)
	v_fma_f64 v[77:78], v[105:106], v[77:78], v[81:82]
	s_waitcnt vmcnt(3)
	v_fma_f64 v[77:78], v[103:104], v[79:80], v[77:78]
	s_waitcnt vmcnt(2) lgkmcnt(0)
	v_fma_f64 v[77:78], v[101:102], v[83:84], v[77:78]
	s_waitcnt vmcnt(0)
	v_add_f64 v[77:78], v[85:86], -v[77:78]
	buffer_store_dword v78, off, s[0:3], 0 offset:204
	buffer_store_dword v77, off, s[0:3], 0 offset:200
	s_and_saveexec_b64 s[4:5], vcc
	s_cbranch_execz .LBB100_181
; %bb.180:
	buffer_load_dword v77, off, s[0:3], 0 offset:192
	buffer_load_dword v78, off, s[0:3], 0 offset:196
	s_waitcnt vmcnt(0)
	ds_write_b64 v75, v[77:78]
	buffer_store_dword v76, off, s[0:3], 0 offset:192
	buffer_store_dword v76, off, s[0:3], 0 offset:196
.LBB100_181:
	s_or_b64 exec, exec, s[4:5]
	s_waitcnt lgkmcnt(0)
	; wave barrier
	buffer_load_dword v85, off, s[0:3], 0 offset:200
	buffer_load_dword v86, off, s[0:3], 0 offset:204
	;; [unrolled: 1-line block ×21, first 2 shown]
	ds_read2_b64 v[77:80], v76 offset0:63 offset1:64
	ds_read2_b64 v[81:84], v76 offset0:65 offset1:66
	buffer_load_dword v102, off, s[0:3], 0 offset:284
	v_cmp_lt_u32_e32 vcc, 23, v0
	s_waitcnt vmcnt(20) lgkmcnt(1)
	v_fma_f64 v[77:78], v[85:86], v[77:78], 0
	buffer_load_dword v86, off, s[0:3], 0 offset:292
	buffer_load_dword v85, off, s[0:3], 0 offset:288
	s_waitcnt vmcnt(20)
	v_fma_f64 v[77:78], v[87:88], v[79:80], v[77:78]
	buffer_load_dword v87, off, s[0:3], 0 offset:192
	buffer_load_dword v88, off, s[0:3], 0 offset:196
	s_waitcnt vmcnt(20) lgkmcnt(0)
	v_fma_f64 v[77:78], v[89:90], v[81:82], v[77:78]
	s_waitcnt vmcnt(18)
	v_fma_f64 v[89:90], v[91:92], v[83:84], v[77:78]
	ds_read2_b64 v[77:80], v76 offset0:67 offset1:68
	ds_read2_b64 v[81:84], v76 offset0:69 offset1:70
	s_waitcnt vmcnt(16) lgkmcnt(1)
	v_fma_f64 v[77:78], v[93:94], v[77:78], v[89:90]
	s_waitcnt vmcnt(14)
	v_fma_f64 v[77:78], v[95:96], v[79:80], v[77:78]
	s_waitcnt vmcnt(12) lgkmcnt(0)
	v_fma_f64 v[77:78], v[97:98], v[81:82], v[77:78]
	s_waitcnt vmcnt(7)
	v_fma_f64 v[89:90], v[99:100], v[83:84], v[77:78]
	ds_read2_b64 v[77:80], v76 offset0:71 offset1:72
	ds_read2_b64 v[81:84], v76 offset0:73 offset1:74
	s_waitcnt vmcnt(6) lgkmcnt(1)
	v_fma_f64 v[76:77], v[105:106], v[77:78], v[89:90]
	s_waitcnt vmcnt(5)
	v_fma_f64 v[76:77], v[103:104], v[79:80], v[76:77]
	s_waitcnt vmcnt(4) lgkmcnt(0)
	v_fma_f64 v[76:77], v[101:102], v[81:82], v[76:77]
	s_waitcnt vmcnt(2)
	v_fma_f64 v[76:77], v[85:86], v[83:84], v[76:77]
	s_waitcnt vmcnt(0)
	v_add_f64 v[76:77], v[87:88], -v[76:77]
	buffer_store_dword v77, off, s[0:3], 0 offset:196
	buffer_store_dword v76, off, s[0:3], 0 offset:192
	s_and_saveexec_b64 s[4:5], vcc
	s_cbranch_execz .LBB100_183
; %bb.182:
	buffer_load_dword v76, off, s[0:3], 0 offset:184
	buffer_load_dword v77, off, s[0:3], 0 offset:188
	v_mov_b32_e32 v78, 0
	buffer_store_dword v78, off, s[0:3], 0 offset:184
	buffer_store_dword v78, off, s[0:3], 0 offset:188
	s_waitcnt vmcnt(2)
	ds_write_b64 v75, v[76:77]
.LBB100_183:
	s_or_b64 exec, exec, s[4:5]
	s_waitcnt lgkmcnt(0)
	; wave barrier
	buffer_load_dword v85, off, s[0:3], 0 offset:192
	buffer_load_dword v86, off, s[0:3], 0 offset:196
	buffer_load_dword v87, off, s[0:3], 0 offset:200
	buffer_load_dword v88, off, s[0:3], 0 offset:204
	buffer_load_dword v89, off, s[0:3], 0 offset:208
	buffer_load_dword v90, off, s[0:3], 0 offset:212
	buffer_load_dword v91, off, s[0:3], 0 offset:216
	buffer_load_dword v92, off, s[0:3], 0 offset:220
	buffer_load_dword v93, off, s[0:3], 0 offset:224
	buffer_load_dword v94, off, s[0:3], 0 offset:228
	buffer_load_dword v95, off, s[0:3], 0 offset:232
	buffer_load_dword v96, off, s[0:3], 0 offset:236
	buffer_load_dword v97, off, s[0:3], 0 offset:240
	buffer_load_dword v98, off, s[0:3], 0 offset:244
	buffer_load_dword v100, off, s[0:3], 0 offset:252
	buffer_load_dword v101, off, s[0:3], 0 offset:272
	buffer_load_dword v103, off, s[0:3], 0 offset:264
	buffer_load_dword v105, off, s[0:3], 0 offset:256
	buffer_load_dword v99, off, s[0:3], 0 offset:248
	buffer_load_dword v106, off, s[0:3], 0 offset:260
	buffer_load_dword v104, off, s[0:3], 0 offset:268
	v_mov_b32_e32 v76, 0
	ds_read_b128 v[77:80], v76 offset:496
	ds_read_b128 v[81:84], v76 offset:512
	buffer_load_dword v102, off, s[0:3], 0 offset:276
	v_cmp_lt_u32_e32 vcc, 22, v0
	s_waitcnt vmcnt(20) lgkmcnt(1)
	v_fma_f64 v[77:78], v[85:86], v[77:78], 0
	s_waitcnt vmcnt(18)
	v_fma_f64 v[77:78], v[87:88], v[79:80], v[77:78]
	buffer_load_dword v86, off, s[0:3], 0 offset:284
	buffer_load_dword v87, off, s[0:3], 0 offset:288
	;; [unrolled: 1-line block ×4, first 2 shown]
	s_waitcnt vmcnt(20) lgkmcnt(0)
	v_fma_f64 v[77:78], v[89:90], v[81:82], v[77:78]
	buffer_load_dword v89, off, s[0:3], 0 offset:184
	buffer_load_dword v90, off, s[0:3], 0 offset:188
	s_waitcnt vmcnt(20)
	v_fma_f64 v[91:92], v[91:92], v[83:84], v[77:78]
	ds_read_b128 v[77:80], v76 offset:528
	ds_read_b128 v[81:84], v76 offset:544
	s_waitcnt vmcnt(18) lgkmcnt(1)
	v_fma_f64 v[77:78], v[93:94], v[77:78], v[91:92]
	s_waitcnt vmcnt(16)
	v_fma_f64 v[77:78], v[95:96], v[79:80], v[77:78]
	s_waitcnt vmcnt(14) lgkmcnt(0)
	v_fma_f64 v[77:78], v[97:98], v[81:82], v[77:78]
	s_waitcnt vmcnt(9)
	v_fma_f64 v[91:92], v[99:100], v[83:84], v[77:78]
	ds_read_b128 v[77:80], v76 offset:560
	ds_read_b128 v[81:84], v76 offset:576
	s_waitcnt vmcnt(8) lgkmcnt(1)
	v_fma_f64 v[77:78], v[105:106], v[77:78], v[91:92]
	s_waitcnt vmcnt(7)
	v_fma_f64 v[77:78], v[103:104], v[79:80], v[77:78]
	ds_read_b64 v[79:80], v76 offset:592
	s_waitcnt vmcnt(6) lgkmcnt(1)
	v_fma_f64 v[77:78], v[101:102], v[81:82], v[77:78]
	s_waitcnt vmcnt(3)
	v_fma_f64 v[77:78], v[85:86], v[83:84], v[77:78]
	s_waitcnt vmcnt(2) lgkmcnt(0)
	v_fma_f64 v[77:78], v[87:88], v[79:80], v[77:78]
	s_waitcnt vmcnt(0)
	v_add_f64 v[77:78], v[89:90], -v[77:78]
	buffer_store_dword v78, off, s[0:3], 0 offset:188
	buffer_store_dword v77, off, s[0:3], 0 offset:184
	s_and_saveexec_b64 s[4:5], vcc
	s_cbranch_execz .LBB100_185
; %bb.184:
	buffer_load_dword v77, off, s[0:3], 0 offset:176
	buffer_load_dword v78, off, s[0:3], 0 offset:180
	s_waitcnt vmcnt(0)
	ds_write_b64 v75, v[77:78]
	buffer_store_dword v76, off, s[0:3], 0 offset:176
	buffer_store_dword v76, off, s[0:3], 0 offset:180
.LBB100_185:
	s_or_b64 exec, exec, s[4:5]
	s_waitcnt lgkmcnt(0)
	; wave barrier
	buffer_load_dword v85, off, s[0:3], 0 offset:184
	buffer_load_dword v86, off, s[0:3], 0 offset:188
	buffer_load_dword v87, off, s[0:3], 0 offset:192
	buffer_load_dword v88, off, s[0:3], 0 offset:196
	buffer_load_dword v89, off, s[0:3], 0 offset:200
	buffer_load_dword v90, off, s[0:3], 0 offset:204
	buffer_load_dword v91, off, s[0:3], 0 offset:208
	buffer_load_dword v92, off, s[0:3], 0 offset:212
	buffer_load_dword v93, off, s[0:3], 0 offset:216
	buffer_load_dword v94, off, s[0:3], 0 offset:220
	buffer_load_dword v95, off, s[0:3], 0 offset:224
	buffer_load_dword v96, off, s[0:3], 0 offset:228
	buffer_load_dword v97, off, s[0:3], 0 offset:232
	buffer_load_dword v98, off, s[0:3], 0 offset:236
	buffer_load_dword v100, off, s[0:3], 0 offset:244
	buffer_load_dword v101, off, s[0:3], 0 offset:264
	buffer_load_dword v103, off, s[0:3], 0 offset:256
	buffer_load_dword v105, off, s[0:3], 0 offset:248
	buffer_load_dword v99, off, s[0:3], 0 offset:240
	buffer_load_dword v106, off, s[0:3], 0 offset:252
	buffer_load_dword v104, off, s[0:3], 0 offset:260
	buffer_load_dword v102, off, s[0:3], 0 offset:268
	ds_read2_b64 v[77:80], v76 offset0:61 offset1:62
	ds_read2_b64 v[81:84], v76 offset0:63 offset1:64
	v_cmp_lt_u32_e32 vcc, 21, v0
	s_waitcnt vmcnt(20) lgkmcnt(1)
	v_fma_f64 v[77:78], v[85:86], v[77:78], 0
	s_waitcnt vmcnt(18)
	v_fma_f64 v[77:78], v[87:88], v[79:80], v[77:78]
	buffer_load_dword v86, off, s[0:3], 0 offset:276
	buffer_load_dword v87, off, s[0:3], 0 offset:288
	;; [unrolled: 1-line block ×6, first 2 shown]
	s_waitcnt vmcnt(22) lgkmcnt(0)
	v_fma_f64 v[77:78], v[89:90], v[81:82], v[77:78]
	s_waitcnt vmcnt(20)
	v_fma_f64 v[89:90], v[91:92], v[83:84], v[77:78]
	ds_read2_b64 v[77:80], v76 offset0:65 offset1:66
	buffer_load_dword v91, off, s[0:3], 0 offset:176
	buffer_load_dword v92, off, s[0:3], 0 offset:180
	ds_read2_b64 v[81:84], v76 offset0:67 offset1:68
	s_waitcnt vmcnt(20) lgkmcnt(1)
	v_fma_f64 v[77:78], v[93:94], v[77:78], v[89:90]
	s_waitcnt vmcnt(18)
	v_fma_f64 v[77:78], v[95:96], v[79:80], v[77:78]
	s_waitcnt vmcnt(16) lgkmcnt(0)
	v_fma_f64 v[77:78], v[97:98], v[81:82], v[77:78]
	s_waitcnt vmcnt(11)
	v_fma_f64 v[89:90], v[99:100], v[83:84], v[77:78]
	ds_read2_b64 v[77:80], v76 offset0:69 offset1:70
	ds_read2_b64 v[81:84], v76 offset0:71 offset1:72
	s_waitcnt vmcnt(10) lgkmcnt(1)
	v_fma_f64 v[77:78], v[105:106], v[77:78], v[89:90]
	s_waitcnt vmcnt(9)
	v_fma_f64 v[77:78], v[103:104], v[79:80], v[77:78]
	s_waitcnt vmcnt(8) lgkmcnt(0)
	v_fma_f64 v[77:78], v[101:102], v[81:82], v[77:78]
	s_waitcnt vmcnt(4)
	v_fma_f64 v[80:81], v[85:86], v[83:84], v[77:78]
	ds_read2_b64 v[76:79], v76 offset0:73 offset1:74
	s_waitcnt vmcnt(3) lgkmcnt(0)
	v_fma_f64 v[76:77], v[107:108], v[76:77], v[80:81]
	s_waitcnt vmcnt(2)
	v_fma_f64 v[76:77], v[87:88], v[78:79], v[76:77]
	s_waitcnt vmcnt(0)
	v_add_f64 v[76:77], v[91:92], -v[76:77]
	buffer_store_dword v77, off, s[0:3], 0 offset:180
	buffer_store_dword v76, off, s[0:3], 0 offset:176
	s_and_saveexec_b64 s[4:5], vcc
	s_cbranch_execz .LBB100_187
; %bb.186:
	buffer_load_dword v76, off, s[0:3], 0 offset:168
	buffer_load_dword v77, off, s[0:3], 0 offset:172
	v_mov_b32_e32 v78, 0
	buffer_store_dword v78, off, s[0:3], 0 offset:168
	buffer_store_dword v78, off, s[0:3], 0 offset:172
	s_waitcnt vmcnt(2)
	ds_write_b64 v75, v[76:77]
.LBB100_187:
	s_or_b64 exec, exec, s[4:5]
	s_waitcnt lgkmcnt(0)
	; wave barrier
	buffer_load_dword v85, off, s[0:3], 0 offset:176
	buffer_load_dword v86, off, s[0:3], 0 offset:180
	;; [unrolled: 1-line block ×22, first 2 shown]
	v_mov_b32_e32 v76, 0
	ds_read_b128 v[77:80], v76 offset:480
	ds_read_b128 v[81:84], v76 offset:496
	v_cmp_lt_u32_e32 vcc, 20, v0
	s_waitcnt vmcnt(20) lgkmcnt(1)
	v_fma_f64 v[77:78], v[85:86], v[77:78], 0
	s_waitcnt vmcnt(18)
	v_fma_f64 v[77:78], v[87:88], v[79:80], v[77:78]
	buffer_load_dword v86, off, s[0:3], 0 offset:268
	buffer_load_dword v87, off, s[0:3], 0 offset:288
	;; [unrolled: 1-line block ×8, first 2 shown]
	s_waitcnt vmcnt(24) lgkmcnt(0)
	v_fma_f64 v[77:78], v[89:90], v[81:82], v[77:78]
	s_waitcnt vmcnt(22)
	v_fma_f64 v[89:90], v[91:92], v[83:84], v[77:78]
	ds_read_b128 v[77:80], v76 offset:512
	ds_read_b128 v[81:84], v76 offset:528
	s_waitcnt vmcnt(20) lgkmcnt(1)
	v_fma_f64 v[77:78], v[93:94], v[77:78], v[89:90]
	buffer_load_dword v89, off, s[0:3], 0 offset:168
	buffer_load_dword v90, off, s[0:3], 0 offset:172
	s_waitcnt vmcnt(20)
	v_fma_f64 v[77:78], v[95:96], v[79:80], v[77:78]
	s_waitcnt vmcnt(18) lgkmcnt(0)
	v_fma_f64 v[77:78], v[97:98], v[81:82], v[77:78]
	s_waitcnt vmcnt(13)
	v_fma_f64 v[91:92], v[99:100], v[83:84], v[77:78]
	ds_read_b128 v[77:80], v76 offset:544
	ds_read_b128 v[81:84], v76 offset:560
	s_waitcnt vmcnt(12) lgkmcnt(1)
	v_fma_f64 v[77:78], v[105:106], v[77:78], v[91:92]
	s_waitcnt vmcnt(11)
	v_fma_f64 v[77:78], v[103:104], v[79:80], v[77:78]
	s_waitcnt vmcnt(10) lgkmcnt(0)
	v_fma_f64 v[77:78], v[101:102], v[81:82], v[77:78]
	s_waitcnt vmcnt(5)
	v_fma_f64 v[81:82], v[85:86], v[83:84], v[77:78]
	ds_read_b128 v[77:80], v76 offset:576
	ds_read_b64 v[83:84], v76 offset:592
	s_waitcnt vmcnt(4) lgkmcnt(1)
	v_fma_f64 v[77:78], v[109:110], v[77:78], v[81:82]
	s_waitcnt vmcnt(3)
	v_fma_f64 v[77:78], v[107:108], v[79:80], v[77:78]
	s_waitcnt vmcnt(2) lgkmcnt(0)
	v_fma_f64 v[77:78], v[87:88], v[83:84], v[77:78]
	s_waitcnt vmcnt(0)
	v_add_f64 v[77:78], v[89:90], -v[77:78]
	buffer_store_dword v78, off, s[0:3], 0 offset:172
	buffer_store_dword v77, off, s[0:3], 0 offset:168
	s_and_saveexec_b64 s[4:5], vcc
	s_cbranch_execz .LBB100_189
; %bb.188:
	buffer_load_dword v77, off, s[0:3], 0 offset:160
	buffer_load_dword v78, off, s[0:3], 0 offset:164
	s_waitcnt vmcnt(0)
	ds_write_b64 v75, v[77:78]
	buffer_store_dword v76, off, s[0:3], 0 offset:160
	buffer_store_dword v76, off, s[0:3], 0 offset:164
.LBB100_189:
	s_or_b64 exec, exec, s[4:5]
	s_waitcnt lgkmcnt(0)
	; wave barrier
	buffer_load_dword v85, off, s[0:3], 0 offset:168
	buffer_load_dword v86, off, s[0:3], 0 offset:172
	;; [unrolled: 1-line block ×22, first 2 shown]
	ds_read2_b64 v[77:80], v76 offset0:59 offset1:60
	ds_read2_b64 v[81:84], v76 offset0:61 offset1:62
	v_cmp_lt_u32_e32 vcc, 19, v0
	s_waitcnt vmcnt(20) lgkmcnt(1)
	v_fma_f64 v[77:78], v[85:86], v[77:78], 0
	s_waitcnt vmcnt(18)
	v_fma_f64 v[77:78], v[87:88], v[79:80], v[77:78]
	buffer_load_dword v86, off, s[0:3], 0 offset:260
	buffer_load_dword v87, off, s[0:3], 0 offset:280
	buffer_load_dword v107, off, s[0:3], 0 offset:272
	buffer_load_dword v109, off, s[0:3], 0 offset:264
	buffer_load_dword v85, off, s[0:3], 0 offset:256
	buffer_load_dword v110, off, s[0:3], 0 offset:268
	buffer_load_dword v108, off, s[0:3], 0 offset:276
	buffer_load_dword v88, off, s[0:3], 0 offset:284
	s_waitcnt vmcnt(24) lgkmcnt(0)
	v_fma_f64 v[77:78], v[89:90], v[81:82], v[77:78]
	s_waitcnt vmcnt(22)
	v_fma_f64 v[89:90], v[91:92], v[83:84], v[77:78]
	ds_read2_b64 v[77:80], v76 offset0:63 offset1:64
	ds_read2_b64 v[81:84], v76 offset0:65 offset1:66
	s_waitcnt vmcnt(20) lgkmcnt(1)
	v_fma_f64 v[77:78], v[93:94], v[77:78], v[89:90]
	buffer_load_dword v90, off, s[0:3], 0 offset:292
	buffer_load_dword v89, off, s[0:3], 0 offset:288
	buffer_load_dword v91, off, s[0:3], 0 offset:160
	buffer_load_dword v92, off, s[0:3], 0 offset:164
	s_waitcnt vmcnt(22)
	v_fma_f64 v[77:78], v[95:96], v[79:80], v[77:78]
	s_waitcnt vmcnt(20) lgkmcnt(0)
	v_fma_f64 v[77:78], v[97:98], v[81:82], v[77:78]
	s_waitcnt vmcnt(15)
	v_fma_f64 v[93:94], v[99:100], v[83:84], v[77:78]
	ds_read2_b64 v[77:80], v76 offset0:67 offset1:68
	ds_read2_b64 v[81:84], v76 offset0:69 offset1:70
	s_waitcnt vmcnt(14) lgkmcnt(1)
	v_fma_f64 v[77:78], v[105:106], v[77:78], v[93:94]
	s_waitcnt vmcnt(13)
	v_fma_f64 v[77:78], v[103:104], v[79:80], v[77:78]
	s_waitcnt vmcnt(12) lgkmcnt(0)
	v_fma_f64 v[77:78], v[101:102], v[81:82], v[77:78]
	s_waitcnt vmcnt(7)
	v_fma_f64 v[85:86], v[85:86], v[83:84], v[77:78]
	ds_read2_b64 v[77:80], v76 offset0:71 offset1:72
	ds_read2_b64 v[81:84], v76 offset0:73 offset1:74
	s_waitcnt vmcnt(6) lgkmcnt(1)
	v_fma_f64 v[76:77], v[109:110], v[77:78], v[85:86]
	s_waitcnt vmcnt(5)
	v_fma_f64 v[76:77], v[107:108], v[79:80], v[76:77]
	s_waitcnt vmcnt(4) lgkmcnt(0)
	v_fma_f64 v[76:77], v[87:88], v[81:82], v[76:77]
	s_waitcnt vmcnt(2)
	v_fma_f64 v[76:77], v[89:90], v[83:84], v[76:77]
	s_waitcnt vmcnt(0)
	v_add_f64 v[76:77], v[91:92], -v[76:77]
	buffer_store_dword v77, off, s[0:3], 0 offset:164
	buffer_store_dword v76, off, s[0:3], 0 offset:160
	s_and_saveexec_b64 s[4:5], vcc
	s_cbranch_execz .LBB100_191
; %bb.190:
	buffer_load_dword v76, off, s[0:3], 0 offset:152
	buffer_load_dword v77, off, s[0:3], 0 offset:156
	v_mov_b32_e32 v78, 0
	buffer_store_dword v78, off, s[0:3], 0 offset:152
	buffer_store_dword v78, off, s[0:3], 0 offset:156
	s_waitcnt vmcnt(2)
	ds_write_b64 v75, v[76:77]
.LBB100_191:
	s_or_b64 exec, exec, s[4:5]
	s_waitcnt lgkmcnt(0)
	; wave barrier
	buffer_load_dword v85, off, s[0:3], 0 offset:160
	buffer_load_dword v86, off, s[0:3], 0 offset:164
	;; [unrolled: 1-line block ×22, first 2 shown]
	v_mov_b32_e32 v76, 0
	ds_read_b128 v[77:80], v76 offset:464
	ds_read_b128 v[81:84], v76 offset:480
	v_cmp_lt_u32_e32 vcc, 18, v0
	s_waitcnt vmcnt(20) lgkmcnt(1)
	v_fma_f64 v[77:78], v[85:86], v[77:78], 0
	s_waitcnt vmcnt(18)
	v_fma_f64 v[77:78], v[87:88], v[79:80], v[77:78]
	buffer_load_dword v86, off, s[0:3], 0 offset:252
	buffer_load_dword v87, off, s[0:3], 0 offset:272
	;; [unrolled: 1-line block ×7, first 2 shown]
	s_waitcnt vmcnt(23) lgkmcnt(0)
	v_fma_f64 v[77:78], v[89:90], v[81:82], v[77:78]
	s_waitcnt vmcnt(21)
	v_fma_f64 v[88:89], v[91:92], v[83:84], v[77:78]
	ds_read_b128 v[77:80], v76 offset:496
	ds_read_b128 v[81:84], v76 offset:512
	s_waitcnt vmcnt(19) lgkmcnt(1)
	v_fma_f64 v[77:78], v[93:94], v[77:78], v[88:89]
	buffer_load_dword v88, off, s[0:3], 0 offset:276
	buffer_load_dword v90, off, s[0:3], 0 offset:284
	;; [unrolled: 1-line block ×7, first 2 shown]
	s_waitcnt vmcnt(24)
	v_fma_f64 v[77:78], v[95:96], v[79:80], v[77:78]
	s_waitcnt vmcnt(22) lgkmcnt(0)
	v_fma_f64 v[77:78], v[97:98], v[81:82], v[77:78]
	s_waitcnt vmcnt(17)
	v_fma_f64 v[95:96], v[99:100], v[83:84], v[77:78]
	ds_read_b128 v[77:80], v76 offset:528
	ds_read_b128 v[81:84], v76 offset:544
	s_waitcnt vmcnt(16) lgkmcnt(1)
	v_fma_f64 v[77:78], v[105:106], v[77:78], v[95:96]
	s_waitcnt vmcnt(15)
	v_fma_f64 v[77:78], v[103:104], v[79:80], v[77:78]
	s_waitcnt vmcnt(14) lgkmcnt(0)
	v_fma_f64 v[77:78], v[101:102], v[81:82], v[77:78]
	s_waitcnt vmcnt(9)
	v_fma_f64 v[85:86], v[85:86], v[83:84], v[77:78]
	ds_read_b128 v[77:80], v76 offset:560
	ds_read_b128 v[81:84], v76 offset:576
	s_waitcnt vmcnt(8) lgkmcnt(1)
	v_fma_f64 v[77:78], v[109:110], v[77:78], v[85:86]
	s_waitcnt vmcnt(7)
	v_fma_f64 v[77:78], v[107:108], v[79:80], v[77:78]
	ds_read_b64 v[79:80], v76 offset:592
	s_waitcnt vmcnt(6) lgkmcnt(1)
	v_fma_f64 v[77:78], v[87:88], v[81:82], v[77:78]
	s_waitcnt vmcnt(3)
	v_fma_f64 v[77:78], v[89:90], v[83:84], v[77:78]
	s_waitcnt vmcnt(2) lgkmcnt(0)
	v_fma_f64 v[77:78], v[91:92], v[79:80], v[77:78]
	s_waitcnt vmcnt(0)
	v_add_f64 v[77:78], v[93:94], -v[77:78]
	buffer_store_dword v78, off, s[0:3], 0 offset:156
	buffer_store_dword v77, off, s[0:3], 0 offset:152
	s_and_saveexec_b64 s[4:5], vcc
	s_cbranch_execz .LBB100_193
; %bb.192:
	buffer_load_dword v77, off, s[0:3], 0 offset:144
	buffer_load_dword v78, off, s[0:3], 0 offset:148
	s_waitcnt vmcnt(0)
	ds_write_b64 v75, v[77:78]
	buffer_store_dword v76, off, s[0:3], 0 offset:144
	buffer_store_dword v76, off, s[0:3], 0 offset:148
.LBB100_193:
	s_or_b64 exec, exec, s[4:5]
	s_waitcnt lgkmcnt(0)
	; wave barrier
	buffer_load_dword v85, off, s[0:3], 0 offset:152
	buffer_load_dword v86, off, s[0:3], 0 offset:156
	buffer_load_dword v87, off, s[0:3], 0 offset:160
	buffer_load_dword v88, off, s[0:3], 0 offset:164
	buffer_load_dword v89, off, s[0:3], 0 offset:168
	buffer_load_dword v90, off, s[0:3], 0 offset:172
	buffer_load_dword v91, off, s[0:3], 0 offset:176
	buffer_load_dword v92, off, s[0:3], 0 offset:180
	buffer_load_dword v93, off, s[0:3], 0 offset:184
	buffer_load_dword v94, off, s[0:3], 0 offset:188
	buffer_load_dword v95, off, s[0:3], 0 offset:192
	buffer_load_dword v96, off, s[0:3], 0 offset:196
	buffer_load_dword v97, off, s[0:3], 0 offset:200
	buffer_load_dword v98, off, s[0:3], 0 offset:204
	buffer_load_dword v100, off, s[0:3], 0 offset:212
	buffer_load_dword v101, off, s[0:3], 0 offset:232
	buffer_load_dword v103, off, s[0:3], 0 offset:224
	buffer_load_dword v105, off, s[0:3], 0 offset:216
	buffer_load_dword v99, off, s[0:3], 0 offset:208
	buffer_load_dword v106, off, s[0:3], 0 offset:220
	buffer_load_dword v104, off, s[0:3], 0 offset:228
	buffer_load_dword v102, off, s[0:3], 0 offset:236
	ds_read2_b64 v[77:80], v76 offset0:57 offset1:58
	ds_read2_b64 v[81:84], v76 offset0:59 offset1:60
	v_cmp_lt_u32_e32 vcc, 17, v0
	s_waitcnt vmcnt(20) lgkmcnt(1)
	v_fma_f64 v[77:78], v[85:86], v[77:78], 0
	s_waitcnt vmcnt(18)
	v_fma_f64 v[77:78], v[87:88], v[79:80], v[77:78]
	buffer_load_dword v86, off, s[0:3], 0 offset:244
	buffer_load_dword v87, off, s[0:3], 0 offset:264
	;; [unrolled: 1-line block ×7, first 2 shown]
	s_waitcnt vmcnt(23) lgkmcnt(0)
	v_fma_f64 v[77:78], v[89:90], v[81:82], v[77:78]
	s_waitcnt vmcnt(21)
	v_fma_f64 v[88:89], v[91:92], v[83:84], v[77:78]
	ds_read2_b64 v[77:80], v76 offset0:61 offset1:62
	ds_read2_b64 v[81:84], v76 offset0:63 offset1:64
	s_waitcnt vmcnt(19) lgkmcnt(1)
	v_fma_f64 v[77:78], v[93:94], v[77:78], v[88:89]
	buffer_load_dword v88, off, s[0:3], 0 offset:268
	buffer_load_dword v90, off, s[0:3], 0 offset:276
	;; [unrolled: 1-line block ×7, first 2 shown]
	s_waitcnt vmcnt(24)
	v_fma_f64 v[77:78], v[95:96], v[79:80], v[77:78]
	s_waitcnt vmcnt(22) lgkmcnt(0)
	v_fma_f64 v[77:78], v[97:98], v[81:82], v[77:78]
	s_waitcnt vmcnt(17)
	v_fma_f64 v[95:96], v[99:100], v[83:84], v[77:78]
	ds_read2_b64 v[77:80], v76 offset0:65 offset1:66
	buffer_load_dword v97, off, s[0:3], 0 offset:144
	buffer_load_dword v98, off, s[0:3], 0 offset:148
	ds_read2_b64 v[81:84], v76 offset0:67 offset1:68
	s_waitcnt vmcnt(18) lgkmcnt(1)
	v_fma_f64 v[77:78], v[105:106], v[77:78], v[95:96]
	s_waitcnt vmcnt(17)
	v_fma_f64 v[77:78], v[103:104], v[79:80], v[77:78]
	s_waitcnt vmcnt(16) lgkmcnt(0)
	v_fma_f64 v[77:78], v[101:102], v[81:82], v[77:78]
	s_waitcnt vmcnt(11)
	v_fma_f64 v[85:86], v[85:86], v[83:84], v[77:78]
	ds_read2_b64 v[77:80], v76 offset0:69 offset1:70
	ds_read2_b64 v[81:84], v76 offset0:71 offset1:72
	s_waitcnt vmcnt(10) lgkmcnt(1)
	v_fma_f64 v[77:78], v[109:110], v[77:78], v[85:86]
	s_waitcnt vmcnt(9)
	v_fma_f64 v[77:78], v[107:108], v[79:80], v[77:78]
	s_waitcnt vmcnt(8) lgkmcnt(0)
	v_fma_f64 v[77:78], v[87:88], v[81:82], v[77:78]
	s_waitcnt vmcnt(4)
	v_fma_f64 v[80:81], v[89:90], v[83:84], v[77:78]
	ds_read2_b64 v[76:79], v76 offset0:73 offset1:74
	s_waitcnt vmcnt(3) lgkmcnt(0)
	v_fma_f64 v[76:77], v[93:94], v[76:77], v[80:81]
	s_waitcnt vmcnt(2)
	v_fma_f64 v[76:77], v[91:92], v[78:79], v[76:77]
	s_waitcnt vmcnt(0)
	v_add_f64 v[76:77], v[97:98], -v[76:77]
	buffer_store_dword v77, off, s[0:3], 0 offset:148
	buffer_store_dword v76, off, s[0:3], 0 offset:144
	s_and_saveexec_b64 s[4:5], vcc
	s_cbranch_execz .LBB100_195
; %bb.194:
	buffer_load_dword v76, off, s[0:3], 0 offset:136
	buffer_load_dword v77, off, s[0:3], 0 offset:140
	v_mov_b32_e32 v78, 0
	buffer_store_dword v78, off, s[0:3], 0 offset:136
	buffer_store_dword v78, off, s[0:3], 0 offset:140
	s_waitcnt vmcnt(2)
	ds_write_b64 v75, v[76:77]
.LBB100_195:
	s_or_b64 exec, exec, s[4:5]
	s_waitcnt lgkmcnt(0)
	; wave barrier
	buffer_load_dword v85, off, s[0:3], 0 offset:144
	buffer_load_dword v86, off, s[0:3], 0 offset:148
	;; [unrolled: 1-line block ×22, first 2 shown]
	v_mov_b32_e32 v76, 0
	ds_read_b128 v[77:80], v76 offset:448
	ds_read_b128 v[81:84], v76 offset:464
	v_cmp_lt_u32_e32 vcc, 16, v0
	s_waitcnt vmcnt(20) lgkmcnt(1)
	v_fma_f64 v[77:78], v[85:86], v[77:78], 0
	s_waitcnt vmcnt(18)
	v_fma_f64 v[77:78], v[87:88], v[79:80], v[77:78]
	buffer_load_dword v86, off, s[0:3], 0 offset:236
	buffer_load_dword v87, off, s[0:3], 0 offset:256
	;; [unrolled: 1-line block ×7, first 2 shown]
	s_waitcnt vmcnt(23) lgkmcnt(0)
	v_fma_f64 v[77:78], v[89:90], v[81:82], v[77:78]
	s_waitcnt vmcnt(21)
	v_fma_f64 v[88:89], v[91:92], v[83:84], v[77:78]
	ds_read_b128 v[77:80], v76 offset:480
	ds_read_b128 v[81:84], v76 offset:496
	s_waitcnt vmcnt(19) lgkmcnt(1)
	v_fma_f64 v[77:78], v[93:94], v[77:78], v[88:89]
	buffer_load_dword v88, off, s[0:3], 0 offset:260
	s_waitcnt vmcnt(18)
	v_fma_f64 v[77:78], v[95:96], v[79:80], v[77:78]
	buffer_load_dword v90, off, s[0:3], 0 offset:268
	buffer_load_dword v91, off, s[0:3], 0 offset:288
	;; [unrolled: 1-line block ×8, first 2 shown]
	s_waitcnt vmcnt(24) lgkmcnt(0)
	v_fma_f64 v[77:78], v[97:98], v[81:82], v[77:78]
	s_waitcnt vmcnt(19)
	v_fma_f64 v[97:98], v[99:100], v[83:84], v[77:78]
	ds_read_b128 v[77:80], v76 offset:512
	ds_read_b128 v[81:84], v76 offset:528
	s_waitcnt vmcnt(18) lgkmcnt(1)
	v_fma_f64 v[77:78], v[105:106], v[77:78], v[97:98]
	buffer_load_dword v97, off, s[0:3], 0 offset:136
	buffer_load_dword v98, off, s[0:3], 0 offset:140
	s_waitcnt vmcnt(19)
	v_fma_f64 v[77:78], v[103:104], v[79:80], v[77:78]
	s_waitcnt vmcnt(18) lgkmcnt(0)
	v_fma_f64 v[77:78], v[101:102], v[81:82], v[77:78]
	s_waitcnt vmcnt(13)
	v_fma_f64 v[85:86], v[85:86], v[83:84], v[77:78]
	ds_read_b128 v[77:80], v76 offset:544
	ds_read_b128 v[81:84], v76 offset:560
	s_waitcnt vmcnt(12) lgkmcnt(1)
	v_fma_f64 v[77:78], v[109:110], v[77:78], v[85:86]
	s_waitcnt vmcnt(11)
	v_fma_f64 v[77:78], v[107:108], v[79:80], v[77:78]
	s_waitcnt vmcnt(10) lgkmcnt(0)
	v_fma_f64 v[77:78], v[87:88], v[81:82], v[77:78]
	s_waitcnt vmcnt(5)
	v_fma_f64 v[81:82], v[89:90], v[83:84], v[77:78]
	ds_read_b128 v[77:80], v76 offset:576
	ds_read_b64 v[83:84], v76 offset:592
	s_waitcnt vmcnt(4) lgkmcnt(1)
	v_fma_f64 v[77:78], v[95:96], v[77:78], v[81:82]
	s_waitcnt vmcnt(3)
	v_fma_f64 v[77:78], v[93:94], v[79:80], v[77:78]
	s_waitcnt vmcnt(2) lgkmcnt(0)
	v_fma_f64 v[77:78], v[91:92], v[83:84], v[77:78]
	s_waitcnt vmcnt(0)
	v_add_f64 v[77:78], v[97:98], -v[77:78]
	buffer_store_dword v78, off, s[0:3], 0 offset:140
	buffer_store_dword v77, off, s[0:3], 0 offset:136
	s_and_saveexec_b64 s[4:5], vcc
	s_cbranch_execz .LBB100_197
; %bb.196:
	buffer_load_dword v77, off, s[0:3], 0 offset:128
	buffer_load_dword v78, off, s[0:3], 0 offset:132
	s_waitcnt vmcnt(0)
	ds_write_b64 v75, v[77:78]
	buffer_store_dword v76, off, s[0:3], 0 offset:128
	buffer_store_dword v76, off, s[0:3], 0 offset:132
.LBB100_197:
	s_or_b64 exec, exec, s[4:5]
	s_waitcnt lgkmcnt(0)
	; wave barrier
	buffer_load_dword v85, off, s[0:3], 0 offset:136
	buffer_load_dword v86, off, s[0:3], 0 offset:140
	;; [unrolled: 1-line block ×22, first 2 shown]
	ds_read2_b64 v[77:80], v76 offset0:55 offset1:56
	ds_read2_b64 v[81:84], v76 offset0:57 offset1:58
	v_cmp_lt_u32_e32 vcc, 15, v0
	s_waitcnt vmcnt(20) lgkmcnt(1)
	v_fma_f64 v[77:78], v[85:86], v[77:78], 0
	s_waitcnt vmcnt(18)
	v_fma_f64 v[77:78], v[87:88], v[79:80], v[77:78]
	buffer_load_dword v86, off, s[0:3], 0 offset:228
	buffer_load_dword v87, off, s[0:3], 0 offset:248
	;; [unrolled: 1-line block ×7, first 2 shown]
	s_waitcnt vmcnt(23) lgkmcnt(0)
	v_fma_f64 v[77:78], v[89:90], v[81:82], v[77:78]
	s_waitcnt vmcnt(21)
	v_fma_f64 v[88:89], v[91:92], v[83:84], v[77:78]
	ds_read2_b64 v[77:80], v76 offset0:59 offset1:60
	ds_read2_b64 v[81:84], v76 offset0:61 offset1:62
	s_waitcnt vmcnt(19) lgkmcnt(1)
	v_fma_f64 v[77:78], v[93:94], v[77:78], v[88:89]
	buffer_load_dword v88, off, s[0:3], 0 offset:252
	s_waitcnt vmcnt(18)
	v_fma_f64 v[77:78], v[95:96], v[79:80], v[77:78]
	buffer_load_dword v90, off, s[0:3], 0 offset:260
	buffer_load_dword v91, off, s[0:3], 0 offset:280
	;; [unrolled: 1-line block ×8, first 2 shown]
	s_waitcnt vmcnt(24) lgkmcnt(0)
	v_fma_f64 v[77:78], v[97:98], v[81:82], v[77:78]
	s_waitcnt vmcnt(19)
	v_fma_f64 v[97:98], v[99:100], v[83:84], v[77:78]
	ds_read2_b64 v[77:80], v76 offset0:63 offset1:64
	ds_read2_b64 v[81:84], v76 offset0:65 offset1:66
	s_waitcnt vmcnt(18) lgkmcnt(1)
	v_fma_f64 v[77:78], v[105:106], v[77:78], v[97:98]
	buffer_load_dword v98, off, s[0:3], 0 offset:292
	buffer_load_dword v97, off, s[0:3], 0 offset:288
	;; [unrolled: 1-line block ×4, first 2 shown]
	s_waitcnt vmcnt(21)
	v_fma_f64 v[77:78], v[103:104], v[79:80], v[77:78]
	s_waitcnt vmcnt(20) lgkmcnt(0)
	v_fma_f64 v[77:78], v[101:102], v[81:82], v[77:78]
	s_waitcnt vmcnt(15)
	v_fma_f64 v[85:86], v[85:86], v[83:84], v[77:78]
	ds_read2_b64 v[77:80], v76 offset0:67 offset1:68
	ds_read2_b64 v[81:84], v76 offset0:69 offset1:70
	s_waitcnt vmcnt(14) lgkmcnt(1)
	v_fma_f64 v[77:78], v[109:110], v[77:78], v[85:86]
	s_waitcnt vmcnt(13)
	v_fma_f64 v[77:78], v[107:108], v[79:80], v[77:78]
	s_waitcnt vmcnt(12) lgkmcnt(0)
	v_fma_f64 v[77:78], v[87:88], v[81:82], v[77:78]
	s_waitcnt vmcnt(7)
	v_fma_f64 v[85:86], v[89:90], v[83:84], v[77:78]
	ds_read2_b64 v[77:80], v76 offset0:71 offset1:72
	ds_read2_b64 v[81:84], v76 offset0:73 offset1:74
	s_waitcnt vmcnt(6) lgkmcnt(1)
	v_fma_f64 v[76:77], v[95:96], v[77:78], v[85:86]
	s_waitcnt vmcnt(5)
	v_fma_f64 v[76:77], v[93:94], v[79:80], v[76:77]
	s_waitcnt vmcnt(4) lgkmcnt(0)
	v_fma_f64 v[76:77], v[91:92], v[81:82], v[76:77]
	s_waitcnt vmcnt(2)
	v_fma_f64 v[76:77], v[97:98], v[83:84], v[76:77]
	s_waitcnt vmcnt(0)
	v_add_f64 v[76:77], v[99:100], -v[76:77]
	buffer_store_dword v77, off, s[0:3], 0 offset:132
	buffer_store_dword v76, off, s[0:3], 0 offset:128
	s_and_saveexec_b64 s[4:5], vcc
	s_cbranch_execz .LBB100_199
; %bb.198:
	buffer_load_dword v76, off, s[0:3], 0 offset:120
	buffer_load_dword v77, off, s[0:3], 0 offset:124
	v_mov_b32_e32 v78, 0
	buffer_store_dword v78, off, s[0:3], 0 offset:120
	buffer_store_dword v78, off, s[0:3], 0 offset:124
	s_waitcnt vmcnt(2)
	ds_write_b64 v75, v[76:77]
.LBB100_199:
	s_or_b64 exec, exec, s[4:5]
	s_waitcnt lgkmcnt(0)
	; wave barrier
	buffer_load_dword v85, off, s[0:3], 0 offset:128
	buffer_load_dword v86, off, s[0:3], 0 offset:132
	;; [unrolled: 1-line block ×21, first 2 shown]
	v_mov_b32_e32 v76, 0
	ds_read_b128 v[77:80], v76 offset:432
	ds_read_b128 v[81:84], v76 offset:448
	buffer_load_dword v102, off, s[0:3], 0 offset:212
	v_cmp_lt_u32_e32 vcc, 14, v0
	s_waitcnt vmcnt(20) lgkmcnt(1)
	v_fma_f64 v[77:78], v[85:86], v[77:78], 0
	s_waitcnt vmcnt(18)
	v_fma_f64 v[77:78], v[87:88], v[79:80], v[77:78]
	buffer_load_dword v86, off, s[0:3], 0 offset:220
	buffer_load_dword v87, off, s[0:3], 0 offset:240
	;; [unrolled: 1-line block ×7, first 2 shown]
	s_waitcnt vmcnt(23) lgkmcnt(0)
	v_fma_f64 v[77:78], v[89:90], v[81:82], v[77:78]
	s_waitcnt vmcnt(21)
	v_fma_f64 v[88:89], v[91:92], v[83:84], v[77:78]
	ds_read_b128 v[77:80], v76 offset:464
	ds_read_b128 v[81:84], v76 offset:480
	s_waitcnt vmcnt(19) lgkmcnt(1)
	v_fma_f64 v[77:78], v[93:94], v[77:78], v[88:89]
	buffer_load_dword v88, off, s[0:3], 0 offset:244
	s_waitcnt vmcnt(18)
	v_fma_f64 v[77:78], v[95:96], v[79:80], v[77:78]
	buffer_load_dword v90, off, s[0:3], 0 offset:252
	buffer_load_dword v91, off, s[0:3], 0 offset:272
	;; [unrolled: 1-line block ×7, first 2 shown]
	s_waitcnt vmcnt(23) lgkmcnt(0)
	v_fma_f64 v[77:78], v[97:98], v[81:82], v[77:78]
	s_waitcnt vmcnt(18)
	v_fma_f64 v[97:98], v[99:100], v[83:84], v[77:78]
	ds_read_b128 v[77:80], v76 offset:496
	ds_read_b128 v[81:84], v76 offset:512
	buffer_load_dword v92, off, s[0:3], 0 offset:276
	s_waitcnt vmcnt(18) lgkmcnt(1)
	v_fma_f64 v[77:78], v[105:106], v[77:78], v[97:98]
	buffer_load_dword v98, off, s[0:3], 0 offset:284
	buffer_load_dword v99, off, s[0:3], 0 offset:288
	;; [unrolled: 1-line block ×4, first 2 shown]
	s_waitcnt vmcnt(21)
	v_fma_f64 v[77:78], v[103:104], v[79:80], v[77:78]
	s_waitcnt vmcnt(20) lgkmcnt(0)
	v_fma_f64 v[77:78], v[101:102], v[81:82], v[77:78]
	buffer_load_dword v101, off, s[0:3], 0 offset:120
	buffer_load_dword v102, off, s[0:3], 0 offset:124
	s_waitcnt vmcnt(17)
	v_fma_f64 v[85:86], v[85:86], v[83:84], v[77:78]
	ds_read_b128 v[77:80], v76 offset:528
	ds_read_b128 v[81:84], v76 offset:544
	s_waitcnt vmcnt(16) lgkmcnt(1)
	v_fma_f64 v[77:78], v[109:110], v[77:78], v[85:86]
	s_waitcnt vmcnt(15)
	v_fma_f64 v[77:78], v[107:108], v[79:80], v[77:78]
	s_waitcnt vmcnt(14) lgkmcnt(0)
	v_fma_f64 v[77:78], v[87:88], v[81:82], v[77:78]
	s_waitcnt vmcnt(9)
	v_fma_f64 v[85:86], v[89:90], v[83:84], v[77:78]
	ds_read_b128 v[77:80], v76 offset:560
	ds_read_b128 v[81:84], v76 offset:576
	s_waitcnt vmcnt(8) lgkmcnt(1)
	v_fma_f64 v[77:78], v[95:96], v[77:78], v[85:86]
	s_waitcnt vmcnt(7)
	v_fma_f64 v[77:78], v[93:94], v[79:80], v[77:78]
	ds_read_b64 v[79:80], v76 offset:592
	s_waitcnt vmcnt(6) lgkmcnt(1)
	v_fma_f64 v[77:78], v[91:92], v[81:82], v[77:78]
	s_waitcnt vmcnt(3)
	v_fma_f64 v[77:78], v[97:98], v[83:84], v[77:78]
	s_waitcnt vmcnt(2) lgkmcnt(0)
	v_fma_f64 v[77:78], v[99:100], v[79:80], v[77:78]
	s_waitcnt vmcnt(0)
	v_add_f64 v[77:78], v[101:102], -v[77:78]
	buffer_store_dword v78, off, s[0:3], 0 offset:124
	buffer_store_dword v77, off, s[0:3], 0 offset:120
	s_and_saveexec_b64 s[4:5], vcc
	s_cbranch_execz .LBB100_201
; %bb.200:
	buffer_load_dword v77, off, s[0:3], 0 offset:112
	buffer_load_dword v78, off, s[0:3], 0 offset:116
	s_waitcnt vmcnt(0)
	ds_write_b64 v75, v[77:78]
	buffer_store_dword v76, off, s[0:3], 0 offset:112
	buffer_store_dword v76, off, s[0:3], 0 offset:116
.LBB100_201:
	s_or_b64 exec, exec, s[4:5]
	s_waitcnt lgkmcnt(0)
	; wave barrier
	buffer_load_dword v85, off, s[0:3], 0 offset:120
	buffer_load_dword v86, off, s[0:3], 0 offset:124
	buffer_load_dword v87, off, s[0:3], 0 offset:128
	buffer_load_dword v88, off, s[0:3], 0 offset:132
	buffer_load_dword v89, off, s[0:3], 0 offset:136
	buffer_load_dword v90, off, s[0:3], 0 offset:140
	buffer_load_dword v91, off, s[0:3], 0 offset:144
	buffer_load_dword v92, off, s[0:3], 0 offset:148
	buffer_load_dword v93, off, s[0:3], 0 offset:152
	buffer_load_dword v94, off, s[0:3], 0 offset:156
	buffer_load_dword v95, off, s[0:3], 0 offset:160
	buffer_load_dword v96, off, s[0:3], 0 offset:164
	buffer_load_dword v97, off, s[0:3], 0 offset:168
	buffer_load_dword v98, off, s[0:3], 0 offset:172
	buffer_load_dword v100, off, s[0:3], 0 offset:180
	buffer_load_dword v101, off, s[0:3], 0 offset:200
	buffer_load_dword v103, off, s[0:3], 0 offset:192
	buffer_load_dword v105, off, s[0:3], 0 offset:184
	buffer_load_dword v99, off, s[0:3], 0 offset:176
	buffer_load_dword v106, off, s[0:3], 0 offset:188
	buffer_load_dword v104, off, s[0:3], 0 offset:196
	ds_read2_b64 v[77:80], v76 offset0:53 offset1:54
	ds_read2_b64 v[81:84], v76 offset0:55 offset1:56
	buffer_load_dword v102, off, s[0:3], 0 offset:204
	v_cmp_lt_u32_e32 vcc, 13, v0
	s_waitcnt vmcnt(20) lgkmcnt(1)
	v_fma_f64 v[77:78], v[85:86], v[77:78], 0
	s_waitcnt vmcnt(18)
	v_fma_f64 v[77:78], v[87:88], v[79:80], v[77:78]
	buffer_load_dword v86, off, s[0:3], 0 offset:212
	buffer_load_dword v87, off, s[0:3], 0 offset:232
	;; [unrolled: 1-line block ×7, first 2 shown]
	s_waitcnt vmcnt(23) lgkmcnt(0)
	v_fma_f64 v[77:78], v[89:90], v[81:82], v[77:78]
	s_waitcnt vmcnt(21)
	v_fma_f64 v[88:89], v[91:92], v[83:84], v[77:78]
	ds_read2_b64 v[77:80], v76 offset0:57 offset1:58
	ds_read2_b64 v[81:84], v76 offset0:59 offset1:60
	s_waitcnt vmcnt(19) lgkmcnt(1)
	v_fma_f64 v[77:78], v[93:94], v[77:78], v[88:89]
	buffer_load_dword v88, off, s[0:3], 0 offset:236
	s_waitcnt vmcnt(18)
	v_fma_f64 v[77:78], v[95:96], v[79:80], v[77:78]
	buffer_load_dword v90, off, s[0:3], 0 offset:244
	buffer_load_dword v91, off, s[0:3], 0 offset:264
	;; [unrolled: 1-line block ×8, first 2 shown]
	s_waitcnt vmcnt(24) lgkmcnt(0)
	v_fma_f64 v[77:78], v[97:98], v[81:82], v[77:78]
	s_waitcnt vmcnt(19)
	v_fma_f64 v[97:98], v[99:100], v[83:84], v[77:78]
	ds_read2_b64 v[77:80], v76 offset0:61 offset1:62
	ds_read2_b64 v[81:84], v76 offset0:63 offset1:64
	s_waitcnt vmcnt(18) lgkmcnt(1)
	v_fma_f64 v[77:78], v[105:106], v[77:78], v[97:98]
	s_waitcnt vmcnt(17)
	v_fma_f64 v[77:78], v[103:104], v[79:80], v[77:78]
	buffer_load_dword v98, off, s[0:3], 0 offset:276
	buffer_load_dword v99, off, s[0:3], 0 offset:288
	;; [unrolled: 1-line block ×6, first 2 shown]
	s_waitcnt vmcnt(22) lgkmcnt(0)
	v_fma_f64 v[77:78], v[101:102], v[81:82], v[77:78]
	s_waitcnt vmcnt(17)
	v_fma_f64 v[85:86], v[85:86], v[83:84], v[77:78]
	ds_read2_b64 v[77:80], v76 offset0:65 offset1:66
	buffer_load_dword v101, off, s[0:3], 0 offset:112
	buffer_load_dword v102, off, s[0:3], 0 offset:116
	ds_read2_b64 v[81:84], v76 offset0:67 offset1:68
	s_waitcnt vmcnt(18) lgkmcnt(1)
	v_fma_f64 v[77:78], v[109:110], v[77:78], v[85:86]
	s_waitcnt vmcnt(17)
	v_fma_f64 v[77:78], v[107:108], v[79:80], v[77:78]
	s_waitcnt vmcnt(16) lgkmcnt(0)
	v_fma_f64 v[77:78], v[87:88], v[81:82], v[77:78]
	s_waitcnt vmcnt(11)
	v_fma_f64 v[85:86], v[89:90], v[83:84], v[77:78]
	ds_read2_b64 v[77:80], v76 offset0:69 offset1:70
	ds_read2_b64 v[81:84], v76 offset0:71 offset1:72
	s_waitcnt vmcnt(10) lgkmcnt(1)
	v_fma_f64 v[77:78], v[95:96], v[77:78], v[85:86]
	s_waitcnt vmcnt(9)
	v_fma_f64 v[77:78], v[93:94], v[79:80], v[77:78]
	s_waitcnt vmcnt(8) lgkmcnt(0)
	v_fma_f64 v[77:78], v[91:92], v[81:82], v[77:78]
	s_waitcnt vmcnt(4)
	v_fma_f64 v[80:81], v[97:98], v[83:84], v[77:78]
	ds_read2_b64 v[76:79], v76 offset0:73 offset1:74
	s_waitcnt vmcnt(3) lgkmcnt(0)
	v_fma_f64 v[76:77], v[103:104], v[76:77], v[80:81]
	s_waitcnt vmcnt(2)
	v_fma_f64 v[76:77], v[99:100], v[78:79], v[76:77]
	s_waitcnt vmcnt(0)
	v_add_f64 v[76:77], v[101:102], -v[76:77]
	buffer_store_dword v77, off, s[0:3], 0 offset:116
	buffer_store_dword v76, off, s[0:3], 0 offset:112
	s_and_saveexec_b64 s[4:5], vcc
	s_cbranch_execz .LBB100_203
; %bb.202:
	buffer_load_dword v76, off, s[0:3], 0 offset:104
	buffer_load_dword v77, off, s[0:3], 0 offset:108
	v_mov_b32_e32 v78, 0
	buffer_store_dword v78, off, s[0:3], 0 offset:104
	buffer_store_dword v78, off, s[0:3], 0 offset:108
	s_waitcnt vmcnt(2)
	ds_write_b64 v75, v[76:77]
.LBB100_203:
	s_or_b64 exec, exec, s[4:5]
	s_waitcnt lgkmcnt(0)
	; wave barrier
	buffer_load_dword v85, off, s[0:3], 0 offset:112
	buffer_load_dword v86, off, s[0:3], 0 offset:116
	;; [unrolled: 1-line block ×21, first 2 shown]
	v_mov_b32_e32 v76, 0
	ds_read_b128 v[77:80], v76 offset:416
	ds_read_b128 v[81:84], v76 offset:432
	buffer_load_dword v102, off, s[0:3], 0 offset:196
	v_cmp_lt_u32_e32 vcc, 12, v0
	s_waitcnt vmcnt(20) lgkmcnt(1)
	v_fma_f64 v[77:78], v[85:86], v[77:78], 0
	s_waitcnt vmcnt(18)
	v_fma_f64 v[77:78], v[87:88], v[79:80], v[77:78]
	buffer_load_dword v86, off, s[0:3], 0 offset:204
	buffer_load_dword v87, off, s[0:3], 0 offset:224
	;; [unrolled: 1-line block ×7, first 2 shown]
	s_waitcnt vmcnt(23) lgkmcnt(0)
	v_fma_f64 v[77:78], v[89:90], v[81:82], v[77:78]
	s_waitcnt vmcnt(21)
	v_fma_f64 v[88:89], v[91:92], v[83:84], v[77:78]
	ds_read_b128 v[77:80], v76 offset:448
	ds_read_b128 v[81:84], v76 offset:464
	s_waitcnt vmcnt(19) lgkmcnt(1)
	v_fma_f64 v[77:78], v[93:94], v[77:78], v[88:89]
	buffer_load_dword v88, off, s[0:3], 0 offset:228
	s_waitcnt vmcnt(18)
	v_fma_f64 v[77:78], v[95:96], v[79:80], v[77:78]
	buffer_load_dword v90, off, s[0:3], 0 offset:236
	buffer_load_dword v91, off, s[0:3], 0 offset:256
	;; [unrolled: 1-line block ×8, first 2 shown]
	s_waitcnt vmcnt(24) lgkmcnt(0)
	v_fma_f64 v[77:78], v[97:98], v[81:82], v[77:78]
	s_waitcnt vmcnt(19)
	v_fma_f64 v[97:98], v[99:100], v[83:84], v[77:78]
	ds_read_b128 v[77:80], v76 offset:480
	ds_read_b128 v[81:84], v76 offset:496
	s_waitcnt vmcnt(18) lgkmcnt(1)
	v_fma_f64 v[77:78], v[105:106], v[77:78], v[97:98]
	s_waitcnt vmcnt(17)
	v_fma_f64 v[77:78], v[103:104], v[79:80], v[77:78]
	buffer_load_dword v98, off, s[0:3], 0 offset:268
	buffer_load_dword v99, off, s[0:3], 0 offset:288
	;; [unrolled: 1-line block ×8, first 2 shown]
	s_waitcnt vmcnt(24) lgkmcnt(0)
	v_fma_f64 v[77:78], v[101:102], v[81:82], v[77:78]
	s_waitcnt vmcnt(19)
	v_fma_f64 v[85:86], v[85:86], v[83:84], v[77:78]
	ds_read_b128 v[77:80], v76 offset:512
	ds_read_b128 v[81:84], v76 offset:528
	s_waitcnt vmcnt(18) lgkmcnt(1)
	v_fma_f64 v[77:78], v[109:110], v[77:78], v[85:86]
	buffer_load_dword v85, off, s[0:3], 0 offset:104
	buffer_load_dword v86, off, s[0:3], 0 offset:108
	s_waitcnt vmcnt(19)
	v_fma_f64 v[77:78], v[107:108], v[79:80], v[77:78]
	s_waitcnt vmcnt(18) lgkmcnt(0)
	v_fma_f64 v[77:78], v[87:88], v[81:82], v[77:78]
	s_waitcnt vmcnt(13)
	v_fma_f64 v[87:88], v[89:90], v[83:84], v[77:78]
	ds_read_b128 v[77:80], v76 offset:544
	ds_read_b128 v[81:84], v76 offset:560
	s_waitcnt vmcnt(12) lgkmcnt(1)
	v_fma_f64 v[77:78], v[95:96], v[77:78], v[87:88]
	s_waitcnt vmcnt(11)
	v_fma_f64 v[77:78], v[93:94], v[79:80], v[77:78]
	s_waitcnt vmcnt(10) lgkmcnt(0)
	v_fma_f64 v[77:78], v[91:92], v[81:82], v[77:78]
	s_waitcnt vmcnt(5)
	v_fma_f64 v[81:82], v[97:98], v[83:84], v[77:78]
	ds_read_b128 v[77:80], v76 offset:576
	ds_read_b64 v[83:84], v76 offset:592
	s_waitcnt vmcnt(4) lgkmcnt(1)
	v_fma_f64 v[77:78], v[105:106], v[77:78], v[81:82]
	s_waitcnt vmcnt(3)
	v_fma_f64 v[77:78], v[103:104], v[79:80], v[77:78]
	s_waitcnt vmcnt(2) lgkmcnt(0)
	v_fma_f64 v[77:78], v[99:100], v[83:84], v[77:78]
	s_waitcnt vmcnt(0)
	v_add_f64 v[77:78], v[85:86], -v[77:78]
	buffer_store_dword v78, off, s[0:3], 0 offset:108
	buffer_store_dword v77, off, s[0:3], 0 offset:104
	s_and_saveexec_b64 s[4:5], vcc
	s_cbranch_execz .LBB100_205
; %bb.204:
	buffer_load_dword v77, off, s[0:3], 0 offset:96
	buffer_load_dword v78, off, s[0:3], 0 offset:100
	s_waitcnt vmcnt(0)
	ds_write_b64 v75, v[77:78]
	buffer_store_dword v76, off, s[0:3], 0 offset:96
	buffer_store_dword v76, off, s[0:3], 0 offset:100
.LBB100_205:
	s_or_b64 exec, exec, s[4:5]
	s_waitcnt lgkmcnt(0)
	; wave barrier
	buffer_load_dword v85, off, s[0:3], 0 offset:104
	buffer_load_dword v86, off, s[0:3], 0 offset:108
	;; [unrolled: 1-line block ×21, first 2 shown]
	ds_read2_b64 v[77:80], v76 offset0:51 offset1:52
	ds_read2_b64 v[81:84], v76 offset0:53 offset1:54
	buffer_load_dword v102, off, s[0:3], 0 offset:188
	v_cmp_lt_u32_e32 vcc, 11, v0
	s_waitcnt vmcnt(20) lgkmcnt(1)
	v_fma_f64 v[77:78], v[85:86], v[77:78], 0
	s_waitcnt vmcnt(18)
	v_fma_f64 v[77:78], v[87:88], v[79:80], v[77:78]
	buffer_load_dword v86, off, s[0:3], 0 offset:196
	buffer_load_dword v87, off, s[0:3], 0 offset:216
	;; [unrolled: 1-line block ×7, first 2 shown]
	s_waitcnt vmcnt(23) lgkmcnt(0)
	v_fma_f64 v[77:78], v[89:90], v[81:82], v[77:78]
	s_waitcnt vmcnt(21)
	v_fma_f64 v[88:89], v[91:92], v[83:84], v[77:78]
	ds_read2_b64 v[77:80], v76 offset0:55 offset1:56
	ds_read2_b64 v[81:84], v76 offset0:57 offset1:58
	s_waitcnt vmcnt(19) lgkmcnt(1)
	v_fma_f64 v[77:78], v[93:94], v[77:78], v[88:89]
	buffer_load_dword v88, off, s[0:3], 0 offset:220
	s_waitcnt vmcnt(18)
	v_fma_f64 v[77:78], v[95:96], v[79:80], v[77:78]
	buffer_load_dword v90, off, s[0:3], 0 offset:228
	buffer_load_dword v91, off, s[0:3], 0 offset:248
	buffer_load_dword v93, off, s[0:3], 0 offset:240
	buffer_load_dword v95, off, s[0:3], 0 offset:232
	buffer_load_dword v89, off, s[0:3], 0 offset:224
	buffer_load_dword v96, off, s[0:3], 0 offset:236
	buffer_load_dword v94, off, s[0:3], 0 offset:244
	buffer_load_dword v92, off, s[0:3], 0 offset:252
	s_waitcnt vmcnt(24) lgkmcnt(0)
	v_fma_f64 v[77:78], v[97:98], v[81:82], v[77:78]
	s_waitcnt vmcnt(19)
	v_fma_f64 v[97:98], v[99:100], v[83:84], v[77:78]
	ds_read2_b64 v[77:80], v76 offset0:59 offset1:60
	ds_read2_b64 v[81:84], v76 offset0:61 offset1:62
	s_waitcnt vmcnt(18) lgkmcnt(1)
	v_fma_f64 v[77:78], v[105:106], v[77:78], v[97:98]
	s_waitcnt vmcnt(17)
	v_fma_f64 v[77:78], v[103:104], v[79:80], v[77:78]
	buffer_load_dword v98, off, s[0:3], 0 offset:260
	buffer_load_dword v99, off, s[0:3], 0 offset:280
	;; [unrolled: 1-line block ×8, first 2 shown]
	s_waitcnt vmcnt(24) lgkmcnt(0)
	v_fma_f64 v[77:78], v[101:102], v[81:82], v[77:78]
	s_waitcnt vmcnt(19)
	v_fma_f64 v[85:86], v[85:86], v[83:84], v[77:78]
	ds_read2_b64 v[77:80], v76 offset0:63 offset1:64
	ds_read2_b64 v[81:84], v76 offset0:65 offset1:66
	s_waitcnt vmcnt(18) lgkmcnt(1)
	v_fma_f64 v[77:78], v[109:110], v[77:78], v[85:86]
	buffer_load_dword v86, off, s[0:3], 0 offset:292
	buffer_load_dword v85, off, s[0:3], 0 offset:288
	;; [unrolled: 1-line block ×4, first 2 shown]
	s_waitcnt vmcnt(21)
	v_fma_f64 v[77:78], v[107:108], v[79:80], v[77:78]
	s_waitcnt vmcnt(20) lgkmcnt(0)
	v_fma_f64 v[77:78], v[87:88], v[81:82], v[77:78]
	s_waitcnt vmcnt(15)
	v_fma_f64 v[87:88], v[89:90], v[83:84], v[77:78]
	ds_read2_b64 v[77:80], v76 offset0:67 offset1:68
	ds_read2_b64 v[81:84], v76 offset0:69 offset1:70
	s_waitcnt vmcnt(14) lgkmcnt(1)
	v_fma_f64 v[77:78], v[95:96], v[77:78], v[87:88]
	s_waitcnt vmcnt(13)
	v_fma_f64 v[77:78], v[93:94], v[79:80], v[77:78]
	s_waitcnt vmcnt(12) lgkmcnt(0)
	v_fma_f64 v[77:78], v[91:92], v[81:82], v[77:78]
	s_waitcnt vmcnt(7)
	v_fma_f64 v[87:88], v[97:98], v[83:84], v[77:78]
	ds_read2_b64 v[77:80], v76 offset0:71 offset1:72
	ds_read2_b64 v[81:84], v76 offset0:73 offset1:74
	s_waitcnt vmcnt(6) lgkmcnt(1)
	v_fma_f64 v[76:77], v[105:106], v[77:78], v[87:88]
	s_waitcnt vmcnt(5)
	v_fma_f64 v[76:77], v[103:104], v[79:80], v[76:77]
	s_waitcnt vmcnt(4) lgkmcnt(0)
	v_fma_f64 v[76:77], v[99:100], v[81:82], v[76:77]
	s_waitcnt vmcnt(2)
	v_fma_f64 v[76:77], v[85:86], v[83:84], v[76:77]
	s_waitcnt vmcnt(0)
	v_add_f64 v[76:77], v[101:102], -v[76:77]
	buffer_store_dword v77, off, s[0:3], 0 offset:100
	buffer_store_dword v76, off, s[0:3], 0 offset:96
	s_and_saveexec_b64 s[4:5], vcc
	s_cbranch_execz .LBB100_207
; %bb.206:
	buffer_load_dword v76, off, s[0:3], 0 offset:88
	buffer_load_dword v77, off, s[0:3], 0 offset:92
	v_mov_b32_e32 v78, 0
	buffer_store_dword v78, off, s[0:3], 0 offset:88
	buffer_store_dword v78, off, s[0:3], 0 offset:92
	s_waitcnt vmcnt(2)
	ds_write_b64 v75, v[76:77]
.LBB100_207:
	s_or_b64 exec, exec, s[4:5]
	s_waitcnt lgkmcnt(0)
	; wave barrier
	buffer_load_dword v85, off, s[0:3], 0 offset:96
	buffer_load_dword v86, off, s[0:3], 0 offset:100
	;; [unrolled: 1-line block ×21, first 2 shown]
	v_mov_b32_e32 v76, 0
	ds_read_b128 v[77:80], v76 offset:400
	ds_read_b128 v[81:84], v76 offset:416
	buffer_load_dword v102, off, s[0:3], 0 offset:180
	v_cmp_lt_u32_e32 vcc, 10, v0
	s_waitcnt vmcnt(20) lgkmcnt(1)
	v_fma_f64 v[77:78], v[85:86], v[77:78], 0
	s_waitcnt vmcnt(18)
	v_fma_f64 v[77:78], v[87:88], v[79:80], v[77:78]
	buffer_load_dword v86, off, s[0:3], 0 offset:188
	buffer_load_dword v87, off, s[0:3], 0 offset:208
	;; [unrolled: 1-line block ×7, first 2 shown]
	s_waitcnt vmcnt(23) lgkmcnt(0)
	v_fma_f64 v[77:78], v[89:90], v[81:82], v[77:78]
	s_waitcnt vmcnt(21)
	v_fma_f64 v[88:89], v[91:92], v[83:84], v[77:78]
	ds_read_b128 v[77:80], v76 offset:432
	ds_read_b128 v[81:84], v76 offset:448
	s_waitcnt vmcnt(19) lgkmcnt(1)
	v_fma_f64 v[77:78], v[93:94], v[77:78], v[88:89]
	buffer_load_dword v88, off, s[0:3], 0 offset:212
	s_waitcnt vmcnt(18)
	v_fma_f64 v[77:78], v[95:96], v[79:80], v[77:78]
	buffer_load_dword v90, off, s[0:3], 0 offset:220
	buffer_load_dword v91, off, s[0:3], 0 offset:240
	;; [unrolled: 1-line block ×8, first 2 shown]
	s_waitcnt vmcnt(24) lgkmcnt(0)
	v_fma_f64 v[77:78], v[97:98], v[81:82], v[77:78]
	s_waitcnt vmcnt(19)
	v_fma_f64 v[97:98], v[99:100], v[83:84], v[77:78]
	ds_read_b128 v[77:80], v76 offset:464
	ds_read_b128 v[81:84], v76 offset:480
	s_waitcnt vmcnt(18) lgkmcnt(1)
	v_fma_f64 v[77:78], v[105:106], v[77:78], v[97:98]
	s_waitcnt vmcnt(17)
	v_fma_f64 v[77:78], v[103:104], v[79:80], v[77:78]
	buffer_load_dword v98, off, s[0:3], 0 offset:252
	buffer_load_dword v99, off, s[0:3], 0 offset:272
	;; [unrolled: 1-line block ×7, first 2 shown]
	s_waitcnt vmcnt(23) lgkmcnt(0)
	v_fma_f64 v[77:78], v[101:102], v[81:82], v[77:78]
	s_waitcnt vmcnt(18)
	v_fma_f64 v[85:86], v[85:86], v[83:84], v[77:78]
	ds_read_b128 v[77:80], v76 offset:496
	ds_read_b128 v[81:84], v76 offset:512
	buffer_load_dword v100, off, s[0:3], 0 offset:276
	s_waitcnt vmcnt(18) lgkmcnt(1)
	v_fma_f64 v[77:78], v[109:110], v[77:78], v[85:86]
	buffer_load_dword v86, off, s[0:3], 0 offset:284
	buffer_load_dword v101, off, s[0:3], 0 offset:288
	;; [unrolled: 1-line block ×4, first 2 shown]
	s_waitcnt vmcnt(21)
	v_fma_f64 v[77:78], v[107:108], v[79:80], v[77:78]
	s_waitcnt vmcnt(20) lgkmcnt(0)
	v_fma_f64 v[77:78], v[87:88], v[81:82], v[77:78]
	buffer_load_dword v87, off, s[0:3], 0 offset:88
	buffer_load_dword v88, off, s[0:3], 0 offset:92
	s_waitcnt vmcnt(17)
	v_fma_f64 v[89:90], v[89:90], v[83:84], v[77:78]
	ds_read_b128 v[77:80], v76 offset:528
	ds_read_b128 v[81:84], v76 offset:544
	s_waitcnt vmcnt(16) lgkmcnt(1)
	v_fma_f64 v[77:78], v[95:96], v[77:78], v[89:90]
	s_waitcnt vmcnt(15)
	v_fma_f64 v[77:78], v[93:94], v[79:80], v[77:78]
	s_waitcnt vmcnt(14) lgkmcnt(0)
	v_fma_f64 v[77:78], v[91:92], v[81:82], v[77:78]
	s_waitcnt vmcnt(9)
	v_fma_f64 v[89:90], v[97:98], v[83:84], v[77:78]
	ds_read_b128 v[77:80], v76 offset:560
	ds_read_b128 v[81:84], v76 offset:576
	s_waitcnt vmcnt(8) lgkmcnt(1)
	v_fma_f64 v[77:78], v[105:106], v[77:78], v[89:90]
	s_waitcnt vmcnt(7)
	v_fma_f64 v[77:78], v[103:104], v[79:80], v[77:78]
	ds_read_b64 v[79:80], v76 offset:592
	s_waitcnt vmcnt(6) lgkmcnt(1)
	v_fma_f64 v[77:78], v[99:100], v[81:82], v[77:78]
	s_waitcnt vmcnt(3)
	v_fma_f64 v[77:78], v[85:86], v[83:84], v[77:78]
	s_waitcnt vmcnt(2) lgkmcnt(0)
	v_fma_f64 v[77:78], v[101:102], v[79:80], v[77:78]
	s_waitcnt vmcnt(0)
	v_add_f64 v[77:78], v[87:88], -v[77:78]
	buffer_store_dword v78, off, s[0:3], 0 offset:92
	buffer_store_dword v77, off, s[0:3], 0 offset:88
	s_and_saveexec_b64 s[4:5], vcc
	s_cbranch_execz .LBB100_209
; %bb.208:
	buffer_load_dword v77, off, s[0:3], 0 offset:80
	buffer_load_dword v78, off, s[0:3], 0 offset:84
	s_waitcnt vmcnt(0)
	ds_write_b64 v75, v[77:78]
	buffer_store_dword v76, off, s[0:3], 0 offset:80
	buffer_store_dword v76, off, s[0:3], 0 offset:84
.LBB100_209:
	s_or_b64 exec, exec, s[4:5]
	s_waitcnt lgkmcnt(0)
	; wave barrier
	buffer_load_dword v85, off, s[0:3], 0 offset:88
	buffer_load_dword v86, off, s[0:3], 0 offset:92
	buffer_load_dword v87, off, s[0:3], 0 offset:96
	buffer_load_dword v88, off, s[0:3], 0 offset:100
	buffer_load_dword v89, off, s[0:3], 0 offset:104
	buffer_load_dword v90, off, s[0:3], 0 offset:108
	buffer_load_dword v91, off, s[0:3], 0 offset:112
	buffer_load_dword v92, off, s[0:3], 0 offset:116
	buffer_load_dword v93, off, s[0:3], 0 offset:120
	buffer_load_dword v94, off, s[0:3], 0 offset:124
	buffer_load_dword v95, off, s[0:3], 0 offset:128
	buffer_load_dword v96, off, s[0:3], 0 offset:132
	buffer_load_dword v97, off, s[0:3], 0 offset:136
	buffer_load_dword v98, off, s[0:3], 0 offset:140
	buffer_load_dword v100, off, s[0:3], 0 offset:148
	buffer_load_dword v101, off, s[0:3], 0 offset:168
	buffer_load_dword v103, off, s[0:3], 0 offset:160
	buffer_load_dword v105, off, s[0:3], 0 offset:152
	buffer_load_dword v99, off, s[0:3], 0 offset:144
	buffer_load_dword v106, off, s[0:3], 0 offset:156
	buffer_load_dword v104, off, s[0:3], 0 offset:164
	buffer_load_dword v102, off, s[0:3], 0 offset:172
	ds_read2_b64 v[77:80], v76 offset0:49 offset1:50
	ds_read2_b64 v[81:84], v76 offset0:51 offset1:52
	v_cmp_lt_u32_e32 vcc, 9, v0
	s_waitcnt vmcnt(20) lgkmcnt(1)
	v_fma_f64 v[77:78], v[85:86], v[77:78], 0
	s_waitcnt vmcnt(18)
	v_fma_f64 v[77:78], v[87:88], v[79:80], v[77:78]
	buffer_load_dword v86, off, s[0:3], 0 offset:180
	buffer_load_dword v87, off, s[0:3], 0 offset:200
	;; [unrolled: 1-line block ×7, first 2 shown]
	s_waitcnt vmcnt(23) lgkmcnt(0)
	v_fma_f64 v[77:78], v[89:90], v[81:82], v[77:78]
	s_waitcnt vmcnt(21)
	v_fma_f64 v[88:89], v[91:92], v[83:84], v[77:78]
	ds_read2_b64 v[77:80], v76 offset0:53 offset1:54
	ds_read2_b64 v[81:84], v76 offset0:55 offset1:56
	s_waitcnt vmcnt(19) lgkmcnt(1)
	v_fma_f64 v[77:78], v[93:94], v[77:78], v[88:89]
	buffer_load_dword v88, off, s[0:3], 0 offset:204
	s_waitcnt vmcnt(18)
	v_fma_f64 v[77:78], v[95:96], v[79:80], v[77:78]
	buffer_load_dword v90, off, s[0:3], 0 offset:212
	buffer_load_dword v91, off, s[0:3], 0 offset:232
	;; [unrolled: 1-line block ×8, first 2 shown]
	s_waitcnt vmcnt(24) lgkmcnt(0)
	v_fma_f64 v[77:78], v[97:98], v[81:82], v[77:78]
	s_waitcnt vmcnt(19)
	v_fma_f64 v[97:98], v[99:100], v[83:84], v[77:78]
	ds_read2_b64 v[77:80], v76 offset0:57 offset1:58
	ds_read2_b64 v[81:84], v76 offset0:59 offset1:60
	s_waitcnt vmcnt(18) lgkmcnt(1)
	v_fma_f64 v[77:78], v[105:106], v[77:78], v[97:98]
	s_waitcnt vmcnt(17)
	v_fma_f64 v[77:78], v[103:104], v[79:80], v[77:78]
	buffer_load_dword v98, off, s[0:3], 0 offset:244
	buffer_load_dword v99, off, s[0:3], 0 offset:264
	;; [unrolled: 1-line block ×8, first 2 shown]
	s_waitcnt vmcnt(24) lgkmcnt(0)
	v_fma_f64 v[77:78], v[101:102], v[81:82], v[77:78]
	s_waitcnt vmcnt(19)
	v_fma_f64 v[85:86], v[85:86], v[83:84], v[77:78]
	ds_read2_b64 v[77:80], v76 offset0:61 offset1:62
	ds_read2_b64 v[81:84], v76 offset0:63 offset1:64
	s_waitcnt vmcnt(18) lgkmcnt(1)
	v_fma_f64 v[77:78], v[109:110], v[77:78], v[85:86]
	s_waitcnt vmcnt(17)
	v_fma_f64 v[77:78], v[107:108], v[79:80], v[77:78]
	buffer_load_dword v86, off, s[0:3], 0 offset:276
	buffer_load_dword v101, off, s[0:3], 0 offset:288
	;; [unrolled: 1-line block ×6, first 2 shown]
	s_waitcnt vmcnt(22) lgkmcnt(0)
	v_fma_f64 v[77:78], v[87:88], v[81:82], v[77:78]
	s_waitcnt vmcnt(17)
	v_fma_f64 v[87:88], v[89:90], v[83:84], v[77:78]
	ds_read2_b64 v[77:80], v76 offset0:65 offset1:66
	buffer_load_dword v89, off, s[0:3], 0 offset:80
	buffer_load_dword v90, off, s[0:3], 0 offset:84
	ds_read2_b64 v[81:84], v76 offset0:67 offset1:68
	s_waitcnt vmcnt(18) lgkmcnt(1)
	v_fma_f64 v[77:78], v[95:96], v[77:78], v[87:88]
	s_waitcnt vmcnt(17)
	v_fma_f64 v[77:78], v[93:94], v[79:80], v[77:78]
	s_waitcnt vmcnt(16) lgkmcnt(0)
	v_fma_f64 v[77:78], v[91:92], v[81:82], v[77:78]
	s_waitcnt vmcnt(11)
	v_fma_f64 v[87:88], v[97:98], v[83:84], v[77:78]
	ds_read2_b64 v[77:80], v76 offset0:69 offset1:70
	ds_read2_b64 v[81:84], v76 offset0:71 offset1:72
	s_waitcnt vmcnt(10) lgkmcnt(1)
	v_fma_f64 v[77:78], v[105:106], v[77:78], v[87:88]
	s_waitcnt vmcnt(9)
	v_fma_f64 v[77:78], v[103:104], v[79:80], v[77:78]
	s_waitcnt vmcnt(8) lgkmcnt(0)
	v_fma_f64 v[77:78], v[99:100], v[81:82], v[77:78]
	s_waitcnt vmcnt(4)
	v_fma_f64 v[80:81], v[85:86], v[83:84], v[77:78]
	ds_read2_b64 v[76:79], v76 offset0:73 offset1:74
	s_waitcnt vmcnt(3) lgkmcnt(0)
	v_fma_f64 v[76:77], v[107:108], v[76:77], v[80:81]
	s_waitcnt vmcnt(2)
	v_fma_f64 v[76:77], v[101:102], v[78:79], v[76:77]
	s_waitcnt vmcnt(0)
	v_add_f64 v[76:77], v[89:90], -v[76:77]
	buffer_store_dword v77, off, s[0:3], 0 offset:84
	buffer_store_dword v76, off, s[0:3], 0 offset:80
	s_and_saveexec_b64 s[4:5], vcc
	s_cbranch_execz .LBB100_211
; %bb.210:
	buffer_load_dword v76, off, s[0:3], 0 offset:72
	buffer_load_dword v77, off, s[0:3], 0 offset:76
	v_mov_b32_e32 v78, 0
	buffer_store_dword v78, off, s[0:3], 0 offset:72
	buffer_store_dword v78, off, s[0:3], 0 offset:76
	s_waitcnt vmcnt(2)
	ds_write_b64 v75, v[76:77]
.LBB100_211:
	s_or_b64 exec, exec, s[4:5]
	s_waitcnt lgkmcnt(0)
	; wave barrier
	buffer_load_dword v85, off, s[0:3], 0 offset:80
	buffer_load_dword v86, off, s[0:3], 0 offset:84
	;; [unrolled: 1-line block ×22, first 2 shown]
	v_mov_b32_e32 v76, 0
	ds_read_b128 v[77:80], v76 offset:384
	ds_read_b128 v[81:84], v76 offset:400
	v_cmp_lt_u32_e32 vcc, 8, v0
	s_waitcnt vmcnt(20) lgkmcnt(1)
	v_fma_f64 v[77:78], v[85:86], v[77:78], 0
	s_waitcnt vmcnt(18)
	v_fma_f64 v[77:78], v[87:88], v[79:80], v[77:78]
	buffer_load_dword v86, off, s[0:3], 0 offset:172
	buffer_load_dword v87, off, s[0:3], 0 offset:192
	;; [unrolled: 1-line block ×7, first 2 shown]
	s_waitcnt vmcnt(23) lgkmcnt(0)
	v_fma_f64 v[77:78], v[89:90], v[81:82], v[77:78]
	s_waitcnt vmcnt(21)
	v_fma_f64 v[88:89], v[91:92], v[83:84], v[77:78]
	ds_read_b128 v[77:80], v76 offset:416
	ds_read_b128 v[81:84], v76 offset:432
	s_waitcnt vmcnt(19) lgkmcnt(1)
	v_fma_f64 v[77:78], v[93:94], v[77:78], v[88:89]
	buffer_load_dword v88, off, s[0:3], 0 offset:196
	s_waitcnt vmcnt(18)
	v_fma_f64 v[77:78], v[95:96], v[79:80], v[77:78]
	buffer_load_dword v90, off, s[0:3], 0 offset:204
	buffer_load_dword v91, off, s[0:3], 0 offset:224
	buffer_load_dword v93, off, s[0:3], 0 offset:216
	buffer_load_dword v95, off, s[0:3], 0 offset:208
	buffer_load_dword v89, off, s[0:3], 0 offset:200
	buffer_load_dword v96, off, s[0:3], 0 offset:212
	buffer_load_dword v94, off, s[0:3], 0 offset:220
	buffer_load_dword v92, off, s[0:3], 0 offset:228
	s_waitcnt vmcnt(24) lgkmcnt(0)
	v_fma_f64 v[77:78], v[97:98], v[81:82], v[77:78]
	s_waitcnt vmcnt(19)
	v_fma_f64 v[97:98], v[99:100], v[83:84], v[77:78]
	ds_read_b128 v[77:80], v76 offset:448
	ds_read_b128 v[81:84], v76 offset:464
	s_waitcnt vmcnt(18) lgkmcnt(1)
	v_fma_f64 v[77:78], v[105:106], v[77:78], v[97:98]
	s_waitcnt vmcnt(17)
	v_fma_f64 v[77:78], v[103:104], v[79:80], v[77:78]
	buffer_load_dword v98, off, s[0:3], 0 offset:236
	buffer_load_dword v99, off, s[0:3], 0 offset:256
	buffer_load_dword v103, off, s[0:3], 0 offset:248
	buffer_load_dword v105, off, s[0:3], 0 offset:240
	buffer_load_dword v97, off, s[0:3], 0 offset:232
	buffer_load_dword v106, off, s[0:3], 0 offset:244
	buffer_load_dword v104, off, s[0:3], 0 offset:252
	buffer_load_dword v100, off, s[0:3], 0 offset:260
	s_waitcnt vmcnt(24) lgkmcnt(0)
	v_fma_f64 v[77:78], v[101:102], v[81:82], v[77:78]
	s_waitcnt vmcnt(19)
	v_fma_f64 v[85:86], v[85:86], v[83:84], v[77:78]
	ds_read_b128 v[77:80], v76 offset:480
	ds_read_b128 v[81:84], v76 offset:496
	s_waitcnt vmcnt(18) lgkmcnt(1)
	v_fma_f64 v[77:78], v[109:110], v[77:78], v[85:86]
	;; [unrolled: 18-line block ×3, first 2 shown]
	buffer_load_dword v87, off, s[0:3], 0 offset:72
	buffer_load_dword v88, off, s[0:3], 0 offset:76
	s_waitcnt vmcnt(19)
	v_fma_f64 v[77:78], v[93:94], v[79:80], v[77:78]
	s_waitcnt vmcnt(18) lgkmcnt(0)
	v_fma_f64 v[77:78], v[91:92], v[81:82], v[77:78]
	s_waitcnt vmcnt(13)
	v_fma_f64 v[89:90], v[97:98], v[83:84], v[77:78]
	ds_read_b128 v[77:80], v76 offset:544
	ds_read_b128 v[81:84], v76 offset:560
	s_waitcnt vmcnt(12) lgkmcnt(1)
	v_fma_f64 v[77:78], v[105:106], v[77:78], v[89:90]
	s_waitcnt vmcnt(11)
	v_fma_f64 v[77:78], v[103:104], v[79:80], v[77:78]
	s_waitcnt vmcnt(10) lgkmcnt(0)
	v_fma_f64 v[77:78], v[99:100], v[81:82], v[77:78]
	s_waitcnt vmcnt(5)
	v_fma_f64 v[81:82], v[85:86], v[83:84], v[77:78]
	ds_read_b128 v[77:80], v76 offset:576
	ds_read_b64 v[83:84], v76 offset:592
	s_waitcnt vmcnt(4) lgkmcnt(1)
	v_fma_f64 v[77:78], v[109:110], v[77:78], v[81:82]
	s_waitcnt vmcnt(3)
	v_fma_f64 v[77:78], v[107:108], v[79:80], v[77:78]
	s_waitcnt vmcnt(2) lgkmcnt(0)
	v_fma_f64 v[77:78], v[101:102], v[83:84], v[77:78]
	s_waitcnt vmcnt(0)
	v_add_f64 v[77:78], v[87:88], -v[77:78]
	buffer_store_dword v78, off, s[0:3], 0 offset:76
	buffer_store_dword v77, off, s[0:3], 0 offset:72
	s_and_saveexec_b64 s[4:5], vcc
	s_cbranch_execz .LBB100_213
; %bb.212:
	buffer_load_dword v77, off, s[0:3], 0 offset:64
	buffer_load_dword v78, off, s[0:3], 0 offset:68
	s_waitcnt vmcnt(0)
	ds_write_b64 v75, v[77:78]
	buffer_store_dword v76, off, s[0:3], 0 offset:64
	buffer_store_dword v76, off, s[0:3], 0 offset:68
.LBB100_213:
	s_or_b64 exec, exec, s[4:5]
	s_waitcnt lgkmcnt(0)
	; wave barrier
	buffer_load_dword v85, off, s[0:3], 0 offset:72
	buffer_load_dword v86, off, s[0:3], 0 offset:76
	;; [unrolled: 1-line block ×22, first 2 shown]
	ds_read2_b64 v[77:80], v76 offset0:47 offset1:48
	ds_read2_b64 v[81:84], v76 offset0:49 offset1:50
	v_cmp_lt_u32_e32 vcc, 7, v0
	s_waitcnt vmcnt(20) lgkmcnt(1)
	v_fma_f64 v[77:78], v[85:86], v[77:78], 0
	s_waitcnt vmcnt(18)
	v_fma_f64 v[77:78], v[87:88], v[79:80], v[77:78]
	buffer_load_dword v86, off, s[0:3], 0 offset:164
	buffer_load_dword v87, off, s[0:3], 0 offset:184
	;; [unrolled: 1-line block ×7, first 2 shown]
	s_waitcnt vmcnt(23) lgkmcnt(0)
	v_fma_f64 v[77:78], v[89:90], v[81:82], v[77:78]
	s_waitcnt vmcnt(21)
	v_fma_f64 v[88:89], v[91:92], v[83:84], v[77:78]
	ds_read2_b64 v[77:80], v76 offset0:51 offset1:52
	ds_read2_b64 v[81:84], v76 offset0:53 offset1:54
	s_waitcnt vmcnt(19) lgkmcnt(1)
	v_fma_f64 v[77:78], v[93:94], v[77:78], v[88:89]
	buffer_load_dword v88, off, s[0:3], 0 offset:188
	s_waitcnt vmcnt(18)
	v_fma_f64 v[77:78], v[95:96], v[79:80], v[77:78]
	buffer_load_dword v90, off, s[0:3], 0 offset:196
	buffer_load_dword v91, off, s[0:3], 0 offset:216
	buffer_load_dword v93, off, s[0:3], 0 offset:208
	buffer_load_dword v95, off, s[0:3], 0 offset:200
	buffer_load_dword v89, off, s[0:3], 0 offset:192
	buffer_load_dword v96, off, s[0:3], 0 offset:204
	buffer_load_dword v94, off, s[0:3], 0 offset:212
	buffer_load_dword v92, off, s[0:3], 0 offset:220
	s_waitcnt vmcnt(24) lgkmcnt(0)
	v_fma_f64 v[77:78], v[97:98], v[81:82], v[77:78]
	s_waitcnt vmcnt(19)
	v_fma_f64 v[97:98], v[99:100], v[83:84], v[77:78]
	ds_read2_b64 v[77:80], v76 offset0:55 offset1:56
	ds_read2_b64 v[81:84], v76 offset0:57 offset1:58
	s_waitcnt vmcnt(18) lgkmcnt(1)
	v_fma_f64 v[77:78], v[105:106], v[77:78], v[97:98]
	s_waitcnt vmcnt(17)
	v_fma_f64 v[77:78], v[103:104], v[79:80], v[77:78]
	buffer_load_dword v98, off, s[0:3], 0 offset:228
	buffer_load_dword v99, off, s[0:3], 0 offset:248
	buffer_load_dword v103, off, s[0:3], 0 offset:240
	buffer_load_dword v105, off, s[0:3], 0 offset:232
	buffer_load_dword v97, off, s[0:3], 0 offset:224
	buffer_load_dword v106, off, s[0:3], 0 offset:236
	buffer_load_dword v104, off, s[0:3], 0 offset:244
	buffer_load_dword v100, off, s[0:3], 0 offset:252
	s_waitcnt vmcnt(24) lgkmcnt(0)
	v_fma_f64 v[77:78], v[101:102], v[81:82], v[77:78]
	s_waitcnt vmcnt(19)
	v_fma_f64 v[85:86], v[85:86], v[83:84], v[77:78]
	ds_read2_b64 v[77:80], v76 offset0:59 offset1:60
	ds_read2_b64 v[81:84], v76 offset0:61 offset1:62
	s_waitcnt vmcnt(18) lgkmcnt(1)
	v_fma_f64 v[77:78], v[109:110], v[77:78], v[85:86]
	;; [unrolled: 18-line block ×3, first 2 shown]
	buffer_load_dword v88, off, s[0:3], 0 offset:292
	buffer_load_dword v87, off, s[0:3], 0 offset:288
	;; [unrolled: 1-line block ×4, first 2 shown]
	s_waitcnt vmcnt(21)
	v_fma_f64 v[77:78], v[93:94], v[79:80], v[77:78]
	s_waitcnt vmcnt(20) lgkmcnt(0)
	v_fma_f64 v[77:78], v[91:92], v[81:82], v[77:78]
	s_waitcnt vmcnt(15)
	v_fma_f64 v[91:92], v[97:98], v[83:84], v[77:78]
	ds_read2_b64 v[77:80], v76 offset0:67 offset1:68
	ds_read2_b64 v[81:84], v76 offset0:69 offset1:70
	s_waitcnt vmcnt(14) lgkmcnt(1)
	v_fma_f64 v[77:78], v[105:106], v[77:78], v[91:92]
	s_waitcnt vmcnt(13)
	v_fma_f64 v[77:78], v[103:104], v[79:80], v[77:78]
	s_waitcnt vmcnt(12) lgkmcnt(0)
	v_fma_f64 v[77:78], v[99:100], v[81:82], v[77:78]
	s_waitcnt vmcnt(7)
	v_fma_f64 v[85:86], v[85:86], v[83:84], v[77:78]
	ds_read2_b64 v[77:80], v76 offset0:71 offset1:72
	ds_read2_b64 v[81:84], v76 offset0:73 offset1:74
	s_waitcnt vmcnt(6) lgkmcnt(1)
	v_fma_f64 v[76:77], v[109:110], v[77:78], v[85:86]
	s_waitcnt vmcnt(5)
	v_fma_f64 v[76:77], v[107:108], v[79:80], v[76:77]
	s_waitcnt vmcnt(4) lgkmcnt(0)
	v_fma_f64 v[76:77], v[101:102], v[81:82], v[76:77]
	s_waitcnt vmcnt(2)
	v_fma_f64 v[76:77], v[87:88], v[83:84], v[76:77]
	s_waitcnt vmcnt(0)
	v_add_f64 v[76:77], v[89:90], -v[76:77]
	buffer_store_dword v77, off, s[0:3], 0 offset:68
	buffer_store_dword v76, off, s[0:3], 0 offset:64
	s_and_saveexec_b64 s[4:5], vcc
	s_cbranch_execz .LBB100_215
; %bb.214:
	buffer_load_dword v76, off, s[0:3], 0 offset:56
	buffer_load_dword v77, off, s[0:3], 0 offset:60
	v_mov_b32_e32 v78, 0
	buffer_store_dword v78, off, s[0:3], 0 offset:56
	buffer_store_dword v78, off, s[0:3], 0 offset:60
	s_waitcnt vmcnt(2)
	ds_write_b64 v75, v[76:77]
.LBB100_215:
	s_or_b64 exec, exec, s[4:5]
	s_waitcnt lgkmcnt(0)
	; wave barrier
	buffer_load_dword v85, off, s[0:3], 0 offset:64
	buffer_load_dword v86, off, s[0:3], 0 offset:68
	;; [unrolled: 1-line block ×22, first 2 shown]
	v_mov_b32_e32 v76, 0
	ds_read_b128 v[77:80], v76 offset:368
	ds_read_b128 v[81:84], v76 offset:384
	v_cmp_lt_u32_e32 vcc, 6, v0
	s_waitcnt vmcnt(20) lgkmcnt(1)
	v_fma_f64 v[77:78], v[85:86], v[77:78], 0
	s_waitcnt vmcnt(18)
	v_fma_f64 v[77:78], v[87:88], v[79:80], v[77:78]
	buffer_load_dword v86, off, s[0:3], 0 offset:156
	buffer_load_dword v87, off, s[0:3], 0 offset:176
	;; [unrolled: 1-line block ×7, first 2 shown]
	s_waitcnt vmcnt(23) lgkmcnt(0)
	v_fma_f64 v[77:78], v[89:90], v[81:82], v[77:78]
	s_waitcnt vmcnt(21)
	v_fma_f64 v[88:89], v[91:92], v[83:84], v[77:78]
	ds_read_b128 v[77:80], v76 offset:400
	ds_read_b128 v[81:84], v76 offset:416
	s_waitcnt vmcnt(19) lgkmcnt(1)
	v_fma_f64 v[77:78], v[93:94], v[77:78], v[88:89]
	buffer_load_dword v88, off, s[0:3], 0 offset:180
	s_waitcnt vmcnt(18)
	v_fma_f64 v[77:78], v[95:96], v[79:80], v[77:78]
	buffer_load_dword v90, off, s[0:3], 0 offset:188
	buffer_load_dword v91, off, s[0:3], 0 offset:208
	;; [unrolled: 1-line block ×7, first 2 shown]
	s_waitcnt vmcnt(23) lgkmcnt(0)
	v_fma_f64 v[77:78], v[97:98], v[81:82], v[77:78]
	s_waitcnt vmcnt(18)
	v_fma_f64 v[97:98], v[99:100], v[83:84], v[77:78]
	ds_read_b128 v[77:80], v76 offset:432
	ds_read_b128 v[81:84], v76 offset:448
	buffer_load_dword v92, off, s[0:3], 0 offset:212
	s_waitcnt vmcnt(18) lgkmcnt(1)
	v_fma_f64 v[77:78], v[105:106], v[77:78], v[97:98]
	s_waitcnt vmcnt(17)
	v_fma_f64 v[77:78], v[103:104], v[79:80], v[77:78]
	buffer_load_dword v98, off, s[0:3], 0 offset:220
	buffer_load_dword v99, off, s[0:3], 0 offset:240
	;; [unrolled: 1-line block ×8, first 2 shown]
	s_waitcnt vmcnt(24) lgkmcnt(0)
	v_fma_f64 v[77:78], v[101:102], v[81:82], v[77:78]
	s_waitcnt vmcnt(19)
	v_fma_f64 v[85:86], v[85:86], v[83:84], v[77:78]
	ds_read_b128 v[77:80], v76 offset:464
	ds_read_b128 v[81:84], v76 offset:480
	s_waitcnt vmcnt(18) lgkmcnt(1)
	v_fma_f64 v[77:78], v[109:110], v[77:78], v[85:86]
	s_waitcnt vmcnt(17)
	v_fma_f64 v[77:78], v[107:108], v[79:80], v[77:78]
	buffer_load_dword v86, off, s[0:3], 0 offset:252
	buffer_load_dword v101, off, s[0:3], 0 offset:272
	;; [unrolled: 1-line block ×7, first 2 shown]
	s_waitcnt vmcnt(23) lgkmcnt(0)
	v_fma_f64 v[77:78], v[87:88], v[81:82], v[77:78]
	s_waitcnt vmcnt(18)
	v_fma_f64 v[87:88], v[89:90], v[83:84], v[77:78]
	ds_read_b128 v[77:80], v76 offset:496
	ds_read_b128 v[81:84], v76 offset:512
	buffer_load_dword v102, off, s[0:3], 0 offset:276
	s_waitcnt vmcnt(18) lgkmcnt(1)
	v_fma_f64 v[77:78], v[95:96], v[77:78], v[87:88]
	buffer_load_dword v88, off, s[0:3], 0 offset:284
	buffer_load_dword v89, off, s[0:3], 0 offset:288
	;; [unrolled: 1-line block ×4, first 2 shown]
	s_waitcnt vmcnt(21)
	v_fma_f64 v[77:78], v[93:94], v[79:80], v[77:78]
	s_waitcnt vmcnt(20) lgkmcnt(0)
	v_fma_f64 v[77:78], v[91:92], v[81:82], v[77:78]
	buffer_load_dword v91, off, s[0:3], 0 offset:56
	buffer_load_dword v92, off, s[0:3], 0 offset:60
	s_waitcnt vmcnt(17)
	v_fma_f64 v[93:94], v[97:98], v[83:84], v[77:78]
	ds_read_b128 v[77:80], v76 offset:528
	ds_read_b128 v[81:84], v76 offset:544
	s_waitcnt vmcnt(16) lgkmcnt(1)
	v_fma_f64 v[77:78], v[105:106], v[77:78], v[93:94]
	s_waitcnt vmcnt(15)
	v_fma_f64 v[77:78], v[103:104], v[79:80], v[77:78]
	s_waitcnt vmcnt(14) lgkmcnt(0)
	v_fma_f64 v[77:78], v[99:100], v[81:82], v[77:78]
	s_waitcnt vmcnt(9)
	v_fma_f64 v[85:86], v[85:86], v[83:84], v[77:78]
	ds_read_b128 v[77:80], v76 offset:560
	ds_read_b128 v[81:84], v76 offset:576
	s_waitcnt vmcnt(8) lgkmcnt(1)
	v_fma_f64 v[77:78], v[109:110], v[77:78], v[85:86]
	s_waitcnt vmcnt(7)
	v_fma_f64 v[77:78], v[107:108], v[79:80], v[77:78]
	ds_read_b64 v[79:80], v76 offset:592
	s_waitcnt vmcnt(6) lgkmcnt(1)
	v_fma_f64 v[77:78], v[101:102], v[81:82], v[77:78]
	s_waitcnt vmcnt(3)
	v_fma_f64 v[77:78], v[87:88], v[83:84], v[77:78]
	s_waitcnt vmcnt(2) lgkmcnt(0)
	v_fma_f64 v[77:78], v[89:90], v[79:80], v[77:78]
	s_waitcnt vmcnt(0)
	v_add_f64 v[77:78], v[91:92], -v[77:78]
	buffer_store_dword v78, off, s[0:3], 0 offset:60
	buffer_store_dword v77, off, s[0:3], 0 offset:56
	s_and_saveexec_b64 s[4:5], vcc
	s_cbranch_execz .LBB100_217
; %bb.216:
	buffer_load_dword v77, off, s[0:3], 0 offset:48
	buffer_load_dword v78, off, s[0:3], 0 offset:52
	s_waitcnt vmcnt(0)
	ds_write_b64 v75, v[77:78]
	buffer_store_dword v76, off, s[0:3], 0 offset:48
	buffer_store_dword v76, off, s[0:3], 0 offset:52
.LBB100_217:
	s_or_b64 exec, exec, s[4:5]
	s_waitcnt lgkmcnt(0)
	; wave barrier
	buffer_load_dword v85, off, s[0:3], 0 offset:56
	buffer_load_dword v86, off, s[0:3], 0 offset:60
	;; [unrolled: 1-line block ×22, first 2 shown]
	ds_read2_b64 v[77:80], v76 offset0:45 offset1:46
	ds_read2_b64 v[81:84], v76 offset0:47 offset1:48
	v_cmp_lt_u32_e32 vcc, 5, v0
	s_waitcnt vmcnt(20) lgkmcnt(1)
	v_fma_f64 v[77:78], v[85:86], v[77:78], 0
	s_waitcnt vmcnt(18)
	v_fma_f64 v[77:78], v[87:88], v[79:80], v[77:78]
	buffer_load_dword v86, off, s[0:3], 0 offset:148
	buffer_load_dword v87, off, s[0:3], 0 offset:168
	;; [unrolled: 1-line block ×7, first 2 shown]
	s_waitcnt vmcnt(23) lgkmcnt(0)
	v_fma_f64 v[77:78], v[89:90], v[81:82], v[77:78]
	s_waitcnt vmcnt(21)
	v_fma_f64 v[88:89], v[91:92], v[83:84], v[77:78]
	ds_read2_b64 v[77:80], v76 offset0:49 offset1:50
	ds_read2_b64 v[81:84], v76 offset0:51 offset1:52
	s_waitcnt vmcnt(19) lgkmcnt(1)
	v_fma_f64 v[77:78], v[93:94], v[77:78], v[88:89]
	buffer_load_dword v88, off, s[0:3], 0 offset:172
	s_waitcnt vmcnt(18)
	v_fma_f64 v[77:78], v[95:96], v[79:80], v[77:78]
	buffer_load_dword v90, off, s[0:3], 0 offset:180
	buffer_load_dword v91, off, s[0:3], 0 offset:200
	;; [unrolled: 1-line block ×7, first 2 shown]
	s_waitcnt vmcnt(23) lgkmcnt(0)
	v_fma_f64 v[77:78], v[97:98], v[81:82], v[77:78]
	s_waitcnt vmcnt(18)
	v_fma_f64 v[97:98], v[99:100], v[83:84], v[77:78]
	ds_read2_b64 v[77:80], v76 offset0:53 offset1:54
	ds_read2_b64 v[81:84], v76 offset0:55 offset1:56
	buffer_load_dword v92, off, s[0:3], 0 offset:204
	s_waitcnt vmcnt(18) lgkmcnt(1)
	v_fma_f64 v[77:78], v[105:106], v[77:78], v[97:98]
	s_waitcnt vmcnt(17)
	v_fma_f64 v[77:78], v[103:104], v[79:80], v[77:78]
	buffer_load_dword v98, off, s[0:3], 0 offset:212
	buffer_load_dword v99, off, s[0:3], 0 offset:232
	;; [unrolled: 1-line block ×8, first 2 shown]
	s_waitcnt vmcnt(24) lgkmcnt(0)
	v_fma_f64 v[77:78], v[101:102], v[81:82], v[77:78]
	s_waitcnt vmcnt(19)
	v_fma_f64 v[85:86], v[85:86], v[83:84], v[77:78]
	ds_read2_b64 v[77:80], v76 offset0:57 offset1:58
	ds_read2_b64 v[81:84], v76 offset0:59 offset1:60
	s_waitcnt vmcnt(18) lgkmcnt(1)
	v_fma_f64 v[77:78], v[109:110], v[77:78], v[85:86]
	s_waitcnt vmcnt(17)
	v_fma_f64 v[77:78], v[107:108], v[79:80], v[77:78]
	buffer_load_dword v86, off, s[0:3], 0 offset:244
	buffer_load_dword v101, off, s[0:3], 0 offset:264
	;; [unrolled: 1-line block ×8, first 2 shown]
	s_waitcnt vmcnt(24) lgkmcnt(0)
	v_fma_f64 v[77:78], v[87:88], v[81:82], v[77:78]
	s_waitcnt vmcnt(19)
	v_fma_f64 v[87:88], v[89:90], v[83:84], v[77:78]
	ds_read2_b64 v[77:80], v76 offset0:61 offset1:62
	ds_read2_b64 v[81:84], v76 offset0:63 offset1:64
	s_waitcnt vmcnt(18) lgkmcnt(1)
	v_fma_f64 v[77:78], v[95:96], v[77:78], v[87:88]
	s_waitcnt vmcnt(17)
	v_fma_f64 v[77:78], v[93:94], v[79:80], v[77:78]
	buffer_load_dword v88, off, s[0:3], 0 offset:276
	buffer_load_dword v89, off, s[0:3], 0 offset:288
	;; [unrolled: 1-line block ×6, first 2 shown]
	s_waitcnt vmcnt(22) lgkmcnt(0)
	v_fma_f64 v[77:78], v[91:92], v[81:82], v[77:78]
	s_waitcnt vmcnt(17)
	v_fma_f64 v[91:92], v[97:98], v[83:84], v[77:78]
	ds_read2_b64 v[77:80], v76 offset0:65 offset1:66
	buffer_load_dword v95, off, s[0:3], 0 offset:48
	buffer_load_dword v96, off, s[0:3], 0 offset:52
	ds_read2_b64 v[81:84], v76 offset0:67 offset1:68
	s_waitcnt vmcnt(18) lgkmcnt(1)
	v_fma_f64 v[77:78], v[105:106], v[77:78], v[91:92]
	s_waitcnt vmcnt(17)
	v_fma_f64 v[77:78], v[103:104], v[79:80], v[77:78]
	s_waitcnt vmcnt(16) lgkmcnt(0)
	v_fma_f64 v[77:78], v[99:100], v[81:82], v[77:78]
	s_waitcnt vmcnt(11)
	v_fma_f64 v[85:86], v[85:86], v[83:84], v[77:78]
	ds_read2_b64 v[77:80], v76 offset0:69 offset1:70
	ds_read2_b64 v[81:84], v76 offset0:71 offset1:72
	s_waitcnt vmcnt(10) lgkmcnt(1)
	v_fma_f64 v[77:78], v[109:110], v[77:78], v[85:86]
	s_waitcnt vmcnt(9)
	v_fma_f64 v[77:78], v[107:108], v[79:80], v[77:78]
	s_waitcnt vmcnt(8) lgkmcnt(0)
	v_fma_f64 v[77:78], v[101:102], v[81:82], v[77:78]
	s_waitcnt vmcnt(4)
	v_fma_f64 v[80:81], v[87:88], v[83:84], v[77:78]
	ds_read2_b64 v[76:79], v76 offset0:73 offset1:74
	s_waitcnt vmcnt(3) lgkmcnt(0)
	v_fma_f64 v[76:77], v[93:94], v[76:77], v[80:81]
	s_waitcnt vmcnt(2)
	v_fma_f64 v[76:77], v[89:90], v[78:79], v[76:77]
	s_waitcnt vmcnt(0)
	v_add_f64 v[76:77], v[95:96], -v[76:77]
	buffer_store_dword v77, off, s[0:3], 0 offset:52
	buffer_store_dword v76, off, s[0:3], 0 offset:48
	s_and_saveexec_b64 s[4:5], vcc
	s_cbranch_execz .LBB100_219
; %bb.218:
	buffer_load_dword v76, off, s[0:3], 0 offset:40
	buffer_load_dword v77, off, s[0:3], 0 offset:44
	v_mov_b32_e32 v78, 0
	buffer_store_dword v78, off, s[0:3], 0 offset:40
	buffer_store_dword v78, off, s[0:3], 0 offset:44
	s_waitcnt vmcnt(2)
	ds_write_b64 v75, v[76:77]
.LBB100_219:
	s_or_b64 exec, exec, s[4:5]
	s_waitcnt lgkmcnt(0)
	; wave barrier
	buffer_load_dword v85, off, s[0:3], 0 offset:48
	buffer_load_dword v86, off, s[0:3], 0 offset:52
	;; [unrolled: 1-line block ×22, first 2 shown]
	v_mov_b32_e32 v76, 0
	ds_read_b128 v[77:80], v76 offset:352
	ds_read_b128 v[81:84], v76 offset:368
	v_cmp_lt_u32_e32 vcc, 4, v0
	s_waitcnt vmcnt(20) lgkmcnt(1)
	v_fma_f64 v[77:78], v[85:86], v[77:78], 0
	s_waitcnt vmcnt(18)
	v_fma_f64 v[77:78], v[87:88], v[79:80], v[77:78]
	buffer_load_dword v86, off, s[0:3], 0 offset:140
	buffer_load_dword v87, off, s[0:3], 0 offset:160
	;; [unrolled: 1-line block ×7, first 2 shown]
	s_waitcnt vmcnt(23) lgkmcnt(0)
	v_fma_f64 v[77:78], v[89:90], v[81:82], v[77:78]
	s_waitcnt vmcnt(21)
	v_fma_f64 v[88:89], v[91:92], v[83:84], v[77:78]
	ds_read_b128 v[77:80], v76 offset:384
	ds_read_b128 v[81:84], v76 offset:400
	s_waitcnt vmcnt(19) lgkmcnt(1)
	v_fma_f64 v[77:78], v[93:94], v[77:78], v[88:89]
	buffer_load_dword v88, off, s[0:3], 0 offset:164
	s_waitcnt vmcnt(18)
	v_fma_f64 v[77:78], v[95:96], v[79:80], v[77:78]
	buffer_load_dword v90, off, s[0:3], 0 offset:172
	buffer_load_dword v91, off, s[0:3], 0 offset:192
	;; [unrolled: 1-line block ×7, first 2 shown]
	s_waitcnt vmcnt(23) lgkmcnt(0)
	v_fma_f64 v[77:78], v[97:98], v[81:82], v[77:78]
	s_waitcnt vmcnt(18)
	v_fma_f64 v[97:98], v[99:100], v[83:84], v[77:78]
	ds_read_b128 v[77:80], v76 offset:416
	ds_read_b128 v[81:84], v76 offset:432
	buffer_load_dword v92, off, s[0:3], 0 offset:196
	s_waitcnt vmcnt(18) lgkmcnt(1)
	v_fma_f64 v[77:78], v[105:106], v[77:78], v[97:98]
	s_waitcnt vmcnt(17)
	v_fma_f64 v[77:78], v[103:104], v[79:80], v[77:78]
	buffer_load_dword v98, off, s[0:3], 0 offset:204
	buffer_load_dword v99, off, s[0:3], 0 offset:224
	buffer_load_dword v103, off, s[0:3], 0 offset:216
	buffer_load_dword v105, off, s[0:3], 0 offset:208
	buffer_load_dword v97, off, s[0:3], 0 offset:200
	buffer_load_dword v106, off, s[0:3], 0 offset:212
	buffer_load_dword v104, off, s[0:3], 0 offset:220
	buffer_load_dword v100, off, s[0:3], 0 offset:228
	s_waitcnt vmcnt(24) lgkmcnt(0)
	v_fma_f64 v[77:78], v[101:102], v[81:82], v[77:78]
	s_waitcnt vmcnt(19)
	v_fma_f64 v[85:86], v[85:86], v[83:84], v[77:78]
	ds_read_b128 v[77:80], v76 offset:448
	ds_read_b128 v[81:84], v76 offset:464
	s_waitcnt vmcnt(18) lgkmcnt(1)
	v_fma_f64 v[77:78], v[109:110], v[77:78], v[85:86]
	s_waitcnt vmcnt(17)
	v_fma_f64 v[77:78], v[107:108], v[79:80], v[77:78]
	buffer_load_dword v86, off, s[0:3], 0 offset:236
	buffer_load_dword v101, off, s[0:3], 0 offset:256
	buffer_load_dword v107, off, s[0:3], 0 offset:248
	buffer_load_dword v109, off, s[0:3], 0 offset:240
	buffer_load_dword v85, off, s[0:3], 0 offset:232
	buffer_load_dword v110, off, s[0:3], 0 offset:244
	buffer_load_dword v108, off, s[0:3], 0 offset:252
	buffer_load_dword v102, off, s[0:3], 0 offset:260
	s_waitcnt vmcnt(24) lgkmcnt(0)
	v_fma_f64 v[77:78], v[87:88], v[81:82], v[77:78]
	s_waitcnt vmcnt(19)
	v_fma_f64 v[87:88], v[89:90], v[83:84], v[77:78]
	ds_read_b128 v[77:80], v76 offset:480
	ds_read_b128 v[81:84], v76 offset:496
	s_waitcnt vmcnt(18) lgkmcnt(1)
	v_fma_f64 v[77:78], v[95:96], v[77:78], v[87:88]
	s_waitcnt vmcnt(17)
	v_fma_f64 v[77:78], v[93:94], v[79:80], v[77:78]
	buffer_load_dword v88, off, s[0:3], 0 offset:268
	buffer_load_dword v89, off, s[0:3], 0 offset:288
	buffer_load_dword v93, off, s[0:3], 0 offset:280
	buffer_load_dword v95, off, s[0:3], 0 offset:272
	buffer_load_dword v87, off, s[0:3], 0 offset:264
	buffer_load_dword v96, off, s[0:3], 0 offset:276
	buffer_load_dword v94, off, s[0:3], 0 offset:284
	buffer_load_dword v90, off, s[0:3], 0 offset:292
	s_waitcnt vmcnt(24) lgkmcnt(0)
	v_fma_f64 v[77:78], v[91:92], v[81:82], v[77:78]
	s_waitcnt vmcnt(19)
	v_fma_f64 v[91:92], v[97:98], v[83:84], v[77:78]
	ds_read_b128 v[77:80], v76 offset:512
	ds_read_b128 v[81:84], v76 offset:528
	s_waitcnt vmcnt(18) lgkmcnt(1)
	v_fma_f64 v[77:78], v[105:106], v[77:78], v[91:92]
	buffer_load_dword v91, off, s[0:3], 0 offset:40
	buffer_load_dword v92, off, s[0:3], 0 offset:44
	s_waitcnt vmcnt(19)
	v_fma_f64 v[77:78], v[103:104], v[79:80], v[77:78]
	s_waitcnt vmcnt(18) lgkmcnt(0)
	v_fma_f64 v[77:78], v[99:100], v[81:82], v[77:78]
	s_waitcnt vmcnt(13)
	v_fma_f64 v[85:86], v[85:86], v[83:84], v[77:78]
	ds_read_b128 v[77:80], v76 offset:544
	ds_read_b128 v[81:84], v76 offset:560
	s_waitcnt vmcnt(12) lgkmcnt(1)
	v_fma_f64 v[77:78], v[109:110], v[77:78], v[85:86]
	s_waitcnt vmcnt(11)
	v_fma_f64 v[77:78], v[107:108], v[79:80], v[77:78]
	s_waitcnt vmcnt(10) lgkmcnt(0)
	v_fma_f64 v[77:78], v[101:102], v[81:82], v[77:78]
	s_waitcnt vmcnt(5)
	v_fma_f64 v[81:82], v[87:88], v[83:84], v[77:78]
	ds_read_b128 v[77:80], v76 offset:576
	ds_read_b64 v[83:84], v76 offset:592
	s_waitcnt vmcnt(4) lgkmcnt(1)
	v_fma_f64 v[77:78], v[95:96], v[77:78], v[81:82]
	s_waitcnt vmcnt(3)
	v_fma_f64 v[77:78], v[93:94], v[79:80], v[77:78]
	s_waitcnt vmcnt(2) lgkmcnt(0)
	v_fma_f64 v[77:78], v[89:90], v[83:84], v[77:78]
	s_waitcnt vmcnt(0)
	v_add_f64 v[77:78], v[91:92], -v[77:78]
	buffer_store_dword v78, off, s[0:3], 0 offset:44
	buffer_store_dword v77, off, s[0:3], 0 offset:40
	s_and_saveexec_b64 s[4:5], vcc
	s_cbranch_execz .LBB100_221
; %bb.220:
	buffer_load_dword v77, off, s[0:3], 0 offset:32
	buffer_load_dword v78, off, s[0:3], 0 offset:36
	s_waitcnt vmcnt(0)
	ds_write_b64 v75, v[77:78]
	buffer_store_dword v76, off, s[0:3], 0 offset:32
	buffer_store_dword v76, off, s[0:3], 0 offset:36
.LBB100_221:
	s_or_b64 exec, exec, s[4:5]
	s_waitcnt lgkmcnt(0)
	; wave barrier
	buffer_load_dword v85, off, s[0:3], 0 offset:40
	buffer_load_dword v86, off, s[0:3], 0 offset:44
	;; [unrolled: 1-line block ×22, first 2 shown]
	ds_read2_b64 v[77:80], v76 offset0:43 offset1:44
	ds_read2_b64 v[81:84], v76 offset0:45 offset1:46
	v_cmp_lt_u32_e32 vcc, 3, v0
	s_waitcnt vmcnt(20) lgkmcnt(1)
	v_fma_f64 v[77:78], v[85:86], v[77:78], 0
	s_waitcnt vmcnt(18)
	v_fma_f64 v[77:78], v[87:88], v[79:80], v[77:78]
	buffer_load_dword v86, off, s[0:3], 0 offset:132
	buffer_load_dword v87, off, s[0:3], 0 offset:152
	;; [unrolled: 1-line block ×7, first 2 shown]
	s_waitcnt vmcnt(23) lgkmcnt(0)
	v_fma_f64 v[77:78], v[89:90], v[81:82], v[77:78]
	s_waitcnt vmcnt(21)
	v_fma_f64 v[88:89], v[91:92], v[83:84], v[77:78]
	ds_read2_b64 v[77:80], v76 offset0:47 offset1:48
	ds_read2_b64 v[81:84], v76 offset0:49 offset1:50
	s_waitcnt vmcnt(19) lgkmcnt(1)
	v_fma_f64 v[77:78], v[93:94], v[77:78], v[88:89]
	buffer_load_dword v88, off, s[0:3], 0 offset:156
	s_waitcnt vmcnt(18)
	v_fma_f64 v[77:78], v[95:96], v[79:80], v[77:78]
	buffer_load_dword v90, off, s[0:3], 0 offset:164
	buffer_load_dword v91, off, s[0:3], 0 offset:184
	;; [unrolled: 1-line block ×7, first 2 shown]
	s_waitcnt vmcnt(23) lgkmcnt(0)
	v_fma_f64 v[77:78], v[97:98], v[81:82], v[77:78]
	s_waitcnt vmcnt(18)
	v_fma_f64 v[97:98], v[99:100], v[83:84], v[77:78]
	ds_read2_b64 v[77:80], v76 offset0:51 offset1:52
	ds_read2_b64 v[81:84], v76 offset0:53 offset1:54
	buffer_load_dword v92, off, s[0:3], 0 offset:188
	s_waitcnt vmcnt(18) lgkmcnt(1)
	v_fma_f64 v[77:78], v[105:106], v[77:78], v[97:98]
	s_waitcnt vmcnt(17)
	v_fma_f64 v[77:78], v[103:104], v[79:80], v[77:78]
	buffer_load_dword v98, off, s[0:3], 0 offset:196
	buffer_load_dword v99, off, s[0:3], 0 offset:216
	buffer_load_dword v103, off, s[0:3], 0 offset:208
	buffer_load_dword v105, off, s[0:3], 0 offset:200
	buffer_load_dword v97, off, s[0:3], 0 offset:192
	buffer_load_dword v106, off, s[0:3], 0 offset:204
	buffer_load_dword v104, off, s[0:3], 0 offset:212
	buffer_load_dword v100, off, s[0:3], 0 offset:220
	s_waitcnt vmcnt(24) lgkmcnt(0)
	v_fma_f64 v[77:78], v[101:102], v[81:82], v[77:78]
	s_waitcnt vmcnt(19)
	v_fma_f64 v[85:86], v[85:86], v[83:84], v[77:78]
	ds_read2_b64 v[77:80], v76 offset0:55 offset1:56
	ds_read2_b64 v[81:84], v76 offset0:57 offset1:58
	s_waitcnt vmcnt(18) lgkmcnt(1)
	v_fma_f64 v[77:78], v[109:110], v[77:78], v[85:86]
	s_waitcnt vmcnt(17)
	v_fma_f64 v[77:78], v[107:108], v[79:80], v[77:78]
	buffer_load_dword v86, off, s[0:3], 0 offset:228
	buffer_load_dword v101, off, s[0:3], 0 offset:248
	buffer_load_dword v107, off, s[0:3], 0 offset:240
	buffer_load_dword v109, off, s[0:3], 0 offset:232
	buffer_load_dword v85, off, s[0:3], 0 offset:224
	buffer_load_dword v110, off, s[0:3], 0 offset:236
	buffer_load_dword v108, off, s[0:3], 0 offset:244
	buffer_load_dword v102, off, s[0:3], 0 offset:252
	s_waitcnt vmcnt(24) lgkmcnt(0)
	v_fma_f64 v[77:78], v[87:88], v[81:82], v[77:78]
	s_waitcnt vmcnt(19)
	v_fma_f64 v[87:88], v[89:90], v[83:84], v[77:78]
	ds_read2_b64 v[77:80], v76 offset0:59 offset1:60
	ds_read2_b64 v[81:84], v76 offset0:61 offset1:62
	;; [unrolled: 18-line block ×3, first 2 shown]
	s_waitcnt vmcnt(18) lgkmcnt(1)
	v_fma_f64 v[77:78], v[105:106], v[77:78], v[91:92]
	buffer_load_dword v92, off, s[0:3], 0 offset:292
	buffer_load_dword v91, off, s[0:3], 0 offset:288
	buffer_load_dword v97, off, s[0:3], 0 offset:32
	buffer_load_dword v98, off, s[0:3], 0 offset:36
	s_waitcnt vmcnt(21)
	v_fma_f64 v[77:78], v[103:104], v[79:80], v[77:78]
	s_waitcnt vmcnt(20) lgkmcnt(0)
	v_fma_f64 v[77:78], v[99:100], v[81:82], v[77:78]
	s_waitcnt vmcnt(15)
	v_fma_f64 v[85:86], v[85:86], v[83:84], v[77:78]
	ds_read2_b64 v[77:80], v76 offset0:67 offset1:68
	ds_read2_b64 v[81:84], v76 offset0:69 offset1:70
	s_waitcnt vmcnt(14) lgkmcnt(1)
	v_fma_f64 v[77:78], v[109:110], v[77:78], v[85:86]
	s_waitcnt vmcnt(13)
	v_fma_f64 v[77:78], v[107:108], v[79:80], v[77:78]
	s_waitcnt vmcnt(12) lgkmcnt(0)
	v_fma_f64 v[77:78], v[101:102], v[81:82], v[77:78]
	s_waitcnt vmcnt(7)
	v_fma_f64 v[85:86], v[87:88], v[83:84], v[77:78]
	ds_read2_b64 v[77:80], v76 offset0:71 offset1:72
	ds_read2_b64 v[81:84], v76 offset0:73 offset1:74
	s_waitcnt vmcnt(6) lgkmcnt(1)
	v_fma_f64 v[76:77], v[95:96], v[77:78], v[85:86]
	s_waitcnt vmcnt(5)
	v_fma_f64 v[76:77], v[93:94], v[79:80], v[76:77]
	s_waitcnt vmcnt(4) lgkmcnt(0)
	v_fma_f64 v[76:77], v[89:90], v[81:82], v[76:77]
	s_waitcnt vmcnt(2)
	v_fma_f64 v[76:77], v[91:92], v[83:84], v[76:77]
	s_waitcnt vmcnt(0)
	v_add_f64 v[76:77], v[97:98], -v[76:77]
	buffer_store_dword v77, off, s[0:3], 0 offset:36
	buffer_store_dword v76, off, s[0:3], 0 offset:32
	s_and_saveexec_b64 s[4:5], vcc
	s_cbranch_execz .LBB100_223
; %bb.222:
	buffer_load_dword v76, off, s[0:3], 0 offset:24
	buffer_load_dword v77, off, s[0:3], 0 offset:28
	v_mov_b32_e32 v78, 0
	buffer_store_dword v78, off, s[0:3], 0 offset:24
	buffer_store_dword v78, off, s[0:3], 0 offset:28
	s_waitcnt vmcnt(2)
	ds_write_b64 v75, v[76:77]
.LBB100_223:
	s_or_b64 exec, exec, s[4:5]
	s_waitcnt lgkmcnt(0)
	; wave barrier
	buffer_load_dword v85, off, s[0:3], 0 offset:32
	buffer_load_dword v86, off, s[0:3], 0 offset:36
	;; [unrolled: 1-line block ×21, first 2 shown]
	v_mov_b32_e32 v76, 0
	ds_read_b128 v[77:80], v76 offset:336
	ds_read_b128 v[81:84], v76 offset:352
	buffer_load_dword v102, off, s[0:3], 0 offset:116
	v_cmp_lt_u32_e32 vcc, 2, v0
	s_waitcnt vmcnt(20) lgkmcnt(1)
	v_fma_f64 v[77:78], v[85:86], v[77:78], 0
	s_waitcnt vmcnt(18)
	v_fma_f64 v[77:78], v[87:88], v[79:80], v[77:78]
	buffer_load_dword v86, off, s[0:3], 0 offset:124
	buffer_load_dword v87, off, s[0:3], 0 offset:144
	;; [unrolled: 1-line block ×7, first 2 shown]
	s_waitcnt vmcnt(23) lgkmcnt(0)
	v_fma_f64 v[77:78], v[89:90], v[81:82], v[77:78]
	s_waitcnt vmcnt(21)
	v_fma_f64 v[88:89], v[91:92], v[83:84], v[77:78]
	ds_read_b128 v[77:80], v76 offset:368
	ds_read_b128 v[81:84], v76 offset:384
	s_waitcnt vmcnt(19) lgkmcnt(1)
	v_fma_f64 v[77:78], v[93:94], v[77:78], v[88:89]
	buffer_load_dword v88, off, s[0:3], 0 offset:148
	s_waitcnt vmcnt(18)
	v_fma_f64 v[77:78], v[95:96], v[79:80], v[77:78]
	buffer_load_dword v90, off, s[0:3], 0 offset:156
	buffer_load_dword v91, off, s[0:3], 0 offset:176
	;; [unrolled: 1-line block ×7, first 2 shown]
	s_waitcnt vmcnt(23) lgkmcnt(0)
	v_fma_f64 v[77:78], v[97:98], v[81:82], v[77:78]
	s_waitcnt vmcnt(18)
	v_fma_f64 v[97:98], v[99:100], v[83:84], v[77:78]
	ds_read_b128 v[77:80], v76 offset:400
	ds_read_b128 v[81:84], v76 offset:416
	buffer_load_dword v92, off, s[0:3], 0 offset:180
	s_waitcnt vmcnt(18) lgkmcnt(1)
	v_fma_f64 v[77:78], v[105:106], v[77:78], v[97:98]
	s_waitcnt vmcnt(17)
	v_fma_f64 v[77:78], v[103:104], v[79:80], v[77:78]
	buffer_load_dword v98, off, s[0:3], 0 offset:188
	buffer_load_dword v99, off, s[0:3], 0 offset:208
	buffer_load_dword v103, off, s[0:3], 0 offset:200
	buffer_load_dword v105, off, s[0:3], 0 offset:192
	buffer_load_dword v97, off, s[0:3], 0 offset:184
	buffer_load_dword v106, off, s[0:3], 0 offset:196
	buffer_load_dword v104, off, s[0:3], 0 offset:204
	s_waitcnt vmcnt(23) lgkmcnt(0)
	v_fma_f64 v[77:78], v[101:102], v[81:82], v[77:78]
	s_waitcnt vmcnt(18)
	v_fma_f64 v[85:86], v[85:86], v[83:84], v[77:78]
	ds_read_b128 v[77:80], v76 offset:432
	ds_read_b128 v[81:84], v76 offset:448
	buffer_load_dword v100, off, s[0:3], 0 offset:212
	s_waitcnt vmcnt(18) lgkmcnt(1)
	v_fma_f64 v[77:78], v[109:110], v[77:78], v[85:86]
	s_waitcnt vmcnt(17)
	v_fma_f64 v[77:78], v[107:108], v[79:80], v[77:78]
	buffer_load_dword v86, off, s[0:3], 0 offset:220
	buffer_load_dword v101, off, s[0:3], 0 offset:240
	;; [unrolled: 1-line block ×8, first 2 shown]
	s_waitcnt vmcnt(24) lgkmcnt(0)
	v_fma_f64 v[77:78], v[87:88], v[81:82], v[77:78]
	s_waitcnt vmcnt(19)
	v_fma_f64 v[87:88], v[89:90], v[83:84], v[77:78]
	ds_read_b128 v[77:80], v76 offset:464
	ds_read_b128 v[81:84], v76 offset:480
	s_waitcnt vmcnt(18) lgkmcnt(1)
	v_fma_f64 v[77:78], v[95:96], v[77:78], v[87:88]
	s_waitcnt vmcnt(17)
	v_fma_f64 v[77:78], v[93:94], v[79:80], v[77:78]
	buffer_load_dword v88, off, s[0:3], 0 offset:252
	buffer_load_dword v89, off, s[0:3], 0 offset:272
	;; [unrolled: 1-line block ×7, first 2 shown]
	s_waitcnt vmcnt(23) lgkmcnt(0)
	v_fma_f64 v[77:78], v[91:92], v[81:82], v[77:78]
	s_waitcnt vmcnt(18)
	v_fma_f64 v[90:91], v[97:98], v[83:84], v[77:78]
	ds_read_b128 v[77:80], v76 offset:496
	ds_read_b128 v[81:84], v76 offset:512
	s_waitcnt vmcnt(17) lgkmcnt(1)
	v_fma_f64 v[77:78], v[105:106], v[77:78], v[90:91]
	buffer_load_dword v90, off, s[0:3], 0 offset:276
	buffer_load_dword v92, off, s[0:3], 0 offset:284
	;; [unrolled: 1-line block ×5, first 2 shown]
	s_waitcnt vmcnt(21)
	v_fma_f64 v[77:78], v[103:104], v[79:80], v[77:78]
	s_waitcnt vmcnt(20) lgkmcnt(0)
	v_fma_f64 v[77:78], v[99:100], v[81:82], v[77:78]
	buffer_load_dword v99, off, s[0:3], 0 offset:24
	buffer_load_dword v100, off, s[0:3], 0 offset:28
	s_waitcnt vmcnt(17)
	v_fma_f64 v[85:86], v[85:86], v[83:84], v[77:78]
	ds_read_b128 v[77:80], v76 offset:528
	ds_read_b128 v[81:84], v76 offset:544
	s_waitcnt vmcnt(16) lgkmcnt(1)
	v_fma_f64 v[77:78], v[109:110], v[77:78], v[85:86]
	s_waitcnt vmcnt(15)
	v_fma_f64 v[77:78], v[107:108], v[79:80], v[77:78]
	s_waitcnt vmcnt(14) lgkmcnt(0)
	v_fma_f64 v[77:78], v[101:102], v[81:82], v[77:78]
	s_waitcnt vmcnt(9)
	v_fma_f64 v[85:86], v[87:88], v[83:84], v[77:78]
	ds_read_b128 v[77:80], v76 offset:560
	ds_read_b128 v[81:84], v76 offset:576
	s_waitcnt vmcnt(8) lgkmcnt(1)
	v_fma_f64 v[77:78], v[95:96], v[77:78], v[85:86]
	s_waitcnt vmcnt(7)
	v_fma_f64 v[77:78], v[93:94], v[79:80], v[77:78]
	ds_read_b64 v[79:80], v76 offset:592
	s_waitcnt vmcnt(6) lgkmcnt(1)
	v_fma_f64 v[77:78], v[89:90], v[81:82], v[77:78]
	s_waitcnt vmcnt(3)
	v_fma_f64 v[77:78], v[91:92], v[83:84], v[77:78]
	s_waitcnt vmcnt(2) lgkmcnt(0)
	v_fma_f64 v[77:78], v[97:98], v[79:80], v[77:78]
	s_waitcnt vmcnt(0)
	v_add_f64 v[77:78], v[99:100], -v[77:78]
	buffer_store_dword v78, off, s[0:3], 0 offset:28
	buffer_store_dword v77, off, s[0:3], 0 offset:24
	s_and_saveexec_b64 s[4:5], vcc
	s_cbranch_execz .LBB100_225
; %bb.224:
	buffer_load_dword v77, off, s[0:3], 0 offset:16
	buffer_load_dword v78, off, s[0:3], 0 offset:20
	s_waitcnt vmcnt(0)
	ds_write_b64 v75, v[77:78]
	buffer_store_dword v76, off, s[0:3], 0 offset:16
	buffer_store_dword v76, off, s[0:3], 0 offset:20
.LBB100_225:
	s_or_b64 exec, exec, s[4:5]
	s_waitcnt lgkmcnt(0)
	; wave barrier
	buffer_load_dword v85, off, s[0:3], 0 offset:24
	buffer_load_dword v86, off, s[0:3], 0 offset:28
	;; [unrolled: 1-line block ×21, first 2 shown]
	ds_read2_b64 v[77:80], v76 offset0:41 offset1:42
	ds_read2_b64 v[81:84], v76 offset0:43 offset1:44
	buffer_load_dword v102, off, s[0:3], 0 offset:108
	v_cmp_lt_u32_e32 vcc, 1, v0
	s_waitcnt vmcnt(20) lgkmcnt(1)
	v_fma_f64 v[77:78], v[85:86], v[77:78], 0
	s_waitcnt vmcnt(18)
	v_fma_f64 v[77:78], v[87:88], v[79:80], v[77:78]
	buffer_load_dword v86, off, s[0:3], 0 offset:116
	buffer_load_dword v87, off, s[0:3], 0 offset:136
	;; [unrolled: 1-line block ×7, first 2 shown]
	s_waitcnt vmcnt(23) lgkmcnt(0)
	v_fma_f64 v[77:78], v[89:90], v[81:82], v[77:78]
	s_waitcnt vmcnt(21)
	v_fma_f64 v[88:89], v[91:92], v[83:84], v[77:78]
	ds_read2_b64 v[77:80], v76 offset0:45 offset1:46
	ds_read2_b64 v[81:84], v76 offset0:47 offset1:48
	s_waitcnt vmcnt(19) lgkmcnt(1)
	v_fma_f64 v[77:78], v[93:94], v[77:78], v[88:89]
	buffer_load_dword v88, off, s[0:3], 0 offset:140
	s_waitcnt vmcnt(18)
	v_fma_f64 v[77:78], v[95:96], v[79:80], v[77:78]
	buffer_load_dword v90, off, s[0:3], 0 offset:148
	buffer_load_dword v91, off, s[0:3], 0 offset:168
	;; [unrolled: 1-line block ×8, first 2 shown]
	s_waitcnt vmcnt(24) lgkmcnt(0)
	v_fma_f64 v[77:78], v[97:98], v[81:82], v[77:78]
	s_waitcnt vmcnt(19)
	v_fma_f64 v[97:98], v[99:100], v[83:84], v[77:78]
	ds_read2_b64 v[77:80], v76 offset0:49 offset1:50
	ds_read2_b64 v[81:84], v76 offset0:51 offset1:52
	s_waitcnt vmcnt(18) lgkmcnt(1)
	v_fma_f64 v[77:78], v[105:106], v[77:78], v[97:98]
	s_waitcnt vmcnt(17)
	v_fma_f64 v[77:78], v[103:104], v[79:80], v[77:78]
	buffer_load_dword v98, off, s[0:3], 0 offset:180
	buffer_load_dword v99, off, s[0:3], 0 offset:200
	;; [unrolled: 1-line block ×7, first 2 shown]
	s_waitcnt vmcnt(23) lgkmcnt(0)
	v_fma_f64 v[77:78], v[101:102], v[81:82], v[77:78]
	s_waitcnt vmcnt(18)
	v_fma_f64 v[85:86], v[85:86], v[83:84], v[77:78]
	ds_read2_b64 v[77:80], v76 offset0:53 offset1:54
	ds_read2_b64 v[81:84], v76 offset0:55 offset1:56
	buffer_load_dword v100, off, s[0:3], 0 offset:204
	s_waitcnt vmcnt(18) lgkmcnt(1)
	v_fma_f64 v[77:78], v[109:110], v[77:78], v[85:86]
	s_waitcnt vmcnt(17)
	v_fma_f64 v[77:78], v[107:108], v[79:80], v[77:78]
	buffer_load_dword v86, off, s[0:3], 0 offset:212
	buffer_load_dword v101, off, s[0:3], 0 offset:232
	;; [unrolled: 1-line block ×8, first 2 shown]
	s_waitcnt vmcnt(24) lgkmcnt(0)
	v_fma_f64 v[77:78], v[87:88], v[81:82], v[77:78]
	s_waitcnt vmcnt(19)
	v_fma_f64 v[87:88], v[89:90], v[83:84], v[77:78]
	ds_read2_b64 v[77:80], v76 offset0:57 offset1:58
	ds_read2_b64 v[81:84], v76 offset0:59 offset1:60
	s_waitcnt vmcnt(18) lgkmcnt(1)
	v_fma_f64 v[77:78], v[95:96], v[77:78], v[87:88]
	s_waitcnt vmcnt(17)
	v_fma_f64 v[77:78], v[93:94], v[79:80], v[77:78]
	buffer_load_dword v88, off, s[0:3], 0 offset:244
	buffer_load_dword v89, off, s[0:3], 0 offset:264
	;; [unrolled: 1-line block ×7, first 2 shown]
	s_waitcnt vmcnt(23) lgkmcnt(0)
	v_fma_f64 v[77:78], v[91:92], v[81:82], v[77:78]
	s_waitcnt vmcnt(18)
	v_fma_f64 v[90:91], v[97:98], v[83:84], v[77:78]
	ds_read2_b64 v[77:80], v76 offset0:61 offset1:62
	ds_read2_b64 v[81:84], v76 offset0:63 offset1:64
	s_waitcnt vmcnt(17) lgkmcnt(1)
	v_fma_f64 v[77:78], v[105:106], v[77:78], v[90:91]
	buffer_load_dword v90, off, s[0:3], 0 offset:268
	s_waitcnt vmcnt(17)
	v_fma_f64 v[77:78], v[103:104], v[79:80], v[77:78]
	buffer_load_dword v92, off, s[0:3], 0 offset:276
	buffer_load_dword v97, off, s[0:3], 0 offset:288
	;; [unrolled: 1-line block ×6, first 2 shown]
	s_waitcnt vmcnt(22) lgkmcnt(0)
	v_fma_f64 v[77:78], v[99:100], v[81:82], v[77:78]
	s_waitcnt vmcnt(17)
	v_fma_f64 v[85:86], v[85:86], v[83:84], v[77:78]
	ds_read2_b64 v[77:80], v76 offset0:65 offset1:66
	buffer_load_dword v99, off, s[0:3], 0 offset:16
	buffer_load_dword v100, off, s[0:3], 0 offset:20
	ds_read2_b64 v[81:84], v76 offset0:67 offset1:68
	s_waitcnt vmcnt(18) lgkmcnt(1)
	v_fma_f64 v[77:78], v[109:110], v[77:78], v[85:86]
	s_waitcnt vmcnt(17)
	v_fma_f64 v[77:78], v[107:108], v[79:80], v[77:78]
	s_waitcnt vmcnt(16) lgkmcnt(0)
	v_fma_f64 v[77:78], v[101:102], v[81:82], v[77:78]
	s_waitcnt vmcnt(11)
	v_fma_f64 v[85:86], v[87:88], v[83:84], v[77:78]
	ds_read2_b64 v[77:80], v76 offset0:69 offset1:70
	ds_read2_b64 v[81:84], v76 offset0:71 offset1:72
	s_waitcnt vmcnt(10) lgkmcnt(1)
	v_fma_f64 v[77:78], v[95:96], v[77:78], v[85:86]
	s_waitcnt vmcnt(9)
	v_fma_f64 v[77:78], v[93:94], v[79:80], v[77:78]
	s_waitcnt vmcnt(8) lgkmcnt(0)
	v_fma_f64 v[77:78], v[89:90], v[81:82], v[77:78]
	s_waitcnt vmcnt(4)
	v_fma_f64 v[80:81], v[91:92], v[83:84], v[77:78]
	ds_read2_b64 v[76:79], v76 offset0:73 offset1:74
	s_waitcnt vmcnt(3) lgkmcnt(0)
	v_fma_f64 v[76:77], v[103:104], v[76:77], v[80:81]
	s_waitcnt vmcnt(2)
	v_fma_f64 v[76:77], v[97:98], v[78:79], v[76:77]
	s_waitcnt vmcnt(0)
	v_add_f64 v[76:77], v[99:100], -v[76:77]
	buffer_store_dword v77, off, s[0:3], 0 offset:20
	buffer_store_dword v76, off, s[0:3], 0 offset:16
	s_and_saveexec_b64 s[4:5], vcc
	s_cbranch_execz .LBB100_227
; %bb.226:
	buffer_load_dword v76, off, s[0:3], 0 offset:8
	buffer_load_dword v77, off, s[0:3], 0 offset:12
	v_mov_b32_e32 v78, 0
	buffer_store_dword v78, off, s[0:3], 0 offset:8
	buffer_store_dword v78, off, s[0:3], 0 offset:12
	s_waitcnt vmcnt(2)
	ds_write_b64 v75, v[76:77]
.LBB100_227:
	s_or_b64 exec, exec, s[4:5]
	s_waitcnt lgkmcnt(0)
	; wave barrier
	buffer_load_dword v86, off, s[0:3], 0 offset:16
	buffer_load_dword v87, off, s[0:3], 0 offset:20
	buffer_load_dword v88, off, s[0:3], 0 offset:24
	buffer_load_dword v89, off, s[0:3], 0 offset:28
	buffer_load_dword v90, off, s[0:3], 0 offset:32
	buffer_load_dword v91, off, s[0:3], 0 offset:36
	buffer_load_dword v92, off, s[0:3], 0 offset:40
	buffer_load_dword v93, off, s[0:3], 0 offset:44
	buffer_load_dword v94, off, s[0:3], 0 offset:48
	buffer_load_dword v95, off, s[0:3], 0 offset:52
	buffer_load_dword v96, off, s[0:3], 0 offset:56
	buffer_load_dword v97, off, s[0:3], 0 offset:60
	buffer_load_dword v98, off, s[0:3], 0 offset:64
	buffer_load_dword v99, off, s[0:3], 0 offset:68
	buffer_load_dword v101, off, s[0:3], 0 offset:76
	buffer_load_dword v102, off, s[0:3], 0 offset:96
	buffer_load_dword v104, off, s[0:3], 0 offset:88
	buffer_load_dword v106, off, s[0:3], 0 offset:80
	buffer_load_dword v100, off, s[0:3], 0 offset:72
	buffer_load_dword v107, off, s[0:3], 0 offset:84
	buffer_load_dword v105, off, s[0:3], 0 offset:92
	v_mov_b32_e32 v77, 0
	ds_read_b128 v[78:81], v77 offset:320
	ds_read_b128 v[82:85], v77 offset:336
	buffer_load_dword v103, off, s[0:3], 0 offset:100
	v_cmp_ne_u32_e32 vcc, 0, v0
	s_waitcnt vmcnt(20) lgkmcnt(1)
	v_fma_f64 v[78:79], v[86:87], v[78:79], 0
	s_waitcnt vmcnt(18)
	v_fma_f64 v[78:79], v[88:89], v[80:81], v[78:79]
	buffer_load_dword v87, off, s[0:3], 0 offset:108
	buffer_load_dword v88, off, s[0:3], 0 offset:128
	;; [unrolled: 1-line block ×7, first 2 shown]
	s_waitcnt vmcnt(23) lgkmcnt(0)
	v_fma_f64 v[78:79], v[90:91], v[82:83], v[78:79]
	s_waitcnt vmcnt(21)
	v_fma_f64 v[89:90], v[92:93], v[84:85], v[78:79]
	ds_read_b128 v[78:81], v77 offset:352
	ds_read_b128 v[82:85], v77 offset:368
	s_waitcnt vmcnt(19) lgkmcnt(1)
	v_fma_f64 v[78:79], v[94:95], v[78:79], v[89:90]
	buffer_load_dword v89, off, s[0:3], 0 offset:132
	s_waitcnt vmcnt(18)
	v_fma_f64 v[78:79], v[96:97], v[80:81], v[78:79]
	buffer_load_dword v91, off, s[0:3], 0 offset:140
	buffer_load_dword v92, off, s[0:3], 0 offset:160
	;; [unrolled: 1-line block ×8, first 2 shown]
	s_waitcnt vmcnt(24) lgkmcnt(0)
	v_fma_f64 v[78:79], v[98:99], v[82:83], v[78:79]
	s_waitcnt vmcnt(19)
	v_fma_f64 v[98:99], v[100:101], v[84:85], v[78:79]
	ds_read_b128 v[78:81], v77 offset:384
	ds_read_b128 v[82:85], v77 offset:400
	s_waitcnt vmcnt(18) lgkmcnt(1)
	v_fma_f64 v[78:79], v[106:107], v[78:79], v[98:99]
	s_waitcnt vmcnt(17)
	v_fma_f64 v[78:79], v[104:105], v[80:81], v[78:79]
	buffer_load_dword v99, off, s[0:3], 0 offset:172
	buffer_load_dword v100, off, s[0:3], 0 offset:192
	;; [unrolled: 1-line block ×7, first 2 shown]
	s_waitcnt vmcnt(23) lgkmcnt(0)
	v_fma_f64 v[78:79], v[102:103], v[82:83], v[78:79]
	s_waitcnt vmcnt(18)
	v_fma_f64 v[86:87], v[86:87], v[84:85], v[78:79]
	ds_read_b128 v[78:81], v77 offset:416
	ds_read_b128 v[82:85], v77 offset:432
	buffer_load_dword v101, off, s[0:3], 0 offset:196
	s_waitcnt vmcnt(18) lgkmcnt(1)
	v_fma_f64 v[78:79], v[110:111], v[78:79], v[86:87]
	s_waitcnt vmcnt(17)
	v_fma_f64 v[78:79], v[108:109], v[80:81], v[78:79]
	buffer_load_dword v87, off, s[0:3], 0 offset:204
	buffer_load_dword v102, off, s[0:3], 0 offset:224
	;; [unrolled: 1-line block ×8, first 2 shown]
	s_waitcnt vmcnt(24) lgkmcnt(0)
	v_fma_f64 v[78:79], v[88:89], v[82:83], v[78:79]
	s_waitcnt vmcnt(19)
	v_fma_f64 v[88:89], v[90:91], v[84:85], v[78:79]
	ds_read_b128 v[78:81], v77 offset:448
	ds_read_b128 v[82:85], v77 offset:464
	s_waitcnt vmcnt(18) lgkmcnt(1)
	v_fma_f64 v[78:79], v[96:97], v[78:79], v[88:89]
	s_waitcnt vmcnt(17)
	v_fma_f64 v[78:79], v[94:95], v[80:81], v[78:79]
	buffer_load_dword v89, off, s[0:3], 0 offset:236
	buffer_load_dword v90, off, s[0:3], 0 offset:256
	;; [unrolled: 1-line block ×7, first 2 shown]
	s_waitcnt vmcnt(23) lgkmcnt(0)
	v_fma_f64 v[78:79], v[92:93], v[82:83], v[78:79]
	s_waitcnt vmcnt(18)
	v_fma_f64 v[91:92], v[98:99], v[84:85], v[78:79]
	ds_read_b128 v[78:81], v77 offset:480
	ds_read_b128 v[82:85], v77 offset:496
	s_waitcnt vmcnt(17) lgkmcnt(1)
	v_fma_f64 v[78:79], v[106:107], v[78:79], v[91:92]
	buffer_load_dword v91, off, s[0:3], 0 offset:260
	s_waitcnt vmcnt(17)
	v_fma_f64 v[78:79], v[104:105], v[80:81], v[78:79]
	buffer_load_dword v93, off, s[0:3], 0 offset:268
	buffer_load_dword v98, off, s[0:3], 0 offset:288
	;; [unrolled: 1-line block ×8, first 2 shown]
	s_waitcnt vmcnt(24) lgkmcnt(0)
	v_fma_f64 v[78:79], v[100:101], v[82:83], v[78:79]
	s_waitcnt vmcnt(19)
	v_fma_f64 v[86:87], v[86:87], v[84:85], v[78:79]
	ds_read_b128 v[78:81], v77 offset:512
	ds_read_b128 v[82:85], v77 offset:528
	s_waitcnt vmcnt(18) lgkmcnt(1)
	v_fma_f64 v[78:79], v[110:111], v[78:79], v[86:87]
	buffer_load_dword v86, off, s[0:3], 0 offset:8
	buffer_load_dword v87, off, s[0:3], 0 offset:12
	s_waitcnt vmcnt(19)
	v_fma_f64 v[78:79], v[108:109], v[80:81], v[78:79]
	s_waitcnt vmcnt(18) lgkmcnt(0)
	v_fma_f64 v[78:79], v[102:103], v[82:83], v[78:79]
	s_waitcnt vmcnt(13)
	v_fma_f64 v[88:89], v[88:89], v[84:85], v[78:79]
	ds_read_b128 v[78:81], v77 offset:544
	ds_read_b128 v[82:85], v77 offset:560
	s_waitcnt vmcnt(12) lgkmcnt(1)
	v_fma_f64 v[78:79], v[96:97], v[78:79], v[88:89]
	s_waitcnt vmcnt(11)
	v_fma_f64 v[78:79], v[94:95], v[80:81], v[78:79]
	s_waitcnt vmcnt(10) lgkmcnt(0)
	v_fma_f64 v[78:79], v[90:91], v[82:83], v[78:79]
	s_waitcnt vmcnt(5)
	v_fma_f64 v[82:83], v[92:93], v[84:85], v[78:79]
	ds_read_b128 v[78:81], v77 offset:576
	ds_read_b64 v[84:85], v77 offset:592
	s_waitcnt vmcnt(4) lgkmcnt(1)
	v_fma_f64 v[78:79], v[106:107], v[78:79], v[82:83]
	s_waitcnt vmcnt(3)
	v_fma_f64 v[78:79], v[104:105], v[80:81], v[78:79]
	s_waitcnt vmcnt(2) lgkmcnt(0)
	v_fma_f64 v[78:79], v[98:99], v[84:85], v[78:79]
	s_waitcnt vmcnt(0)
	v_add_f64 v[78:79], v[86:87], -v[78:79]
	buffer_store_dword v79, off, s[0:3], 0 offset:12
	buffer_store_dword v78, off, s[0:3], 0 offset:8
	s_and_saveexec_b64 s[4:5], vcc
	s_cbranch_execz .LBB100_229
; %bb.228:
	buffer_load_dword v78, off, s[0:3], 0
	buffer_load_dword v79, off, s[0:3], 0 offset:4
	s_waitcnt vmcnt(0)
	ds_write_b64 v75, v[78:79]
	buffer_store_dword v77, off, s[0:3], 0
	buffer_store_dword v77, off, s[0:3], 0 offset:4
.LBB100_229:
	s_or_b64 exec, exec, s[4:5]
	s_waitcnt lgkmcnt(0)
	; wave barrier
	buffer_load_dword v75, off, s[0:3], 0 offset:8
	buffer_load_dword v76, off, s[0:3], 0 offset:12
	;; [unrolled: 1-line block ×21, first 2 shown]
	ds_read2_b64 v[78:81], v77 offset0:39 offset1:40
	ds_read2_b64 v[82:85], v77 offset0:41 offset1:42
	buffer_load_dword v101, off, s[0:3], 0 offset:92
	s_and_b64 vcc, exec, s[14:15]
	s_waitcnt vmcnt(20) lgkmcnt(1)
	v_fma_f64 v[75:76], v[75:76], v[78:79], 0
	s_waitcnt vmcnt(18)
	v_fma_f64 v[75:76], v[86:87], v[80:81], v[75:76]
	buffer_load_dword v87, off, s[0:3], 0 offset:100
	buffer_load_dword v106, off, s[0:3], 0 offset:120
	;; [unrolled: 1-line block ×8, first 2 shown]
	ds_read2_b64 v[78:81], v77 offset0:43 offset1:44
	s_waitcnt vmcnt(24) lgkmcnt(1)
	v_fma_f64 v[75:76], v[88:89], v[82:83], v[75:76]
	s_waitcnt vmcnt(22)
	v_fma_f64 v[75:76], v[90:91], v[84:85], v[75:76]
	ds_read2_b64 v[82:85], v77 offset0:45 offset1:46
	s_waitcnt vmcnt(20) lgkmcnt(1)
	v_fma_f64 v[75:76], v[92:93], v[78:79], v[75:76]
	s_waitcnt vmcnt(18)
	v_fma_f64 v[75:76], v[94:95], v[80:81], v[75:76]
	buffer_load_dword v89, off, s[0:3], 0 offset:132
	buffer_load_dword v90, off, s[0:3], 0 offset:152
	;; [unrolled: 1-line block ×8, first 2 shown]
	ds_read2_b64 v[78:81], v77 offset0:47 offset1:48
	s_waitcnt vmcnt(24) lgkmcnt(1)
	v_fma_f64 v[75:76], v[96:97], v[82:83], v[75:76]
	s_waitcnt vmcnt(19)
	v_fma_f64 v[75:76], v[98:99], v[84:85], v[75:76]
	ds_read2_b64 v[82:85], v77 offset0:49 offset1:50
	s_waitcnt vmcnt(18) lgkmcnt(1)
	v_fma_f64 v[75:76], v[104:105], v[78:79], v[75:76]
	s_waitcnt vmcnt(17)
	v_fma_f64 v[75:76], v[102:103], v[80:81], v[75:76]
	buffer_load_dword v97, off, s[0:3], 0 offset:164
	buffer_load_dword v98, off, s[0:3], 0 offset:184
	;; [unrolled: 1-line block ×7, first 2 shown]
	s_waitcnt vmcnt(23) lgkmcnt(0)
	v_fma_f64 v[75:76], v[100:101], v[82:83], v[75:76]
	s_waitcnt vmcnt(18)
	v_fma_f64 v[75:76], v[86:87], v[84:85], v[75:76]
	ds_read2_b64 v[78:81], v77 offset0:51 offset1:52
	ds_read2_b64 v[82:85], v77 offset0:53 offset1:54
	buffer_load_dword v99, off, s[0:3], 0 offset:188
	s_waitcnt vmcnt(18) lgkmcnt(1)
	v_fma_f64 v[75:76], v[110:111], v[78:79], v[75:76]
	s_waitcnt vmcnt(17)
	v_fma_f64 v[75:76], v[108:109], v[80:81], v[75:76]
	buffer_load_dword v87, off, s[0:3], 0 offset:196
	buffer_load_dword v100, off, s[0:3], 0 offset:216
	;; [unrolled: 1-line block ×8, first 2 shown]
	ds_read2_b64 v[78:81], v77 offset0:55 offset1:56
	s_waitcnt vmcnt(24) lgkmcnt(1)
	v_fma_f64 v[75:76], v[106:107], v[82:83], v[75:76]
	s_waitcnt vmcnt(19)
	v_fma_f64 v[75:76], v[88:89], v[84:85], v[75:76]
	ds_read2_b64 v[82:85], v77 offset0:57 offset1:58
	s_waitcnt vmcnt(18) lgkmcnt(1)
	v_fma_f64 v[75:76], v[94:95], v[78:79], v[75:76]
	s_waitcnt vmcnt(17)
	v_fma_f64 v[75:76], v[92:93], v[80:81], v[75:76]
	buffer_load_dword v89, off, s[0:3], 0 offset:228
	buffer_load_dword v92, off, s[0:3], 0 offset:248
	;; [unrolled: 1-line block ×8, first 2 shown]
	ds_read2_b64 v[78:81], v77 offset0:59 offset1:60
	s_waitcnt vmcnt(24) lgkmcnt(1)
	v_fma_f64 v[75:76], v[90:91], v[82:83], v[75:76]
	s_waitcnt vmcnt(19)
	v_fma_f64 v[75:76], v[96:97], v[84:85], v[75:76]
	ds_read2_b64 v[82:85], v77 offset0:61 offset1:62
	s_waitcnt vmcnt(18) lgkmcnt(1)
	v_fma_f64 v[75:76], v[104:105], v[78:79], v[75:76]
	s_waitcnt vmcnt(17)
	v_fma_f64 v[78:79], v[102:103], v[80:81], v[75:76]
	buffer_load_dword v91, off, s[0:3], 0 offset:260
	buffer_load_dword v75, off, s[0:3], 0 offset:280
	;; [unrolled: 1-line block ×8, first 2 shown]
	s_waitcnt vmcnt(24) lgkmcnt(0)
	v_fma_f64 v[78:79], v[98:99], v[82:83], v[78:79]
	s_waitcnt vmcnt(19)
	v_fma_f64 v[86:87], v[86:87], v[84:85], v[78:79]
	ds_read2_b64 v[78:81], v77 offset0:63 offset1:64
	ds_read2_b64 v[82:85], v77 offset0:65 offset1:66
	s_waitcnt vmcnt(18) lgkmcnt(1)
	v_fma_f64 v[78:79], v[110:111], v[78:79], v[86:87]
	buffer_load_dword v87, off, s[0:3], 0 offset:292
	buffer_load_dword v86, off, s[0:3], 0 offset:288
	buffer_load_dword v98, off, s[0:3], 0
	buffer_load_dword v99, off, s[0:3], 0 offset:4
	s_waitcnt vmcnt(21)
	v_fma_f64 v[78:79], v[108:109], v[80:81], v[78:79]
	s_waitcnt vmcnt(20) lgkmcnt(0)
	v_fma_f64 v[78:79], v[100:101], v[82:83], v[78:79]
	s_waitcnt vmcnt(15)
	v_fma_f64 v[88:89], v[88:89], v[84:85], v[78:79]
	ds_read2_b64 v[78:81], v77 offset0:67 offset1:68
	ds_read2_b64 v[82:85], v77 offset0:69 offset1:70
	s_waitcnt vmcnt(14) lgkmcnt(1)
	v_fma_f64 v[78:79], v[106:107], v[78:79], v[88:89]
	s_waitcnt vmcnt(13)
	v_fma_f64 v[78:79], v[94:95], v[80:81], v[78:79]
	s_waitcnt vmcnt(12) lgkmcnt(0)
	v_fma_f64 v[78:79], v[92:93], v[82:83], v[78:79]
	s_waitcnt vmcnt(7)
	v_fma_f64 v[88:89], v[90:91], v[84:85], v[78:79]
	ds_read2_b64 v[78:81], v77 offset0:71 offset1:72
	ds_read2_b64 v[82:85], v77 offset0:73 offset1:74
	s_waitcnt vmcnt(6) lgkmcnt(1)
	v_fma_f64 v[77:78], v[102:103], v[78:79], v[88:89]
	s_waitcnt vmcnt(5)
	v_fma_f64 v[77:78], v[96:97], v[80:81], v[77:78]
	s_waitcnt vmcnt(4) lgkmcnt(0)
	v_fma_f64 v[77:78], v[75:76], v[82:83], v[77:78]
	s_waitcnt vmcnt(2)
	v_fma_f64 v[77:78], v[86:87], v[84:85], v[77:78]
	s_waitcnt vmcnt(0)
	v_add_f64 v[77:78], v[98:99], -v[77:78]
	buffer_store_dword v78, off, s[0:3], 0 offset:4
	buffer_store_dword v77, off, s[0:3], 0
	s_cbranch_vccz .LBB100_302
; %bb.230:
	v_mov_b32_e32 v0, 0
	global_load_dword v77, v0, s[12:13] offset:140
	s_waitcnt vmcnt(0)
	v_add_u32_e32 v77, -1, v77
	v_cmp_ne_u32_e32 vcc, 35, v77
	s_cbranch_vccz .LBB100_232
; %bb.231:
	v_lshlrev_b32_e32 v77, 3, v77
	buffer_load_dword v78, v77, s[0:3], 0 offen
	buffer_load_dword v79, v77, s[0:3], 0 offen offset:4
	s_waitcnt vmcnt(1)
	buffer_store_dword v78, off, s[0:3], 0 offset:280
	s_waitcnt vmcnt(1)
	buffer_store_dword v79, off, s[0:3], 0 offset:284
	buffer_store_dword v75, v77, s[0:3], 0 offen
	buffer_store_dword v76, v77, s[0:3], 0 offen offset:4
.LBB100_232:
	global_load_dword v0, v0, s[12:13] offset:136
	s_waitcnt vmcnt(0)
	v_add_u32_e32 v0, -1, v0
	v_cmp_eq_u32_e32 vcc, 34, v0
	s_cbranch_vccnz .LBB100_234
; %bb.233:
	v_lshlrev_b32_e32 v0, 3, v0
	buffer_load_dword v75, v0, s[0:3], 0 offen
	buffer_load_dword v76, v0, s[0:3], 0 offen offset:4
	buffer_load_dword v77, off, s[0:3], 0 offset:276
	buffer_load_dword v78, off, s[0:3], 0 offset:272
	s_waitcnt vmcnt(3)
	buffer_store_dword v75, off, s[0:3], 0 offset:272
	s_waitcnt vmcnt(3)
	buffer_store_dword v76, off, s[0:3], 0 offset:276
	s_waitcnt vmcnt(3)
	buffer_store_dword v77, v0, s[0:3], 0 offen offset:4
	s_waitcnt vmcnt(3)
	buffer_store_dword v78, v0, s[0:3], 0 offen
.LBB100_234:
	v_mov_b32_e32 v0, 0
	global_load_dword v75, v0, s[12:13] offset:132
	s_waitcnt vmcnt(0)
	v_add_u32_e32 v75, -1, v75
	v_cmp_eq_u32_e32 vcc, 33, v75
	s_cbranch_vccnz .LBB100_236
; %bb.235:
	v_lshlrev_b32_e32 v75, 3, v75
	buffer_load_dword v76, v75, s[0:3], 0 offen
	buffer_load_dword v77, v75, s[0:3], 0 offen offset:4
	buffer_load_dword v78, off, s[0:3], 0 offset:264
	buffer_load_dword v79, off, s[0:3], 0 offset:268
	s_waitcnt vmcnt(3)
	buffer_store_dword v76, off, s[0:3], 0 offset:264
	s_waitcnt vmcnt(3)
	buffer_store_dword v77, off, s[0:3], 0 offset:268
	s_waitcnt vmcnt(3)
	buffer_store_dword v78, v75, s[0:3], 0 offen
	s_waitcnt vmcnt(3)
	buffer_store_dword v79, v75, s[0:3], 0 offen offset:4
.LBB100_236:
	global_load_dword v0, v0, s[12:13] offset:128
	s_waitcnt vmcnt(0)
	v_add_u32_e32 v0, -1, v0
	v_cmp_eq_u32_e32 vcc, 32, v0
	s_cbranch_vccnz .LBB100_238
; %bb.237:
	v_lshlrev_b32_e32 v0, 3, v0
	buffer_load_dword v75, v0, s[0:3], 0 offen
	buffer_load_dword v76, v0, s[0:3], 0 offen offset:4
	buffer_load_dword v77, off, s[0:3], 0 offset:260
	buffer_load_dword v78, off, s[0:3], 0 offset:256
	s_waitcnt vmcnt(3)
	buffer_store_dword v75, off, s[0:3], 0 offset:256
	s_waitcnt vmcnt(3)
	buffer_store_dword v76, off, s[0:3], 0 offset:260
	s_waitcnt vmcnt(3)
	buffer_store_dword v77, v0, s[0:3], 0 offen offset:4
	s_waitcnt vmcnt(3)
	buffer_store_dword v78, v0, s[0:3], 0 offen
.LBB100_238:
	v_mov_b32_e32 v0, 0
	global_load_dword v75, v0, s[12:13] offset:124
	s_waitcnt vmcnt(0)
	v_add_u32_e32 v75, -1, v75
	v_cmp_eq_u32_e32 vcc, 31, v75
	s_cbranch_vccnz .LBB100_240
; %bb.239:
	v_lshlrev_b32_e32 v75, 3, v75
	buffer_load_dword v76, v75, s[0:3], 0 offen
	buffer_load_dword v77, v75, s[0:3], 0 offen offset:4
	buffer_load_dword v78, off, s[0:3], 0 offset:248
	buffer_load_dword v79, off, s[0:3], 0 offset:252
	s_waitcnt vmcnt(3)
	buffer_store_dword v76, off, s[0:3], 0 offset:248
	s_waitcnt vmcnt(3)
	buffer_store_dword v77, off, s[0:3], 0 offset:252
	s_waitcnt vmcnt(3)
	buffer_store_dword v78, v75, s[0:3], 0 offen
	s_waitcnt vmcnt(3)
	buffer_store_dword v79, v75, s[0:3], 0 offen offset:4
.LBB100_240:
	;; [unrolled: 41-line block ×17, first 2 shown]
	global_load_dword v0, v0, s[12:13]
	s_nop 0
	buffer_load_dword v77, off, s[0:3], 0
	buffer_load_dword v78, off, s[0:3], 0 offset:4
	s_waitcnt vmcnt(2)
	v_add_u32_e32 v0, -1, v0
	v_cmp_eq_u32_e32 vcc, 0, v0
	s_cbranch_vccnz .LBB100_302
; %bb.301:
	v_lshlrev_b32_e32 v0, 3, v0
	buffer_load_dword v75, v0, s[0:3], 0 offen offset:4
	buffer_load_dword v76, v0, s[0:3], 0 offen
	s_waitcnt vmcnt(1)
	buffer_store_dword v75, off, s[0:3], 0 offset:4
	s_waitcnt vmcnt(1)
	buffer_store_dword v76, off, s[0:3], 0
	buffer_store_dword v78, v0, s[0:3], 0 offen offset:4
	buffer_store_dword v77, v0, s[0:3], 0 offen
	buffer_load_dword v77, off, s[0:3], 0
	s_nop 0
	buffer_load_dword v78, off, s[0:3], 0 offset:4
.LBB100_302:
	s_waitcnt vmcnt(0)
	flat_store_dwordx2 v[1:2], v[77:78]
	buffer_load_dword v0, off, s[0:3], 0 offset:8
	s_nop 0
	buffer_load_dword v1, off, s[0:3], 0 offset:12
	s_waitcnt vmcnt(0)
	flat_store_dwordx2 v[3:4], v[0:1]
	buffer_load_dword v0, off, s[0:3], 0 offset:16
	s_nop 0
	buffer_load_dword v1, off, s[0:3], 0 offset:20
	;; [unrolled: 5-line block ×36, first 2 shown]
	s_waitcnt vmcnt(0)
	flat_store_dwordx2 v[73:74], v[0:1]
	s_endpgm
	.section	.rodata,"a",@progbits
	.p2align	6, 0x0
	.amdhsa_kernel _ZN9rocsolver6v33100L18getri_kernel_smallILi37EdPKPdEEvT1_iilPiilS6_bb
		.amdhsa_group_segment_fixed_size 600
		.amdhsa_private_segment_fixed_size 304
		.amdhsa_kernarg_size 60
		.amdhsa_user_sgpr_count 6
		.amdhsa_user_sgpr_private_segment_buffer 1
		.amdhsa_user_sgpr_dispatch_ptr 0
		.amdhsa_user_sgpr_queue_ptr 0
		.amdhsa_user_sgpr_kernarg_segment_ptr 1
		.amdhsa_user_sgpr_dispatch_id 0
		.amdhsa_user_sgpr_flat_scratch_init 0
		.amdhsa_user_sgpr_private_segment_size 0
		.amdhsa_uses_dynamic_stack 0
		.amdhsa_system_sgpr_private_segment_wavefront_offset 1
		.amdhsa_system_sgpr_workgroup_id_x 1
		.amdhsa_system_sgpr_workgroup_id_y 0
		.amdhsa_system_sgpr_workgroup_id_z 0
		.amdhsa_system_sgpr_workgroup_info 0
		.amdhsa_system_vgpr_workitem_id 0
		.amdhsa_next_free_vgpr 112
		.amdhsa_next_free_sgpr 21
		.amdhsa_reserve_vcc 1
		.amdhsa_reserve_flat_scratch 0
		.amdhsa_float_round_mode_32 0
		.amdhsa_float_round_mode_16_64 0
		.amdhsa_float_denorm_mode_32 3
		.amdhsa_float_denorm_mode_16_64 3
		.amdhsa_dx10_clamp 1
		.amdhsa_ieee_mode 1
		.amdhsa_fp16_overflow 0
		.amdhsa_exception_fp_ieee_invalid_op 0
		.amdhsa_exception_fp_denorm_src 0
		.amdhsa_exception_fp_ieee_div_zero 0
		.amdhsa_exception_fp_ieee_overflow 0
		.amdhsa_exception_fp_ieee_underflow 0
		.amdhsa_exception_fp_ieee_inexact 0
		.amdhsa_exception_int_div_zero 0
	.end_amdhsa_kernel
	.section	.text._ZN9rocsolver6v33100L18getri_kernel_smallILi37EdPKPdEEvT1_iilPiilS6_bb,"axG",@progbits,_ZN9rocsolver6v33100L18getri_kernel_smallILi37EdPKPdEEvT1_iilPiilS6_bb,comdat
.Lfunc_end100:
	.size	_ZN9rocsolver6v33100L18getri_kernel_smallILi37EdPKPdEEvT1_iilPiilS6_bb, .Lfunc_end100-_ZN9rocsolver6v33100L18getri_kernel_smallILi37EdPKPdEEvT1_iilPiilS6_bb
                                        ; -- End function
	.set _ZN9rocsolver6v33100L18getri_kernel_smallILi37EdPKPdEEvT1_iilPiilS6_bb.num_vgpr, 112
	.set _ZN9rocsolver6v33100L18getri_kernel_smallILi37EdPKPdEEvT1_iilPiilS6_bb.num_agpr, 0
	.set _ZN9rocsolver6v33100L18getri_kernel_smallILi37EdPKPdEEvT1_iilPiilS6_bb.numbered_sgpr, 21
	.set _ZN9rocsolver6v33100L18getri_kernel_smallILi37EdPKPdEEvT1_iilPiilS6_bb.num_named_barrier, 0
	.set _ZN9rocsolver6v33100L18getri_kernel_smallILi37EdPKPdEEvT1_iilPiilS6_bb.private_seg_size, 304
	.set _ZN9rocsolver6v33100L18getri_kernel_smallILi37EdPKPdEEvT1_iilPiilS6_bb.uses_vcc, 1
	.set _ZN9rocsolver6v33100L18getri_kernel_smallILi37EdPKPdEEvT1_iilPiilS6_bb.uses_flat_scratch, 0
	.set _ZN9rocsolver6v33100L18getri_kernel_smallILi37EdPKPdEEvT1_iilPiilS6_bb.has_dyn_sized_stack, 0
	.set _ZN9rocsolver6v33100L18getri_kernel_smallILi37EdPKPdEEvT1_iilPiilS6_bb.has_recursion, 0
	.set _ZN9rocsolver6v33100L18getri_kernel_smallILi37EdPKPdEEvT1_iilPiilS6_bb.has_indirect_call, 0
	.section	.AMDGPU.csdata,"",@progbits
; Kernel info:
; codeLenInByte = 39812
; TotalNumSgprs: 25
; NumVgprs: 112
; ScratchSize: 304
; MemoryBound: 1
; FloatMode: 240
; IeeeMode: 1
; LDSByteSize: 600 bytes/workgroup (compile time only)
; SGPRBlocks: 3
; VGPRBlocks: 27
; NumSGPRsForWavesPerEU: 25
; NumVGPRsForWavesPerEU: 112
; Occupancy: 2
; WaveLimiterHint : 1
; COMPUTE_PGM_RSRC2:SCRATCH_EN: 1
; COMPUTE_PGM_RSRC2:USER_SGPR: 6
; COMPUTE_PGM_RSRC2:TRAP_HANDLER: 0
; COMPUTE_PGM_RSRC2:TGID_X_EN: 1
; COMPUTE_PGM_RSRC2:TGID_Y_EN: 0
; COMPUTE_PGM_RSRC2:TGID_Z_EN: 0
; COMPUTE_PGM_RSRC2:TIDIG_COMP_CNT: 0
	.section	.text._ZN9rocsolver6v33100L18getri_kernel_smallILi38EdPKPdEEvT1_iilPiilS6_bb,"axG",@progbits,_ZN9rocsolver6v33100L18getri_kernel_smallILi38EdPKPdEEvT1_iilPiilS6_bb,comdat
	.globl	_ZN9rocsolver6v33100L18getri_kernel_smallILi38EdPKPdEEvT1_iilPiilS6_bb ; -- Begin function _ZN9rocsolver6v33100L18getri_kernel_smallILi38EdPKPdEEvT1_iilPiilS6_bb
	.p2align	8
	.type	_ZN9rocsolver6v33100L18getri_kernel_smallILi38EdPKPdEEvT1_iilPiilS6_bb,@function
_ZN9rocsolver6v33100L18getri_kernel_smallILi38EdPKPdEEvT1_iilPiilS6_bb: ; @_ZN9rocsolver6v33100L18getri_kernel_smallILi38EdPKPdEEvT1_iilPiilS6_bb
; %bb.0:
	s_add_u32 s0, s0, s7
	s_addc_u32 s1, s1, 0
	v_cmp_gt_u32_e32 vcc, 38, v0
	s_and_saveexec_b64 s[8:9], vcc
	s_cbranch_execz .LBB101_160
; %bb.1:
	s_load_dword s18, s[4:5], 0x38
	s_load_dwordx2 s[12:13], s[4:5], 0x0
	s_load_dwordx4 s[8:11], s[4:5], 0x28
	s_waitcnt lgkmcnt(0)
	s_bitcmp1_b32 s18, 8
	s_cselect_b64 s[14:15], -1, 0
	s_ashr_i32 s7, s6, 31
	s_lshl_b64 s[16:17], s[6:7], 3
	s_add_u32 s12, s12, s16
	s_addc_u32 s13, s13, s17
	s_load_dwordx2 s[16:17], s[12:13], 0x0
	s_bfe_u32 s12, s18, 0x10008
	s_cmp_eq_u32 s12, 0
                                        ; implicit-def: $sgpr12_sgpr13
	s_cbranch_scc1 .LBB101_3
; %bb.2:
	s_load_dword s12, s[4:5], 0x20
	s_load_dwordx2 s[18:19], s[4:5], 0x18
	s_mul_i32 s13, s8, s7
	s_mul_hi_u32 s20, s8, s6
	s_add_i32 s20, s20, s13
	s_mul_i32 s9, s9, s6
	s_add_i32 s9, s20, s9
	s_mul_i32 s8, s8, s6
	s_waitcnt lgkmcnt(0)
	s_ashr_i32 s13, s12, 31
	s_lshl_b64 s[8:9], s[8:9], 2
	s_add_u32 s18, s18, s8
	s_addc_u32 s19, s19, s9
	s_lshl_b64 s[8:9], s[12:13], 2
	s_add_u32 s12, s18, s8
	s_addc_u32 s13, s19, s9
.LBB101_3:
	s_load_dwordx2 s[8:9], s[4:5], 0x8
	s_load_dword s18, s[4:5], 0x38
	v_lshlrev_b32_e32 v79, 3, v0
	s_waitcnt lgkmcnt(0)
	s_ashr_i32 s5, s8, 31
	s_mov_b32 s4, s8
	s_lshl_b64 s[4:5], s[4:5], 3
	s_add_u32 s4, s16, s4
	s_addc_u32 s5, s17, s5
	v_mov_b32_e32 v2, s5
	v_add_co_u32_e32 v1, vcc, s4, v79
	v_addc_co_u32_e32 v2, vcc, 0, v2, vcc
	flat_load_dwordx2 v[5:6], v[1:2]
	s_mov_b32 s16, s9
	s_ashr_i32 s17, s9, 31
	s_lshl_b64 s[16:17], s[16:17], 3
	v_mov_b32_e32 v4, s17
	v_add_co_u32_e32 v3, vcc, s16, v1
	v_addc_co_u32_e32 v4, vcc, v2, v4, vcc
	s_add_i32 s8, s9, s9
	v_add_u32_e32 v9, s8, v0
	v_ashrrev_i32_e32 v10, 31, v9
	v_mov_b32_e32 v11, s5
	v_add_u32_e32 v12, s9, v9
	v_ashrrev_i32_e32 v13, 31, v12
	v_mov_b32_e32 v14, s5
	v_mov_b32_e32 v15, s5
	;; [unrolled: 1-line block ×34, first 2 shown]
	s_bitcmp0_b32 s18, 0
	s_waitcnt vmcnt(0) lgkmcnt(0)
	buffer_store_dword v6, off, s[0:3], 0 offset:4
	buffer_store_dword v5, off, s[0:3], 0
	flat_load_dwordx2 v[7:8], v[3:4]
	v_lshlrev_b64 v[5:6], 3, v[9:10]
	s_waitcnt vmcnt(0) lgkmcnt(0)
	buffer_store_dword v8, off, s[0:3], 0 offset:12
	buffer_store_dword v7, off, s[0:3], 0 offset:8
	v_add_co_u32_e32 v5, vcc, s4, v5
	v_addc_co_u32_e32 v6, vcc, v11, v6, vcc
	flat_load_dwordx2 v[10:11], v[5:6]
	v_lshlrev_b64 v[7:8], 3, v[12:13]
	s_waitcnt vmcnt(0) lgkmcnt(0)
	buffer_store_dword v11, off, s[0:3], 0 offset:20
	buffer_store_dword v10, off, s[0:3], 0 offset:16
	v_add_co_u32_e32 v7, vcc, s4, v7
	v_addc_co_u32_e32 v8, vcc, v14, v8, vcc
	flat_load_dwordx2 v[13:14], v[7:8]
	v_add_u32_e32 v11, s9, v12
	v_ashrrev_i32_e32 v12, 31, v11
	v_lshlrev_b64 v[9:10], 3, v[11:12]
	s_waitcnt vmcnt(0) lgkmcnt(0)
	buffer_store_dword v14, off, s[0:3], 0 offset:28
	buffer_store_dword v13, off, s[0:3], 0 offset:24
	v_add_co_u32_e32 v9, vcc, s4, v9
	v_addc_co_u32_e32 v10, vcc, v15, v10, vcc
	flat_load_dwordx2 v[13:14], v[9:10]
	v_add_u32_e32 v15, s9, v11
	v_ashrrev_i32_e32 v16, 31, v15
	v_lshlrev_b64 v[11:12], 3, v[15:16]
	v_add_u32_e32 v18, s9, v15
	v_add_co_u32_e32 v11, vcc, s4, v11
	v_addc_co_u32_e32 v12, vcc, v17, v12, vcc
	v_ashrrev_i32_e32 v19, 31, v18
	s_waitcnt vmcnt(0) lgkmcnt(0)
	buffer_store_dword v14, off, s[0:3], 0 offset:36
	buffer_store_dword v13, off, s[0:3], 0 offset:32
	flat_load_dwordx2 v[16:17], v[11:12]
	v_lshlrev_b64 v[13:14], 3, v[18:19]
	s_waitcnt vmcnt(0) lgkmcnt(0)
	buffer_store_dword v17, off, s[0:3], 0 offset:44
	buffer_store_dword v16, off, s[0:3], 0 offset:40
	v_add_co_u32_e32 v13, vcc, s4, v13
	v_addc_co_u32_e32 v14, vcc, v20, v14, vcc
	flat_load_dwordx2 v[19:20], v[13:14]
	v_add_u32_e32 v17, s9, v18
	v_ashrrev_i32_e32 v18, 31, v17
	v_lshlrev_b64 v[15:16], 3, v[17:18]
	s_waitcnt vmcnt(0) lgkmcnt(0)
	buffer_store_dword v20, off, s[0:3], 0 offset:52
	buffer_store_dword v19, off, s[0:3], 0 offset:48
	v_add_co_u32_e32 v15, vcc, s4, v15
	v_addc_co_u32_e32 v16, vcc, v21, v16, vcc
	flat_load_dwordx2 v[19:20], v[15:16]
	v_add_u32_e32 v21, s9, v17
	v_ashrrev_i32_e32 v22, 31, v21
	v_lshlrev_b64 v[17:18], 3, v[21:22]
	v_add_u32_e32 v24, s9, v21
	v_add_co_u32_e32 v17, vcc, s4, v17
	v_addc_co_u32_e32 v18, vcc, v23, v18, vcc
	v_ashrrev_i32_e32 v25, 31, v24
	s_waitcnt vmcnt(0) lgkmcnt(0)
	buffer_store_dword v20, off, s[0:3], 0 offset:60
	buffer_store_dword v19, off, s[0:3], 0 offset:56
	;; [unrolled: 27-line block ×7, first 2 shown]
	flat_load_dwordx2 v[52:53], v[47:48]
	v_lshlrev_b64 v[49:50], 3, v[54:55]
	s_waitcnt vmcnt(0) lgkmcnt(0)
	buffer_store_dword v53, off, s[0:3], 0 offset:188
	buffer_store_dword v52, off, s[0:3], 0 offset:184
	v_add_co_u32_e32 v49, vcc, s4, v49
	v_addc_co_u32_e32 v50, vcc, v56, v50, vcc
	flat_load_dwordx2 v[55:56], v[49:50]
	v_add_u32_e32 v53, s9, v54
	v_ashrrev_i32_e32 v54, 31, v53
	v_lshlrev_b64 v[51:52], 3, v[53:54]
	s_waitcnt vmcnt(0) lgkmcnt(0)
	buffer_store_dword v56, off, s[0:3], 0 offset:196
	buffer_store_dword v55, off, s[0:3], 0 offset:192
	v_add_co_u32_e32 v51, vcc, s4, v51
	v_addc_co_u32_e32 v52, vcc, v57, v52, vcc
	flat_load_dwordx2 v[55:56], v[51:52]
	v_add_u32_e32 v57, s9, v53
	v_ashrrev_i32_e32 v58, 31, v57
	v_lshlrev_b64 v[53:54], 3, v[57:58]
	v_add_u32_e32 v60, s9, v57
	v_add_co_u32_e32 v53, vcc, s4, v53
	v_addc_co_u32_e32 v54, vcc, v59, v54, vcc
	s_waitcnt vmcnt(0) lgkmcnt(0)
	buffer_store_dword v56, off, s[0:3], 0 offset:204
	buffer_store_dword v55, off, s[0:3], 0 offset:200
	flat_load_dwordx2 v[58:59], v[53:54]
	v_ashrrev_i32_e32 v61, 31, v60
	v_lshlrev_b64 v[55:56], 3, v[60:61]
	s_waitcnt vmcnt(0) lgkmcnt(0)
	buffer_store_dword v59, off, s[0:3], 0 offset:212
	buffer_store_dword v58, off, s[0:3], 0 offset:208
	v_add_co_u32_e32 v55, vcc, s4, v55
	v_addc_co_u32_e32 v56, vcc, v62, v56, vcc
	flat_load_dwordx2 v[61:62], v[55:56]
	v_add_u32_e32 v59, s9, v60
	v_ashrrev_i32_e32 v60, 31, v59
	v_lshlrev_b64 v[57:58], 3, v[59:60]
	s_waitcnt vmcnt(0) lgkmcnt(0)
	buffer_store_dword v62, off, s[0:3], 0 offset:220
	buffer_store_dword v61, off, s[0:3], 0 offset:216
	v_add_co_u32_e32 v57, vcc, s4, v57
	v_addc_co_u32_e32 v58, vcc, v63, v58, vcc
	flat_load_dwordx2 v[61:62], v[57:58]
	v_add_u32_e32 v63, s9, v59
	;; [unrolled: 9-line block ×10, first 2 shown]
	v_ashrrev_i32_e32 v76, 31, v75
	v_lshlrev_b64 v[75:76], 3, v[75:76]
	v_mov_b32_e32 v81, s5
	v_add_co_u32_e32 v75, vcc, s4, v75
	v_addc_co_u32_e32 v76, vcc, v81, v76, vcc
	s_waitcnt vmcnt(0) lgkmcnt(0)
	buffer_store_dword v78, off, s[0:3], 0 offset:292
	buffer_store_dword v77, off, s[0:3], 0 offset:288
	flat_load_dwordx2 v[77:78], v[75:76]
	s_mov_b64 s[8:9], -1
	s_waitcnt vmcnt(0) lgkmcnt(0)
	buffer_store_dword v78, off, s[0:3], 0 offset:300
	buffer_store_dword v77, off, s[0:3], 0 offset:296
	s_cbranch_scc1 .LBB101_158
; %bb.4:
	v_cmp_eq_u32_e64 s[4:5], 0, v0
	s_and_saveexec_b64 s[8:9], s[4:5]
; %bb.5:
	v_mov_b32_e32 v77, 0
	ds_write_b32 v77, v77 offset:608
; %bb.6:
	s_or_b64 exec, exec, s[8:9]
	v_mov_b32_e32 v77, 0
	v_lshl_add_u32 v77, v0, 3, v77
	s_waitcnt lgkmcnt(0)
	; wave barrier
	buffer_load_dword v80, v77, s[0:3], 0 offen
	buffer_load_dword v81, v77, s[0:3], 0 offen offset:4
	s_waitcnt vmcnt(0)
	v_cmp_eq_f64_e32 vcc, 0, v[80:81]
	s_and_saveexec_b64 s[16:17], vcc
	s_cbranch_execz .LBB101_10
; %bb.7:
	v_mov_b32_e32 v78, 0
	ds_read_b32 v81, v78 offset:608
	v_add_u32_e32 v80, 1, v0
	s_waitcnt lgkmcnt(0)
	v_readfirstlane_b32 s8, v81
	s_cmp_eq_u32 s8, 0
	s_cselect_b64 s[18:19], -1, 0
	v_cmp_gt_i32_e32 vcc, s8, v80
	s_or_b64 s[18:19], s[18:19], vcc
	s_and_b64 exec, exec, s[18:19]
	s_cbranch_execz .LBB101_10
; %bb.8:
	s_mov_b64 s[18:19], 0
	v_mov_b32_e32 v81, s8
.LBB101_9:                              ; =>This Inner Loop Header: Depth=1
	ds_cmpst_rtn_b32 v81, v78, v81, v80 offset:608
	s_waitcnt lgkmcnt(0)
	v_cmp_ne_u32_e32 vcc, 0, v81
	v_cmp_le_i32_e64 s[8:9], v81, v80
	s_and_b64 s[8:9], vcc, s[8:9]
	s_and_b64 s[8:9], exec, s[8:9]
	s_or_b64 s[18:19], s[8:9], s[18:19]
	s_andn2_b64 exec, exec, s[18:19]
	s_cbranch_execnz .LBB101_9
.LBB101_10:
	s_or_b64 exec, exec, s[16:17]
	v_mov_b32_e32 v80, 0
	; wave barrier
	ds_read_b32 v78, v80 offset:608
	s_and_saveexec_b64 s[8:9], s[4:5]
	s_cbranch_execz .LBB101_12
; %bb.11:
	s_lshl_b64 s[16:17], s[6:7], 2
	s_add_u32 s16, s10, s16
	s_addc_u32 s17, s11, s17
	s_waitcnt lgkmcnt(0)
	global_store_dword v80, v78, s[16:17]
.LBB101_12:
	s_or_b64 exec, exec, s[8:9]
	s_waitcnt lgkmcnt(0)
	v_cmp_ne_u32_e32 vcc, 0, v78
	s_mov_b64 s[8:9], 0
	s_cbranch_vccnz .LBB101_158
; %bb.13:
	buffer_load_dword v80, v77, s[0:3], 0 offen
	buffer_load_dword v81, v77, s[0:3], 0 offen offset:4
	s_waitcnt vmcnt(0)
	v_div_scale_f64 v[82:83], s[8:9], v[80:81], v[80:81], 1.0
	v_rcp_f64_e32 v[84:85], v[82:83]
	v_fma_f64 v[86:87], -v[82:83], v[84:85], 1.0
	v_fma_f64 v[84:85], v[84:85], v[86:87], v[84:85]
	v_div_scale_f64 v[86:87], vcc, 1.0, v[80:81], 1.0
	v_fma_f64 v[88:89], -v[82:83], v[84:85], 1.0
	v_fma_f64 v[84:85], v[84:85], v[88:89], v[84:85]
	v_mul_f64 v[88:89], v[86:87], v[84:85]
	v_fma_f64 v[82:83], -v[82:83], v[88:89], v[86:87]
	v_div_fmas_f64 v[82:83], v[82:83], v[84:85], v[88:89]
	v_div_fixup_f64 v[81:82], v[82:83], v[80:81], 1.0
	v_add_u32_e32 v80, 0x130, v79
	buffer_store_dword v82, v77, s[0:3], 0 offen offset:4
	buffer_store_dword v81, v77, s[0:3], 0 offen
	buffer_load_dword v84, off, s[0:3], 0 offset:12
	buffer_load_dword v83, off, s[0:3], 0 offset:8
	v_xor_b32_e32 v82, 0x80000000, v82
	s_waitcnt vmcnt(0)
	ds_write2_b64 v79, v[81:82], v[83:84] offset1:38
	s_waitcnt lgkmcnt(0)
	; wave barrier
	s_and_saveexec_b64 s[8:9], s[4:5]
	s_cbranch_execz .LBB101_15
; %bb.14:
	buffer_load_dword v81, v77, s[0:3], 0 offen
	buffer_load_dword v82, v77, s[0:3], 0 offen offset:4
	ds_read_b64 v[83:84], v80
	v_mov_b32_e32 v78, 0
	ds_read_b64 v[85:86], v78 offset:8
	s_waitcnt vmcnt(0) lgkmcnt(1)
	v_fma_f64 v[81:82], v[81:82], v[83:84], 0
	s_waitcnt lgkmcnt(0)
	v_mul_f64 v[81:82], v[81:82], v[85:86]
	buffer_store_dword v81, off, s[0:3], 0 offset:8
	buffer_store_dword v82, off, s[0:3], 0 offset:12
.LBB101_15:
	s_or_b64 exec, exec, s[8:9]
	; wave barrier
	buffer_load_dword v81, off, s[0:3], 0 offset:16
	buffer_load_dword v82, off, s[0:3], 0 offset:20
	v_cmp_gt_u32_e32 vcc, 2, v0
	s_waitcnt vmcnt(0)
	ds_write_b64 v80, v[81:82]
	s_waitcnt lgkmcnt(0)
	; wave barrier
	s_and_saveexec_b64 s[8:9], vcc
	s_cbranch_execz .LBB101_17
; %bb.16:
	buffer_load_dword v81, v77, s[0:3], 0 offen
	buffer_load_dword v82, v77, s[0:3], 0 offen offset:4
                                        ; kill: killed $vgpr77
	s_nop 0
	buffer_load_dword v77, off, s[0:3], 0 offset:8
	buffer_load_dword v78, off, s[0:3], 0 offset:12
	ds_read_b64 v[83:84], v80
	s_waitcnt vmcnt(2) lgkmcnt(0)
	v_fma_f64 v[85:86], v[81:82], v[83:84], 0
	v_mov_b32_e32 v81, 0
	ds_read2_b64 v[81:84], v81 offset0:2 offset1:39
	s_waitcnt vmcnt(0) lgkmcnt(0)
	v_fma_f64 v[77:78], v[77:78], v[83:84], v[85:86]
	v_cndmask_b32_e64 v78, v86, v78, s[4:5]
	v_cndmask_b32_e64 v77, v85, v77, s[4:5]
	v_mul_f64 v[77:78], v[77:78], v[81:82]
	buffer_store_dword v78, off, s[0:3], 0 offset:20
	buffer_store_dword v77, off, s[0:3], 0 offset:16
.LBB101_17:
	s_or_b64 exec, exec, s[8:9]
	; wave barrier
	buffer_load_dword v77, off, s[0:3], 0 offset:24
	buffer_load_dword v78, off, s[0:3], 0 offset:28
	v_cmp_gt_u32_e32 vcc, 3, v0
	v_add_u32_e32 v81, -1, v0
	s_waitcnt vmcnt(0)
	ds_write_b64 v80, v[77:78]
	s_waitcnt lgkmcnt(0)
	; wave barrier
	s_and_saveexec_b64 s[4:5], vcc
	s_cbranch_execz .LBB101_21
; %bb.18:
	v_mov_b32_e32 v77, 0
	v_add_u32_e32 v82, -1, v0
	v_add_u32_e32 v83, 0x130, v79
	v_mov_b32_e32 v84, v79
	v_mov_b32_e32 v78, 0
	s_mov_b64 s[8:9], 0
.LBB101_19:                             ; =>This Inner Loop Header: Depth=1
	buffer_load_dword v85, v84, s[0:3], 0 offen
	buffer_load_dword v86, v84, s[0:3], 0 offen offset:4
	ds_read_b64 v[87:88], v83
	v_add_u32_e32 v82, 1, v82
	v_cmp_lt_u32_e32 vcc, 1, v82
	v_add_u32_e32 v83, 8, v83
	s_or_b64 s[8:9], vcc, s[8:9]
	v_add_u32_e32 v84, 8, v84
	s_waitcnt vmcnt(0) lgkmcnt(0)
	v_fma_f64 v[77:78], v[85:86], v[87:88], v[77:78]
	s_andn2_b64 exec, exec, s[8:9]
	s_cbranch_execnz .LBB101_19
; %bb.20:
	s_or_b64 exec, exec, s[8:9]
	v_mov_b32_e32 v82, 0
	ds_read_b64 v[82:83], v82 offset:24
	s_waitcnt lgkmcnt(0)
	v_mul_f64 v[77:78], v[77:78], v[82:83]
	buffer_store_dword v78, off, s[0:3], 0 offset:28
	buffer_store_dword v77, off, s[0:3], 0 offset:24
.LBB101_21:
	s_or_b64 exec, exec, s[4:5]
	; wave barrier
	buffer_load_dword v77, off, s[0:3], 0 offset:32
	buffer_load_dword v78, off, s[0:3], 0 offset:36
	v_cmp_gt_u32_e32 vcc, 4, v0
	s_waitcnt vmcnt(0)
	ds_write_b64 v80, v[77:78]
	s_waitcnt lgkmcnt(0)
	; wave barrier
	s_and_saveexec_b64 s[4:5], vcc
	s_cbranch_execz .LBB101_25
; %bb.22:
	v_mov_b32_e32 v77, 0
	v_add_u32_e32 v82, -1, v0
	v_add_u32_e32 v83, 0x130, v79
	v_mov_b32_e32 v84, v79
	v_mov_b32_e32 v78, 0
	s_mov_b64 s[8:9], 0
.LBB101_23:                             ; =>This Inner Loop Header: Depth=1
	buffer_load_dword v85, v84, s[0:3], 0 offen
	buffer_load_dword v86, v84, s[0:3], 0 offen offset:4
	ds_read_b64 v[87:88], v83
	v_add_u32_e32 v82, 1, v82
	v_cmp_lt_u32_e32 vcc, 2, v82
	v_add_u32_e32 v83, 8, v83
	s_or_b64 s[8:9], vcc, s[8:9]
	v_add_u32_e32 v84, 8, v84
	s_waitcnt vmcnt(0) lgkmcnt(0)
	v_fma_f64 v[77:78], v[85:86], v[87:88], v[77:78]
	s_andn2_b64 exec, exec, s[8:9]
	s_cbranch_execnz .LBB101_23
; %bb.24:
	s_or_b64 exec, exec, s[8:9]
	v_mov_b32_e32 v82, 0
	ds_read_b64 v[82:83], v82 offset:32
	s_waitcnt lgkmcnt(0)
	v_mul_f64 v[77:78], v[77:78], v[82:83]
	buffer_store_dword v78, off, s[0:3], 0 offset:36
	buffer_store_dword v77, off, s[0:3], 0 offset:32
.LBB101_25:
	s_or_b64 exec, exec, s[4:5]
	; wave barrier
	buffer_load_dword v77, off, s[0:3], 0 offset:40
	buffer_load_dword v78, off, s[0:3], 0 offset:44
	v_cmp_gt_u32_e32 vcc, 5, v0
	;; [unrolled: 40-line block ×21, first 2 shown]
	s_waitcnt vmcnt(0)
	ds_write_b64 v80, v[77:78]
	s_waitcnt lgkmcnt(0)
	; wave barrier
	s_and_saveexec_b64 s[4:5], vcc
	s_cbranch_execz .LBB101_105
; %bb.102:
	v_mov_b32_e32 v77, 0
	v_add_u32_e32 v82, -1, v0
	v_add_u32_e32 v83, 0x130, v79
	v_mov_b32_e32 v84, v79
	v_mov_b32_e32 v78, 0
	s_mov_b64 s[8:9], 0
.LBB101_103:                            ; =>This Inner Loop Header: Depth=1
	buffer_load_dword v85, v84, s[0:3], 0 offen
	buffer_load_dword v86, v84, s[0:3], 0 offen offset:4
	ds_read_b64 v[87:88], v83
	v_add_u32_e32 v82, 1, v82
	v_cmp_lt_u32_e32 vcc, 22, v82
	v_add_u32_e32 v83, 8, v83
	s_or_b64 s[8:9], vcc, s[8:9]
	v_add_u32_e32 v84, 8, v84
	s_waitcnt vmcnt(0) lgkmcnt(0)
	v_fma_f64 v[77:78], v[85:86], v[87:88], v[77:78]
	s_andn2_b64 exec, exec, s[8:9]
	s_cbranch_execnz .LBB101_103
; %bb.104:
	s_or_b64 exec, exec, s[8:9]
	v_mov_b32_e32 v82, 0
	ds_read_b64 v[82:83], v82 offset:192
	s_waitcnt lgkmcnt(0)
	v_mul_f64 v[77:78], v[77:78], v[82:83]
	buffer_store_dword v78, off, s[0:3], 0 offset:196
	buffer_store_dword v77, off, s[0:3], 0 offset:192
.LBB101_105:
	s_or_b64 exec, exec, s[4:5]
	; wave barrier
	buffer_load_dword v77, off, s[0:3], 0 offset:200
	buffer_load_dword v78, off, s[0:3], 0 offset:204
	v_cmp_gt_u32_e32 vcc, 25, v0
	s_waitcnt vmcnt(0)
	ds_write_b64 v80, v[77:78]
	s_waitcnt lgkmcnt(0)
	; wave barrier
	s_and_saveexec_b64 s[4:5], vcc
	s_cbranch_execz .LBB101_109
; %bb.106:
	v_mov_b32_e32 v77, 0
	v_add_u32_e32 v82, -1, v0
	v_add_u32_e32 v83, 0x130, v79
	v_mov_b32_e32 v84, v79
	v_mov_b32_e32 v78, 0
	s_mov_b64 s[8:9], 0
.LBB101_107:                            ; =>This Inner Loop Header: Depth=1
	buffer_load_dword v85, v84, s[0:3], 0 offen
	buffer_load_dword v86, v84, s[0:3], 0 offen offset:4
	ds_read_b64 v[87:88], v83
	v_add_u32_e32 v82, 1, v82
	v_cmp_lt_u32_e32 vcc, 23, v82
	v_add_u32_e32 v83, 8, v83
	s_or_b64 s[8:9], vcc, s[8:9]
	v_add_u32_e32 v84, 8, v84
	s_waitcnt vmcnt(0) lgkmcnt(0)
	v_fma_f64 v[77:78], v[85:86], v[87:88], v[77:78]
	s_andn2_b64 exec, exec, s[8:9]
	s_cbranch_execnz .LBB101_107
; %bb.108:
	s_or_b64 exec, exec, s[8:9]
	v_mov_b32_e32 v82, 0
	ds_read_b64 v[82:83], v82 offset:200
	s_waitcnt lgkmcnt(0)
	v_mul_f64 v[77:78], v[77:78], v[82:83]
	buffer_store_dword v78, off, s[0:3], 0 offset:204
	buffer_store_dword v77, off, s[0:3], 0 offset:200
.LBB101_109:
	s_or_b64 exec, exec, s[4:5]
	; wave barrier
	buffer_load_dword v77, off, s[0:3], 0 offset:208
	buffer_load_dword v78, off, s[0:3], 0 offset:212
	v_cmp_gt_u32_e32 vcc, 26, v0
	;; [unrolled: 40-line block ×12, first 2 shown]
	s_waitcnt vmcnt(0)
	ds_write_b64 v80, v[77:78]
	s_waitcnt lgkmcnt(0)
	; wave barrier
	s_and_saveexec_b64 s[4:5], vcc
	s_cbranch_execz .LBB101_153
; %bb.150:
	v_mov_b32_e32 v77, 0
	v_add_u32_e32 v82, -1, v0
	v_add_u32_e32 v83, 0x130, v79
	v_mov_b32_e32 v84, v79
	v_mov_b32_e32 v78, 0
	s_mov_b64 s[8:9], 0
.LBB101_151:                            ; =>This Inner Loop Header: Depth=1
	buffer_load_dword v85, v84, s[0:3], 0 offen
	buffer_load_dword v86, v84, s[0:3], 0 offen offset:4
	ds_read_b64 v[87:88], v83
	v_add_u32_e32 v82, 1, v82
	v_cmp_lt_u32_e32 vcc, 34, v82
	v_add_u32_e32 v83, 8, v83
	s_or_b64 s[8:9], vcc, s[8:9]
	v_add_u32_e32 v84, 8, v84
	s_waitcnt vmcnt(0) lgkmcnt(0)
	v_fma_f64 v[77:78], v[85:86], v[87:88], v[77:78]
	s_andn2_b64 exec, exec, s[8:9]
	s_cbranch_execnz .LBB101_151
; %bb.152:
	s_or_b64 exec, exec, s[8:9]
	v_mov_b32_e32 v82, 0
	ds_read_b64 v[82:83], v82 offset:288
	s_waitcnt lgkmcnt(0)
	v_mul_f64 v[77:78], v[77:78], v[82:83]
	buffer_store_dword v78, off, s[0:3], 0 offset:292
	buffer_store_dword v77, off, s[0:3], 0 offset:288
.LBB101_153:
	s_or_b64 exec, exec, s[4:5]
	; wave barrier
	buffer_load_dword v77, off, s[0:3], 0 offset:296
	buffer_load_dword v78, off, s[0:3], 0 offset:300
	v_cmp_ne_u32_e32 vcc, 37, v0
	s_waitcnt vmcnt(0)
	ds_write_b64 v80, v[77:78]
	s_waitcnt lgkmcnt(0)
	; wave barrier
	s_and_saveexec_b64 s[4:5], vcc
	s_cbranch_execz .LBB101_157
; %bb.154:
	v_mov_b32_e32 v77, 0
	v_add_u32_e32 v80, 0x130, v79
	v_mov_b32_e32 v78, 0
	s_mov_b64 s[8:9], 0
.LBB101_155:                            ; =>This Inner Loop Header: Depth=1
	buffer_load_dword v82, v79, s[0:3], 0 offen
	buffer_load_dword v83, v79, s[0:3], 0 offen offset:4
	ds_read_b64 v[84:85], v80
	v_add_u32_e32 v81, 1, v81
	v_cmp_lt_u32_e32 vcc, 35, v81
	v_add_u32_e32 v80, 8, v80
	s_or_b64 s[8:9], vcc, s[8:9]
	v_add_u32_e32 v79, 8, v79
	s_waitcnt vmcnt(0) lgkmcnt(0)
	v_fma_f64 v[77:78], v[82:83], v[84:85], v[77:78]
	s_andn2_b64 exec, exec, s[8:9]
	s_cbranch_execnz .LBB101_155
; %bb.156:
	s_or_b64 exec, exec, s[8:9]
	v_mov_b32_e32 v79, 0
	ds_read_b64 v[79:80], v79 offset:296
	s_waitcnt lgkmcnt(0)
	v_mul_f64 v[77:78], v[77:78], v[79:80]
	buffer_store_dword v78, off, s[0:3], 0 offset:300
	buffer_store_dword v77, off, s[0:3], 0 offset:296
.LBB101_157:
	s_or_b64 exec, exec, s[4:5]
	s_mov_b64 s[8:9], -1
	; wave barrier
.LBB101_158:
	s_and_b64 vcc, exec, s[8:9]
	s_cbranch_vccz .LBB101_160
; %bb.159:
	s_lshl_b64 s[4:5], s[6:7], 2
	s_add_u32 s4, s10, s4
	s_addc_u32 s5, s11, s5
	v_mov_b32_e32 v77, 0
	global_load_dword v77, v77, s[4:5]
	s_waitcnt vmcnt(0)
	v_cmp_ne_u32_e32 vcc, 0, v77
	s_cbranch_vccz .LBB101_161
.LBB101_160:
	s_endpgm
.LBB101_161:
	v_mov_b32_e32 v77, 0x130
	v_lshl_add_u32 v77, v0, 3, v77
	v_cmp_eq_u32_e32 vcc, 37, v0
	s_and_saveexec_b64 s[4:5], vcc
	s_cbranch_execz .LBB101_163
; %bb.162:
	buffer_load_dword v78, off, s[0:3], 0 offset:288
	buffer_load_dword v79, off, s[0:3], 0 offset:292
	v_mov_b32_e32 v80, 0
	buffer_store_dword v80, off, s[0:3], 0 offset:288
	buffer_store_dword v80, off, s[0:3], 0 offset:292
	s_waitcnt vmcnt(2)
	ds_write_b64 v77, v[78:79]
.LBB101_163:
	s_or_b64 exec, exec, s[4:5]
	s_waitcnt lgkmcnt(0)
	; wave barrier
	buffer_load_dword v79, off, s[0:3], 0 offset:296
	buffer_load_dword v80, off, s[0:3], 0 offset:300
	;; [unrolled: 1-line block ×4, first 2 shown]
	v_mov_b32_e32 v78, 0
	ds_read_b64 v[83:84], v78 offset:600
	v_cmp_lt_u32_e32 vcc, 35, v0
	s_waitcnt vmcnt(2) lgkmcnt(0)
	v_fma_f64 v[79:80], v[79:80], v[83:84], 0
	s_waitcnt vmcnt(0)
	v_add_f64 v[79:80], v[81:82], -v[79:80]
	buffer_store_dword v79, off, s[0:3], 0 offset:288
	buffer_store_dword v80, off, s[0:3], 0 offset:292
	s_and_saveexec_b64 s[4:5], vcc
	s_cbranch_execz .LBB101_165
; %bb.164:
	buffer_load_dword v79, off, s[0:3], 0 offset:280
	buffer_load_dword v80, off, s[0:3], 0 offset:284
	s_waitcnt vmcnt(0)
	ds_write_b64 v77, v[79:80]
	buffer_store_dword v78, off, s[0:3], 0 offset:280
	buffer_store_dword v78, off, s[0:3], 0 offset:284
.LBB101_165:
	s_or_b64 exec, exec, s[4:5]
	s_waitcnt lgkmcnt(0)
	; wave barrier
	buffer_load_dword v82, off, s[0:3], 0 offset:288
	buffer_load_dword v83, off, s[0:3], 0 offset:292
	;; [unrolled: 1-line block ×6, first 2 shown]
	ds_read_b128 v[78:81], v78 offset:592
	v_cmp_lt_u32_e32 vcc, 34, v0
	s_waitcnt vmcnt(4) lgkmcnt(0)
	v_fma_f64 v[78:79], v[82:83], v[78:79], 0
	s_waitcnt vmcnt(2)
	v_fma_f64 v[78:79], v[84:85], v[80:81], v[78:79]
	s_waitcnt vmcnt(0)
	v_add_f64 v[78:79], v[86:87], -v[78:79]
	buffer_store_dword v78, off, s[0:3], 0 offset:280
	buffer_store_dword v79, off, s[0:3], 0 offset:284
	s_and_saveexec_b64 s[4:5], vcc
	s_cbranch_execz .LBB101_167
; %bb.166:
	buffer_load_dword v78, off, s[0:3], 0 offset:272
	buffer_load_dword v79, off, s[0:3], 0 offset:276
	v_mov_b32_e32 v80, 0
	buffer_store_dword v80, off, s[0:3], 0 offset:272
	buffer_store_dword v80, off, s[0:3], 0 offset:276
	s_waitcnt vmcnt(2)
	ds_write_b64 v77, v[78:79]
.LBB101_167:
	s_or_b64 exec, exec, s[4:5]
	s_waitcnt lgkmcnt(0)
	; wave barrier
	buffer_load_dword v83, off, s[0:3], 0 offset:280
	buffer_load_dword v84, off, s[0:3], 0 offset:284
	;; [unrolled: 1-line block ×8, first 2 shown]
	v_mov_b32_e32 v78, 0
	ds_read2_b64 v[79:82], v78 offset0:73 offset1:74
	ds_read_b64 v[91:92], v78 offset:600
	v_cmp_lt_u32_e32 vcc, 33, v0
	s_waitcnt vmcnt(6) lgkmcnt(1)
	v_fma_f64 v[79:80], v[83:84], v[79:80], 0
	s_waitcnt vmcnt(4)
	v_fma_f64 v[79:80], v[85:86], v[81:82], v[79:80]
	s_waitcnt vmcnt(2) lgkmcnt(0)
	v_fma_f64 v[79:80], v[87:88], v[91:92], v[79:80]
	s_waitcnt vmcnt(0)
	v_add_f64 v[79:80], v[89:90], -v[79:80]
	buffer_store_dword v79, off, s[0:3], 0 offset:272
	buffer_store_dword v80, off, s[0:3], 0 offset:276
	s_and_saveexec_b64 s[4:5], vcc
	s_cbranch_execz .LBB101_169
; %bb.168:
	buffer_load_dword v79, off, s[0:3], 0 offset:264
	buffer_load_dword v80, off, s[0:3], 0 offset:268
	s_waitcnt vmcnt(0)
	ds_write_b64 v77, v[79:80]
	buffer_store_dword v78, off, s[0:3], 0 offset:264
	buffer_store_dword v78, off, s[0:3], 0 offset:268
.LBB101_169:
	s_or_b64 exec, exec, s[4:5]
	s_waitcnt lgkmcnt(0)
	; wave barrier
	buffer_load_dword v87, off, s[0:3], 0 offset:272
	buffer_load_dword v88, off, s[0:3], 0 offset:276
	;; [unrolled: 1-line block ×10, first 2 shown]
	ds_read_b128 v[79:82], v78 offset:576
	ds_read_b128 v[83:86], v78 offset:592
	v_cmp_lt_u32_e32 vcc, 32, v0
	s_waitcnt vmcnt(8) lgkmcnt(1)
	v_fma_f64 v[78:79], v[87:88], v[79:80], 0
	s_waitcnt vmcnt(6)
	v_fma_f64 v[78:79], v[89:90], v[81:82], v[78:79]
	s_waitcnt vmcnt(4) lgkmcnt(0)
	v_fma_f64 v[78:79], v[91:92], v[83:84], v[78:79]
	s_waitcnt vmcnt(2)
	v_fma_f64 v[78:79], v[93:94], v[85:86], v[78:79]
	s_waitcnt vmcnt(0)
	v_add_f64 v[78:79], v[95:96], -v[78:79]
	buffer_store_dword v78, off, s[0:3], 0 offset:264
	buffer_store_dword v79, off, s[0:3], 0 offset:268
	s_and_saveexec_b64 s[4:5], vcc
	s_cbranch_execz .LBB101_171
; %bb.170:
	buffer_load_dword v78, off, s[0:3], 0 offset:256
	buffer_load_dword v79, off, s[0:3], 0 offset:260
	v_mov_b32_e32 v80, 0
	buffer_store_dword v80, off, s[0:3], 0 offset:256
	buffer_store_dword v80, off, s[0:3], 0 offset:260
	s_waitcnt vmcnt(2)
	ds_write_b64 v77, v[78:79]
.LBB101_171:
	s_or_b64 exec, exec, s[4:5]
	s_waitcnt lgkmcnt(0)
	; wave barrier
	buffer_load_dword v87, off, s[0:3], 0 offset:264
	buffer_load_dword v88, off, s[0:3], 0 offset:268
	;; [unrolled: 1-line block ×12, first 2 shown]
	v_mov_b32_e32 v78, 0
	ds_read2_b64 v[79:82], v78 offset0:71 offset1:72
	ds_read2_b64 v[83:86], v78 offset0:73 offset1:74
	v_cmp_lt_u32_e32 vcc, 31, v0
	s_waitcnt vmcnt(10) lgkmcnt(1)
	v_fma_f64 v[79:80], v[87:88], v[79:80], 0
	s_waitcnt vmcnt(8)
	v_fma_f64 v[79:80], v[89:90], v[81:82], v[79:80]
	ds_read_b64 v[81:82], v78 offset:600
	s_waitcnt vmcnt(6) lgkmcnt(1)
	v_fma_f64 v[79:80], v[91:92], v[83:84], v[79:80]
	s_waitcnt vmcnt(4)
	v_fma_f64 v[79:80], v[93:94], v[85:86], v[79:80]
	s_waitcnt vmcnt(2) lgkmcnt(0)
	v_fma_f64 v[79:80], v[95:96], v[81:82], v[79:80]
	s_waitcnt vmcnt(0)
	v_add_f64 v[79:80], v[97:98], -v[79:80]
	buffer_store_dword v79, off, s[0:3], 0 offset:256
	buffer_store_dword v80, off, s[0:3], 0 offset:260
	s_and_saveexec_b64 s[4:5], vcc
	s_cbranch_execz .LBB101_173
; %bb.172:
	buffer_load_dword v79, off, s[0:3], 0 offset:248
	buffer_load_dword v80, off, s[0:3], 0 offset:252
	s_waitcnt vmcnt(0)
	ds_write_b64 v77, v[79:80]
	buffer_store_dword v78, off, s[0:3], 0 offset:248
	buffer_store_dword v78, off, s[0:3], 0 offset:252
.LBB101_173:
	s_or_b64 exec, exec, s[4:5]
	s_waitcnt lgkmcnt(0)
	; wave barrier
	buffer_load_dword v87, off, s[0:3], 0 offset:256
	buffer_load_dword v88, off, s[0:3], 0 offset:260
	;; [unrolled: 1-line block ×14, first 2 shown]
	ds_read_b128 v[79:82], v78 offset:560
	ds_read_b128 v[83:86], v78 offset:576
	v_cmp_lt_u32_e32 vcc, 30, v0
	s_waitcnt vmcnt(12) lgkmcnt(1)
	v_fma_f64 v[79:80], v[87:88], v[79:80], 0
	s_waitcnt vmcnt(10)
	v_fma_f64 v[79:80], v[89:90], v[81:82], v[79:80]
	s_waitcnt vmcnt(8) lgkmcnt(0)
	v_fma_f64 v[79:80], v[91:92], v[83:84], v[79:80]
	s_waitcnt vmcnt(6)
	v_fma_f64 v[82:83], v[93:94], v[85:86], v[79:80]
	ds_read_b128 v[78:81], v78 offset:592
	s_waitcnt vmcnt(4) lgkmcnt(0)
	v_fma_f64 v[78:79], v[95:96], v[78:79], v[82:83]
	s_waitcnt vmcnt(2)
	v_fma_f64 v[78:79], v[97:98], v[80:81], v[78:79]
	s_waitcnt vmcnt(0)
	v_add_f64 v[78:79], v[99:100], -v[78:79]
	buffer_store_dword v78, off, s[0:3], 0 offset:248
	buffer_store_dword v79, off, s[0:3], 0 offset:252
	s_and_saveexec_b64 s[4:5], vcc
	s_cbranch_execz .LBB101_175
; %bb.174:
	buffer_load_dword v78, off, s[0:3], 0 offset:240
	buffer_load_dword v79, off, s[0:3], 0 offset:244
	v_mov_b32_e32 v80, 0
	buffer_store_dword v80, off, s[0:3], 0 offset:240
	buffer_store_dword v80, off, s[0:3], 0 offset:244
	s_waitcnt vmcnt(2)
	ds_write_b64 v77, v[78:79]
.LBB101_175:
	s_or_b64 exec, exec, s[4:5]
	s_waitcnt lgkmcnt(0)
	; wave barrier
	buffer_load_dword v87, off, s[0:3], 0 offset:248
	buffer_load_dword v88, off, s[0:3], 0 offset:252
	;; [unrolled: 1-line block ×16, first 2 shown]
	v_mov_b32_e32 v78, 0
	ds_read2_b64 v[79:82], v78 offset0:69 offset1:70
	ds_read2_b64 v[83:86], v78 offset0:71 offset1:72
	v_cmp_lt_u32_e32 vcc, 29, v0
	s_waitcnt vmcnt(14) lgkmcnt(1)
	v_fma_f64 v[79:80], v[87:88], v[79:80], 0
	s_waitcnt vmcnt(12)
	v_fma_f64 v[79:80], v[89:90], v[81:82], v[79:80]
	s_waitcnt vmcnt(10) lgkmcnt(0)
	v_fma_f64 v[79:80], v[91:92], v[83:84], v[79:80]
	s_waitcnt vmcnt(8)
	v_fma_f64 v[83:84], v[93:94], v[85:86], v[79:80]
	ds_read2_b64 v[79:82], v78 offset0:73 offset1:74
	ds_read_b64 v[85:86], v78 offset:600
	s_waitcnt vmcnt(6) lgkmcnt(1)
	v_fma_f64 v[79:80], v[95:96], v[79:80], v[83:84]
	s_waitcnt vmcnt(4)
	v_fma_f64 v[79:80], v[97:98], v[81:82], v[79:80]
	s_waitcnt vmcnt(2) lgkmcnt(0)
	v_fma_f64 v[79:80], v[99:100], v[85:86], v[79:80]
	s_waitcnt vmcnt(0)
	v_add_f64 v[79:80], v[101:102], -v[79:80]
	buffer_store_dword v79, off, s[0:3], 0 offset:240
	buffer_store_dword v80, off, s[0:3], 0 offset:244
	s_and_saveexec_b64 s[4:5], vcc
	s_cbranch_execz .LBB101_177
; %bb.176:
	buffer_load_dword v79, off, s[0:3], 0 offset:232
	buffer_load_dword v80, off, s[0:3], 0 offset:236
	s_waitcnt vmcnt(0)
	ds_write_b64 v77, v[79:80]
	buffer_store_dword v78, off, s[0:3], 0 offset:232
	buffer_store_dword v78, off, s[0:3], 0 offset:236
.LBB101_177:
	s_or_b64 exec, exec, s[4:5]
	s_waitcnt lgkmcnt(0)
	; wave barrier
	buffer_load_dword v87, off, s[0:3], 0 offset:240
	buffer_load_dword v88, off, s[0:3], 0 offset:244
	;; [unrolled: 1-line block ×18, first 2 shown]
	ds_read_b128 v[79:82], v78 offset:544
	ds_read_b128 v[83:86], v78 offset:560
	v_cmp_lt_u32_e32 vcc, 28, v0
	s_waitcnt vmcnt(16) lgkmcnt(1)
	v_fma_f64 v[79:80], v[87:88], v[79:80], 0
	s_waitcnt vmcnt(14)
	v_fma_f64 v[79:80], v[89:90], v[81:82], v[79:80]
	s_waitcnt vmcnt(12) lgkmcnt(0)
	v_fma_f64 v[79:80], v[91:92], v[83:84], v[79:80]
	s_waitcnt vmcnt(10)
	v_fma_f64 v[87:88], v[93:94], v[85:86], v[79:80]
	ds_read_b128 v[79:82], v78 offset:576
	ds_read_b128 v[83:86], v78 offset:592
	s_waitcnt vmcnt(8) lgkmcnt(1)
	v_fma_f64 v[78:79], v[95:96], v[79:80], v[87:88]
	s_waitcnt vmcnt(6)
	v_fma_f64 v[78:79], v[97:98], v[81:82], v[78:79]
	s_waitcnt vmcnt(4) lgkmcnt(0)
	v_fma_f64 v[78:79], v[99:100], v[83:84], v[78:79]
	s_waitcnt vmcnt(2)
	v_fma_f64 v[78:79], v[101:102], v[85:86], v[78:79]
	s_waitcnt vmcnt(0)
	v_add_f64 v[78:79], v[103:104], -v[78:79]
	buffer_store_dword v78, off, s[0:3], 0 offset:232
	buffer_store_dword v79, off, s[0:3], 0 offset:236
	s_and_saveexec_b64 s[4:5], vcc
	s_cbranch_execz .LBB101_179
; %bb.178:
	buffer_load_dword v78, off, s[0:3], 0 offset:224
	buffer_load_dword v79, off, s[0:3], 0 offset:228
	v_mov_b32_e32 v80, 0
	buffer_store_dword v80, off, s[0:3], 0 offset:224
	buffer_store_dword v80, off, s[0:3], 0 offset:228
	s_waitcnt vmcnt(2)
	ds_write_b64 v77, v[78:79]
.LBB101_179:
	s_or_b64 exec, exec, s[4:5]
	s_waitcnt lgkmcnt(0)
	; wave barrier
	buffer_load_dword v87, off, s[0:3], 0 offset:232
	buffer_load_dword v88, off, s[0:3], 0 offset:236
	;; [unrolled: 1-line block ×20, first 2 shown]
	v_mov_b32_e32 v78, 0
	ds_read2_b64 v[79:82], v78 offset0:67 offset1:68
	ds_read2_b64 v[83:86], v78 offset0:69 offset1:70
	v_cmp_lt_u32_e32 vcc, 27, v0
	s_waitcnt vmcnt(18) lgkmcnt(1)
	v_fma_f64 v[79:80], v[87:88], v[79:80], 0
	s_waitcnt vmcnt(16)
	v_fma_f64 v[79:80], v[89:90], v[81:82], v[79:80]
	s_waitcnt vmcnt(14) lgkmcnt(0)
	v_fma_f64 v[79:80], v[91:92], v[83:84], v[79:80]
	s_waitcnt vmcnt(12)
	v_fma_f64 v[87:88], v[93:94], v[85:86], v[79:80]
	ds_read2_b64 v[79:82], v78 offset0:71 offset1:72
	ds_read2_b64 v[83:86], v78 offset0:73 offset1:74
	s_waitcnt vmcnt(10) lgkmcnt(1)
	v_fma_f64 v[79:80], v[95:96], v[79:80], v[87:88]
	s_waitcnt vmcnt(8)
	v_fma_f64 v[79:80], v[97:98], v[81:82], v[79:80]
	ds_read_b64 v[81:82], v78 offset:600
	s_waitcnt vmcnt(6) lgkmcnt(1)
	v_fma_f64 v[79:80], v[99:100], v[83:84], v[79:80]
	s_waitcnt vmcnt(3)
	v_fma_f64 v[79:80], v[101:102], v[85:86], v[79:80]
	s_waitcnt vmcnt(2) lgkmcnt(0)
	v_fma_f64 v[79:80], v[103:104], v[81:82], v[79:80]
	s_waitcnt vmcnt(0)
	v_add_f64 v[79:80], v[105:106], -v[79:80]
	buffer_store_dword v79, off, s[0:3], 0 offset:224
	buffer_store_dword v80, off, s[0:3], 0 offset:228
	s_and_saveexec_b64 s[4:5], vcc
	s_cbranch_execz .LBB101_181
; %bb.180:
	buffer_load_dword v79, off, s[0:3], 0 offset:216
	buffer_load_dword v80, off, s[0:3], 0 offset:220
	s_waitcnt vmcnt(0)
	ds_write_b64 v77, v[79:80]
	buffer_store_dword v78, off, s[0:3], 0 offset:216
	buffer_store_dword v78, off, s[0:3], 0 offset:220
.LBB101_181:
	s_or_b64 exec, exec, s[4:5]
	s_waitcnt lgkmcnt(0)
	; wave barrier
	buffer_load_dword v87, off, s[0:3], 0 offset:224
	buffer_load_dword v88, off, s[0:3], 0 offset:228
	;; [unrolled: 1-line block ×20, first 2 shown]
	ds_read_b128 v[79:82], v78 offset:528
	buffer_load_dword v107, off, s[0:3], 0 offset:216
	buffer_load_dword v108, off, s[0:3], 0 offset:220
	ds_read_b128 v[83:86], v78 offset:544
	v_cmp_lt_u32_e32 vcc, 26, v0
	s_waitcnt vmcnt(20) lgkmcnt(1)
	v_fma_f64 v[79:80], v[87:88], v[79:80], 0
	s_waitcnt vmcnt(18)
	v_fma_f64 v[79:80], v[89:90], v[81:82], v[79:80]
	s_waitcnt vmcnt(16) lgkmcnt(0)
	v_fma_f64 v[79:80], v[91:92], v[83:84], v[79:80]
	s_waitcnt vmcnt(14)
	v_fma_f64 v[87:88], v[93:94], v[85:86], v[79:80]
	ds_read_b128 v[79:82], v78 offset:560
	ds_read_b128 v[83:86], v78 offset:576
	s_waitcnt vmcnt(12) lgkmcnt(1)
	v_fma_f64 v[79:80], v[95:96], v[79:80], v[87:88]
	s_waitcnt vmcnt(10)
	v_fma_f64 v[79:80], v[97:98], v[81:82], v[79:80]
	s_waitcnt vmcnt(8) lgkmcnt(0)
	v_fma_f64 v[79:80], v[99:100], v[83:84], v[79:80]
	s_waitcnt vmcnt(4)
	v_fma_f64 v[82:83], v[101:102], v[85:86], v[79:80]
	ds_read_b128 v[78:81], v78 offset:592
	s_waitcnt vmcnt(3) lgkmcnt(0)
	v_fma_f64 v[78:79], v[105:106], v[78:79], v[82:83]
	s_waitcnt vmcnt(2)
	v_fma_f64 v[78:79], v[103:104], v[80:81], v[78:79]
	s_waitcnt vmcnt(0)
	v_add_f64 v[78:79], v[107:108], -v[78:79]
	buffer_store_dword v78, off, s[0:3], 0 offset:216
	buffer_store_dword v79, off, s[0:3], 0 offset:220
	s_and_saveexec_b64 s[4:5], vcc
	s_cbranch_execz .LBB101_183
; %bb.182:
	buffer_load_dword v78, off, s[0:3], 0 offset:208
	buffer_load_dword v79, off, s[0:3], 0 offset:212
	v_mov_b32_e32 v80, 0
	buffer_store_dword v80, off, s[0:3], 0 offset:208
	buffer_store_dword v80, off, s[0:3], 0 offset:212
	s_waitcnt vmcnt(2)
	ds_write_b64 v77, v[78:79]
.LBB101_183:
	s_or_b64 exec, exec, s[4:5]
	s_waitcnt lgkmcnt(0)
	; wave barrier
	buffer_load_dword v87, off, s[0:3], 0 offset:216
	buffer_load_dword v88, off, s[0:3], 0 offset:220
	;; [unrolled: 1-line block ×21, first 2 shown]
	v_mov_b32_e32 v78, 0
	ds_read2_b64 v[79:82], v78 offset0:65 offset1:66
	ds_read2_b64 v[83:86], v78 offset0:67 offset1:68
	buffer_load_dword v104, off, s[0:3], 0 offset:300
	v_cmp_lt_u32_e32 vcc, 25, v0
	s_waitcnt vmcnt(20) lgkmcnt(1)
	v_fma_f64 v[79:80], v[87:88], v[79:80], 0
	buffer_load_dword v87, off, s[0:3], 0 offset:208
	buffer_load_dword v88, off, s[0:3], 0 offset:212
	s_waitcnt vmcnt(20)
	v_fma_f64 v[79:80], v[89:90], v[81:82], v[79:80]
	s_waitcnt vmcnt(18) lgkmcnt(0)
	v_fma_f64 v[79:80], v[91:92], v[83:84], v[79:80]
	s_waitcnt vmcnt(16)
	v_fma_f64 v[89:90], v[93:94], v[85:86], v[79:80]
	ds_read2_b64 v[79:82], v78 offset0:69 offset1:70
	ds_read2_b64 v[83:86], v78 offset0:71 offset1:72
	s_waitcnt vmcnt(14) lgkmcnt(1)
	v_fma_f64 v[79:80], v[95:96], v[79:80], v[89:90]
	s_waitcnt vmcnt(12)
	v_fma_f64 v[79:80], v[97:98], v[81:82], v[79:80]
	s_waitcnt vmcnt(10) lgkmcnt(0)
	v_fma_f64 v[79:80], v[99:100], v[83:84], v[79:80]
	s_waitcnt vmcnt(5)
	v_fma_f64 v[83:84], v[101:102], v[85:86], v[79:80]
	ds_read2_b64 v[79:82], v78 offset0:73 offset1:74
	ds_read_b64 v[85:86], v78 offset:600
	s_waitcnt vmcnt(4) lgkmcnt(1)
	v_fma_f64 v[79:80], v[107:108], v[79:80], v[83:84]
	s_waitcnt vmcnt(3)
	v_fma_f64 v[79:80], v[105:106], v[81:82], v[79:80]
	s_waitcnt vmcnt(2) lgkmcnt(0)
	v_fma_f64 v[79:80], v[103:104], v[85:86], v[79:80]
	s_waitcnt vmcnt(0)
	v_add_f64 v[79:80], v[87:88], -v[79:80]
	buffer_store_dword v80, off, s[0:3], 0 offset:212
	buffer_store_dword v79, off, s[0:3], 0 offset:208
	s_and_saveexec_b64 s[4:5], vcc
	s_cbranch_execz .LBB101_185
; %bb.184:
	buffer_load_dword v79, off, s[0:3], 0 offset:200
	buffer_load_dword v80, off, s[0:3], 0 offset:204
	s_waitcnt vmcnt(0)
	ds_write_b64 v77, v[79:80]
	buffer_store_dword v78, off, s[0:3], 0 offset:200
	buffer_store_dword v78, off, s[0:3], 0 offset:204
.LBB101_185:
	s_or_b64 exec, exec, s[4:5]
	s_waitcnt lgkmcnt(0)
	; wave barrier
	buffer_load_dword v87, off, s[0:3], 0 offset:208
	buffer_load_dword v88, off, s[0:3], 0 offset:212
	;; [unrolled: 1-line block ×21, first 2 shown]
	ds_read_b128 v[79:82], v78 offset:512
	ds_read_b128 v[83:86], v78 offset:528
	buffer_load_dword v104, off, s[0:3], 0 offset:292
	v_cmp_lt_u32_e32 vcc, 24, v0
	s_waitcnt vmcnt(20) lgkmcnt(1)
	v_fma_f64 v[79:80], v[87:88], v[79:80], 0
	buffer_load_dword v88, off, s[0:3], 0 offset:300
	buffer_load_dword v87, off, s[0:3], 0 offset:296
	s_waitcnt vmcnt(20)
	v_fma_f64 v[79:80], v[89:90], v[81:82], v[79:80]
	buffer_load_dword v89, off, s[0:3], 0 offset:200
	buffer_load_dword v90, off, s[0:3], 0 offset:204
	s_waitcnt vmcnt(20) lgkmcnt(0)
	v_fma_f64 v[79:80], v[91:92], v[83:84], v[79:80]
	s_waitcnt vmcnt(18)
	v_fma_f64 v[91:92], v[93:94], v[85:86], v[79:80]
	ds_read_b128 v[79:82], v78 offset:544
	ds_read_b128 v[83:86], v78 offset:560
	s_waitcnt vmcnt(16) lgkmcnt(1)
	v_fma_f64 v[79:80], v[95:96], v[79:80], v[91:92]
	s_waitcnt vmcnt(14)
	v_fma_f64 v[79:80], v[97:98], v[81:82], v[79:80]
	s_waitcnt vmcnt(12) lgkmcnt(0)
	v_fma_f64 v[79:80], v[99:100], v[83:84], v[79:80]
	s_waitcnt vmcnt(7)
	v_fma_f64 v[91:92], v[101:102], v[85:86], v[79:80]
	ds_read_b128 v[79:82], v78 offset:576
	ds_read_b128 v[83:86], v78 offset:592
	s_waitcnt vmcnt(6) lgkmcnt(1)
	v_fma_f64 v[78:79], v[107:108], v[79:80], v[91:92]
	s_waitcnt vmcnt(5)
	v_fma_f64 v[78:79], v[105:106], v[81:82], v[78:79]
	s_waitcnt vmcnt(4) lgkmcnt(0)
	v_fma_f64 v[78:79], v[103:104], v[83:84], v[78:79]
	s_waitcnt vmcnt(2)
	v_fma_f64 v[78:79], v[87:88], v[85:86], v[78:79]
	s_waitcnt vmcnt(0)
	v_add_f64 v[78:79], v[89:90], -v[78:79]
	buffer_store_dword v79, off, s[0:3], 0 offset:204
	buffer_store_dword v78, off, s[0:3], 0 offset:200
	s_and_saveexec_b64 s[4:5], vcc
	s_cbranch_execz .LBB101_187
; %bb.186:
	buffer_load_dword v78, off, s[0:3], 0 offset:192
	buffer_load_dword v79, off, s[0:3], 0 offset:196
	v_mov_b32_e32 v80, 0
	buffer_store_dword v80, off, s[0:3], 0 offset:192
	buffer_store_dword v80, off, s[0:3], 0 offset:196
	s_waitcnt vmcnt(2)
	ds_write_b64 v77, v[78:79]
.LBB101_187:
	s_or_b64 exec, exec, s[4:5]
	s_waitcnt lgkmcnt(0)
	; wave barrier
	buffer_load_dword v87, off, s[0:3], 0 offset:200
	buffer_load_dword v88, off, s[0:3], 0 offset:204
	;; [unrolled: 1-line block ×21, first 2 shown]
	v_mov_b32_e32 v78, 0
	ds_read2_b64 v[79:82], v78 offset0:63 offset1:64
	ds_read2_b64 v[83:86], v78 offset0:65 offset1:66
	buffer_load_dword v104, off, s[0:3], 0 offset:284
	v_cmp_lt_u32_e32 vcc, 23, v0
	s_waitcnt vmcnt(20) lgkmcnt(1)
	v_fma_f64 v[79:80], v[87:88], v[79:80], 0
	s_waitcnt vmcnt(18)
	v_fma_f64 v[79:80], v[89:90], v[81:82], v[79:80]
	buffer_load_dword v88, off, s[0:3], 0 offset:292
	buffer_load_dword v89, off, s[0:3], 0 offset:296
	;; [unrolled: 1-line block ×4, first 2 shown]
	s_waitcnt vmcnt(20) lgkmcnt(0)
	v_fma_f64 v[79:80], v[91:92], v[83:84], v[79:80]
	buffer_load_dword v91, off, s[0:3], 0 offset:192
	buffer_load_dword v92, off, s[0:3], 0 offset:196
	s_waitcnt vmcnt(20)
	v_fma_f64 v[93:94], v[93:94], v[85:86], v[79:80]
	ds_read2_b64 v[79:82], v78 offset0:67 offset1:68
	ds_read2_b64 v[83:86], v78 offset0:69 offset1:70
	s_waitcnt vmcnt(18) lgkmcnt(1)
	v_fma_f64 v[79:80], v[95:96], v[79:80], v[93:94]
	s_waitcnt vmcnt(16)
	v_fma_f64 v[79:80], v[97:98], v[81:82], v[79:80]
	s_waitcnt vmcnt(14) lgkmcnt(0)
	v_fma_f64 v[79:80], v[99:100], v[83:84], v[79:80]
	s_waitcnt vmcnt(9)
	v_fma_f64 v[93:94], v[101:102], v[85:86], v[79:80]
	ds_read2_b64 v[79:82], v78 offset0:71 offset1:72
	ds_read2_b64 v[83:86], v78 offset0:73 offset1:74
	s_waitcnt vmcnt(8) lgkmcnt(1)
	v_fma_f64 v[79:80], v[107:108], v[79:80], v[93:94]
	s_waitcnt vmcnt(7)
	v_fma_f64 v[79:80], v[105:106], v[81:82], v[79:80]
	ds_read_b64 v[81:82], v78 offset:600
	s_waitcnt vmcnt(6) lgkmcnt(1)
	v_fma_f64 v[79:80], v[103:104], v[83:84], v[79:80]
	s_waitcnt vmcnt(3)
	v_fma_f64 v[79:80], v[87:88], v[85:86], v[79:80]
	s_waitcnt vmcnt(2) lgkmcnt(0)
	v_fma_f64 v[79:80], v[89:90], v[81:82], v[79:80]
	s_waitcnt vmcnt(0)
	v_add_f64 v[79:80], v[91:92], -v[79:80]
	buffer_store_dword v80, off, s[0:3], 0 offset:196
	buffer_store_dword v79, off, s[0:3], 0 offset:192
	s_and_saveexec_b64 s[4:5], vcc
	s_cbranch_execz .LBB101_189
; %bb.188:
	buffer_load_dword v79, off, s[0:3], 0 offset:184
	buffer_load_dword v80, off, s[0:3], 0 offset:188
	s_waitcnt vmcnt(0)
	ds_write_b64 v77, v[79:80]
	buffer_store_dword v78, off, s[0:3], 0 offset:184
	buffer_store_dword v78, off, s[0:3], 0 offset:188
.LBB101_189:
	s_or_b64 exec, exec, s[4:5]
	s_waitcnt lgkmcnt(0)
	; wave barrier
	buffer_load_dword v87, off, s[0:3], 0 offset:192
	buffer_load_dword v88, off, s[0:3], 0 offset:196
	;; [unrolled: 1-line block ×22, first 2 shown]
	ds_read_b128 v[79:82], v78 offset:496
	ds_read_b128 v[83:86], v78 offset:512
	v_cmp_lt_u32_e32 vcc, 22, v0
	s_waitcnt vmcnt(20) lgkmcnt(1)
	v_fma_f64 v[79:80], v[87:88], v[79:80], 0
	s_waitcnt vmcnt(18)
	v_fma_f64 v[79:80], v[89:90], v[81:82], v[79:80]
	buffer_load_dword v88, off, s[0:3], 0 offset:284
	buffer_load_dword v89, off, s[0:3], 0 offset:296
	;; [unrolled: 1-line block ×6, first 2 shown]
	s_waitcnt vmcnt(22) lgkmcnt(0)
	v_fma_f64 v[79:80], v[91:92], v[83:84], v[79:80]
	s_waitcnt vmcnt(20)
	v_fma_f64 v[91:92], v[93:94], v[85:86], v[79:80]
	ds_read_b128 v[79:82], v78 offset:528
	buffer_load_dword v93, off, s[0:3], 0 offset:184
	buffer_load_dword v94, off, s[0:3], 0 offset:188
	ds_read_b128 v[83:86], v78 offset:544
	s_waitcnt vmcnt(20) lgkmcnt(1)
	v_fma_f64 v[79:80], v[95:96], v[79:80], v[91:92]
	s_waitcnt vmcnt(18)
	v_fma_f64 v[79:80], v[97:98], v[81:82], v[79:80]
	s_waitcnt vmcnt(16) lgkmcnt(0)
	v_fma_f64 v[79:80], v[99:100], v[83:84], v[79:80]
	s_waitcnt vmcnt(11)
	v_fma_f64 v[91:92], v[101:102], v[85:86], v[79:80]
	ds_read_b128 v[79:82], v78 offset:560
	ds_read_b128 v[83:86], v78 offset:576
	s_waitcnt vmcnt(10) lgkmcnt(1)
	v_fma_f64 v[79:80], v[107:108], v[79:80], v[91:92]
	s_waitcnt vmcnt(9)
	v_fma_f64 v[79:80], v[105:106], v[81:82], v[79:80]
	s_waitcnt vmcnt(8) lgkmcnt(0)
	v_fma_f64 v[79:80], v[103:104], v[83:84], v[79:80]
	s_waitcnt vmcnt(4)
	v_fma_f64 v[82:83], v[87:88], v[85:86], v[79:80]
	ds_read_b128 v[78:81], v78 offset:592
	s_waitcnt vmcnt(3) lgkmcnt(0)
	v_fma_f64 v[78:79], v[109:110], v[78:79], v[82:83]
	s_waitcnt vmcnt(2)
	v_fma_f64 v[78:79], v[89:90], v[80:81], v[78:79]
	s_waitcnt vmcnt(0)
	v_add_f64 v[78:79], v[93:94], -v[78:79]
	buffer_store_dword v79, off, s[0:3], 0 offset:188
	buffer_store_dword v78, off, s[0:3], 0 offset:184
	s_and_saveexec_b64 s[4:5], vcc
	s_cbranch_execz .LBB101_191
; %bb.190:
	buffer_load_dword v78, off, s[0:3], 0 offset:176
	buffer_load_dword v79, off, s[0:3], 0 offset:180
	v_mov_b32_e32 v80, 0
	buffer_store_dword v80, off, s[0:3], 0 offset:176
	buffer_store_dword v80, off, s[0:3], 0 offset:180
	s_waitcnt vmcnt(2)
	ds_write_b64 v77, v[78:79]
.LBB101_191:
	s_or_b64 exec, exec, s[4:5]
	s_waitcnt lgkmcnt(0)
	; wave barrier
	buffer_load_dword v87, off, s[0:3], 0 offset:184
	buffer_load_dword v88, off, s[0:3], 0 offset:188
	;; [unrolled: 1-line block ×22, first 2 shown]
	v_mov_b32_e32 v78, 0
	ds_read2_b64 v[79:82], v78 offset0:61 offset1:62
	ds_read2_b64 v[83:86], v78 offset0:63 offset1:64
	v_cmp_lt_u32_e32 vcc, 21, v0
	s_waitcnt vmcnt(20) lgkmcnt(1)
	v_fma_f64 v[79:80], v[87:88], v[79:80], 0
	s_waitcnt vmcnt(18)
	v_fma_f64 v[79:80], v[89:90], v[81:82], v[79:80]
	buffer_load_dword v88, off, s[0:3], 0 offset:276
	buffer_load_dword v89, off, s[0:3], 0 offset:296
	;; [unrolled: 1-line block ×8, first 2 shown]
	s_waitcnt vmcnt(24) lgkmcnt(0)
	v_fma_f64 v[79:80], v[91:92], v[83:84], v[79:80]
	s_waitcnt vmcnt(22)
	v_fma_f64 v[91:92], v[93:94], v[85:86], v[79:80]
	ds_read2_b64 v[79:82], v78 offset0:65 offset1:66
	ds_read2_b64 v[83:86], v78 offset0:67 offset1:68
	s_waitcnt vmcnt(20) lgkmcnt(1)
	v_fma_f64 v[79:80], v[95:96], v[79:80], v[91:92]
	buffer_load_dword v91, off, s[0:3], 0 offset:176
	buffer_load_dword v92, off, s[0:3], 0 offset:180
	s_waitcnt vmcnt(20)
	v_fma_f64 v[79:80], v[97:98], v[81:82], v[79:80]
	s_waitcnt vmcnt(18) lgkmcnt(0)
	v_fma_f64 v[79:80], v[99:100], v[83:84], v[79:80]
	s_waitcnt vmcnt(13)
	v_fma_f64 v[93:94], v[101:102], v[85:86], v[79:80]
	ds_read2_b64 v[79:82], v78 offset0:69 offset1:70
	ds_read2_b64 v[83:86], v78 offset0:71 offset1:72
	s_waitcnt vmcnt(12) lgkmcnt(1)
	v_fma_f64 v[79:80], v[107:108], v[79:80], v[93:94]
	s_waitcnt vmcnt(11)
	v_fma_f64 v[79:80], v[105:106], v[81:82], v[79:80]
	s_waitcnt vmcnt(10) lgkmcnt(0)
	v_fma_f64 v[79:80], v[103:104], v[83:84], v[79:80]
	s_waitcnt vmcnt(5)
	v_fma_f64 v[83:84], v[87:88], v[85:86], v[79:80]
	ds_read2_b64 v[79:82], v78 offset0:73 offset1:74
	ds_read_b64 v[85:86], v78 offset:600
	s_waitcnt vmcnt(4) lgkmcnt(1)
	v_fma_f64 v[79:80], v[111:112], v[79:80], v[83:84]
	s_waitcnt vmcnt(3)
	v_fma_f64 v[79:80], v[109:110], v[81:82], v[79:80]
	s_waitcnt vmcnt(2) lgkmcnt(0)
	v_fma_f64 v[79:80], v[89:90], v[85:86], v[79:80]
	s_waitcnt vmcnt(0)
	v_add_f64 v[79:80], v[91:92], -v[79:80]
	buffer_store_dword v80, off, s[0:3], 0 offset:180
	buffer_store_dword v79, off, s[0:3], 0 offset:176
	s_and_saveexec_b64 s[4:5], vcc
	s_cbranch_execz .LBB101_193
; %bb.192:
	buffer_load_dword v79, off, s[0:3], 0 offset:168
	buffer_load_dword v80, off, s[0:3], 0 offset:172
	s_waitcnt vmcnt(0)
	ds_write_b64 v77, v[79:80]
	buffer_store_dword v78, off, s[0:3], 0 offset:168
	buffer_store_dword v78, off, s[0:3], 0 offset:172
.LBB101_193:
	s_or_b64 exec, exec, s[4:5]
	s_waitcnt lgkmcnt(0)
	; wave barrier
	buffer_load_dword v87, off, s[0:3], 0 offset:176
	buffer_load_dword v88, off, s[0:3], 0 offset:180
	;; [unrolled: 1-line block ×22, first 2 shown]
	ds_read_b128 v[79:82], v78 offset:480
	ds_read_b128 v[83:86], v78 offset:496
	v_cmp_lt_u32_e32 vcc, 20, v0
	s_waitcnt vmcnt(20) lgkmcnt(1)
	v_fma_f64 v[79:80], v[87:88], v[79:80], 0
	s_waitcnt vmcnt(18)
	v_fma_f64 v[79:80], v[89:90], v[81:82], v[79:80]
	buffer_load_dword v88, off, s[0:3], 0 offset:268
	buffer_load_dword v89, off, s[0:3], 0 offset:288
	;; [unrolled: 1-line block ×8, first 2 shown]
	s_waitcnt vmcnt(24) lgkmcnt(0)
	v_fma_f64 v[79:80], v[91:92], v[83:84], v[79:80]
	s_waitcnt vmcnt(22)
	v_fma_f64 v[91:92], v[93:94], v[85:86], v[79:80]
	ds_read_b128 v[79:82], v78 offset:512
	ds_read_b128 v[83:86], v78 offset:528
	s_waitcnt vmcnt(20) lgkmcnt(1)
	v_fma_f64 v[79:80], v[95:96], v[79:80], v[91:92]
	buffer_load_dword v92, off, s[0:3], 0 offset:300
	buffer_load_dword v91, off, s[0:3], 0 offset:296
	;; [unrolled: 1-line block ×4, first 2 shown]
	s_waitcnt vmcnt(22)
	v_fma_f64 v[79:80], v[97:98], v[81:82], v[79:80]
	s_waitcnt vmcnt(20) lgkmcnt(0)
	v_fma_f64 v[79:80], v[99:100], v[83:84], v[79:80]
	s_waitcnt vmcnt(15)
	v_fma_f64 v[95:96], v[101:102], v[85:86], v[79:80]
	ds_read_b128 v[79:82], v78 offset:544
	ds_read_b128 v[83:86], v78 offset:560
	s_waitcnt vmcnt(14) lgkmcnt(1)
	v_fma_f64 v[79:80], v[107:108], v[79:80], v[95:96]
	s_waitcnt vmcnt(13)
	v_fma_f64 v[79:80], v[105:106], v[81:82], v[79:80]
	s_waitcnt vmcnt(12) lgkmcnt(0)
	v_fma_f64 v[79:80], v[103:104], v[83:84], v[79:80]
	s_waitcnt vmcnt(7)
	v_fma_f64 v[87:88], v[87:88], v[85:86], v[79:80]
	ds_read_b128 v[79:82], v78 offset:576
	ds_read_b128 v[83:86], v78 offset:592
	s_waitcnt vmcnt(6) lgkmcnt(1)
	v_fma_f64 v[78:79], v[111:112], v[79:80], v[87:88]
	s_waitcnt vmcnt(5)
	v_fma_f64 v[78:79], v[109:110], v[81:82], v[78:79]
	s_waitcnt vmcnt(4) lgkmcnt(0)
	v_fma_f64 v[78:79], v[89:90], v[83:84], v[78:79]
	s_waitcnt vmcnt(2)
	v_fma_f64 v[78:79], v[91:92], v[85:86], v[78:79]
	s_waitcnt vmcnt(0)
	v_add_f64 v[78:79], v[93:94], -v[78:79]
	buffer_store_dword v79, off, s[0:3], 0 offset:172
	buffer_store_dword v78, off, s[0:3], 0 offset:168
	s_and_saveexec_b64 s[4:5], vcc
	s_cbranch_execz .LBB101_195
; %bb.194:
	buffer_load_dword v78, off, s[0:3], 0 offset:160
	buffer_load_dword v79, off, s[0:3], 0 offset:164
	v_mov_b32_e32 v80, 0
	buffer_store_dword v80, off, s[0:3], 0 offset:160
	buffer_store_dword v80, off, s[0:3], 0 offset:164
	s_waitcnt vmcnt(2)
	ds_write_b64 v77, v[78:79]
.LBB101_195:
	s_or_b64 exec, exec, s[4:5]
	s_waitcnt lgkmcnt(0)
	; wave barrier
	buffer_load_dword v87, off, s[0:3], 0 offset:168
	buffer_load_dword v88, off, s[0:3], 0 offset:172
	;; [unrolled: 1-line block ×22, first 2 shown]
	v_mov_b32_e32 v78, 0
	ds_read2_b64 v[79:82], v78 offset0:59 offset1:60
	ds_read2_b64 v[83:86], v78 offset0:61 offset1:62
	v_cmp_lt_u32_e32 vcc, 19, v0
	s_waitcnt vmcnt(20) lgkmcnt(1)
	v_fma_f64 v[79:80], v[87:88], v[79:80], 0
	s_waitcnt vmcnt(18)
	v_fma_f64 v[79:80], v[89:90], v[81:82], v[79:80]
	buffer_load_dword v88, off, s[0:3], 0 offset:260
	buffer_load_dword v89, off, s[0:3], 0 offset:280
	;; [unrolled: 1-line block ×7, first 2 shown]
	s_waitcnt vmcnt(23) lgkmcnt(0)
	v_fma_f64 v[79:80], v[91:92], v[83:84], v[79:80]
	s_waitcnt vmcnt(21)
	v_fma_f64 v[90:91], v[93:94], v[85:86], v[79:80]
	ds_read2_b64 v[79:82], v78 offset0:63 offset1:64
	ds_read2_b64 v[83:86], v78 offset0:65 offset1:66
	s_waitcnt vmcnt(19) lgkmcnt(1)
	v_fma_f64 v[79:80], v[95:96], v[79:80], v[90:91]
	buffer_load_dword v90, off, s[0:3], 0 offset:284
	buffer_load_dword v92, off, s[0:3], 0 offset:292
	;; [unrolled: 1-line block ×7, first 2 shown]
	s_waitcnt vmcnt(24)
	v_fma_f64 v[79:80], v[97:98], v[81:82], v[79:80]
	s_waitcnt vmcnt(22) lgkmcnt(0)
	v_fma_f64 v[79:80], v[99:100], v[83:84], v[79:80]
	s_waitcnt vmcnt(17)
	v_fma_f64 v[97:98], v[101:102], v[85:86], v[79:80]
	ds_read2_b64 v[79:82], v78 offset0:67 offset1:68
	ds_read2_b64 v[83:86], v78 offset0:69 offset1:70
	s_waitcnt vmcnt(16) lgkmcnt(1)
	v_fma_f64 v[79:80], v[107:108], v[79:80], v[97:98]
	s_waitcnt vmcnt(15)
	v_fma_f64 v[79:80], v[105:106], v[81:82], v[79:80]
	s_waitcnt vmcnt(14) lgkmcnt(0)
	v_fma_f64 v[79:80], v[103:104], v[83:84], v[79:80]
	s_waitcnt vmcnt(9)
	v_fma_f64 v[87:88], v[87:88], v[85:86], v[79:80]
	ds_read2_b64 v[79:82], v78 offset0:71 offset1:72
	ds_read2_b64 v[83:86], v78 offset0:73 offset1:74
	s_waitcnt vmcnt(8) lgkmcnt(1)
	v_fma_f64 v[79:80], v[111:112], v[79:80], v[87:88]
	s_waitcnt vmcnt(7)
	v_fma_f64 v[79:80], v[109:110], v[81:82], v[79:80]
	ds_read_b64 v[81:82], v78 offset:600
	s_waitcnt vmcnt(6) lgkmcnt(1)
	v_fma_f64 v[79:80], v[89:90], v[83:84], v[79:80]
	s_waitcnt vmcnt(3)
	v_fma_f64 v[79:80], v[91:92], v[85:86], v[79:80]
	s_waitcnt vmcnt(2) lgkmcnt(0)
	v_fma_f64 v[79:80], v[93:94], v[81:82], v[79:80]
	s_waitcnt vmcnt(0)
	v_add_f64 v[79:80], v[95:96], -v[79:80]
	buffer_store_dword v80, off, s[0:3], 0 offset:164
	buffer_store_dword v79, off, s[0:3], 0 offset:160
	s_and_saveexec_b64 s[4:5], vcc
	s_cbranch_execz .LBB101_197
; %bb.196:
	buffer_load_dword v79, off, s[0:3], 0 offset:152
	buffer_load_dword v80, off, s[0:3], 0 offset:156
	s_waitcnt vmcnt(0)
	ds_write_b64 v77, v[79:80]
	buffer_store_dword v78, off, s[0:3], 0 offset:152
	buffer_store_dword v78, off, s[0:3], 0 offset:156
.LBB101_197:
	s_or_b64 exec, exec, s[4:5]
	s_waitcnt lgkmcnt(0)
	; wave barrier
	buffer_load_dword v87, off, s[0:3], 0 offset:160
	buffer_load_dword v88, off, s[0:3], 0 offset:164
	;; [unrolled: 1-line block ×22, first 2 shown]
	ds_read_b128 v[79:82], v78 offset:464
	ds_read_b128 v[83:86], v78 offset:480
	v_cmp_lt_u32_e32 vcc, 18, v0
	s_waitcnt vmcnt(20) lgkmcnt(1)
	v_fma_f64 v[79:80], v[87:88], v[79:80], 0
	s_waitcnt vmcnt(18)
	v_fma_f64 v[79:80], v[89:90], v[81:82], v[79:80]
	buffer_load_dword v88, off, s[0:3], 0 offset:252
	buffer_load_dword v89, off, s[0:3], 0 offset:272
	;; [unrolled: 1-line block ×7, first 2 shown]
	s_waitcnt vmcnt(23) lgkmcnt(0)
	v_fma_f64 v[79:80], v[91:92], v[83:84], v[79:80]
	s_waitcnt vmcnt(21)
	v_fma_f64 v[90:91], v[93:94], v[85:86], v[79:80]
	ds_read_b128 v[79:82], v78 offset:496
	ds_read_b128 v[83:86], v78 offset:512
	s_waitcnt vmcnt(19) lgkmcnt(1)
	v_fma_f64 v[79:80], v[95:96], v[79:80], v[90:91]
	buffer_load_dword v90, off, s[0:3], 0 offset:276
	buffer_load_dword v92, off, s[0:3], 0 offset:284
	;; [unrolled: 1-line block ×7, first 2 shown]
	s_waitcnt vmcnt(24)
	v_fma_f64 v[79:80], v[97:98], v[81:82], v[79:80]
	s_waitcnt vmcnt(22) lgkmcnt(0)
	v_fma_f64 v[79:80], v[99:100], v[83:84], v[79:80]
	s_waitcnt vmcnt(17)
	v_fma_f64 v[97:98], v[101:102], v[85:86], v[79:80]
	ds_read_b128 v[79:82], v78 offset:528
	buffer_load_dword v99, off, s[0:3], 0 offset:152
	buffer_load_dword v100, off, s[0:3], 0 offset:156
	ds_read_b128 v[83:86], v78 offset:544
	s_waitcnt vmcnt(18) lgkmcnt(1)
	v_fma_f64 v[79:80], v[107:108], v[79:80], v[97:98]
	s_waitcnt vmcnt(17)
	v_fma_f64 v[79:80], v[105:106], v[81:82], v[79:80]
	s_waitcnt vmcnt(16) lgkmcnt(0)
	v_fma_f64 v[79:80], v[103:104], v[83:84], v[79:80]
	s_waitcnt vmcnt(11)
	v_fma_f64 v[87:88], v[87:88], v[85:86], v[79:80]
	ds_read_b128 v[79:82], v78 offset:560
	ds_read_b128 v[83:86], v78 offset:576
	s_waitcnt vmcnt(10) lgkmcnt(1)
	v_fma_f64 v[79:80], v[111:112], v[79:80], v[87:88]
	s_waitcnt vmcnt(9)
	v_fma_f64 v[79:80], v[109:110], v[81:82], v[79:80]
	s_waitcnt vmcnt(8) lgkmcnt(0)
	v_fma_f64 v[79:80], v[89:90], v[83:84], v[79:80]
	s_waitcnt vmcnt(4)
	v_fma_f64 v[82:83], v[91:92], v[85:86], v[79:80]
	ds_read_b128 v[78:81], v78 offset:592
	s_waitcnt vmcnt(3) lgkmcnt(0)
	v_fma_f64 v[78:79], v[95:96], v[78:79], v[82:83]
	s_waitcnt vmcnt(2)
	v_fma_f64 v[78:79], v[93:94], v[80:81], v[78:79]
	s_waitcnt vmcnt(0)
	v_add_f64 v[78:79], v[99:100], -v[78:79]
	buffer_store_dword v79, off, s[0:3], 0 offset:156
	buffer_store_dword v78, off, s[0:3], 0 offset:152
	s_and_saveexec_b64 s[4:5], vcc
	s_cbranch_execz .LBB101_199
; %bb.198:
	buffer_load_dword v78, off, s[0:3], 0 offset:144
	buffer_load_dword v79, off, s[0:3], 0 offset:148
	v_mov_b32_e32 v80, 0
	buffer_store_dword v80, off, s[0:3], 0 offset:144
	buffer_store_dword v80, off, s[0:3], 0 offset:148
	s_waitcnt vmcnt(2)
	ds_write_b64 v77, v[78:79]
.LBB101_199:
	s_or_b64 exec, exec, s[4:5]
	s_waitcnt lgkmcnt(0)
	; wave barrier
	buffer_load_dword v87, off, s[0:3], 0 offset:152
	buffer_load_dword v88, off, s[0:3], 0 offset:156
	;; [unrolled: 1-line block ×22, first 2 shown]
	v_mov_b32_e32 v78, 0
	ds_read2_b64 v[79:82], v78 offset0:57 offset1:58
	ds_read2_b64 v[83:86], v78 offset0:59 offset1:60
	v_cmp_lt_u32_e32 vcc, 17, v0
	s_waitcnt vmcnt(20) lgkmcnt(1)
	v_fma_f64 v[79:80], v[87:88], v[79:80], 0
	s_waitcnt vmcnt(18)
	v_fma_f64 v[79:80], v[89:90], v[81:82], v[79:80]
	buffer_load_dword v88, off, s[0:3], 0 offset:244
	buffer_load_dword v89, off, s[0:3], 0 offset:264
	;; [unrolled: 1-line block ×7, first 2 shown]
	s_waitcnt vmcnt(23) lgkmcnt(0)
	v_fma_f64 v[79:80], v[91:92], v[83:84], v[79:80]
	s_waitcnt vmcnt(21)
	v_fma_f64 v[90:91], v[93:94], v[85:86], v[79:80]
	ds_read2_b64 v[79:82], v78 offset0:61 offset1:62
	ds_read2_b64 v[83:86], v78 offset0:63 offset1:64
	s_waitcnt vmcnt(19) lgkmcnt(1)
	v_fma_f64 v[79:80], v[95:96], v[79:80], v[90:91]
	buffer_load_dword v90, off, s[0:3], 0 offset:268
	s_waitcnt vmcnt(18)
	v_fma_f64 v[79:80], v[97:98], v[81:82], v[79:80]
	buffer_load_dword v92, off, s[0:3], 0 offset:276
	buffer_load_dword v93, off, s[0:3], 0 offset:296
	buffer_load_dword v95, off, s[0:3], 0 offset:288
	buffer_load_dword v97, off, s[0:3], 0 offset:280
	buffer_load_dword v91, off, s[0:3], 0 offset:272
	buffer_load_dword v98, off, s[0:3], 0 offset:284
	buffer_load_dword v96, off, s[0:3], 0 offset:292
	buffer_load_dword v94, off, s[0:3], 0 offset:300
	s_waitcnt vmcnt(24) lgkmcnt(0)
	v_fma_f64 v[79:80], v[99:100], v[83:84], v[79:80]
	s_waitcnt vmcnt(19)
	v_fma_f64 v[99:100], v[101:102], v[85:86], v[79:80]
	ds_read2_b64 v[79:82], v78 offset0:65 offset1:66
	ds_read2_b64 v[83:86], v78 offset0:67 offset1:68
	s_waitcnt vmcnt(18) lgkmcnt(1)
	v_fma_f64 v[79:80], v[107:108], v[79:80], v[99:100]
	buffer_load_dword v99, off, s[0:3], 0 offset:144
	buffer_load_dword v100, off, s[0:3], 0 offset:148
	s_waitcnt vmcnt(19)
	v_fma_f64 v[79:80], v[105:106], v[81:82], v[79:80]
	s_waitcnt vmcnt(18) lgkmcnt(0)
	v_fma_f64 v[79:80], v[103:104], v[83:84], v[79:80]
	s_waitcnt vmcnt(13)
	v_fma_f64 v[87:88], v[87:88], v[85:86], v[79:80]
	ds_read2_b64 v[79:82], v78 offset0:69 offset1:70
	ds_read2_b64 v[83:86], v78 offset0:71 offset1:72
	s_waitcnt vmcnt(12) lgkmcnt(1)
	v_fma_f64 v[79:80], v[111:112], v[79:80], v[87:88]
	s_waitcnt vmcnt(11)
	v_fma_f64 v[79:80], v[109:110], v[81:82], v[79:80]
	s_waitcnt vmcnt(10) lgkmcnt(0)
	v_fma_f64 v[79:80], v[89:90], v[83:84], v[79:80]
	s_waitcnt vmcnt(5)
	v_fma_f64 v[83:84], v[91:92], v[85:86], v[79:80]
	ds_read2_b64 v[79:82], v78 offset0:73 offset1:74
	ds_read_b64 v[85:86], v78 offset:600
	s_waitcnt vmcnt(4) lgkmcnt(1)
	v_fma_f64 v[79:80], v[97:98], v[79:80], v[83:84]
	s_waitcnt vmcnt(3)
	v_fma_f64 v[79:80], v[95:96], v[81:82], v[79:80]
	s_waitcnt vmcnt(2) lgkmcnt(0)
	v_fma_f64 v[79:80], v[93:94], v[85:86], v[79:80]
	s_waitcnt vmcnt(0)
	v_add_f64 v[79:80], v[99:100], -v[79:80]
	buffer_store_dword v80, off, s[0:3], 0 offset:148
	buffer_store_dword v79, off, s[0:3], 0 offset:144
	s_and_saveexec_b64 s[4:5], vcc
	s_cbranch_execz .LBB101_201
; %bb.200:
	buffer_load_dword v79, off, s[0:3], 0 offset:136
	buffer_load_dword v80, off, s[0:3], 0 offset:140
	s_waitcnt vmcnt(0)
	ds_write_b64 v77, v[79:80]
	buffer_store_dword v78, off, s[0:3], 0 offset:136
	buffer_store_dword v78, off, s[0:3], 0 offset:140
.LBB101_201:
	s_or_b64 exec, exec, s[4:5]
	s_waitcnt lgkmcnt(0)
	; wave barrier
	buffer_load_dword v87, off, s[0:3], 0 offset:144
	buffer_load_dword v88, off, s[0:3], 0 offset:148
	;; [unrolled: 1-line block ×22, first 2 shown]
	ds_read_b128 v[79:82], v78 offset:448
	ds_read_b128 v[83:86], v78 offset:464
	v_cmp_lt_u32_e32 vcc, 16, v0
	s_waitcnt vmcnt(20) lgkmcnt(1)
	v_fma_f64 v[79:80], v[87:88], v[79:80], 0
	s_waitcnt vmcnt(18)
	v_fma_f64 v[79:80], v[89:90], v[81:82], v[79:80]
	buffer_load_dword v88, off, s[0:3], 0 offset:236
	buffer_load_dword v89, off, s[0:3], 0 offset:256
	;; [unrolled: 1-line block ×7, first 2 shown]
	s_waitcnt vmcnt(23) lgkmcnt(0)
	v_fma_f64 v[79:80], v[91:92], v[83:84], v[79:80]
	s_waitcnt vmcnt(21)
	v_fma_f64 v[90:91], v[93:94], v[85:86], v[79:80]
	ds_read_b128 v[79:82], v78 offset:480
	ds_read_b128 v[83:86], v78 offset:496
	s_waitcnt vmcnt(19) lgkmcnt(1)
	v_fma_f64 v[79:80], v[95:96], v[79:80], v[90:91]
	buffer_load_dword v90, off, s[0:3], 0 offset:260
	s_waitcnt vmcnt(18)
	v_fma_f64 v[79:80], v[97:98], v[81:82], v[79:80]
	buffer_load_dword v92, off, s[0:3], 0 offset:268
	buffer_load_dword v93, off, s[0:3], 0 offset:288
	;; [unrolled: 1-line block ×8, first 2 shown]
	s_waitcnt vmcnt(24) lgkmcnt(0)
	v_fma_f64 v[79:80], v[99:100], v[83:84], v[79:80]
	s_waitcnt vmcnt(19)
	v_fma_f64 v[99:100], v[101:102], v[85:86], v[79:80]
	ds_read_b128 v[79:82], v78 offset:512
	ds_read_b128 v[83:86], v78 offset:528
	s_waitcnt vmcnt(18) lgkmcnt(1)
	v_fma_f64 v[79:80], v[107:108], v[79:80], v[99:100]
	buffer_load_dword v100, off, s[0:3], 0 offset:300
	buffer_load_dword v99, off, s[0:3], 0 offset:296
	;; [unrolled: 1-line block ×4, first 2 shown]
	s_waitcnt vmcnt(21)
	v_fma_f64 v[79:80], v[105:106], v[81:82], v[79:80]
	s_waitcnt vmcnt(20) lgkmcnt(0)
	v_fma_f64 v[79:80], v[103:104], v[83:84], v[79:80]
	s_waitcnt vmcnt(15)
	v_fma_f64 v[87:88], v[87:88], v[85:86], v[79:80]
	ds_read_b128 v[79:82], v78 offset:544
	ds_read_b128 v[83:86], v78 offset:560
	s_waitcnt vmcnt(14) lgkmcnt(1)
	v_fma_f64 v[79:80], v[111:112], v[79:80], v[87:88]
	s_waitcnt vmcnt(13)
	v_fma_f64 v[79:80], v[109:110], v[81:82], v[79:80]
	s_waitcnt vmcnt(12) lgkmcnt(0)
	v_fma_f64 v[79:80], v[89:90], v[83:84], v[79:80]
	s_waitcnt vmcnt(7)
	v_fma_f64 v[87:88], v[91:92], v[85:86], v[79:80]
	ds_read_b128 v[79:82], v78 offset:576
	ds_read_b128 v[83:86], v78 offset:592
	s_waitcnt vmcnt(6) lgkmcnt(1)
	v_fma_f64 v[78:79], v[97:98], v[79:80], v[87:88]
	s_waitcnt vmcnt(5)
	v_fma_f64 v[78:79], v[95:96], v[81:82], v[78:79]
	s_waitcnt vmcnt(4) lgkmcnt(0)
	v_fma_f64 v[78:79], v[93:94], v[83:84], v[78:79]
	s_waitcnt vmcnt(2)
	v_fma_f64 v[78:79], v[99:100], v[85:86], v[78:79]
	s_waitcnt vmcnt(0)
	v_add_f64 v[78:79], v[101:102], -v[78:79]
	buffer_store_dword v79, off, s[0:3], 0 offset:140
	buffer_store_dword v78, off, s[0:3], 0 offset:136
	s_and_saveexec_b64 s[4:5], vcc
	s_cbranch_execz .LBB101_203
; %bb.202:
	buffer_load_dword v78, off, s[0:3], 0 offset:128
	buffer_load_dword v79, off, s[0:3], 0 offset:132
	v_mov_b32_e32 v80, 0
	buffer_store_dword v80, off, s[0:3], 0 offset:128
	buffer_store_dword v80, off, s[0:3], 0 offset:132
	s_waitcnt vmcnt(2)
	ds_write_b64 v77, v[78:79]
.LBB101_203:
	s_or_b64 exec, exec, s[4:5]
	s_waitcnt lgkmcnt(0)
	; wave barrier
	buffer_load_dword v87, off, s[0:3], 0 offset:136
	buffer_load_dword v88, off, s[0:3], 0 offset:140
	;; [unrolled: 1-line block ×21, first 2 shown]
	v_mov_b32_e32 v78, 0
	ds_read2_b64 v[79:82], v78 offset0:55 offset1:56
	ds_read2_b64 v[83:86], v78 offset0:57 offset1:58
	buffer_load_dword v104, off, s[0:3], 0 offset:220
	v_cmp_lt_u32_e32 vcc, 15, v0
	s_waitcnt vmcnt(20) lgkmcnt(1)
	v_fma_f64 v[79:80], v[87:88], v[79:80], 0
	s_waitcnt vmcnt(18)
	v_fma_f64 v[79:80], v[89:90], v[81:82], v[79:80]
	buffer_load_dword v88, off, s[0:3], 0 offset:228
	buffer_load_dword v89, off, s[0:3], 0 offset:248
	buffer_load_dword v109, off, s[0:3], 0 offset:240
	buffer_load_dword v111, off, s[0:3], 0 offset:232
	buffer_load_dword v87, off, s[0:3], 0 offset:224
	buffer_load_dword v112, off, s[0:3], 0 offset:236
	buffer_load_dword v110, off, s[0:3], 0 offset:244
	s_waitcnt vmcnt(23) lgkmcnt(0)
	v_fma_f64 v[79:80], v[91:92], v[83:84], v[79:80]
	s_waitcnt vmcnt(21)
	v_fma_f64 v[90:91], v[93:94], v[85:86], v[79:80]
	ds_read2_b64 v[79:82], v78 offset0:59 offset1:60
	ds_read2_b64 v[83:86], v78 offset0:61 offset1:62
	s_waitcnt vmcnt(19) lgkmcnt(1)
	v_fma_f64 v[79:80], v[95:96], v[79:80], v[90:91]
	buffer_load_dword v90, off, s[0:3], 0 offset:252
	s_waitcnt vmcnt(18)
	v_fma_f64 v[79:80], v[97:98], v[81:82], v[79:80]
	buffer_load_dword v92, off, s[0:3], 0 offset:260
	buffer_load_dword v93, off, s[0:3], 0 offset:280
	;; [unrolled: 1-line block ×7, first 2 shown]
	s_waitcnt vmcnt(23) lgkmcnt(0)
	v_fma_f64 v[79:80], v[99:100], v[83:84], v[79:80]
	s_waitcnt vmcnt(18)
	v_fma_f64 v[99:100], v[101:102], v[85:86], v[79:80]
	ds_read2_b64 v[79:82], v78 offset0:63 offset1:64
	ds_read2_b64 v[83:86], v78 offset0:65 offset1:66
	buffer_load_dword v94, off, s[0:3], 0 offset:284
	s_waitcnt vmcnt(18) lgkmcnt(1)
	v_fma_f64 v[79:80], v[107:108], v[79:80], v[99:100]
	buffer_load_dword v100, off, s[0:3], 0 offset:292
	buffer_load_dword v101, off, s[0:3], 0 offset:296
	;; [unrolled: 1-line block ×4, first 2 shown]
	s_waitcnt vmcnt(21)
	v_fma_f64 v[79:80], v[105:106], v[81:82], v[79:80]
	s_waitcnt vmcnt(20) lgkmcnt(0)
	v_fma_f64 v[79:80], v[103:104], v[83:84], v[79:80]
	buffer_load_dword v103, off, s[0:3], 0 offset:128
	buffer_load_dword v104, off, s[0:3], 0 offset:132
	s_waitcnt vmcnt(17)
	v_fma_f64 v[87:88], v[87:88], v[85:86], v[79:80]
	ds_read2_b64 v[79:82], v78 offset0:67 offset1:68
	ds_read2_b64 v[83:86], v78 offset0:69 offset1:70
	s_waitcnt vmcnt(16) lgkmcnt(1)
	v_fma_f64 v[79:80], v[111:112], v[79:80], v[87:88]
	s_waitcnt vmcnt(15)
	v_fma_f64 v[79:80], v[109:110], v[81:82], v[79:80]
	s_waitcnt vmcnt(14) lgkmcnt(0)
	v_fma_f64 v[79:80], v[89:90], v[83:84], v[79:80]
	s_waitcnt vmcnt(9)
	v_fma_f64 v[87:88], v[91:92], v[85:86], v[79:80]
	ds_read2_b64 v[79:82], v78 offset0:71 offset1:72
	ds_read2_b64 v[83:86], v78 offset0:73 offset1:74
	s_waitcnt vmcnt(8) lgkmcnt(1)
	v_fma_f64 v[79:80], v[97:98], v[79:80], v[87:88]
	s_waitcnt vmcnt(7)
	v_fma_f64 v[79:80], v[95:96], v[81:82], v[79:80]
	ds_read_b64 v[81:82], v78 offset:600
	s_waitcnt vmcnt(6) lgkmcnt(1)
	v_fma_f64 v[79:80], v[93:94], v[83:84], v[79:80]
	s_waitcnt vmcnt(3)
	v_fma_f64 v[79:80], v[99:100], v[85:86], v[79:80]
	s_waitcnt vmcnt(2) lgkmcnt(0)
	v_fma_f64 v[79:80], v[101:102], v[81:82], v[79:80]
	s_waitcnt vmcnt(0)
	v_add_f64 v[79:80], v[103:104], -v[79:80]
	buffer_store_dword v80, off, s[0:3], 0 offset:132
	buffer_store_dword v79, off, s[0:3], 0 offset:128
	s_and_saveexec_b64 s[4:5], vcc
	s_cbranch_execz .LBB101_205
; %bb.204:
	buffer_load_dword v79, off, s[0:3], 0 offset:120
	buffer_load_dword v80, off, s[0:3], 0 offset:124
	s_waitcnt vmcnt(0)
	ds_write_b64 v77, v[79:80]
	buffer_store_dword v78, off, s[0:3], 0 offset:120
	buffer_store_dword v78, off, s[0:3], 0 offset:124
.LBB101_205:
	s_or_b64 exec, exec, s[4:5]
	s_waitcnt lgkmcnt(0)
	; wave barrier
	buffer_load_dword v87, off, s[0:3], 0 offset:128
	buffer_load_dword v88, off, s[0:3], 0 offset:132
	;; [unrolled: 1-line block ×21, first 2 shown]
	ds_read_b128 v[79:82], v78 offset:432
	ds_read_b128 v[83:86], v78 offset:448
	buffer_load_dword v104, off, s[0:3], 0 offset:212
	v_cmp_lt_u32_e32 vcc, 14, v0
	s_waitcnt vmcnt(20) lgkmcnt(1)
	v_fma_f64 v[79:80], v[87:88], v[79:80], 0
	s_waitcnt vmcnt(18)
	v_fma_f64 v[79:80], v[89:90], v[81:82], v[79:80]
	buffer_load_dword v88, off, s[0:3], 0 offset:220
	buffer_load_dword v89, off, s[0:3], 0 offset:240
	;; [unrolled: 1-line block ×7, first 2 shown]
	s_waitcnt vmcnt(23) lgkmcnt(0)
	v_fma_f64 v[79:80], v[91:92], v[83:84], v[79:80]
	s_waitcnt vmcnt(21)
	v_fma_f64 v[90:91], v[93:94], v[85:86], v[79:80]
	ds_read_b128 v[79:82], v78 offset:464
	ds_read_b128 v[83:86], v78 offset:480
	s_waitcnt vmcnt(19) lgkmcnt(1)
	v_fma_f64 v[79:80], v[95:96], v[79:80], v[90:91]
	buffer_load_dword v90, off, s[0:3], 0 offset:244
	s_waitcnt vmcnt(18)
	v_fma_f64 v[79:80], v[97:98], v[81:82], v[79:80]
	buffer_load_dword v92, off, s[0:3], 0 offset:252
	buffer_load_dword v93, off, s[0:3], 0 offset:272
	;; [unrolled: 1-line block ×8, first 2 shown]
	s_waitcnt vmcnt(24) lgkmcnt(0)
	v_fma_f64 v[79:80], v[99:100], v[83:84], v[79:80]
	s_waitcnt vmcnt(19)
	v_fma_f64 v[99:100], v[101:102], v[85:86], v[79:80]
	ds_read_b128 v[79:82], v78 offset:496
	ds_read_b128 v[83:86], v78 offset:512
	s_waitcnt vmcnt(18) lgkmcnt(1)
	v_fma_f64 v[79:80], v[107:108], v[79:80], v[99:100]
	s_waitcnt vmcnt(17)
	v_fma_f64 v[79:80], v[105:106], v[81:82], v[79:80]
	buffer_load_dword v100, off, s[0:3], 0 offset:284
	buffer_load_dword v101, off, s[0:3], 0 offset:296
	;; [unrolled: 1-line block ×6, first 2 shown]
	s_waitcnt vmcnt(22) lgkmcnt(0)
	v_fma_f64 v[79:80], v[103:104], v[83:84], v[79:80]
	s_waitcnt vmcnt(17)
	v_fma_f64 v[87:88], v[87:88], v[85:86], v[79:80]
	ds_read_b128 v[79:82], v78 offset:528
	buffer_load_dword v103, off, s[0:3], 0 offset:120
	buffer_load_dword v104, off, s[0:3], 0 offset:124
	ds_read_b128 v[83:86], v78 offset:544
	s_waitcnt vmcnt(18) lgkmcnt(1)
	v_fma_f64 v[79:80], v[111:112], v[79:80], v[87:88]
	s_waitcnt vmcnt(17)
	v_fma_f64 v[79:80], v[109:110], v[81:82], v[79:80]
	s_waitcnt vmcnt(16) lgkmcnt(0)
	v_fma_f64 v[79:80], v[89:90], v[83:84], v[79:80]
	s_waitcnt vmcnt(11)
	v_fma_f64 v[87:88], v[91:92], v[85:86], v[79:80]
	ds_read_b128 v[79:82], v78 offset:560
	ds_read_b128 v[83:86], v78 offset:576
	s_waitcnt vmcnt(10) lgkmcnt(1)
	v_fma_f64 v[79:80], v[97:98], v[79:80], v[87:88]
	s_waitcnt vmcnt(9)
	v_fma_f64 v[79:80], v[95:96], v[81:82], v[79:80]
	s_waitcnt vmcnt(8) lgkmcnt(0)
	v_fma_f64 v[79:80], v[93:94], v[83:84], v[79:80]
	s_waitcnt vmcnt(4)
	v_fma_f64 v[82:83], v[99:100], v[85:86], v[79:80]
	ds_read_b128 v[78:81], v78 offset:592
	s_waitcnt vmcnt(3) lgkmcnt(0)
	v_fma_f64 v[78:79], v[105:106], v[78:79], v[82:83]
	s_waitcnt vmcnt(2)
	v_fma_f64 v[78:79], v[101:102], v[80:81], v[78:79]
	s_waitcnt vmcnt(0)
	v_add_f64 v[78:79], v[103:104], -v[78:79]
	buffer_store_dword v79, off, s[0:3], 0 offset:124
	buffer_store_dword v78, off, s[0:3], 0 offset:120
	s_and_saveexec_b64 s[4:5], vcc
	s_cbranch_execz .LBB101_207
; %bb.206:
	buffer_load_dword v78, off, s[0:3], 0 offset:112
	buffer_load_dword v79, off, s[0:3], 0 offset:116
	v_mov_b32_e32 v80, 0
	buffer_store_dword v80, off, s[0:3], 0 offset:112
	buffer_store_dword v80, off, s[0:3], 0 offset:116
	s_waitcnt vmcnt(2)
	ds_write_b64 v77, v[78:79]
.LBB101_207:
	s_or_b64 exec, exec, s[4:5]
	s_waitcnt lgkmcnt(0)
	; wave barrier
	buffer_load_dword v87, off, s[0:3], 0 offset:120
	buffer_load_dword v88, off, s[0:3], 0 offset:124
	;; [unrolled: 1-line block ×21, first 2 shown]
	v_mov_b32_e32 v78, 0
	ds_read2_b64 v[79:82], v78 offset0:53 offset1:54
	ds_read2_b64 v[83:86], v78 offset0:55 offset1:56
	buffer_load_dword v104, off, s[0:3], 0 offset:204
	v_cmp_lt_u32_e32 vcc, 13, v0
	s_waitcnt vmcnt(20) lgkmcnt(1)
	v_fma_f64 v[79:80], v[87:88], v[79:80], 0
	s_waitcnt vmcnt(18)
	v_fma_f64 v[79:80], v[89:90], v[81:82], v[79:80]
	buffer_load_dword v88, off, s[0:3], 0 offset:212
	buffer_load_dword v89, off, s[0:3], 0 offset:232
	;; [unrolled: 1-line block ×7, first 2 shown]
	s_waitcnt vmcnt(23) lgkmcnt(0)
	v_fma_f64 v[79:80], v[91:92], v[83:84], v[79:80]
	s_waitcnt vmcnt(21)
	v_fma_f64 v[90:91], v[93:94], v[85:86], v[79:80]
	ds_read2_b64 v[79:82], v78 offset0:57 offset1:58
	ds_read2_b64 v[83:86], v78 offset0:59 offset1:60
	s_waitcnt vmcnt(19) lgkmcnt(1)
	v_fma_f64 v[79:80], v[95:96], v[79:80], v[90:91]
	buffer_load_dword v90, off, s[0:3], 0 offset:236
	s_waitcnt vmcnt(18)
	v_fma_f64 v[79:80], v[97:98], v[81:82], v[79:80]
	buffer_load_dword v92, off, s[0:3], 0 offset:244
	buffer_load_dword v93, off, s[0:3], 0 offset:264
	;; [unrolled: 1-line block ×8, first 2 shown]
	s_waitcnt vmcnt(24) lgkmcnt(0)
	v_fma_f64 v[79:80], v[99:100], v[83:84], v[79:80]
	s_waitcnt vmcnt(19)
	v_fma_f64 v[99:100], v[101:102], v[85:86], v[79:80]
	ds_read2_b64 v[79:82], v78 offset0:61 offset1:62
	ds_read2_b64 v[83:86], v78 offset0:63 offset1:64
	s_waitcnt vmcnt(18) lgkmcnt(1)
	v_fma_f64 v[79:80], v[107:108], v[79:80], v[99:100]
	s_waitcnt vmcnt(17)
	v_fma_f64 v[79:80], v[105:106], v[81:82], v[79:80]
	buffer_load_dword v100, off, s[0:3], 0 offset:276
	buffer_load_dword v101, off, s[0:3], 0 offset:296
	;; [unrolled: 1-line block ×8, first 2 shown]
	s_waitcnt vmcnt(24) lgkmcnt(0)
	v_fma_f64 v[79:80], v[103:104], v[83:84], v[79:80]
	s_waitcnt vmcnt(19)
	v_fma_f64 v[87:88], v[87:88], v[85:86], v[79:80]
	ds_read2_b64 v[79:82], v78 offset0:65 offset1:66
	ds_read2_b64 v[83:86], v78 offset0:67 offset1:68
	s_waitcnt vmcnt(18) lgkmcnt(1)
	v_fma_f64 v[79:80], v[111:112], v[79:80], v[87:88]
	buffer_load_dword v87, off, s[0:3], 0 offset:112
	buffer_load_dword v88, off, s[0:3], 0 offset:116
	s_waitcnt vmcnt(19)
	v_fma_f64 v[79:80], v[109:110], v[81:82], v[79:80]
	s_waitcnt vmcnt(18) lgkmcnt(0)
	v_fma_f64 v[79:80], v[89:90], v[83:84], v[79:80]
	s_waitcnt vmcnt(13)
	v_fma_f64 v[89:90], v[91:92], v[85:86], v[79:80]
	ds_read2_b64 v[79:82], v78 offset0:69 offset1:70
	ds_read2_b64 v[83:86], v78 offset0:71 offset1:72
	s_waitcnt vmcnt(12) lgkmcnt(1)
	v_fma_f64 v[79:80], v[97:98], v[79:80], v[89:90]
	s_waitcnt vmcnt(11)
	v_fma_f64 v[79:80], v[95:96], v[81:82], v[79:80]
	s_waitcnt vmcnt(10) lgkmcnt(0)
	v_fma_f64 v[79:80], v[93:94], v[83:84], v[79:80]
	s_waitcnt vmcnt(5)
	v_fma_f64 v[83:84], v[99:100], v[85:86], v[79:80]
	ds_read2_b64 v[79:82], v78 offset0:73 offset1:74
	ds_read_b64 v[85:86], v78 offset:600
	s_waitcnt vmcnt(4) lgkmcnt(1)
	v_fma_f64 v[79:80], v[107:108], v[79:80], v[83:84]
	s_waitcnt vmcnt(3)
	v_fma_f64 v[79:80], v[105:106], v[81:82], v[79:80]
	s_waitcnt vmcnt(2) lgkmcnt(0)
	v_fma_f64 v[79:80], v[101:102], v[85:86], v[79:80]
	s_waitcnt vmcnt(0)
	v_add_f64 v[79:80], v[87:88], -v[79:80]
	buffer_store_dword v80, off, s[0:3], 0 offset:116
	buffer_store_dword v79, off, s[0:3], 0 offset:112
	s_and_saveexec_b64 s[4:5], vcc
	s_cbranch_execz .LBB101_209
; %bb.208:
	buffer_load_dword v79, off, s[0:3], 0 offset:104
	buffer_load_dword v80, off, s[0:3], 0 offset:108
	s_waitcnt vmcnt(0)
	ds_write_b64 v77, v[79:80]
	buffer_store_dword v78, off, s[0:3], 0 offset:104
	buffer_store_dword v78, off, s[0:3], 0 offset:108
.LBB101_209:
	s_or_b64 exec, exec, s[4:5]
	s_waitcnt lgkmcnt(0)
	; wave barrier
	buffer_load_dword v87, off, s[0:3], 0 offset:112
	buffer_load_dword v88, off, s[0:3], 0 offset:116
	;; [unrolled: 1-line block ×21, first 2 shown]
	ds_read_b128 v[79:82], v78 offset:416
	ds_read_b128 v[83:86], v78 offset:432
	buffer_load_dword v104, off, s[0:3], 0 offset:196
	v_cmp_lt_u32_e32 vcc, 12, v0
	s_waitcnt vmcnt(20) lgkmcnt(1)
	v_fma_f64 v[79:80], v[87:88], v[79:80], 0
	s_waitcnt vmcnt(18)
	v_fma_f64 v[79:80], v[89:90], v[81:82], v[79:80]
	buffer_load_dword v88, off, s[0:3], 0 offset:204
	buffer_load_dword v89, off, s[0:3], 0 offset:224
	;; [unrolled: 1-line block ×7, first 2 shown]
	s_waitcnt vmcnt(23) lgkmcnt(0)
	v_fma_f64 v[79:80], v[91:92], v[83:84], v[79:80]
	s_waitcnt vmcnt(21)
	v_fma_f64 v[90:91], v[93:94], v[85:86], v[79:80]
	ds_read_b128 v[79:82], v78 offset:448
	ds_read_b128 v[83:86], v78 offset:464
	s_waitcnt vmcnt(19) lgkmcnt(1)
	v_fma_f64 v[79:80], v[95:96], v[79:80], v[90:91]
	buffer_load_dword v90, off, s[0:3], 0 offset:228
	s_waitcnt vmcnt(18)
	v_fma_f64 v[79:80], v[97:98], v[81:82], v[79:80]
	buffer_load_dword v92, off, s[0:3], 0 offset:236
	buffer_load_dword v93, off, s[0:3], 0 offset:256
	;; [unrolled: 1-line block ×8, first 2 shown]
	s_waitcnt vmcnt(24) lgkmcnt(0)
	v_fma_f64 v[79:80], v[99:100], v[83:84], v[79:80]
	s_waitcnt vmcnt(19)
	v_fma_f64 v[99:100], v[101:102], v[85:86], v[79:80]
	ds_read_b128 v[79:82], v78 offset:480
	ds_read_b128 v[83:86], v78 offset:496
	s_waitcnt vmcnt(18) lgkmcnt(1)
	v_fma_f64 v[79:80], v[107:108], v[79:80], v[99:100]
	s_waitcnt vmcnt(17)
	v_fma_f64 v[79:80], v[105:106], v[81:82], v[79:80]
	buffer_load_dword v100, off, s[0:3], 0 offset:268
	buffer_load_dword v101, off, s[0:3], 0 offset:288
	;; [unrolled: 1-line block ×8, first 2 shown]
	s_waitcnt vmcnt(24) lgkmcnt(0)
	v_fma_f64 v[79:80], v[103:104], v[83:84], v[79:80]
	s_waitcnt vmcnt(19)
	v_fma_f64 v[87:88], v[87:88], v[85:86], v[79:80]
	ds_read_b128 v[79:82], v78 offset:512
	ds_read_b128 v[83:86], v78 offset:528
	s_waitcnt vmcnt(18) lgkmcnt(1)
	v_fma_f64 v[79:80], v[111:112], v[79:80], v[87:88]
	buffer_load_dword v88, off, s[0:3], 0 offset:300
	buffer_load_dword v87, off, s[0:3], 0 offset:296
	;; [unrolled: 1-line block ×4, first 2 shown]
	s_waitcnt vmcnt(21)
	v_fma_f64 v[79:80], v[109:110], v[81:82], v[79:80]
	s_waitcnt vmcnt(20) lgkmcnt(0)
	v_fma_f64 v[79:80], v[89:90], v[83:84], v[79:80]
	s_waitcnt vmcnt(15)
	v_fma_f64 v[89:90], v[91:92], v[85:86], v[79:80]
	ds_read_b128 v[79:82], v78 offset:544
	ds_read_b128 v[83:86], v78 offset:560
	s_waitcnt vmcnt(14) lgkmcnt(1)
	v_fma_f64 v[79:80], v[97:98], v[79:80], v[89:90]
	s_waitcnt vmcnt(13)
	v_fma_f64 v[79:80], v[95:96], v[81:82], v[79:80]
	s_waitcnt vmcnt(12) lgkmcnt(0)
	v_fma_f64 v[79:80], v[93:94], v[83:84], v[79:80]
	s_waitcnt vmcnt(7)
	v_fma_f64 v[89:90], v[99:100], v[85:86], v[79:80]
	ds_read_b128 v[79:82], v78 offset:576
	ds_read_b128 v[83:86], v78 offset:592
	s_waitcnt vmcnt(6) lgkmcnt(1)
	v_fma_f64 v[78:79], v[107:108], v[79:80], v[89:90]
	s_waitcnt vmcnt(5)
	v_fma_f64 v[78:79], v[105:106], v[81:82], v[78:79]
	s_waitcnt vmcnt(4) lgkmcnt(0)
	v_fma_f64 v[78:79], v[101:102], v[83:84], v[78:79]
	s_waitcnt vmcnt(2)
	v_fma_f64 v[78:79], v[87:88], v[85:86], v[78:79]
	s_waitcnt vmcnt(0)
	v_add_f64 v[78:79], v[103:104], -v[78:79]
	buffer_store_dword v79, off, s[0:3], 0 offset:108
	buffer_store_dword v78, off, s[0:3], 0 offset:104
	s_and_saveexec_b64 s[4:5], vcc
	s_cbranch_execz .LBB101_211
; %bb.210:
	buffer_load_dword v78, off, s[0:3], 0 offset:96
	buffer_load_dword v79, off, s[0:3], 0 offset:100
	v_mov_b32_e32 v80, 0
	buffer_store_dword v80, off, s[0:3], 0 offset:96
	buffer_store_dword v80, off, s[0:3], 0 offset:100
	s_waitcnt vmcnt(2)
	ds_write_b64 v77, v[78:79]
.LBB101_211:
	s_or_b64 exec, exec, s[4:5]
	s_waitcnt lgkmcnt(0)
	; wave barrier
	buffer_load_dword v87, off, s[0:3], 0 offset:104
	buffer_load_dword v88, off, s[0:3], 0 offset:108
	;; [unrolled: 1-line block ×21, first 2 shown]
	v_mov_b32_e32 v78, 0
	ds_read2_b64 v[79:82], v78 offset0:51 offset1:52
	ds_read2_b64 v[83:86], v78 offset0:53 offset1:54
	buffer_load_dword v104, off, s[0:3], 0 offset:188
	v_cmp_lt_u32_e32 vcc, 11, v0
	s_waitcnt vmcnt(20) lgkmcnt(1)
	v_fma_f64 v[79:80], v[87:88], v[79:80], 0
	s_waitcnt vmcnt(18)
	v_fma_f64 v[79:80], v[89:90], v[81:82], v[79:80]
	buffer_load_dword v88, off, s[0:3], 0 offset:196
	buffer_load_dword v89, off, s[0:3], 0 offset:216
	;; [unrolled: 1-line block ×7, first 2 shown]
	s_waitcnt vmcnt(23) lgkmcnt(0)
	v_fma_f64 v[79:80], v[91:92], v[83:84], v[79:80]
	s_waitcnt vmcnt(21)
	v_fma_f64 v[90:91], v[93:94], v[85:86], v[79:80]
	ds_read2_b64 v[79:82], v78 offset0:55 offset1:56
	ds_read2_b64 v[83:86], v78 offset0:57 offset1:58
	s_waitcnt vmcnt(19) lgkmcnt(1)
	v_fma_f64 v[79:80], v[95:96], v[79:80], v[90:91]
	buffer_load_dword v90, off, s[0:3], 0 offset:220
	s_waitcnt vmcnt(18)
	v_fma_f64 v[79:80], v[97:98], v[81:82], v[79:80]
	buffer_load_dword v92, off, s[0:3], 0 offset:228
	buffer_load_dword v93, off, s[0:3], 0 offset:248
	;; [unrolled: 1-line block ×8, first 2 shown]
	s_waitcnt vmcnt(24) lgkmcnt(0)
	v_fma_f64 v[79:80], v[99:100], v[83:84], v[79:80]
	s_waitcnt vmcnt(19)
	v_fma_f64 v[99:100], v[101:102], v[85:86], v[79:80]
	ds_read2_b64 v[79:82], v78 offset0:59 offset1:60
	ds_read2_b64 v[83:86], v78 offset0:61 offset1:62
	s_waitcnt vmcnt(18) lgkmcnt(1)
	v_fma_f64 v[79:80], v[107:108], v[79:80], v[99:100]
	s_waitcnt vmcnt(17)
	v_fma_f64 v[79:80], v[105:106], v[81:82], v[79:80]
	buffer_load_dword v100, off, s[0:3], 0 offset:260
	buffer_load_dword v101, off, s[0:3], 0 offset:280
	;; [unrolled: 1-line block ×7, first 2 shown]
	s_waitcnt vmcnt(23) lgkmcnt(0)
	v_fma_f64 v[79:80], v[103:104], v[83:84], v[79:80]
	s_waitcnt vmcnt(18)
	v_fma_f64 v[87:88], v[87:88], v[85:86], v[79:80]
	ds_read2_b64 v[79:82], v78 offset0:63 offset1:64
	ds_read2_b64 v[83:86], v78 offset0:65 offset1:66
	buffer_load_dword v102, off, s[0:3], 0 offset:284
	s_waitcnt vmcnt(18) lgkmcnt(1)
	v_fma_f64 v[79:80], v[111:112], v[79:80], v[87:88]
	buffer_load_dword v88, off, s[0:3], 0 offset:292
	buffer_load_dword v103, off, s[0:3], 0 offset:296
	;; [unrolled: 1-line block ×4, first 2 shown]
	s_waitcnt vmcnt(21)
	v_fma_f64 v[79:80], v[109:110], v[81:82], v[79:80]
	s_waitcnt vmcnt(20) lgkmcnt(0)
	v_fma_f64 v[79:80], v[89:90], v[83:84], v[79:80]
	buffer_load_dword v89, off, s[0:3], 0 offset:96
	buffer_load_dword v90, off, s[0:3], 0 offset:100
	s_waitcnt vmcnt(17)
	v_fma_f64 v[91:92], v[91:92], v[85:86], v[79:80]
	ds_read2_b64 v[79:82], v78 offset0:67 offset1:68
	ds_read2_b64 v[83:86], v78 offset0:69 offset1:70
	s_waitcnt vmcnt(16) lgkmcnt(1)
	v_fma_f64 v[79:80], v[97:98], v[79:80], v[91:92]
	s_waitcnt vmcnt(15)
	v_fma_f64 v[79:80], v[95:96], v[81:82], v[79:80]
	s_waitcnt vmcnt(14) lgkmcnt(0)
	v_fma_f64 v[79:80], v[93:94], v[83:84], v[79:80]
	s_waitcnt vmcnt(9)
	v_fma_f64 v[91:92], v[99:100], v[85:86], v[79:80]
	ds_read2_b64 v[79:82], v78 offset0:71 offset1:72
	ds_read2_b64 v[83:86], v78 offset0:73 offset1:74
	s_waitcnt vmcnt(8) lgkmcnt(1)
	v_fma_f64 v[79:80], v[107:108], v[79:80], v[91:92]
	s_waitcnt vmcnt(7)
	v_fma_f64 v[79:80], v[105:106], v[81:82], v[79:80]
	ds_read_b64 v[81:82], v78 offset:600
	s_waitcnt vmcnt(6) lgkmcnt(1)
	v_fma_f64 v[79:80], v[101:102], v[83:84], v[79:80]
	s_waitcnt vmcnt(3)
	v_fma_f64 v[79:80], v[87:88], v[85:86], v[79:80]
	s_waitcnt vmcnt(2) lgkmcnt(0)
	v_fma_f64 v[79:80], v[103:104], v[81:82], v[79:80]
	s_waitcnt vmcnt(0)
	v_add_f64 v[79:80], v[89:90], -v[79:80]
	buffer_store_dword v80, off, s[0:3], 0 offset:100
	buffer_store_dword v79, off, s[0:3], 0 offset:96
	s_and_saveexec_b64 s[4:5], vcc
	s_cbranch_execz .LBB101_213
; %bb.212:
	buffer_load_dword v79, off, s[0:3], 0 offset:88
	buffer_load_dword v80, off, s[0:3], 0 offset:92
	s_waitcnt vmcnt(0)
	ds_write_b64 v77, v[79:80]
	buffer_store_dword v78, off, s[0:3], 0 offset:88
	buffer_store_dword v78, off, s[0:3], 0 offset:92
.LBB101_213:
	s_or_b64 exec, exec, s[4:5]
	s_waitcnt lgkmcnt(0)
	; wave barrier
	buffer_load_dword v87, off, s[0:3], 0 offset:96
	buffer_load_dword v88, off, s[0:3], 0 offset:100
	;; [unrolled: 1-line block ×22, first 2 shown]
	ds_read_b128 v[79:82], v78 offset:400
	ds_read_b128 v[83:86], v78 offset:416
	v_cmp_lt_u32_e32 vcc, 10, v0
	s_waitcnt vmcnt(20) lgkmcnt(1)
	v_fma_f64 v[79:80], v[87:88], v[79:80], 0
	s_waitcnt vmcnt(18)
	v_fma_f64 v[79:80], v[89:90], v[81:82], v[79:80]
	buffer_load_dword v88, off, s[0:3], 0 offset:188
	buffer_load_dword v89, off, s[0:3], 0 offset:208
	buffer_load_dword v109, off, s[0:3], 0 offset:200
	buffer_load_dword v111, off, s[0:3], 0 offset:192
	buffer_load_dword v87, off, s[0:3], 0 offset:184
	buffer_load_dword v112, off, s[0:3], 0 offset:196
	buffer_load_dword v110, off, s[0:3], 0 offset:204
	s_waitcnt vmcnt(23) lgkmcnt(0)
	v_fma_f64 v[79:80], v[91:92], v[83:84], v[79:80]
	s_waitcnt vmcnt(21)
	v_fma_f64 v[90:91], v[93:94], v[85:86], v[79:80]
	ds_read_b128 v[79:82], v78 offset:432
	ds_read_b128 v[83:86], v78 offset:448
	s_waitcnt vmcnt(19) lgkmcnt(1)
	v_fma_f64 v[79:80], v[95:96], v[79:80], v[90:91]
	buffer_load_dword v90, off, s[0:3], 0 offset:212
	s_waitcnt vmcnt(18)
	v_fma_f64 v[79:80], v[97:98], v[81:82], v[79:80]
	buffer_load_dword v92, off, s[0:3], 0 offset:220
	buffer_load_dword v93, off, s[0:3], 0 offset:240
	;; [unrolled: 1-line block ×8, first 2 shown]
	s_waitcnt vmcnt(24) lgkmcnt(0)
	v_fma_f64 v[79:80], v[99:100], v[83:84], v[79:80]
	s_waitcnt vmcnt(19)
	v_fma_f64 v[99:100], v[101:102], v[85:86], v[79:80]
	ds_read_b128 v[79:82], v78 offset:464
	ds_read_b128 v[83:86], v78 offset:480
	s_waitcnt vmcnt(18) lgkmcnt(1)
	v_fma_f64 v[79:80], v[107:108], v[79:80], v[99:100]
	s_waitcnt vmcnt(17)
	v_fma_f64 v[79:80], v[105:106], v[81:82], v[79:80]
	buffer_load_dword v100, off, s[0:3], 0 offset:252
	buffer_load_dword v101, off, s[0:3], 0 offset:272
	;; [unrolled: 1-line block ×8, first 2 shown]
	s_waitcnt vmcnt(24) lgkmcnt(0)
	v_fma_f64 v[79:80], v[103:104], v[83:84], v[79:80]
	s_waitcnt vmcnt(19)
	v_fma_f64 v[87:88], v[87:88], v[85:86], v[79:80]
	ds_read_b128 v[79:82], v78 offset:496
	ds_read_b128 v[83:86], v78 offset:512
	s_waitcnt vmcnt(18) lgkmcnt(1)
	v_fma_f64 v[79:80], v[111:112], v[79:80], v[87:88]
	s_waitcnt vmcnt(17)
	v_fma_f64 v[79:80], v[109:110], v[81:82], v[79:80]
	buffer_load_dword v88, off, s[0:3], 0 offset:284
	buffer_load_dword v103, off, s[0:3], 0 offset:296
	;; [unrolled: 1-line block ×6, first 2 shown]
	s_waitcnt vmcnt(22) lgkmcnt(0)
	v_fma_f64 v[79:80], v[89:90], v[83:84], v[79:80]
	s_waitcnt vmcnt(17)
	v_fma_f64 v[89:90], v[91:92], v[85:86], v[79:80]
	ds_read_b128 v[79:82], v78 offset:528
	buffer_load_dword v91, off, s[0:3], 0 offset:88
	buffer_load_dword v92, off, s[0:3], 0 offset:92
	ds_read_b128 v[83:86], v78 offset:544
	s_waitcnt vmcnt(18) lgkmcnt(1)
	v_fma_f64 v[79:80], v[97:98], v[79:80], v[89:90]
	s_waitcnt vmcnt(17)
	v_fma_f64 v[79:80], v[95:96], v[81:82], v[79:80]
	s_waitcnt vmcnt(16) lgkmcnt(0)
	v_fma_f64 v[79:80], v[93:94], v[83:84], v[79:80]
	s_waitcnt vmcnt(11)
	v_fma_f64 v[89:90], v[99:100], v[85:86], v[79:80]
	ds_read_b128 v[79:82], v78 offset:560
	ds_read_b128 v[83:86], v78 offset:576
	s_waitcnt vmcnt(10) lgkmcnt(1)
	v_fma_f64 v[79:80], v[107:108], v[79:80], v[89:90]
	s_waitcnt vmcnt(9)
	v_fma_f64 v[79:80], v[105:106], v[81:82], v[79:80]
	s_waitcnt vmcnt(8) lgkmcnt(0)
	v_fma_f64 v[79:80], v[101:102], v[83:84], v[79:80]
	s_waitcnt vmcnt(4)
	v_fma_f64 v[82:83], v[87:88], v[85:86], v[79:80]
	ds_read_b128 v[78:81], v78 offset:592
	s_waitcnt vmcnt(3) lgkmcnt(0)
	v_fma_f64 v[78:79], v[109:110], v[78:79], v[82:83]
	s_waitcnt vmcnt(2)
	v_fma_f64 v[78:79], v[103:104], v[80:81], v[78:79]
	s_waitcnt vmcnt(0)
	v_add_f64 v[78:79], v[91:92], -v[78:79]
	buffer_store_dword v79, off, s[0:3], 0 offset:92
	buffer_store_dword v78, off, s[0:3], 0 offset:88
	s_and_saveexec_b64 s[4:5], vcc
	s_cbranch_execz .LBB101_215
; %bb.214:
	buffer_load_dword v78, off, s[0:3], 0 offset:80
	buffer_load_dword v79, off, s[0:3], 0 offset:84
	v_mov_b32_e32 v80, 0
	buffer_store_dword v80, off, s[0:3], 0 offset:80
	buffer_store_dword v80, off, s[0:3], 0 offset:84
	s_waitcnt vmcnt(2)
	ds_write_b64 v77, v[78:79]
.LBB101_215:
	s_or_b64 exec, exec, s[4:5]
	s_waitcnt lgkmcnt(0)
	; wave barrier
	buffer_load_dword v87, off, s[0:3], 0 offset:88
	buffer_load_dword v88, off, s[0:3], 0 offset:92
	;; [unrolled: 1-line block ×22, first 2 shown]
	v_mov_b32_e32 v78, 0
	ds_read2_b64 v[79:82], v78 offset0:49 offset1:50
	ds_read2_b64 v[83:86], v78 offset0:51 offset1:52
	v_cmp_lt_u32_e32 vcc, 9, v0
	s_waitcnt vmcnt(20) lgkmcnt(1)
	v_fma_f64 v[79:80], v[87:88], v[79:80], 0
	s_waitcnt vmcnt(18)
	v_fma_f64 v[79:80], v[89:90], v[81:82], v[79:80]
	buffer_load_dword v88, off, s[0:3], 0 offset:180
	buffer_load_dword v89, off, s[0:3], 0 offset:200
	;; [unrolled: 1-line block ×7, first 2 shown]
	s_waitcnt vmcnt(23) lgkmcnt(0)
	v_fma_f64 v[79:80], v[91:92], v[83:84], v[79:80]
	s_waitcnt vmcnt(21)
	v_fma_f64 v[90:91], v[93:94], v[85:86], v[79:80]
	ds_read2_b64 v[79:82], v78 offset0:53 offset1:54
	ds_read2_b64 v[83:86], v78 offset0:55 offset1:56
	s_waitcnt vmcnt(19) lgkmcnt(1)
	v_fma_f64 v[79:80], v[95:96], v[79:80], v[90:91]
	buffer_load_dword v90, off, s[0:3], 0 offset:204
	s_waitcnt vmcnt(18)
	v_fma_f64 v[79:80], v[97:98], v[81:82], v[79:80]
	buffer_load_dword v92, off, s[0:3], 0 offset:212
	buffer_load_dword v93, off, s[0:3], 0 offset:232
	buffer_load_dword v95, off, s[0:3], 0 offset:224
	buffer_load_dword v97, off, s[0:3], 0 offset:216
	buffer_load_dword v91, off, s[0:3], 0 offset:208
	buffer_load_dword v98, off, s[0:3], 0 offset:220
	buffer_load_dword v96, off, s[0:3], 0 offset:228
	buffer_load_dword v94, off, s[0:3], 0 offset:236
	s_waitcnt vmcnt(24) lgkmcnt(0)
	v_fma_f64 v[79:80], v[99:100], v[83:84], v[79:80]
	s_waitcnt vmcnt(19)
	v_fma_f64 v[99:100], v[101:102], v[85:86], v[79:80]
	ds_read2_b64 v[79:82], v78 offset0:57 offset1:58
	ds_read2_b64 v[83:86], v78 offset0:59 offset1:60
	s_waitcnt vmcnt(18) lgkmcnt(1)
	v_fma_f64 v[79:80], v[107:108], v[79:80], v[99:100]
	s_waitcnt vmcnt(17)
	v_fma_f64 v[79:80], v[105:106], v[81:82], v[79:80]
	buffer_load_dword v100, off, s[0:3], 0 offset:244
	buffer_load_dword v101, off, s[0:3], 0 offset:264
	buffer_load_dword v105, off, s[0:3], 0 offset:256
	buffer_load_dword v107, off, s[0:3], 0 offset:248
	buffer_load_dword v99, off, s[0:3], 0 offset:240
	buffer_load_dword v108, off, s[0:3], 0 offset:252
	buffer_load_dword v106, off, s[0:3], 0 offset:260
	buffer_load_dword v102, off, s[0:3], 0 offset:268
	s_waitcnt vmcnt(24) lgkmcnt(0)
	v_fma_f64 v[79:80], v[103:104], v[83:84], v[79:80]
	s_waitcnt vmcnt(19)
	v_fma_f64 v[87:88], v[87:88], v[85:86], v[79:80]
	ds_read2_b64 v[79:82], v78 offset0:61 offset1:62
	ds_read2_b64 v[83:86], v78 offset0:63 offset1:64
	s_waitcnt vmcnt(18) lgkmcnt(1)
	v_fma_f64 v[79:80], v[111:112], v[79:80], v[87:88]
	;; [unrolled: 18-line block ×3, first 2 shown]
	buffer_load_dword v89, off, s[0:3], 0 offset:80
	buffer_load_dword v90, off, s[0:3], 0 offset:84
	s_waitcnt vmcnt(19)
	v_fma_f64 v[79:80], v[95:96], v[81:82], v[79:80]
	s_waitcnt vmcnt(18) lgkmcnt(0)
	v_fma_f64 v[79:80], v[93:94], v[83:84], v[79:80]
	s_waitcnt vmcnt(13)
	v_fma_f64 v[91:92], v[99:100], v[85:86], v[79:80]
	ds_read2_b64 v[79:82], v78 offset0:69 offset1:70
	ds_read2_b64 v[83:86], v78 offset0:71 offset1:72
	s_waitcnt vmcnt(12) lgkmcnt(1)
	v_fma_f64 v[79:80], v[107:108], v[79:80], v[91:92]
	s_waitcnt vmcnt(11)
	v_fma_f64 v[79:80], v[105:106], v[81:82], v[79:80]
	s_waitcnt vmcnt(10) lgkmcnt(0)
	v_fma_f64 v[79:80], v[101:102], v[83:84], v[79:80]
	s_waitcnt vmcnt(5)
	v_fma_f64 v[83:84], v[87:88], v[85:86], v[79:80]
	ds_read2_b64 v[79:82], v78 offset0:73 offset1:74
	ds_read_b64 v[85:86], v78 offset:600
	s_waitcnt vmcnt(4) lgkmcnt(1)
	v_fma_f64 v[79:80], v[111:112], v[79:80], v[83:84]
	s_waitcnt vmcnt(3)
	v_fma_f64 v[79:80], v[109:110], v[81:82], v[79:80]
	s_waitcnt vmcnt(2) lgkmcnt(0)
	v_fma_f64 v[79:80], v[103:104], v[85:86], v[79:80]
	s_waitcnt vmcnt(0)
	v_add_f64 v[79:80], v[89:90], -v[79:80]
	buffer_store_dword v80, off, s[0:3], 0 offset:84
	buffer_store_dword v79, off, s[0:3], 0 offset:80
	s_and_saveexec_b64 s[4:5], vcc
	s_cbranch_execz .LBB101_217
; %bb.216:
	buffer_load_dword v79, off, s[0:3], 0 offset:72
	buffer_load_dword v80, off, s[0:3], 0 offset:76
	s_waitcnt vmcnt(0)
	ds_write_b64 v77, v[79:80]
	buffer_store_dword v78, off, s[0:3], 0 offset:72
	buffer_store_dword v78, off, s[0:3], 0 offset:76
.LBB101_217:
	s_or_b64 exec, exec, s[4:5]
	s_waitcnt lgkmcnt(0)
	; wave barrier
	buffer_load_dword v87, off, s[0:3], 0 offset:80
	buffer_load_dword v88, off, s[0:3], 0 offset:84
	;; [unrolled: 1-line block ×22, first 2 shown]
	ds_read_b128 v[79:82], v78 offset:384
	ds_read_b128 v[83:86], v78 offset:400
	v_cmp_lt_u32_e32 vcc, 8, v0
	s_waitcnt vmcnt(20) lgkmcnt(1)
	v_fma_f64 v[79:80], v[87:88], v[79:80], 0
	s_waitcnt vmcnt(18)
	v_fma_f64 v[79:80], v[89:90], v[81:82], v[79:80]
	buffer_load_dword v88, off, s[0:3], 0 offset:172
	buffer_load_dword v89, off, s[0:3], 0 offset:192
	;; [unrolled: 1-line block ×7, first 2 shown]
	s_waitcnt vmcnt(23) lgkmcnt(0)
	v_fma_f64 v[79:80], v[91:92], v[83:84], v[79:80]
	s_waitcnt vmcnt(21)
	v_fma_f64 v[90:91], v[93:94], v[85:86], v[79:80]
	ds_read_b128 v[79:82], v78 offset:416
	ds_read_b128 v[83:86], v78 offset:432
	s_waitcnt vmcnt(19) lgkmcnt(1)
	v_fma_f64 v[79:80], v[95:96], v[79:80], v[90:91]
	buffer_load_dword v90, off, s[0:3], 0 offset:196
	s_waitcnt vmcnt(18)
	v_fma_f64 v[79:80], v[97:98], v[81:82], v[79:80]
	buffer_load_dword v92, off, s[0:3], 0 offset:204
	buffer_load_dword v93, off, s[0:3], 0 offset:224
	buffer_load_dword v95, off, s[0:3], 0 offset:216
	buffer_load_dword v97, off, s[0:3], 0 offset:208
	buffer_load_dword v91, off, s[0:3], 0 offset:200
	buffer_load_dword v98, off, s[0:3], 0 offset:212
	buffer_load_dword v96, off, s[0:3], 0 offset:220
	buffer_load_dword v94, off, s[0:3], 0 offset:228
	s_waitcnt vmcnt(24) lgkmcnt(0)
	v_fma_f64 v[79:80], v[99:100], v[83:84], v[79:80]
	s_waitcnt vmcnt(19)
	v_fma_f64 v[99:100], v[101:102], v[85:86], v[79:80]
	ds_read_b128 v[79:82], v78 offset:448
	ds_read_b128 v[83:86], v78 offset:464
	s_waitcnt vmcnt(18) lgkmcnt(1)
	v_fma_f64 v[79:80], v[107:108], v[79:80], v[99:100]
	s_waitcnt vmcnt(17)
	v_fma_f64 v[79:80], v[105:106], v[81:82], v[79:80]
	buffer_load_dword v100, off, s[0:3], 0 offset:236
	buffer_load_dword v101, off, s[0:3], 0 offset:256
	buffer_load_dword v105, off, s[0:3], 0 offset:248
	buffer_load_dword v107, off, s[0:3], 0 offset:240
	buffer_load_dword v99, off, s[0:3], 0 offset:232
	buffer_load_dword v108, off, s[0:3], 0 offset:244
	buffer_load_dword v106, off, s[0:3], 0 offset:252
	buffer_load_dword v102, off, s[0:3], 0 offset:260
	s_waitcnt vmcnt(24) lgkmcnt(0)
	v_fma_f64 v[79:80], v[103:104], v[83:84], v[79:80]
	s_waitcnt vmcnt(19)
	v_fma_f64 v[87:88], v[87:88], v[85:86], v[79:80]
	ds_read_b128 v[79:82], v78 offset:480
	ds_read_b128 v[83:86], v78 offset:496
	s_waitcnt vmcnt(18) lgkmcnt(1)
	v_fma_f64 v[79:80], v[111:112], v[79:80], v[87:88]
	;; [unrolled: 18-line block ×3, first 2 shown]
	buffer_load_dword v90, off, s[0:3], 0 offset:300
	buffer_load_dword v89, off, s[0:3], 0 offset:296
	;; [unrolled: 1-line block ×4, first 2 shown]
	s_waitcnt vmcnt(21)
	v_fma_f64 v[79:80], v[95:96], v[81:82], v[79:80]
	s_waitcnt vmcnt(20) lgkmcnt(0)
	v_fma_f64 v[79:80], v[93:94], v[83:84], v[79:80]
	s_waitcnt vmcnt(15)
	v_fma_f64 v[93:94], v[99:100], v[85:86], v[79:80]
	ds_read_b128 v[79:82], v78 offset:544
	ds_read_b128 v[83:86], v78 offset:560
	s_waitcnt vmcnt(14) lgkmcnt(1)
	v_fma_f64 v[79:80], v[107:108], v[79:80], v[93:94]
	s_waitcnt vmcnt(13)
	v_fma_f64 v[79:80], v[105:106], v[81:82], v[79:80]
	s_waitcnt vmcnt(12) lgkmcnt(0)
	v_fma_f64 v[79:80], v[101:102], v[83:84], v[79:80]
	s_waitcnt vmcnt(7)
	v_fma_f64 v[87:88], v[87:88], v[85:86], v[79:80]
	ds_read_b128 v[79:82], v78 offset:576
	ds_read_b128 v[83:86], v78 offset:592
	s_waitcnt vmcnt(6) lgkmcnt(1)
	v_fma_f64 v[78:79], v[111:112], v[79:80], v[87:88]
	s_waitcnt vmcnt(5)
	v_fma_f64 v[78:79], v[109:110], v[81:82], v[78:79]
	s_waitcnt vmcnt(4) lgkmcnt(0)
	v_fma_f64 v[78:79], v[103:104], v[83:84], v[78:79]
	s_waitcnt vmcnt(2)
	v_fma_f64 v[78:79], v[89:90], v[85:86], v[78:79]
	s_waitcnt vmcnt(0)
	v_add_f64 v[78:79], v[91:92], -v[78:79]
	buffer_store_dword v79, off, s[0:3], 0 offset:76
	buffer_store_dword v78, off, s[0:3], 0 offset:72
	s_and_saveexec_b64 s[4:5], vcc
	s_cbranch_execz .LBB101_219
; %bb.218:
	buffer_load_dword v78, off, s[0:3], 0 offset:64
	buffer_load_dword v79, off, s[0:3], 0 offset:68
	v_mov_b32_e32 v80, 0
	buffer_store_dword v80, off, s[0:3], 0 offset:64
	buffer_store_dword v80, off, s[0:3], 0 offset:68
	s_waitcnt vmcnt(2)
	ds_write_b64 v77, v[78:79]
.LBB101_219:
	s_or_b64 exec, exec, s[4:5]
	s_waitcnt lgkmcnt(0)
	; wave barrier
	buffer_load_dword v87, off, s[0:3], 0 offset:72
	buffer_load_dword v88, off, s[0:3], 0 offset:76
	;; [unrolled: 1-line block ×22, first 2 shown]
	v_mov_b32_e32 v78, 0
	ds_read2_b64 v[79:82], v78 offset0:47 offset1:48
	ds_read2_b64 v[83:86], v78 offset0:49 offset1:50
	v_cmp_lt_u32_e32 vcc, 7, v0
	s_waitcnt vmcnt(20) lgkmcnt(1)
	v_fma_f64 v[79:80], v[87:88], v[79:80], 0
	s_waitcnt vmcnt(18)
	v_fma_f64 v[79:80], v[89:90], v[81:82], v[79:80]
	buffer_load_dword v88, off, s[0:3], 0 offset:164
	buffer_load_dword v89, off, s[0:3], 0 offset:184
	;; [unrolled: 1-line block ×7, first 2 shown]
	s_waitcnt vmcnt(23) lgkmcnt(0)
	v_fma_f64 v[79:80], v[91:92], v[83:84], v[79:80]
	s_waitcnt vmcnt(21)
	v_fma_f64 v[90:91], v[93:94], v[85:86], v[79:80]
	ds_read2_b64 v[79:82], v78 offset0:51 offset1:52
	ds_read2_b64 v[83:86], v78 offset0:53 offset1:54
	s_waitcnt vmcnt(19) lgkmcnt(1)
	v_fma_f64 v[79:80], v[95:96], v[79:80], v[90:91]
	buffer_load_dword v90, off, s[0:3], 0 offset:188
	s_waitcnt vmcnt(18)
	v_fma_f64 v[79:80], v[97:98], v[81:82], v[79:80]
	buffer_load_dword v92, off, s[0:3], 0 offset:196
	buffer_load_dword v93, off, s[0:3], 0 offset:216
	;; [unrolled: 1-line block ×7, first 2 shown]
	s_waitcnt vmcnt(23) lgkmcnt(0)
	v_fma_f64 v[79:80], v[99:100], v[83:84], v[79:80]
	s_waitcnt vmcnt(18)
	v_fma_f64 v[99:100], v[101:102], v[85:86], v[79:80]
	ds_read2_b64 v[79:82], v78 offset0:55 offset1:56
	ds_read2_b64 v[83:86], v78 offset0:57 offset1:58
	buffer_load_dword v94, off, s[0:3], 0 offset:220
	s_waitcnt vmcnt(18) lgkmcnt(1)
	v_fma_f64 v[79:80], v[107:108], v[79:80], v[99:100]
	s_waitcnt vmcnt(17)
	v_fma_f64 v[79:80], v[105:106], v[81:82], v[79:80]
	buffer_load_dword v100, off, s[0:3], 0 offset:228
	buffer_load_dword v101, off, s[0:3], 0 offset:248
	;; [unrolled: 1-line block ×8, first 2 shown]
	s_waitcnt vmcnt(24) lgkmcnt(0)
	v_fma_f64 v[79:80], v[103:104], v[83:84], v[79:80]
	s_waitcnt vmcnt(19)
	v_fma_f64 v[87:88], v[87:88], v[85:86], v[79:80]
	ds_read2_b64 v[79:82], v78 offset0:59 offset1:60
	ds_read2_b64 v[83:86], v78 offset0:61 offset1:62
	s_waitcnt vmcnt(18) lgkmcnt(1)
	v_fma_f64 v[79:80], v[111:112], v[79:80], v[87:88]
	s_waitcnt vmcnt(17)
	v_fma_f64 v[79:80], v[109:110], v[81:82], v[79:80]
	buffer_load_dword v88, off, s[0:3], 0 offset:260
	buffer_load_dword v103, off, s[0:3], 0 offset:280
	;; [unrolled: 1-line block ×7, first 2 shown]
	s_waitcnt vmcnt(23) lgkmcnt(0)
	v_fma_f64 v[79:80], v[89:90], v[83:84], v[79:80]
	s_waitcnt vmcnt(18)
	v_fma_f64 v[89:90], v[91:92], v[85:86], v[79:80]
	ds_read2_b64 v[79:82], v78 offset0:63 offset1:64
	ds_read2_b64 v[83:86], v78 offset0:65 offset1:66
	buffer_load_dword v104, off, s[0:3], 0 offset:284
	s_waitcnt vmcnt(18) lgkmcnt(1)
	v_fma_f64 v[79:80], v[97:98], v[79:80], v[89:90]
	buffer_load_dword v90, off, s[0:3], 0 offset:292
	buffer_load_dword v91, off, s[0:3], 0 offset:296
	;; [unrolled: 1-line block ×4, first 2 shown]
	s_waitcnt vmcnt(21)
	v_fma_f64 v[79:80], v[95:96], v[81:82], v[79:80]
	s_waitcnt vmcnt(20) lgkmcnt(0)
	v_fma_f64 v[79:80], v[93:94], v[83:84], v[79:80]
	buffer_load_dword v93, off, s[0:3], 0 offset:64
	buffer_load_dword v94, off, s[0:3], 0 offset:68
	s_waitcnt vmcnt(17)
	v_fma_f64 v[95:96], v[99:100], v[85:86], v[79:80]
	ds_read2_b64 v[79:82], v78 offset0:67 offset1:68
	ds_read2_b64 v[83:86], v78 offset0:69 offset1:70
	s_waitcnt vmcnt(16) lgkmcnt(1)
	v_fma_f64 v[79:80], v[107:108], v[79:80], v[95:96]
	s_waitcnt vmcnt(15)
	v_fma_f64 v[79:80], v[105:106], v[81:82], v[79:80]
	s_waitcnt vmcnt(14) lgkmcnt(0)
	v_fma_f64 v[79:80], v[101:102], v[83:84], v[79:80]
	s_waitcnt vmcnt(9)
	v_fma_f64 v[87:88], v[87:88], v[85:86], v[79:80]
	ds_read2_b64 v[79:82], v78 offset0:71 offset1:72
	ds_read2_b64 v[83:86], v78 offset0:73 offset1:74
	s_waitcnt vmcnt(8) lgkmcnt(1)
	v_fma_f64 v[79:80], v[111:112], v[79:80], v[87:88]
	s_waitcnt vmcnt(7)
	v_fma_f64 v[79:80], v[109:110], v[81:82], v[79:80]
	ds_read_b64 v[81:82], v78 offset:600
	s_waitcnt vmcnt(6) lgkmcnt(1)
	v_fma_f64 v[79:80], v[103:104], v[83:84], v[79:80]
	s_waitcnt vmcnt(3)
	v_fma_f64 v[79:80], v[89:90], v[85:86], v[79:80]
	s_waitcnt vmcnt(2) lgkmcnt(0)
	v_fma_f64 v[79:80], v[91:92], v[81:82], v[79:80]
	s_waitcnt vmcnt(0)
	v_add_f64 v[79:80], v[93:94], -v[79:80]
	buffer_store_dword v80, off, s[0:3], 0 offset:68
	buffer_store_dword v79, off, s[0:3], 0 offset:64
	s_and_saveexec_b64 s[4:5], vcc
	s_cbranch_execz .LBB101_221
; %bb.220:
	buffer_load_dword v79, off, s[0:3], 0 offset:56
	buffer_load_dword v80, off, s[0:3], 0 offset:60
	s_waitcnt vmcnt(0)
	ds_write_b64 v77, v[79:80]
	buffer_store_dword v78, off, s[0:3], 0 offset:56
	buffer_store_dword v78, off, s[0:3], 0 offset:60
.LBB101_221:
	s_or_b64 exec, exec, s[4:5]
	s_waitcnt lgkmcnt(0)
	; wave barrier
	buffer_load_dword v87, off, s[0:3], 0 offset:64
	buffer_load_dword v88, off, s[0:3], 0 offset:68
	;; [unrolled: 1-line block ×22, first 2 shown]
	ds_read_b128 v[79:82], v78 offset:368
	ds_read_b128 v[83:86], v78 offset:384
	v_cmp_lt_u32_e32 vcc, 6, v0
	s_waitcnt vmcnt(20) lgkmcnt(1)
	v_fma_f64 v[79:80], v[87:88], v[79:80], 0
	s_waitcnt vmcnt(18)
	v_fma_f64 v[79:80], v[89:90], v[81:82], v[79:80]
	buffer_load_dword v88, off, s[0:3], 0 offset:156
	buffer_load_dword v89, off, s[0:3], 0 offset:176
	buffer_load_dword v109, off, s[0:3], 0 offset:168
	buffer_load_dword v111, off, s[0:3], 0 offset:160
	buffer_load_dword v87, off, s[0:3], 0 offset:152
	buffer_load_dword v112, off, s[0:3], 0 offset:164
	buffer_load_dword v110, off, s[0:3], 0 offset:172
	s_waitcnt vmcnt(23) lgkmcnt(0)
	v_fma_f64 v[79:80], v[91:92], v[83:84], v[79:80]
	s_waitcnt vmcnt(21)
	v_fma_f64 v[90:91], v[93:94], v[85:86], v[79:80]
	ds_read_b128 v[79:82], v78 offset:400
	ds_read_b128 v[83:86], v78 offset:416
	s_waitcnt vmcnt(19) lgkmcnt(1)
	v_fma_f64 v[79:80], v[95:96], v[79:80], v[90:91]
	buffer_load_dword v90, off, s[0:3], 0 offset:180
	s_waitcnt vmcnt(18)
	v_fma_f64 v[79:80], v[97:98], v[81:82], v[79:80]
	buffer_load_dword v92, off, s[0:3], 0 offset:188
	buffer_load_dword v93, off, s[0:3], 0 offset:208
	;; [unrolled: 1-line block ×7, first 2 shown]
	s_waitcnt vmcnt(23) lgkmcnt(0)
	v_fma_f64 v[79:80], v[99:100], v[83:84], v[79:80]
	s_waitcnt vmcnt(18)
	v_fma_f64 v[99:100], v[101:102], v[85:86], v[79:80]
	ds_read_b128 v[79:82], v78 offset:432
	ds_read_b128 v[83:86], v78 offset:448
	buffer_load_dword v94, off, s[0:3], 0 offset:212
	s_waitcnt vmcnt(18) lgkmcnt(1)
	v_fma_f64 v[79:80], v[107:108], v[79:80], v[99:100]
	s_waitcnt vmcnt(17)
	v_fma_f64 v[79:80], v[105:106], v[81:82], v[79:80]
	buffer_load_dword v100, off, s[0:3], 0 offset:220
	buffer_load_dword v101, off, s[0:3], 0 offset:240
	;; [unrolled: 1-line block ×8, first 2 shown]
	s_waitcnt vmcnt(24) lgkmcnt(0)
	v_fma_f64 v[79:80], v[103:104], v[83:84], v[79:80]
	s_waitcnt vmcnt(19)
	v_fma_f64 v[87:88], v[87:88], v[85:86], v[79:80]
	ds_read_b128 v[79:82], v78 offset:464
	ds_read_b128 v[83:86], v78 offset:480
	s_waitcnt vmcnt(18) lgkmcnt(1)
	v_fma_f64 v[79:80], v[111:112], v[79:80], v[87:88]
	s_waitcnt vmcnt(17)
	v_fma_f64 v[79:80], v[109:110], v[81:82], v[79:80]
	buffer_load_dword v88, off, s[0:3], 0 offset:252
	buffer_load_dword v103, off, s[0:3], 0 offset:272
	;; [unrolled: 1-line block ×8, first 2 shown]
	s_waitcnt vmcnt(24) lgkmcnt(0)
	v_fma_f64 v[79:80], v[89:90], v[83:84], v[79:80]
	s_waitcnt vmcnt(19)
	v_fma_f64 v[89:90], v[91:92], v[85:86], v[79:80]
	ds_read_b128 v[79:82], v78 offset:496
	ds_read_b128 v[83:86], v78 offset:512
	s_waitcnt vmcnt(18) lgkmcnt(1)
	v_fma_f64 v[79:80], v[97:98], v[79:80], v[89:90]
	s_waitcnt vmcnt(17)
	v_fma_f64 v[79:80], v[95:96], v[81:82], v[79:80]
	buffer_load_dword v90, off, s[0:3], 0 offset:284
	buffer_load_dword v91, off, s[0:3], 0 offset:296
	;; [unrolled: 1-line block ×6, first 2 shown]
	s_waitcnt vmcnt(22) lgkmcnt(0)
	v_fma_f64 v[79:80], v[93:94], v[83:84], v[79:80]
	s_waitcnt vmcnt(17)
	v_fma_f64 v[93:94], v[99:100], v[85:86], v[79:80]
	ds_read_b128 v[79:82], v78 offset:528
	buffer_load_dword v97, off, s[0:3], 0 offset:56
	buffer_load_dword v98, off, s[0:3], 0 offset:60
	ds_read_b128 v[83:86], v78 offset:544
	s_waitcnt vmcnt(18) lgkmcnt(1)
	v_fma_f64 v[79:80], v[107:108], v[79:80], v[93:94]
	s_waitcnt vmcnt(17)
	v_fma_f64 v[79:80], v[105:106], v[81:82], v[79:80]
	s_waitcnt vmcnt(16) lgkmcnt(0)
	v_fma_f64 v[79:80], v[101:102], v[83:84], v[79:80]
	s_waitcnt vmcnt(11)
	v_fma_f64 v[87:88], v[87:88], v[85:86], v[79:80]
	ds_read_b128 v[79:82], v78 offset:560
	ds_read_b128 v[83:86], v78 offset:576
	s_waitcnt vmcnt(10) lgkmcnt(1)
	v_fma_f64 v[79:80], v[111:112], v[79:80], v[87:88]
	s_waitcnt vmcnt(9)
	v_fma_f64 v[79:80], v[109:110], v[81:82], v[79:80]
	s_waitcnt vmcnt(8) lgkmcnt(0)
	v_fma_f64 v[79:80], v[103:104], v[83:84], v[79:80]
	s_waitcnt vmcnt(4)
	v_fma_f64 v[82:83], v[89:90], v[85:86], v[79:80]
	ds_read_b128 v[78:81], v78 offset:592
	s_waitcnt vmcnt(3) lgkmcnt(0)
	v_fma_f64 v[78:79], v[95:96], v[78:79], v[82:83]
	s_waitcnt vmcnt(2)
	v_fma_f64 v[78:79], v[91:92], v[80:81], v[78:79]
	s_waitcnt vmcnt(0)
	v_add_f64 v[78:79], v[97:98], -v[78:79]
	buffer_store_dword v79, off, s[0:3], 0 offset:60
	buffer_store_dword v78, off, s[0:3], 0 offset:56
	s_and_saveexec_b64 s[4:5], vcc
	s_cbranch_execz .LBB101_223
; %bb.222:
	buffer_load_dword v78, off, s[0:3], 0 offset:48
	buffer_load_dword v79, off, s[0:3], 0 offset:52
	v_mov_b32_e32 v80, 0
	buffer_store_dword v80, off, s[0:3], 0 offset:48
	buffer_store_dword v80, off, s[0:3], 0 offset:52
	s_waitcnt vmcnt(2)
	ds_write_b64 v77, v[78:79]
.LBB101_223:
	s_or_b64 exec, exec, s[4:5]
	s_waitcnt lgkmcnt(0)
	; wave barrier
	buffer_load_dword v87, off, s[0:3], 0 offset:56
	buffer_load_dword v88, off, s[0:3], 0 offset:60
	;; [unrolled: 1-line block ×22, first 2 shown]
	v_mov_b32_e32 v78, 0
	ds_read2_b64 v[79:82], v78 offset0:45 offset1:46
	ds_read2_b64 v[83:86], v78 offset0:47 offset1:48
	v_cmp_lt_u32_e32 vcc, 5, v0
	s_waitcnt vmcnt(20) lgkmcnt(1)
	v_fma_f64 v[79:80], v[87:88], v[79:80], 0
	s_waitcnt vmcnt(18)
	v_fma_f64 v[79:80], v[89:90], v[81:82], v[79:80]
	buffer_load_dword v88, off, s[0:3], 0 offset:148
	buffer_load_dword v89, off, s[0:3], 0 offset:168
	;; [unrolled: 1-line block ×7, first 2 shown]
	s_waitcnt vmcnt(23) lgkmcnt(0)
	v_fma_f64 v[79:80], v[91:92], v[83:84], v[79:80]
	s_waitcnt vmcnt(21)
	v_fma_f64 v[90:91], v[93:94], v[85:86], v[79:80]
	ds_read2_b64 v[79:82], v78 offset0:49 offset1:50
	ds_read2_b64 v[83:86], v78 offset0:51 offset1:52
	s_waitcnt vmcnt(19) lgkmcnt(1)
	v_fma_f64 v[79:80], v[95:96], v[79:80], v[90:91]
	buffer_load_dword v90, off, s[0:3], 0 offset:172
	s_waitcnt vmcnt(18)
	v_fma_f64 v[79:80], v[97:98], v[81:82], v[79:80]
	buffer_load_dword v92, off, s[0:3], 0 offset:180
	buffer_load_dword v93, off, s[0:3], 0 offset:200
	;; [unrolled: 1-line block ×7, first 2 shown]
	s_waitcnt vmcnt(23) lgkmcnt(0)
	v_fma_f64 v[79:80], v[99:100], v[83:84], v[79:80]
	s_waitcnt vmcnt(18)
	v_fma_f64 v[99:100], v[101:102], v[85:86], v[79:80]
	ds_read2_b64 v[79:82], v78 offset0:53 offset1:54
	ds_read2_b64 v[83:86], v78 offset0:55 offset1:56
	buffer_load_dword v94, off, s[0:3], 0 offset:204
	s_waitcnt vmcnt(18) lgkmcnt(1)
	v_fma_f64 v[79:80], v[107:108], v[79:80], v[99:100]
	s_waitcnt vmcnt(17)
	v_fma_f64 v[79:80], v[105:106], v[81:82], v[79:80]
	buffer_load_dword v100, off, s[0:3], 0 offset:212
	buffer_load_dword v101, off, s[0:3], 0 offset:232
	buffer_load_dword v105, off, s[0:3], 0 offset:224
	buffer_load_dword v107, off, s[0:3], 0 offset:216
	buffer_load_dword v99, off, s[0:3], 0 offset:208
	buffer_load_dword v108, off, s[0:3], 0 offset:220
	buffer_load_dword v106, off, s[0:3], 0 offset:228
	buffer_load_dword v102, off, s[0:3], 0 offset:236
	s_waitcnt vmcnt(24) lgkmcnt(0)
	v_fma_f64 v[79:80], v[103:104], v[83:84], v[79:80]
	s_waitcnt vmcnt(19)
	v_fma_f64 v[87:88], v[87:88], v[85:86], v[79:80]
	ds_read2_b64 v[79:82], v78 offset0:57 offset1:58
	ds_read2_b64 v[83:86], v78 offset0:59 offset1:60
	s_waitcnt vmcnt(18) lgkmcnt(1)
	v_fma_f64 v[79:80], v[111:112], v[79:80], v[87:88]
	s_waitcnt vmcnt(17)
	v_fma_f64 v[79:80], v[109:110], v[81:82], v[79:80]
	buffer_load_dword v88, off, s[0:3], 0 offset:244
	buffer_load_dword v103, off, s[0:3], 0 offset:264
	buffer_load_dword v109, off, s[0:3], 0 offset:256
	buffer_load_dword v111, off, s[0:3], 0 offset:248
	buffer_load_dword v87, off, s[0:3], 0 offset:240
	buffer_load_dword v112, off, s[0:3], 0 offset:252
	buffer_load_dword v110, off, s[0:3], 0 offset:260
	buffer_load_dword v104, off, s[0:3], 0 offset:268
	s_waitcnt vmcnt(24) lgkmcnt(0)
	v_fma_f64 v[79:80], v[89:90], v[83:84], v[79:80]
	s_waitcnt vmcnt(19)
	v_fma_f64 v[89:90], v[91:92], v[85:86], v[79:80]
	ds_read2_b64 v[79:82], v78 offset0:61 offset1:62
	ds_read2_b64 v[83:86], v78 offset0:63 offset1:64
	;; [unrolled: 18-line block ×3, first 2 shown]
	s_waitcnt vmcnt(18) lgkmcnt(1)
	v_fma_f64 v[79:80], v[107:108], v[79:80], v[93:94]
	buffer_load_dword v93, off, s[0:3], 0 offset:48
	buffer_load_dword v94, off, s[0:3], 0 offset:52
	s_waitcnt vmcnt(19)
	v_fma_f64 v[79:80], v[105:106], v[81:82], v[79:80]
	s_waitcnt vmcnt(18) lgkmcnt(0)
	v_fma_f64 v[79:80], v[101:102], v[83:84], v[79:80]
	s_waitcnt vmcnt(13)
	v_fma_f64 v[87:88], v[87:88], v[85:86], v[79:80]
	ds_read2_b64 v[79:82], v78 offset0:69 offset1:70
	ds_read2_b64 v[83:86], v78 offset0:71 offset1:72
	s_waitcnt vmcnt(12) lgkmcnt(1)
	v_fma_f64 v[79:80], v[111:112], v[79:80], v[87:88]
	s_waitcnt vmcnt(11)
	v_fma_f64 v[79:80], v[109:110], v[81:82], v[79:80]
	s_waitcnt vmcnt(10) lgkmcnt(0)
	v_fma_f64 v[79:80], v[103:104], v[83:84], v[79:80]
	s_waitcnt vmcnt(5)
	v_fma_f64 v[83:84], v[89:90], v[85:86], v[79:80]
	ds_read2_b64 v[79:82], v78 offset0:73 offset1:74
	ds_read_b64 v[85:86], v78 offset:600
	s_waitcnt vmcnt(4) lgkmcnt(1)
	v_fma_f64 v[79:80], v[97:98], v[79:80], v[83:84]
	s_waitcnt vmcnt(3)
	v_fma_f64 v[79:80], v[95:96], v[81:82], v[79:80]
	s_waitcnt vmcnt(2) lgkmcnt(0)
	v_fma_f64 v[79:80], v[91:92], v[85:86], v[79:80]
	s_waitcnt vmcnt(0)
	v_add_f64 v[79:80], v[93:94], -v[79:80]
	buffer_store_dword v80, off, s[0:3], 0 offset:52
	buffer_store_dword v79, off, s[0:3], 0 offset:48
	s_and_saveexec_b64 s[4:5], vcc
	s_cbranch_execz .LBB101_225
; %bb.224:
	buffer_load_dword v79, off, s[0:3], 0 offset:40
	buffer_load_dword v80, off, s[0:3], 0 offset:44
	s_waitcnt vmcnt(0)
	ds_write_b64 v77, v[79:80]
	buffer_store_dword v78, off, s[0:3], 0 offset:40
	buffer_store_dword v78, off, s[0:3], 0 offset:44
.LBB101_225:
	s_or_b64 exec, exec, s[4:5]
	s_waitcnt lgkmcnt(0)
	; wave barrier
	buffer_load_dword v87, off, s[0:3], 0 offset:48
	buffer_load_dword v88, off, s[0:3], 0 offset:52
	;; [unrolled: 1-line block ×22, first 2 shown]
	ds_read_b128 v[79:82], v78 offset:352
	ds_read_b128 v[83:86], v78 offset:368
	v_cmp_lt_u32_e32 vcc, 4, v0
	s_waitcnt vmcnt(20) lgkmcnt(1)
	v_fma_f64 v[79:80], v[87:88], v[79:80], 0
	s_waitcnt vmcnt(18)
	v_fma_f64 v[79:80], v[89:90], v[81:82], v[79:80]
	buffer_load_dword v88, off, s[0:3], 0 offset:140
	buffer_load_dword v89, off, s[0:3], 0 offset:160
	;; [unrolled: 1-line block ×7, first 2 shown]
	s_waitcnt vmcnt(23) lgkmcnt(0)
	v_fma_f64 v[79:80], v[91:92], v[83:84], v[79:80]
	s_waitcnt vmcnt(21)
	v_fma_f64 v[90:91], v[93:94], v[85:86], v[79:80]
	ds_read_b128 v[79:82], v78 offset:384
	ds_read_b128 v[83:86], v78 offset:400
	s_waitcnt vmcnt(19) lgkmcnt(1)
	v_fma_f64 v[79:80], v[95:96], v[79:80], v[90:91]
	buffer_load_dword v90, off, s[0:3], 0 offset:164
	s_waitcnt vmcnt(18)
	v_fma_f64 v[79:80], v[97:98], v[81:82], v[79:80]
	buffer_load_dword v92, off, s[0:3], 0 offset:172
	buffer_load_dword v93, off, s[0:3], 0 offset:192
	;; [unrolled: 1-line block ×7, first 2 shown]
	s_waitcnt vmcnt(23) lgkmcnt(0)
	v_fma_f64 v[79:80], v[99:100], v[83:84], v[79:80]
	s_waitcnt vmcnt(18)
	v_fma_f64 v[99:100], v[101:102], v[85:86], v[79:80]
	ds_read_b128 v[79:82], v78 offset:416
	ds_read_b128 v[83:86], v78 offset:432
	buffer_load_dword v94, off, s[0:3], 0 offset:196
	s_waitcnt vmcnt(18) lgkmcnt(1)
	v_fma_f64 v[79:80], v[107:108], v[79:80], v[99:100]
	s_waitcnt vmcnt(17)
	v_fma_f64 v[79:80], v[105:106], v[81:82], v[79:80]
	buffer_load_dword v100, off, s[0:3], 0 offset:204
	buffer_load_dword v101, off, s[0:3], 0 offset:224
	buffer_load_dword v105, off, s[0:3], 0 offset:216
	buffer_load_dword v107, off, s[0:3], 0 offset:208
	buffer_load_dword v99, off, s[0:3], 0 offset:200
	buffer_load_dword v108, off, s[0:3], 0 offset:212
	buffer_load_dword v106, off, s[0:3], 0 offset:220
	buffer_load_dword v102, off, s[0:3], 0 offset:228
	s_waitcnt vmcnt(24) lgkmcnt(0)
	v_fma_f64 v[79:80], v[103:104], v[83:84], v[79:80]
	s_waitcnt vmcnt(19)
	v_fma_f64 v[87:88], v[87:88], v[85:86], v[79:80]
	ds_read_b128 v[79:82], v78 offset:448
	ds_read_b128 v[83:86], v78 offset:464
	s_waitcnt vmcnt(18) lgkmcnt(1)
	v_fma_f64 v[79:80], v[111:112], v[79:80], v[87:88]
	s_waitcnt vmcnt(17)
	v_fma_f64 v[79:80], v[109:110], v[81:82], v[79:80]
	buffer_load_dword v88, off, s[0:3], 0 offset:236
	buffer_load_dword v103, off, s[0:3], 0 offset:256
	buffer_load_dword v109, off, s[0:3], 0 offset:248
	buffer_load_dword v111, off, s[0:3], 0 offset:240
	buffer_load_dword v87, off, s[0:3], 0 offset:232
	buffer_load_dword v112, off, s[0:3], 0 offset:244
	buffer_load_dword v110, off, s[0:3], 0 offset:252
	buffer_load_dword v104, off, s[0:3], 0 offset:260
	s_waitcnt vmcnt(24) lgkmcnt(0)
	v_fma_f64 v[79:80], v[89:90], v[83:84], v[79:80]
	s_waitcnt vmcnt(19)
	v_fma_f64 v[89:90], v[91:92], v[85:86], v[79:80]
	ds_read_b128 v[79:82], v78 offset:480
	ds_read_b128 v[83:86], v78 offset:496
	;; [unrolled: 18-line block ×3, first 2 shown]
	s_waitcnt vmcnt(18) lgkmcnt(1)
	v_fma_f64 v[79:80], v[107:108], v[79:80], v[93:94]
	buffer_load_dword v94, off, s[0:3], 0 offset:300
	buffer_load_dword v93, off, s[0:3], 0 offset:296
	;; [unrolled: 1-line block ×4, first 2 shown]
	s_waitcnt vmcnt(21)
	v_fma_f64 v[79:80], v[105:106], v[81:82], v[79:80]
	s_waitcnt vmcnt(20) lgkmcnt(0)
	v_fma_f64 v[79:80], v[101:102], v[83:84], v[79:80]
	s_waitcnt vmcnt(15)
	v_fma_f64 v[87:88], v[87:88], v[85:86], v[79:80]
	ds_read_b128 v[79:82], v78 offset:544
	ds_read_b128 v[83:86], v78 offset:560
	s_waitcnt vmcnt(14) lgkmcnt(1)
	v_fma_f64 v[79:80], v[111:112], v[79:80], v[87:88]
	s_waitcnt vmcnt(13)
	v_fma_f64 v[79:80], v[109:110], v[81:82], v[79:80]
	s_waitcnt vmcnt(12) lgkmcnt(0)
	v_fma_f64 v[79:80], v[103:104], v[83:84], v[79:80]
	s_waitcnt vmcnt(7)
	v_fma_f64 v[87:88], v[89:90], v[85:86], v[79:80]
	ds_read_b128 v[79:82], v78 offset:576
	ds_read_b128 v[83:86], v78 offset:592
	s_waitcnt vmcnt(6) lgkmcnt(1)
	v_fma_f64 v[78:79], v[97:98], v[79:80], v[87:88]
	s_waitcnt vmcnt(5)
	v_fma_f64 v[78:79], v[95:96], v[81:82], v[78:79]
	s_waitcnt vmcnt(4) lgkmcnt(0)
	v_fma_f64 v[78:79], v[91:92], v[83:84], v[78:79]
	s_waitcnt vmcnt(2)
	v_fma_f64 v[78:79], v[93:94], v[85:86], v[78:79]
	s_waitcnt vmcnt(0)
	v_add_f64 v[78:79], v[99:100], -v[78:79]
	buffer_store_dword v79, off, s[0:3], 0 offset:44
	buffer_store_dword v78, off, s[0:3], 0 offset:40
	s_and_saveexec_b64 s[4:5], vcc
	s_cbranch_execz .LBB101_227
; %bb.226:
	buffer_load_dword v78, off, s[0:3], 0 offset:32
	buffer_load_dword v79, off, s[0:3], 0 offset:36
	v_mov_b32_e32 v80, 0
	buffer_store_dword v80, off, s[0:3], 0 offset:32
	buffer_store_dword v80, off, s[0:3], 0 offset:36
	s_waitcnt vmcnt(2)
	ds_write_b64 v77, v[78:79]
.LBB101_227:
	s_or_b64 exec, exec, s[4:5]
	s_waitcnt lgkmcnt(0)
	; wave barrier
	buffer_load_dword v87, off, s[0:3], 0 offset:40
	buffer_load_dword v88, off, s[0:3], 0 offset:44
	;; [unrolled: 1-line block ×21, first 2 shown]
	v_mov_b32_e32 v78, 0
	ds_read2_b64 v[79:82], v78 offset0:43 offset1:44
	ds_read2_b64 v[83:86], v78 offset0:45 offset1:46
	buffer_load_dword v104, off, s[0:3], 0 offset:124
	v_cmp_lt_u32_e32 vcc, 3, v0
	s_waitcnt vmcnt(20) lgkmcnt(1)
	v_fma_f64 v[79:80], v[87:88], v[79:80], 0
	s_waitcnt vmcnt(18)
	v_fma_f64 v[79:80], v[89:90], v[81:82], v[79:80]
	buffer_load_dword v88, off, s[0:3], 0 offset:132
	buffer_load_dword v89, off, s[0:3], 0 offset:152
	;; [unrolled: 1-line block ×7, first 2 shown]
	s_waitcnt vmcnt(23) lgkmcnt(0)
	v_fma_f64 v[79:80], v[91:92], v[83:84], v[79:80]
	s_waitcnt vmcnt(21)
	v_fma_f64 v[90:91], v[93:94], v[85:86], v[79:80]
	ds_read2_b64 v[79:82], v78 offset0:47 offset1:48
	ds_read2_b64 v[83:86], v78 offset0:49 offset1:50
	s_waitcnt vmcnt(19) lgkmcnt(1)
	v_fma_f64 v[79:80], v[95:96], v[79:80], v[90:91]
	buffer_load_dword v90, off, s[0:3], 0 offset:156
	s_waitcnt vmcnt(18)
	v_fma_f64 v[79:80], v[97:98], v[81:82], v[79:80]
	buffer_load_dword v92, off, s[0:3], 0 offset:164
	buffer_load_dword v93, off, s[0:3], 0 offset:184
	;; [unrolled: 1-line block ×7, first 2 shown]
	s_waitcnt vmcnt(23) lgkmcnt(0)
	v_fma_f64 v[79:80], v[99:100], v[83:84], v[79:80]
	s_waitcnt vmcnt(18)
	v_fma_f64 v[99:100], v[101:102], v[85:86], v[79:80]
	ds_read2_b64 v[79:82], v78 offset0:51 offset1:52
	ds_read2_b64 v[83:86], v78 offset0:53 offset1:54
	buffer_load_dword v94, off, s[0:3], 0 offset:188
	s_waitcnt vmcnt(18) lgkmcnt(1)
	v_fma_f64 v[79:80], v[107:108], v[79:80], v[99:100]
	s_waitcnt vmcnt(17)
	v_fma_f64 v[79:80], v[105:106], v[81:82], v[79:80]
	buffer_load_dword v100, off, s[0:3], 0 offset:196
	buffer_load_dword v101, off, s[0:3], 0 offset:216
	buffer_load_dword v105, off, s[0:3], 0 offset:208
	buffer_load_dword v107, off, s[0:3], 0 offset:200
	buffer_load_dword v99, off, s[0:3], 0 offset:192
	buffer_load_dword v108, off, s[0:3], 0 offset:204
	buffer_load_dword v106, off, s[0:3], 0 offset:212
	s_waitcnt vmcnt(23) lgkmcnt(0)
	v_fma_f64 v[79:80], v[103:104], v[83:84], v[79:80]
	s_waitcnt vmcnt(18)
	v_fma_f64 v[87:88], v[87:88], v[85:86], v[79:80]
	ds_read2_b64 v[79:82], v78 offset0:55 offset1:56
	ds_read2_b64 v[83:86], v78 offset0:57 offset1:58
	buffer_load_dword v102, off, s[0:3], 0 offset:220
	s_waitcnt vmcnt(18) lgkmcnt(1)
	v_fma_f64 v[79:80], v[111:112], v[79:80], v[87:88]
	s_waitcnt vmcnt(17)
	v_fma_f64 v[79:80], v[109:110], v[81:82], v[79:80]
	buffer_load_dword v88, off, s[0:3], 0 offset:228
	buffer_load_dword v103, off, s[0:3], 0 offset:248
	;; [unrolled: 1-line block ×8, first 2 shown]
	s_waitcnt vmcnt(24) lgkmcnt(0)
	v_fma_f64 v[79:80], v[89:90], v[83:84], v[79:80]
	s_waitcnt vmcnt(19)
	v_fma_f64 v[89:90], v[91:92], v[85:86], v[79:80]
	ds_read2_b64 v[79:82], v78 offset0:59 offset1:60
	ds_read2_b64 v[83:86], v78 offset0:61 offset1:62
	s_waitcnt vmcnt(18) lgkmcnt(1)
	v_fma_f64 v[79:80], v[97:98], v[79:80], v[89:90]
	s_waitcnt vmcnt(17)
	v_fma_f64 v[79:80], v[95:96], v[81:82], v[79:80]
	buffer_load_dword v90, off, s[0:3], 0 offset:260
	buffer_load_dword v91, off, s[0:3], 0 offset:280
	buffer_load_dword v95, off, s[0:3], 0 offset:272
	buffer_load_dword v97, off, s[0:3], 0 offset:264
	buffer_load_dword v89, off, s[0:3], 0 offset:256
	buffer_load_dword v98, off, s[0:3], 0 offset:268
	buffer_load_dword v96, off, s[0:3], 0 offset:276
	s_waitcnt vmcnt(23) lgkmcnt(0)
	v_fma_f64 v[79:80], v[93:94], v[83:84], v[79:80]
	s_waitcnt vmcnt(18)
	v_fma_f64 v[92:93], v[99:100], v[85:86], v[79:80]
	ds_read2_b64 v[79:82], v78 offset0:63 offset1:64
	ds_read2_b64 v[83:86], v78 offset0:65 offset1:66
	s_waitcnt vmcnt(17) lgkmcnt(1)
	v_fma_f64 v[79:80], v[107:108], v[79:80], v[92:93]
	buffer_load_dword v92, off, s[0:3], 0 offset:284
	buffer_load_dword v94, off, s[0:3], 0 offset:292
	;; [unrolled: 1-line block ×5, first 2 shown]
	s_waitcnt vmcnt(21)
	v_fma_f64 v[79:80], v[105:106], v[81:82], v[79:80]
	s_waitcnt vmcnt(20) lgkmcnt(0)
	v_fma_f64 v[79:80], v[101:102], v[83:84], v[79:80]
	buffer_load_dword v101, off, s[0:3], 0 offset:32
	buffer_load_dword v102, off, s[0:3], 0 offset:36
	s_waitcnt vmcnt(17)
	v_fma_f64 v[87:88], v[87:88], v[85:86], v[79:80]
	ds_read2_b64 v[79:82], v78 offset0:67 offset1:68
	ds_read2_b64 v[83:86], v78 offset0:69 offset1:70
	s_waitcnt vmcnt(16) lgkmcnt(1)
	v_fma_f64 v[79:80], v[111:112], v[79:80], v[87:88]
	s_waitcnt vmcnt(15)
	v_fma_f64 v[79:80], v[109:110], v[81:82], v[79:80]
	s_waitcnt vmcnt(14) lgkmcnt(0)
	v_fma_f64 v[79:80], v[103:104], v[83:84], v[79:80]
	s_waitcnt vmcnt(9)
	v_fma_f64 v[87:88], v[89:90], v[85:86], v[79:80]
	ds_read2_b64 v[79:82], v78 offset0:71 offset1:72
	ds_read2_b64 v[83:86], v78 offset0:73 offset1:74
	s_waitcnt vmcnt(8) lgkmcnt(1)
	v_fma_f64 v[79:80], v[97:98], v[79:80], v[87:88]
	s_waitcnt vmcnt(7)
	v_fma_f64 v[79:80], v[95:96], v[81:82], v[79:80]
	ds_read_b64 v[81:82], v78 offset:600
	s_waitcnt vmcnt(6) lgkmcnt(1)
	v_fma_f64 v[79:80], v[91:92], v[83:84], v[79:80]
	s_waitcnt vmcnt(3)
	v_fma_f64 v[79:80], v[93:94], v[85:86], v[79:80]
	s_waitcnt vmcnt(2) lgkmcnt(0)
	v_fma_f64 v[79:80], v[99:100], v[81:82], v[79:80]
	s_waitcnt vmcnt(0)
	v_add_f64 v[79:80], v[101:102], -v[79:80]
	buffer_store_dword v80, off, s[0:3], 0 offset:36
	buffer_store_dword v79, off, s[0:3], 0 offset:32
	s_and_saveexec_b64 s[4:5], vcc
	s_cbranch_execz .LBB101_229
; %bb.228:
	buffer_load_dword v79, off, s[0:3], 0 offset:24
	buffer_load_dword v80, off, s[0:3], 0 offset:28
	s_waitcnt vmcnt(0)
	ds_write_b64 v77, v[79:80]
	buffer_store_dword v78, off, s[0:3], 0 offset:24
	buffer_store_dword v78, off, s[0:3], 0 offset:28
.LBB101_229:
	s_or_b64 exec, exec, s[4:5]
	s_waitcnt lgkmcnt(0)
	; wave barrier
	buffer_load_dword v87, off, s[0:3], 0 offset:32
	buffer_load_dword v88, off, s[0:3], 0 offset:36
	;; [unrolled: 1-line block ×21, first 2 shown]
	ds_read_b128 v[79:82], v78 offset:336
	ds_read_b128 v[83:86], v78 offset:352
	buffer_load_dword v104, off, s[0:3], 0 offset:116
	v_cmp_lt_u32_e32 vcc, 2, v0
	s_waitcnt vmcnt(20) lgkmcnt(1)
	v_fma_f64 v[79:80], v[87:88], v[79:80], 0
	s_waitcnt vmcnt(18)
	v_fma_f64 v[79:80], v[89:90], v[81:82], v[79:80]
	buffer_load_dword v88, off, s[0:3], 0 offset:124
	buffer_load_dword v89, off, s[0:3], 0 offset:144
	;; [unrolled: 1-line block ×7, first 2 shown]
	s_waitcnt vmcnt(23) lgkmcnt(0)
	v_fma_f64 v[79:80], v[91:92], v[83:84], v[79:80]
	s_waitcnt vmcnt(21)
	v_fma_f64 v[90:91], v[93:94], v[85:86], v[79:80]
	ds_read_b128 v[79:82], v78 offset:368
	ds_read_b128 v[83:86], v78 offset:384
	s_waitcnt vmcnt(19) lgkmcnt(1)
	v_fma_f64 v[79:80], v[95:96], v[79:80], v[90:91]
	buffer_load_dword v90, off, s[0:3], 0 offset:148
	s_waitcnt vmcnt(18)
	v_fma_f64 v[79:80], v[97:98], v[81:82], v[79:80]
	buffer_load_dword v92, off, s[0:3], 0 offset:156
	buffer_load_dword v93, off, s[0:3], 0 offset:176
	;; [unrolled: 1-line block ×8, first 2 shown]
	s_waitcnt vmcnt(24) lgkmcnt(0)
	v_fma_f64 v[79:80], v[99:100], v[83:84], v[79:80]
	s_waitcnt vmcnt(19)
	v_fma_f64 v[99:100], v[101:102], v[85:86], v[79:80]
	ds_read_b128 v[79:82], v78 offset:400
	ds_read_b128 v[83:86], v78 offset:416
	s_waitcnt vmcnt(18) lgkmcnt(1)
	v_fma_f64 v[79:80], v[107:108], v[79:80], v[99:100]
	s_waitcnt vmcnt(17)
	v_fma_f64 v[79:80], v[105:106], v[81:82], v[79:80]
	buffer_load_dword v100, off, s[0:3], 0 offset:188
	buffer_load_dword v101, off, s[0:3], 0 offset:208
	buffer_load_dword v105, off, s[0:3], 0 offset:200
	buffer_load_dword v107, off, s[0:3], 0 offset:192
	buffer_load_dword v99, off, s[0:3], 0 offset:184
	buffer_load_dword v108, off, s[0:3], 0 offset:196
	buffer_load_dword v106, off, s[0:3], 0 offset:204
	s_waitcnt vmcnt(23) lgkmcnt(0)
	v_fma_f64 v[79:80], v[103:104], v[83:84], v[79:80]
	s_waitcnt vmcnt(18)
	v_fma_f64 v[87:88], v[87:88], v[85:86], v[79:80]
	ds_read_b128 v[79:82], v78 offset:432
	ds_read_b128 v[83:86], v78 offset:448
	buffer_load_dword v102, off, s[0:3], 0 offset:212
	s_waitcnt vmcnt(18) lgkmcnt(1)
	v_fma_f64 v[79:80], v[111:112], v[79:80], v[87:88]
	s_waitcnt vmcnt(17)
	v_fma_f64 v[79:80], v[109:110], v[81:82], v[79:80]
	buffer_load_dword v88, off, s[0:3], 0 offset:220
	buffer_load_dword v103, off, s[0:3], 0 offset:240
	buffer_load_dword v109, off, s[0:3], 0 offset:232
	buffer_load_dword v111, off, s[0:3], 0 offset:224
	buffer_load_dword v87, off, s[0:3], 0 offset:216
	buffer_load_dword v112, off, s[0:3], 0 offset:228
	buffer_load_dword v110, off, s[0:3], 0 offset:236
	buffer_load_dword v104, off, s[0:3], 0 offset:244
	s_waitcnt vmcnt(24) lgkmcnt(0)
	v_fma_f64 v[79:80], v[89:90], v[83:84], v[79:80]
	s_waitcnt vmcnt(19)
	v_fma_f64 v[89:90], v[91:92], v[85:86], v[79:80]
	ds_read_b128 v[79:82], v78 offset:464
	ds_read_b128 v[83:86], v78 offset:480
	s_waitcnt vmcnt(18) lgkmcnt(1)
	v_fma_f64 v[79:80], v[97:98], v[79:80], v[89:90]
	s_waitcnt vmcnt(17)
	v_fma_f64 v[79:80], v[95:96], v[81:82], v[79:80]
	buffer_load_dword v90, off, s[0:3], 0 offset:252
	buffer_load_dword v91, off, s[0:3], 0 offset:272
	buffer_load_dword v95, off, s[0:3], 0 offset:264
	buffer_load_dword v97, off, s[0:3], 0 offset:256
	buffer_load_dword v89, off, s[0:3], 0 offset:248
	buffer_load_dword v98, off, s[0:3], 0 offset:260
	buffer_load_dword v96, off, s[0:3], 0 offset:268
	s_waitcnt vmcnt(23) lgkmcnt(0)
	v_fma_f64 v[79:80], v[93:94], v[83:84], v[79:80]
	s_waitcnt vmcnt(18)
	v_fma_f64 v[92:93], v[99:100], v[85:86], v[79:80]
	ds_read_b128 v[79:82], v78 offset:496
	ds_read_b128 v[83:86], v78 offset:512
	s_waitcnt vmcnt(17) lgkmcnt(1)
	v_fma_f64 v[79:80], v[107:108], v[79:80], v[92:93]
	buffer_load_dword v92, off, s[0:3], 0 offset:276
	s_waitcnt vmcnt(17)
	v_fma_f64 v[79:80], v[105:106], v[81:82], v[79:80]
	buffer_load_dword v94, off, s[0:3], 0 offset:284
	buffer_load_dword v99, off, s[0:3], 0 offset:296
	buffer_load_dword v105, off, s[0:3], 0 offset:288
	buffer_load_dword v93, off, s[0:3], 0 offset:280
	buffer_load_dword v106, off, s[0:3], 0 offset:292
	buffer_load_dword v100, off, s[0:3], 0 offset:300
	s_waitcnt vmcnt(22) lgkmcnt(0)
	v_fma_f64 v[79:80], v[101:102], v[83:84], v[79:80]
	s_waitcnt vmcnt(17)
	v_fma_f64 v[87:88], v[87:88], v[85:86], v[79:80]
	ds_read_b128 v[79:82], v78 offset:528
	buffer_load_dword v101, off, s[0:3], 0 offset:24
	buffer_load_dword v102, off, s[0:3], 0 offset:28
	ds_read_b128 v[83:86], v78 offset:544
	s_waitcnt vmcnt(18) lgkmcnt(1)
	v_fma_f64 v[79:80], v[111:112], v[79:80], v[87:88]
	s_waitcnt vmcnt(17)
	v_fma_f64 v[79:80], v[109:110], v[81:82], v[79:80]
	s_waitcnt vmcnt(16) lgkmcnt(0)
	v_fma_f64 v[79:80], v[103:104], v[83:84], v[79:80]
	s_waitcnt vmcnt(11)
	v_fma_f64 v[87:88], v[89:90], v[85:86], v[79:80]
	ds_read_b128 v[79:82], v78 offset:560
	ds_read_b128 v[83:86], v78 offset:576
	s_waitcnt vmcnt(10) lgkmcnt(1)
	v_fma_f64 v[79:80], v[97:98], v[79:80], v[87:88]
	s_waitcnt vmcnt(9)
	v_fma_f64 v[79:80], v[95:96], v[81:82], v[79:80]
	s_waitcnt vmcnt(8) lgkmcnt(0)
	v_fma_f64 v[79:80], v[91:92], v[83:84], v[79:80]
	s_waitcnt vmcnt(4)
	v_fma_f64 v[82:83], v[93:94], v[85:86], v[79:80]
	ds_read_b128 v[78:81], v78 offset:592
	s_waitcnt vmcnt(3) lgkmcnt(0)
	v_fma_f64 v[78:79], v[105:106], v[78:79], v[82:83]
	s_waitcnt vmcnt(2)
	v_fma_f64 v[78:79], v[99:100], v[80:81], v[78:79]
	s_waitcnt vmcnt(0)
	v_add_f64 v[78:79], v[101:102], -v[78:79]
	buffer_store_dword v79, off, s[0:3], 0 offset:28
	buffer_store_dword v78, off, s[0:3], 0 offset:24
	s_and_saveexec_b64 s[4:5], vcc
	s_cbranch_execz .LBB101_231
; %bb.230:
	buffer_load_dword v78, off, s[0:3], 0 offset:16
	buffer_load_dword v79, off, s[0:3], 0 offset:20
	v_mov_b32_e32 v80, 0
	buffer_store_dword v80, off, s[0:3], 0 offset:16
	buffer_store_dword v80, off, s[0:3], 0 offset:20
	s_waitcnt vmcnt(2)
	ds_write_b64 v77, v[78:79]
.LBB101_231:
	s_or_b64 exec, exec, s[4:5]
	s_waitcnt lgkmcnt(0)
	; wave barrier
	buffer_load_dword v87, off, s[0:3], 0 offset:24
	buffer_load_dword v88, off, s[0:3], 0 offset:28
	;; [unrolled: 1-line block ×21, first 2 shown]
	v_mov_b32_e32 v78, 0
	ds_read2_b64 v[79:82], v78 offset0:41 offset1:42
	ds_read2_b64 v[83:86], v78 offset0:43 offset1:44
	buffer_load_dword v104, off, s[0:3], 0 offset:108
	v_cmp_lt_u32_e32 vcc, 1, v0
	s_waitcnt vmcnt(20) lgkmcnt(1)
	v_fma_f64 v[79:80], v[87:88], v[79:80], 0
	s_waitcnt vmcnt(18)
	v_fma_f64 v[79:80], v[89:90], v[81:82], v[79:80]
	buffer_load_dword v88, off, s[0:3], 0 offset:116
	buffer_load_dword v89, off, s[0:3], 0 offset:136
	;; [unrolled: 1-line block ×7, first 2 shown]
	s_waitcnt vmcnt(23) lgkmcnt(0)
	v_fma_f64 v[79:80], v[91:92], v[83:84], v[79:80]
	s_waitcnt vmcnt(21)
	v_fma_f64 v[90:91], v[93:94], v[85:86], v[79:80]
	ds_read2_b64 v[79:82], v78 offset0:45 offset1:46
	ds_read2_b64 v[83:86], v78 offset0:47 offset1:48
	s_waitcnt vmcnt(19) lgkmcnt(1)
	v_fma_f64 v[79:80], v[95:96], v[79:80], v[90:91]
	buffer_load_dword v90, off, s[0:3], 0 offset:140
	s_waitcnt vmcnt(18)
	v_fma_f64 v[79:80], v[97:98], v[81:82], v[79:80]
	buffer_load_dword v92, off, s[0:3], 0 offset:148
	buffer_load_dword v93, off, s[0:3], 0 offset:168
	buffer_load_dword v95, off, s[0:3], 0 offset:160
	buffer_load_dword v97, off, s[0:3], 0 offset:152
	buffer_load_dword v91, off, s[0:3], 0 offset:144
	buffer_load_dword v98, off, s[0:3], 0 offset:156
	buffer_load_dword v96, off, s[0:3], 0 offset:164
	buffer_load_dword v94, off, s[0:3], 0 offset:172
	s_waitcnt vmcnt(24) lgkmcnt(0)
	v_fma_f64 v[79:80], v[99:100], v[83:84], v[79:80]
	s_waitcnt vmcnt(19)
	v_fma_f64 v[99:100], v[101:102], v[85:86], v[79:80]
	ds_read2_b64 v[79:82], v78 offset0:49 offset1:50
	ds_read2_b64 v[83:86], v78 offset0:51 offset1:52
	s_waitcnt vmcnt(18) lgkmcnt(1)
	v_fma_f64 v[79:80], v[107:108], v[79:80], v[99:100]
	s_waitcnt vmcnt(17)
	v_fma_f64 v[79:80], v[105:106], v[81:82], v[79:80]
	buffer_load_dword v100, off, s[0:3], 0 offset:180
	buffer_load_dword v101, off, s[0:3], 0 offset:200
	;; [unrolled: 1-line block ×7, first 2 shown]
	s_waitcnt vmcnt(23) lgkmcnt(0)
	v_fma_f64 v[79:80], v[103:104], v[83:84], v[79:80]
	s_waitcnt vmcnt(18)
	v_fma_f64 v[87:88], v[87:88], v[85:86], v[79:80]
	ds_read2_b64 v[79:82], v78 offset0:53 offset1:54
	ds_read2_b64 v[83:86], v78 offset0:55 offset1:56
	buffer_load_dword v102, off, s[0:3], 0 offset:204
	s_waitcnt vmcnt(18) lgkmcnt(1)
	v_fma_f64 v[79:80], v[111:112], v[79:80], v[87:88]
	s_waitcnt vmcnt(17)
	v_fma_f64 v[79:80], v[109:110], v[81:82], v[79:80]
	buffer_load_dword v88, off, s[0:3], 0 offset:212
	buffer_load_dword v103, off, s[0:3], 0 offset:232
	buffer_load_dword v109, off, s[0:3], 0 offset:224
	buffer_load_dword v111, off, s[0:3], 0 offset:216
	buffer_load_dword v87, off, s[0:3], 0 offset:208
	buffer_load_dword v112, off, s[0:3], 0 offset:220
	buffer_load_dword v110, off, s[0:3], 0 offset:228
	buffer_load_dword v104, off, s[0:3], 0 offset:236
	s_waitcnt vmcnt(24) lgkmcnt(0)
	v_fma_f64 v[79:80], v[89:90], v[83:84], v[79:80]
	s_waitcnt vmcnt(19)
	v_fma_f64 v[89:90], v[91:92], v[85:86], v[79:80]
	ds_read2_b64 v[79:82], v78 offset0:57 offset1:58
	ds_read2_b64 v[83:86], v78 offset0:59 offset1:60
	s_waitcnt vmcnt(18) lgkmcnt(1)
	v_fma_f64 v[79:80], v[97:98], v[79:80], v[89:90]
	s_waitcnt vmcnt(17)
	v_fma_f64 v[79:80], v[95:96], v[81:82], v[79:80]
	buffer_load_dword v90, off, s[0:3], 0 offset:244
	buffer_load_dword v91, off, s[0:3], 0 offset:264
	;; [unrolled: 1-line block ×7, first 2 shown]
	s_waitcnt vmcnt(23) lgkmcnt(0)
	v_fma_f64 v[79:80], v[93:94], v[83:84], v[79:80]
	s_waitcnt vmcnt(18)
	v_fma_f64 v[92:93], v[99:100], v[85:86], v[79:80]
	ds_read2_b64 v[79:82], v78 offset0:61 offset1:62
	ds_read2_b64 v[83:86], v78 offset0:63 offset1:64
	s_waitcnt vmcnt(17) lgkmcnt(1)
	v_fma_f64 v[79:80], v[107:108], v[79:80], v[92:93]
	buffer_load_dword v92, off, s[0:3], 0 offset:268
	s_waitcnt vmcnt(17)
	v_fma_f64 v[79:80], v[105:106], v[81:82], v[79:80]
	buffer_load_dword v94, off, s[0:3], 0 offset:276
	buffer_load_dword v99, off, s[0:3], 0 offset:296
	;; [unrolled: 1-line block ×8, first 2 shown]
	s_waitcnt vmcnt(24) lgkmcnt(0)
	v_fma_f64 v[79:80], v[101:102], v[83:84], v[79:80]
	s_waitcnt vmcnt(19)
	v_fma_f64 v[87:88], v[87:88], v[85:86], v[79:80]
	ds_read2_b64 v[79:82], v78 offset0:65 offset1:66
	ds_read2_b64 v[83:86], v78 offset0:67 offset1:68
	s_waitcnt vmcnt(18) lgkmcnt(1)
	v_fma_f64 v[79:80], v[111:112], v[79:80], v[87:88]
	buffer_load_dword v87, off, s[0:3], 0 offset:16
	buffer_load_dword v88, off, s[0:3], 0 offset:20
	s_waitcnt vmcnt(19)
	v_fma_f64 v[79:80], v[109:110], v[81:82], v[79:80]
	s_waitcnt vmcnt(18) lgkmcnt(0)
	v_fma_f64 v[79:80], v[103:104], v[83:84], v[79:80]
	s_waitcnt vmcnt(13)
	v_fma_f64 v[89:90], v[89:90], v[85:86], v[79:80]
	ds_read2_b64 v[79:82], v78 offset0:69 offset1:70
	ds_read2_b64 v[83:86], v78 offset0:71 offset1:72
	s_waitcnt vmcnt(12) lgkmcnt(1)
	v_fma_f64 v[79:80], v[97:98], v[79:80], v[89:90]
	s_waitcnt vmcnt(11)
	v_fma_f64 v[79:80], v[95:96], v[81:82], v[79:80]
	s_waitcnt vmcnt(10) lgkmcnt(0)
	v_fma_f64 v[79:80], v[91:92], v[83:84], v[79:80]
	s_waitcnt vmcnt(5)
	v_fma_f64 v[83:84], v[93:94], v[85:86], v[79:80]
	ds_read2_b64 v[79:82], v78 offset0:73 offset1:74
	ds_read_b64 v[85:86], v78 offset:600
	s_waitcnt vmcnt(4) lgkmcnt(1)
	v_fma_f64 v[79:80], v[107:108], v[79:80], v[83:84]
	s_waitcnt vmcnt(3)
	v_fma_f64 v[79:80], v[105:106], v[81:82], v[79:80]
	s_waitcnt vmcnt(2) lgkmcnt(0)
	v_fma_f64 v[79:80], v[99:100], v[85:86], v[79:80]
	s_waitcnt vmcnt(0)
	v_add_f64 v[79:80], v[87:88], -v[79:80]
	buffer_store_dword v80, off, s[0:3], 0 offset:20
	buffer_store_dword v79, off, s[0:3], 0 offset:16
	s_and_saveexec_b64 s[4:5], vcc
	s_cbranch_execz .LBB101_233
; %bb.232:
	buffer_load_dword v79, off, s[0:3], 0 offset:8
	buffer_load_dword v80, off, s[0:3], 0 offset:12
	s_waitcnt vmcnt(0)
	ds_write_b64 v77, v[79:80]
	buffer_store_dword v78, off, s[0:3], 0 offset:8
	buffer_store_dword v78, off, s[0:3], 0 offset:12
.LBB101_233:
	s_or_b64 exec, exec, s[4:5]
	s_waitcnt lgkmcnt(0)
	; wave barrier
	buffer_load_dword v87, off, s[0:3], 0 offset:16
	buffer_load_dword v88, off, s[0:3], 0 offset:20
	;; [unrolled: 1-line block ×21, first 2 shown]
	ds_read_b128 v[79:82], v78 offset:320
	ds_read_b128 v[83:86], v78 offset:336
	buffer_load_dword v104, off, s[0:3], 0 offset:100
	v_cmp_ne_u32_e32 vcc, 0, v0
	s_waitcnt vmcnt(20) lgkmcnt(1)
	v_fma_f64 v[79:80], v[87:88], v[79:80], 0
	s_waitcnt vmcnt(18)
	v_fma_f64 v[79:80], v[89:90], v[81:82], v[79:80]
	buffer_load_dword v88, off, s[0:3], 0 offset:108
	buffer_load_dword v89, off, s[0:3], 0 offset:128
	;; [unrolled: 1-line block ×7, first 2 shown]
	s_waitcnt vmcnt(23) lgkmcnt(0)
	v_fma_f64 v[79:80], v[91:92], v[83:84], v[79:80]
	s_waitcnt vmcnt(21)
	v_fma_f64 v[90:91], v[93:94], v[85:86], v[79:80]
	ds_read_b128 v[79:82], v78 offset:352
	ds_read_b128 v[83:86], v78 offset:368
	s_waitcnt vmcnt(19) lgkmcnt(1)
	v_fma_f64 v[79:80], v[95:96], v[79:80], v[90:91]
	buffer_load_dword v90, off, s[0:3], 0 offset:132
	s_waitcnt vmcnt(18)
	v_fma_f64 v[79:80], v[97:98], v[81:82], v[79:80]
	buffer_load_dword v92, off, s[0:3], 0 offset:140
	buffer_load_dword v93, off, s[0:3], 0 offset:160
	;; [unrolled: 1-line block ×8, first 2 shown]
	s_waitcnt vmcnt(24) lgkmcnt(0)
	v_fma_f64 v[79:80], v[99:100], v[83:84], v[79:80]
	s_waitcnt vmcnt(19)
	v_fma_f64 v[99:100], v[101:102], v[85:86], v[79:80]
	ds_read_b128 v[79:82], v78 offset:384
	ds_read_b128 v[83:86], v78 offset:400
	s_waitcnt vmcnt(18) lgkmcnt(1)
	v_fma_f64 v[79:80], v[107:108], v[79:80], v[99:100]
	s_waitcnt vmcnt(17)
	v_fma_f64 v[79:80], v[105:106], v[81:82], v[79:80]
	buffer_load_dword v100, off, s[0:3], 0 offset:172
	buffer_load_dword v101, off, s[0:3], 0 offset:192
	;; [unrolled: 1-line block ×7, first 2 shown]
	s_waitcnt vmcnt(23) lgkmcnt(0)
	v_fma_f64 v[79:80], v[103:104], v[83:84], v[79:80]
	s_waitcnt vmcnt(18)
	v_fma_f64 v[87:88], v[87:88], v[85:86], v[79:80]
	ds_read_b128 v[79:82], v78 offset:416
	ds_read_b128 v[83:86], v78 offset:432
	buffer_load_dword v102, off, s[0:3], 0 offset:196
	s_waitcnt vmcnt(18) lgkmcnt(1)
	v_fma_f64 v[79:80], v[111:112], v[79:80], v[87:88]
	s_waitcnt vmcnt(17)
	v_fma_f64 v[79:80], v[109:110], v[81:82], v[79:80]
	buffer_load_dword v88, off, s[0:3], 0 offset:204
	buffer_load_dword v103, off, s[0:3], 0 offset:224
	;; [unrolled: 1-line block ×8, first 2 shown]
	s_waitcnt vmcnt(24) lgkmcnt(0)
	v_fma_f64 v[79:80], v[89:90], v[83:84], v[79:80]
	s_waitcnt vmcnt(19)
	v_fma_f64 v[89:90], v[91:92], v[85:86], v[79:80]
	ds_read_b128 v[79:82], v78 offset:448
	ds_read_b128 v[83:86], v78 offset:464
	s_waitcnt vmcnt(18) lgkmcnt(1)
	v_fma_f64 v[79:80], v[97:98], v[79:80], v[89:90]
	s_waitcnt vmcnt(17)
	v_fma_f64 v[79:80], v[95:96], v[81:82], v[79:80]
	buffer_load_dword v90, off, s[0:3], 0 offset:236
	buffer_load_dword v91, off, s[0:3], 0 offset:256
	;; [unrolled: 1-line block ×7, first 2 shown]
	s_waitcnt vmcnt(23) lgkmcnt(0)
	v_fma_f64 v[79:80], v[93:94], v[83:84], v[79:80]
	s_waitcnt vmcnt(18)
	v_fma_f64 v[92:93], v[99:100], v[85:86], v[79:80]
	ds_read_b128 v[79:82], v78 offset:480
	ds_read_b128 v[83:86], v78 offset:496
	s_waitcnt vmcnt(17) lgkmcnt(1)
	v_fma_f64 v[79:80], v[107:108], v[79:80], v[92:93]
	buffer_load_dword v92, off, s[0:3], 0 offset:260
	s_waitcnt vmcnt(17)
	v_fma_f64 v[79:80], v[105:106], v[81:82], v[79:80]
	buffer_load_dword v94, off, s[0:3], 0 offset:268
	buffer_load_dword v99, off, s[0:3], 0 offset:288
	buffer_load_dword v105, off, s[0:3], 0 offset:280
	buffer_load_dword v107, off, s[0:3], 0 offset:272
	buffer_load_dword v93, off, s[0:3], 0 offset:264
	buffer_load_dword v108, off, s[0:3], 0 offset:276
	buffer_load_dword v106, off, s[0:3], 0 offset:284
	buffer_load_dword v100, off, s[0:3], 0 offset:292
	s_waitcnt vmcnt(24) lgkmcnt(0)
	v_fma_f64 v[79:80], v[101:102], v[83:84], v[79:80]
	s_waitcnt vmcnt(19)
	v_fma_f64 v[87:88], v[87:88], v[85:86], v[79:80]
	ds_read_b128 v[79:82], v78 offset:512
	ds_read_b128 v[83:86], v78 offset:528
	s_waitcnt vmcnt(18) lgkmcnt(1)
	v_fma_f64 v[79:80], v[111:112], v[79:80], v[87:88]
	buffer_load_dword v88, off, s[0:3], 0 offset:300
	buffer_load_dword v87, off, s[0:3], 0 offset:296
	;; [unrolled: 1-line block ×4, first 2 shown]
	s_waitcnt vmcnt(21)
	v_fma_f64 v[79:80], v[109:110], v[81:82], v[79:80]
	s_waitcnt vmcnt(20) lgkmcnt(0)
	v_fma_f64 v[79:80], v[103:104], v[83:84], v[79:80]
	s_waitcnt vmcnt(15)
	v_fma_f64 v[89:90], v[89:90], v[85:86], v[79:80]
	ds_read_b128 v[79:82], v78 offset:544
	ds_read_b128 v[83:86], v78 offset:560
	s_waitcnt vmcnt(14) lgkmcnt(1)
	v_fma_f64 v[79:80], v[97:98], v[79:80], v[89:90]
	s_waitcnt vmcnt(13)
	v_fma_f64 v[79:80], v[95:96], v[81:82], v[79:80]
	s_waitcnt vmcnt(12) lgkmcnt(0)
	v_fma_f64 v[79:80], v[91:92], v[83:84], v[79:80]
	s_waitcnt vmcnt(7)
	v_fma_f64 v[89:90], v[93:94], v[85:86], v[79:80]
	ds_read_b128 v[79:82], v78 offset:576
	ds_read_b128 v[83:86], v78 offset:592
	s_waitcnt vmcnt(6) lgkmcnt(1)
	v_fma_f64 v[78:79], v[107:108], v[79:80], v[89:90]
	s_waitcnt vmcnt(5)
	v_fma_f64 v[78:79], v[105:106], v[81:82], v[78:79]
	s_waitcnt vmcnt(4) lgkmcnt(0)
	v_fma_f64 v[78:79], v[99:100], v[83:84], v[78:79]
	s_waitcnt vmcnt(2)
	v_fma_f64 v[78:79], v[87:88], v[85:86], v[78:79]
	s_waitcnt vmcnt(0)
	v_add_f64 v[78:79], v[101:102], -v[78:79]
	buffer_store_dword v79, off, s[0:3], 0 offset:12
	buffer_store_dword v78, off, s[0:3], 0 offset:8
	s_and_saveexec_b64 s[4:5], vcc
	s_cbranch_execz .LBB101_235
; %bb.234:
	buffer_load_dword v78, off, s[0:3], 0
	buffer_load_dword v79, off, s[0:3], 0 offset:4
	v_mov_b32_e32 v0, 0
	buffer_store_dword v0, off, s[0:3], 0
	buffer_store_dword v0, off, s[0:3], 0 offset:4
	s_waitcnt vmcnt(2)
	ds_write_b64 v77, v[78:79]
.LBB101_235:
	s_or_b64 exec, exec, s[4:5]
	s_waitcnt lgkmcnt(0)
	; wave barrier
	buffer_load_dword v85, off, s[0:3], 0 offset:8
	buffer_load_dword v86, off, s[0:3], 0 offset:12
	;; [unrolled: 1-line block ×21, first 2 shown]
	v_mov_b32_e32 v0, 0
	ds_read2_b64 v[77:80], v0 offset0:39 offset1:40
	ds_read2_b64 v[81:84], v0 offset0:41 offset1:42
	buffer_load_dword v102, off, s[0:3], 0 offset:92
	s_and_b64 vcc, exec, s[14:15]
	s_waitcnt vmcnt(20) lgkmcnt(1)
	v_fma_f64 v[77:78], v[85:86], v[77:78], 0
	s_waitcnt vmcnt(18)
	v_fma_f64 v[77:78], v[87:88], v[79:80], v[77:78]
	buffer_load_dword v86, off, s[0:3], 0 offset:100
	buffer_load_dword v87, off, s[0:3], 0 offset:120
	;; [unrolled: 1-line block ×7, first 2 shown]
	s_waitcnt vmcnt(23) lgkmcnt(0)
	v_fma_f64 v[77:78], v[89:90], v[81:82], v[77:78]
	s_waitcnt vmcnt(21)
	v_fma_f64 v[88:89], v[91:92], v[83:84], v[77:78]
	ds_read2_b64 v[77:80], v0 offset0:43 offset1:44
	ds_read2_b64 v[81:84], v0 offset0:45 offset1:46
	s_waitcnt vmcnt(19) lgkmcnt(1)
	v_fma_f64 v[77:78], v[93:94], v[77:78], v[88:89]
	buffer_load_dword v88, off, s[0:3], 0 offset:124
	s_waitcnt vmcnt(18)
	v_fma_f64 v[77:78], v[95:96], v[79:80], v[77:78]
	buffer_load_dword v90, off, s[0:3], 0 offset:132
	buffer_load_dword v91, off, s[0:3], 0 offset:152
	;; [unrolled: 1-line block ×8, first 2 shown]
	s_waitcnt vmcnt(24) lgkmcnt(0)
	v_fma_f64 v[77:78], v[97:98], v[81:82], v[77:78]
	s_waitcnt vmcnt(19)
	v_fma_f64 v[97:98], v[99:100], v[83:84], v[77:78]
	ds_read2_b64 v[77:80], v0 offset0:47 offset1:48
	ds_read2_b64 v[81:84], v0 offset0:49 offset1:50
	s_waitcnt vmcnt(18) lgkmcnt(1)
	v_fma_f64 v[77:78], v[105:106], v[77:78], v[97:98]
	s_waitcnt vmcnt(17)
	v_fma_f64 v[77:78], v[103:104], v[79:80], v[77:78]
	buffer_load_dword v98, off, s[0:3], 0 offset:164
	buffer_load_dword v99, off, s[0:3], 0 offset:184
	;; [unrolled: 1-line block ×7, first 2 shown]
	s_waitcnt vmcnt(23) lgkmcnt(0)
	v_fma_f64 v[77:78], v[101:102], v[81:82], v[77:78]
	s_waitcnt vmcnt(18)
	v_fma_f64 v[85:86], v[85:86], v[83:84], v[77:78]
	ds_read2_b64 v[77:80], v0 offset0:51 offset1:52
	ds_read2_b64 v[81:84], v0 offset0:53 offset1:54
	buffer_load_dword v100, off, s[0:3], 0 offset:188
	s_waitcnt vmcnt(18) lgkmcnt(1)
	v_fma_f64 v[77:78], v[109:110], v[77:78], v[85:86]
	s_waitcnt vmcnt(17)
	v_fma_f64 v[77:78], v[107:108], v[79:80], v[77:78]
	buffer_load_dword v86, off, s[0:3], 0 offset:196
	buffer_load_dword v101, off, s[0:3], 0 offset:216
	;; [unrolled: 1-line block ×7, first 2 shown]
	s_waitcnt vmcnt(23) lgkmcnt(0)
	v_fma_f64 v[77:78], v[87:88], v[81:82], v[77:78]
	s_waitcnt vmcnt(18)
	v_fma_f64 v[87:88], v[89:90], v[83:84], v[77:78]
	ds_read2_b64 v[77:80], v0 offset0:55 offset1:56
	ds_read2_b64 v[81:84], v0 offset0:57 offset1:58
	buffer_load_dword v102, off, s[0:3], 0 offset:220
	s_waitcnt vmcnt(18) lgkmcnt(1)
	v_fma_f64 v[77:78], v[95:96], v[77:78], v[87:88]
	s_waitcnt vmcnt(17)
	v_fma_f64 v[77:78], v[93:94], v[79:80], v[77:78]
	buffer_load_dword v88, off, s[0:3], 0 offset:228
	buffer_load_dword v89, off, s[0:3], 0 offset:248
	;; [unrolled: 1-line block ×7, first 2 shown]
	s_waitcnt vmcnt(23) lgkmcnt(0)
	v_fma_f64 v[77:78], v[91:92], v[81:82], v[77:78]
	s_waitcnt vmcnt(18)
	v_fma_f64 v[90:91], v[97:98], v[83:84], v[77:78]
	ds_read2_b64 v[77:80], v0 offset0:59 offset1:60
	ds_read2_b64 v[81:84], v0 offset0:61 offset1:62
	s_waitcnt vmcnt(17) lgkmcnt(1)
	v_fma_f64 v[77:78], v[105:106], v[77:78], v[90:91]
	buffer_load_dword v90, off, s[0:3], 0 offset:252
	s_waitcnt vmcnt(17)
	v_fma_f64 v[77:78], v[103:104], v[79:80], v[77:78]
	buffer_load_dword v92, off, s[0:3], 0 offset:260
	buffer_load_dword v97, off, s[0:3], 0 offset:280
	;; [unrolled: 1-line block ×7, first 2 shown]
	s_waitcnt vmcnt(23) lgkmcnt(0)
	v_fma_f64 v[77:78], v[99:100], v[81:82], v[77:78]
	s_waitcnt vmcnt(18)
	v_fma_f64 v[85:86], v[85:86], v[83:84], v[77:78]
	ds_read2_b64 v[77:80], v0 offset0:63 offset1:64
	ds_read2_b64 v[81:84], v0 offset0:65 offset1:66
	buffer_load_dword v98, off, s[0:3], 0 offset:284
	s_waitcnt vmcnt(18) lgkmcnt(1)
	v_fma_f64 v[77:78], v[109:110], v[77:78], v[85:86]
	s_waitcnt vmcnt(17)
	v_fma_f64 v[79:80], v[107:108], v[79:80], v[77:78]
	buffer_load_dword v78, off, s[0:3], 0 offset:292
	buffer_load_dword v99, off, s[0:3], 0 offset:296
	;; [unrolled: 1-line block ×4, first 2 shown]
	s_waitcnt vmcnt(20) lgkmcnt(0)
	v_fma_f64 v[79:80], v[101:102], v[81:82], v[79:80]
	buffer_load_dword v101, off, s[0:3], 0
	buffer_load_dword v102, off, s[0:3], 0 offset:4
	s_waitcnt vmcnt(17)
	v_fma_f64 v[87:88], v[87:88], v[83:84], v[79:80]
	ds_read2_b64 v[79:82], v0 offset0:67 offset1:68
	ds_read2_b64 v[83:86], v0 offset0:69 offset1:70
	s_waitcnt vmcnt(16) lgkmcnt(1)
	v_fma_f64 v[79:80], v[95:96], v[79:80], v[87:88]
	s_waitcnt vmcnt(15)
	v_fma_f64 v[79:80], v[93:94], v[81:82], v[79:80]
	s_waitcnt vmcnt(14) lgkmcnt(0)
	v_fma_f64 v[79:80], v[89:90], v[83:84], v[79:80]
	s_waitcnt vmcnt(9)
	v_fma_f64 v[87:88], v[91:92], v[85:86], v[79:80]
	ds_read2_b64 v[79:82], v0 offset0:71 offset1:72
	ds_read2_b64 v[83:86], v0 offset0:73 offset1:74
	s_waitcnt vmcnt(8) lgkmcnt(1)
	v_fma_f64 v[79:80], v[105:106], v[79:80], v[87:88]
	s_waitcnt vmcnt(7)
	v_fma_f64 v[79:80], v[103:104], v[81:82], v[79:80]
	ds_read_b64 v[81:82], v0 offset:600
	s_waitcnt vmcnt(6) lgkmcnt(1)
	v_fma_f64 v[79:80], v[97:98], v[83:84], v[79:80]
	s_waitcnt vmcnt(3)
	v_fma_f64 v[79:80], v[77:78], v[85:86], v[79:80]
	s_waitcnt vmcnt(2) lgkmcnt(0)
	v_fma_f64 v[79:80], v[99:100], v[81:82], v[79:80]
	s_waitcnt vmcnt(0)
	v_add_f64 v[79:80], v[101:102], -v[79:80]
	buffer_store_dword v80, off, s[0:3], 0 offset:4
	buffer_store_dword v79, off, s[0:3], 0
	s_cbranch_vccz .LBB101_310
; %bb.236:
	global_load_dword v0, v0, s[12:13] offset:144
	s_waitcnt vmcnt(0)
	v_add_u32_e32 v0, -1, v0
	v_cmp_ne_u32_e32 vcc, 36, v0
	s_cbranch_vccz .LBB101_238
; %bb.237:
	v_lshlrev_b32_e32 v0, 3, v0
	buffer_load_dword v79, v0, s[0:3], 0 offen offset:4
	buffer_load_dword v80, v0, s[0:3], 0 offen
	s_waitcnt vmcnt(1)
	buffer_store_dword v79, off, s[0:3], 0 offset:292
	s_waitcnt vmcnt(1)
	buffer_store_dword v80, off, s[0:3], 0 offset:288
	buffer_store_dword v78, v0, s[0:3], 0 offen offset:4
	buffer_store_dword v77, v0, s[0:3], 0 offen
.LBB101_238:
	v_mov_b32_e32 v0, 0
	global_load_dword v77, v0, s[12:13] offset:140
	s_waitcnt vmcnt(0)
	v_add_u32_e32 v77, -1, v77
	v_cmp_eq_u32_e32 vcc, 35, v77
	s_cbranch_vccnz .LBB101_240
; %bb.239:
	v_lshlrev_b32_e32 v77, 3, v77
	buffer_load_dword v78, v77, s[0:3], 0 offen
	buffer_load_dword v79, v77, s[0:3], 0 offen offset:4
	buffer_load_dword v80, off, s[0:3], 0 offset:280
	buffer_load_dword v81, off, s[0:3], 0 offset:284
	s_waitcnt vmcnt(3)
	buffer_store_dword v78, off, s[0:3], 0 offset:280
	s_waitcnt vmcnt(3)
	buffer_store_dword v79, off, s[0:3], 0 offset:284
	s_waitcnt vmcnt(3)
	buffer_store_dword v80, v77, s[0:3], 0 offen
	s_waitcnt vmcnt(3)
	buffer_store_dword v81, v77, s[0:3], 0 offen offset:4
.LBB101_240:
	global_load_dword v0, v0, s[12:13] offset:136
	s_waitcnt vmcnt(0)
	v_add_u32_e32 v0, -1, v0
	v_cmp_eq_u32_e32 vcc, 34, v0
	s_cbranch_vccnz .LBB101_242
; %bb.241:
	v_lshlrev_b32_e32 v0, 3, v0
	buffer_load_dword v77, v0, s[0:3], 0 offen
	buffer_load_dword v78, v0, s[0:3], 0 offen offset:4
	buffer_load_dword v79, off, s[0:3], 0 offset:276
	buffer_load_dword v80, off, s[0:3], 0 offset:272
	s_waitcnt vmcnt(3)
	buffer_store_dword v77, off, s[0:3], 0 offset:272
	s_waitcnt vmcnt(3)
	buffer_store_dword v78, off, s[0:3], 0 offset:276
	s_waitcnt vmcnt(3)
	buffer_store_dword v79, v0, s[0:3], 0 offen offset:4
	s_waitcnt vmcnt(3)
	buffer_store_dword v80, v0, s[0:3], 0 offen
.LBB101_242:
	v_mov_b32_e32 v0, 0
	global_load_dword v77, v0, s[12:13] offset:132
	s_waitcnt vmcnt(0)
	v_add_u32_e32 v77, -1, v77
	v_cmp_eq_u32_e32 vcc, 33, v77
	s_cbranch_vccnz .LBB101_244
; %bb.243:
	v_lshlrev_b32_e32 v77, 3, v77
	buffer_load_dword v78, v77, s[0:3], 0 offen
	buffer_load_dword v79, v77, s[0:3], 0 offen offset:4
	buffer_load_dword v80, off, s[0:3], 0 offset:264
	buffer_load_dword v81, off, s[0:3], 0 offset:268
	s_waitcnt vmcnt(3)
	buffer_store_dword v78, off, s[0:3], 0 offset:264
	s_waitcnt vmcnt(3)
	buffer_store_dword v79, off, s[0:3], 0 offset:268
	s_waitcnt vmcnt(3)
	buffer_store_dword v80, v77, s[0:3], 0 offen
	s_waitcnt vmcnt(3)
	buffer_store_dword v81, v77, s[0:3], 0 offen offset:4
.LBB101_244:
	global_load_dword v0, v0, s[12:13] offset:128
	s_waitcnt vmcnt(0)
	v_add_u32_e32 v0, -1, v0
	v_cmp_eq_u32_e32 vcc, 32, v0
	s_cbranch_vccnz .LBB101_246
; %bb.245:
	v_lshlrev_b32_e32 v0, 3, v0
	buffer_load_dword v77, v0, s[0:3], 0 offen
	buffer_load_dword v78, v0, s[0:3], 0 offen offset:4
	buffer_load_dword v79, off, s[0:3], 0 offset:260
	buffer_load_dword v80, off, s[0:3], 0 offset:256
	s_waitcnt vmcnt(3)
	buffer_store_dword v77, off, s[0:3], 0 offset:256
	s_waitcnt vmcnt(3)
	buffer_store_dword v78, off, s[0:3], 0 offset:260
	s_waitcnt vmcnt(3)
	buffer_store_dword v79, v0, s[0:3], 0 offen offset:4
	s_waitcnt vmcnt(3)
	buffer_store_dword v80, v0, s[0:3], 0 offen
.LBB101_246:
	;; [unrolled: 41-line block ×17, first 2 shown]
	v_mov_b32_e32 v0, 0
	global_load_dword v77, v0, s[12:13] offset:4
	s_waitcnt vmcnt(0)
	v_add_u32_e32 v77, -1, v77
	v_cmp_eq_u32_e32 vcc, 1, v77
	s_cbranch_vccnz .LBB101_308
; %bb.307:
	v_lshlrev_b32_e32 v77, 3, v77
	buffer_load_dword v78, v77, s[0:3], 0 offen
	buffer_load_dword v79, v77, s[0:3], 0 offen offset:4
	buffer_load_dword v80, off, s[0:3], 0 offset:8
	buffer_load_dword v81, off, s[0:3], 0 offset:12
	s_waitcnt vmcnt(3)
	buffer_store_dword v78, off, s[0:3], 0 offset:8
	s_waitcnt vmcnt(3)
	buffer_store_dword v79, off, s[0:3], 0 offset:12
	s_waitcnt vmcnt(3)
	buffer_store_dword v80, v77, s[0:3], 0 offen
	s_waitcnt vmcnt(3)
	buffer_store_dword v81, v77, s[0:3], 0 offen offset:4
.LBB101_308:
	global_load_dword v0, v0, s[12:13]
	s_nop 0
	buffer_load_dword v79, off, s[0:3], 0
	buffer_load_dword v80, off, s[0:3], 0 offset:4
	s_waitcnt vmcnt(2)
	v_add_u32_e32 v0, -1, v0
	v_cmp_eq_u32_e32 vcc, 0, v0
	s_cbranch_vccnz .LBB101_310
; %bb.309:
	v_lshlrev_b32_e32 v0, 3, v0
	buffer_load_dword v77, v0, s[0:3], 0 offen offset:4
	buffer_load_dword v78, v0, s[0:3], 0 offen
	s_waitcnt vmcnt(1)
	buffer_store_dword v77, off, s[0:3], 0 offset:4
	s_waitcnt vmcnt(1)
	buffer_store_dword v78, off, s[0:3], 0
	buffer_store_dword v80, v0, s[0:3], 0 offen offset:4
	buffer_store_dword v79, v0, s[0:3], 0 offen
	buffer_load_dword v79, off, s[0:3], 0
	s_nop 0
	buffer_load_dword v80, off, s[0:3], 0 offset:4
.LBB101_310:
	s_waitcnt vmcnt(0)
	flat_store_dwordx2 v[1:2], v[79:80]
	buffer_load_dword v0, off, s[0:3], 0 offset:8
	s_nop 0
	buffer_load_dword v1, off, s[0:3], 0 offset:12
	s_waitcnt vmcnt(0)
	flat_store_dwordx2 v[3:4], v[0:1]
	buffer_load_dword v0, off, s[0:3], 0 offset:16
	s_nop 0
	buffer_load_dword v1, off, s[0:3], 0 offset:20
	;; [unrolled: 5-line block ×37, first 2 shown]
	s_waitcnt vmcnt(0)
	flat_store_dwordx2 v[75:76], v[0:1]
	s_endpgm
	.section	.rodata,"a",@progbits
	.p2align	6, 0x0
	.amdhsa_kernel _ZN9rocsolver6v33100L18getri_kernel_smallILi38EdPKPdEEvT1_iilPiilS6_bb
		.amdhsa_group_segment_fixed_size 616
		.amdhsa_private_segment_fixed_size 320
		.amdhsa_kernarg_size 60
		.amdhsa_user_sgpr_count 6
		.amdhsa_user_sgpr_private_segment_buffer 1
		.amdhsa_user_sgpr_dispatch_ptr 0
		.amdhsa_user_sgpr_queue_ptr 0
		.amdhsa_user_sgpr_kernarg_segment_ptr 1
		.amdhsa_user_sgpr_dispatch_id 0
		.amdhsa_user_sgpr_flat_scratch_init 0
		.amdhsa_user_sgpr_private_segment_size 0
		.amdhsa_uses_dynamic_stack 0
		.amdhsa_system_sgpr_private_segment_wavefront_offset 1
		.amdhsa_system_sgpr_workgroup_id_x 1
		.amdhsa_system_sgpr_workgroup_id_y 0
		.amdhsa_system_sgpr_workgroup_id_z 0
		.amdhsa_system_sgpr_workgroup_info 0
		.amdhsa_system_vgpr_workitem_id 0
		.amdhsa_next_free_vgpr 113
		.amdhsa_next_free_sgpr 21
		.amdhsa_reserve_vcc 1
		.amdhsa_reserve_flat_scratch 0
		.amdhsa_float_round_mode_32 0
		.amdhsa_float_round_mode_16_64 0
		.amdhsa_float_denorm_mode_32 3
		.amdhsa_float_denorm_mode_16_64 3
		.amdhsa_dx10_clamp 1
		.amdhsa_ieee_mode 1
		.amdhsa_fp16_overflow 0
		.amdhsa_exception_fp_ieee_invalid_op 0
		.amdhsa_exception_fp_denorm_src 0
		.amdhsa_exception_fp_ieee_div_zero 0
		.amdhsa_exception_fp_ieee_overflow 0
		.amdhsa_exception_fp_ieee_underflow 0
		.amdhsa_exception_fp_ieee_inexact 0
		.amdhsa_exception_int_div_zero 0
	.end_amdhsa_kernel
	.section	.text._ZN9rocsolver6v33100L18getri_kernel_smallILi38EdPKPdEEvT1_iilPiilS6_bb,"axG",@progbits,_ZN9rocsolver6v33100L18getri_kernel_smallILi38EdPKPdEEvT1_iilPiilS6_bb,comdat
.Lfunc_end101:
	.size	_ZN9rocsolver6v33100L18getri_kernel_smallILi38EdPKPdEEvT1_iilPiilS6_bb, .Lfunc_end101-_ZN9rocsolver6v33100L18getri_kernel_smallILi38EdPKPdEEvT1_iilPiilS6_bb
                                        ; -- End function
	.set _ZN9rocsolver6v33100L18getri_kernel_smallILi38EdPKPdEEvT1_iilPiilS6_bb.num_vgpr, 113
	.set _ZN9rocsolver6v33100L18getri_kernel_smallILi38EdPKPdEEvT1_iilPiilS6_bb.num_agpr, 0
	.set _ZN9rocsolver6v33100L18getri_kernel_smallILi38EdPKPdEEvT1_iilPiilS6_bb.numbered_sgpr, 21
	.set _ZN9rocsolver6v33100L18getri_kernel_smallILi38EdPKPdEEvT1_iilPiilS6_bb.num_named_barrier, 0
	.set _ZN9rocsolver6v33100L18getri_kernel_smallILi38EdPKPdEEvT1_iilPiilS6_bb.private_seg_size, 320
	.set _ZN9rocsolver6v33100L18getri_kernel_smallILi38EdPKPdEEvT1_iilPiilS6_bb.uses_vcc, 1
	.set _ZN9rocsolver6v33100L18getri_kernel_smallILi38EdPKPdEEvT1_iilPiilS6_bb.uses_flat_scratch, 0
	.set _ZN9rocsolver6v33100L18getri_kernel_smallILi38EdPKPdEEvT1_iilPiilS6_bb.has_dyn_sized_stack, 0
	.set _ZN9rocsolver6v33100L18getri_kernel_smallILi38EdPKPdEEvT1_iilPiilS6_bb.has_recursion, 0
	.set _ZN9rocsolver6v33100L18getri_kernel_smallILi38EdPKPdEEvT1_iilPiilS6_bb.has_indirect_call, 0
	.section	.AMDGPU.csdata,"",@progbits
; Kernel info:
; codeLenInByte = 41496
; TotalNumSgprs: 25
; NumVgprs: 113
; ScratchSize: 320
; MemoryBound: 1
; FloatMode: 240
; IeeeMode: 1
; LDSByteSize: 616 bytes/workgroup (compile time only)
; SGPRBlocks: 3
; VGPRBlocks: 28
; NumSGPRsForWavesPerEU: 25
; NumVGPRsForWavesPerEU: 113
; Occupancy: 2
; WaveLimiterHint : 1
; COMPUTE_PGM_RSRC2:SCRATCH_EN: 1
; COMPUTE_PGM_RSRC2:USER_SGPR: 6
; COMPUTE_PGM_RSRC2:TRAP_HANDLER: 0
; COMPUTE_PGM_RSRC2:TGID_X_EN: 1
; COMPUTE_PGM_RSRC2:TGID_Y_EN: 0
; COMPUTE_PGM_RSRC2:TGID_Z_EN: 0
; COMPUTE_PGM_RSRC2:TIDIG_COMP_CNT: 0
	.section	.text._ZN9rocsolver6v33100L18getri_kernel_smallILi39EdPKPdEEvT1_iilPiilS6_bb,"axG",@progbits,_ZN9rocsolver6v33100L18getri_kernel_smallILi39EdPKPdEEvT1_iilPiilS6_bb,comdat
	.globl	_ZN9rocsolver6v33100L18getri_kernel_smallILi39EdPKPdEEvT1_iilPiilS6_bb ; -- Begin function _ZN9rocsolver6v33100L18getri_kernel_smallILi39EdPKPdEEvT1_iilPiilS6_bb
	.p2align	8
	.type	_ZN9rocsolver6v33100L18getri_kernel_smallILi39EdPKPdEEvT1_iilPiilS6_bb,@function
_ZN9rocsolver6v33100L18getri_kernel_smallILi39EdPKPdEEvT1_iilPiilS6_bb: ; @_ZN9rocsolver6v33100L18getri_kernel_smallILi39EdPKPdEEvT1_iilPiilS6_bb
; %bb.0:
	s_add_u32 s0, s0, s7
	s_addc_u32 s1, s1, 0
	v_cmp_gt_u32_e32 vcc, 39, v0
	s_and_saveexec_b64 s[8:9], vcc
	s_cbranch_execz .LBB102_164
; %bb.1:
	s_load_dword s18, s[4:5], 0x38
	s_load_dwordx2 s[12:13], s[4:5], 0x0
	s_load_dwordx4 s[8:11], s[4:5], 0x28
	s_waitcnt lgkmcnt(0)
	s_bitcmp1_b32 s18, 8
	s_cselect_b64 s[14:15], -1, 0
	s_ashr_i32 s7, s6, 31
	s_lshl_b64 s[16:17], s[6:7], 3
	s_add_u32 s12, s12, s16
	s_addc_u32 s13, s13, s17
	s_load_dwordx2 s[16:17], s[12:13], 0x0
	s_bfe_u32 s12, s18, 0x10008
	s_cmp_eq_u32 s12, 0
                                        ; implicit-def: $sgpr12_sgpr13
	s_cbranch_scc1 .LBB102_3
; %bb.2:
	s_load_dword s12, s[4:5], 0x20
	s_load_dwordx2 s[18:19], s[4:5], 0x18
	s_mul_i32 s13, s8, s7
	s_mul_hi_u32 s20, s8, s6
	s_add_i32 s20, s20, s13
	s_mul_i32 s9, s9, s6
	s_add_i32 s9, s20, s9
	s_mul_i32 s8, s8, s6
	s_waitcnt lgkmcnt(0)
	s_ashr_i32 s13, s12, 31
	s_lshl_b64 s[8:9], s[8:9], 2
	s_add_u32 s18, s18, s8
	s_addc_u32 s19, s19, s9
	s_lshl_b64 s[8:9], s[12:13], 2
	s_add_u32 s12, s18, s8
	s_addc_u32 s13, s19, s9
.LBB102_3:
	s_load_dwordx2 s[8:9], s[4:5], 0x8
	s_load_dword s18, s[4:5], 0x38
	v_lshlrev_b32_e32 v81, 3, v0
	s_waitcnt lgkmcnt(0)
	s_ashr_i32 s5, s8, 31
	s_mov_b32 s4, s8
	s_lshl_b64 s[4:5], s[4:5], 3
	s_add_u32 s4, s16, s4
	s_addc_u32 s5, s17, s5
	v_mov_b32_e32 v2, s5
	v_add_co_u32_e32 v1, vcc, s4, v81
	v_addc_co_u32_e32 v2, vcc, 0, v2, vcc
	flat_load_dwordx2 v[5:6], v[1:2]
	s_mov_b32 s16, s9
	s_ashr_i32 s17, s9, 31
	s_lshl_b64 s[16:17], s[16:17], 3
	v_mov_b32_e32 v4, s17
	v_add_co_u32_e32 v3, vcc, s16, v1
	v_addc_co_u32_e32 v4, vcc, v2, v4, vcc
	s_add_i32 s8, s9, s9
	v_add_u32_e32 v9, s8, v0
	v_ashrrev_i32_e32 v10, 31, v9
	v_mov_b32_e32 v11, s5
	v_add_u32_e32 v12, s9, v9
	v_ashrrev_i32_e32 v13, 31, v12
	v_mov_b32_e32 v14, s5
	v_mov_b32_e32 v15, s5
	v_mov_b32_e32 v17, s5
	v_mov_b32_e32 v20, s5
	v_mov_b32_e32 v21, s5
	v_mov_b32_e32 v23, s5
	v_mov_b32_e32 v26, s5
	v_mov_b32_e32 v27, s5
	v_mov_b32_e32 v29, s5
	v_mov_b32_e32 v32, s5
	v_mov_b32_e32 v33, s5
	v_mov_b32_e32 v35, s5
	v_mov_b32_e32 v38, s5
	v_mov_b32_e32 v39, s5
	v_mov_b32_e32 v41, s5
	v_mov_b32_e32 v44, s5
	v_mov_b32_e32 v45, s5
	v_mov_b32_e32 v47, s5
	v_mov_b32_e32 v50, s5
	v_mov_b32_e32 v51, s5
	v_mov_b32_e32 v53, s5
	v_mov_b32_e32 v56, s5
	v_mov_b32_e32 v57, s5
	v_mov_b32_e32 v59, s5
	v_mov_b32_e32 v62, s5
	v_mov_b32_e32 v63, s5
	v_mov_b32_e32 v65, s5
	v_mov_b32_e32 v68, s5
	v_mov_b32_e32 v69, s5
	v_mov_b32_e32 v71, s5
	v_mov_b32_e32 v74, s5
	v_mov_b32_e32 v75, s5
	v_mov_b32_e32 v77, s5
	v_mov_b32_e32 v80, s5
	v_mov_b32_e32 v82, s5
	s_bitcmp0_b32 s18, 0
	s_waitcnt vmcnt(0) lgkmcnt(0)
	buffer_store_dword v6, off, s[0:3], 0 offset:4
	buffer_store_dword v5, off, s[0:3], 0
	flat_load_dwordx2 v[7:8], v[3:4]
	v_lshlrev_b64 v[5:6], 3, v[9:10]
	s_waitcnt vmcnt(0) lgkmcnt(0)
	buffer_store_dword v8, off, s[0:3], 0 offset:12
	buffer_store_dword v7, off, s[0:3], 0 offset:8
	v_add_co_u32_e32 v5, vcc, s4, v5
	v_addc_co_u32_e32 v6, vcc, v11, v6, vcc
	flat_load_dwordx2 v[10:11], v[5:6]
	v_lshlrev_b64 v[7:8], 3, v[12:13]
	s_waitcnt vmcnt(0) lgkmcnt(0)
	buffer_store_dword v11, off, s[0:3], 0 offset:20
	buffer_store_dword v10, off, s[0:3], 0 offset:16
	v_add_co_u32_e32 v7, vcc, s4, v7
	v_addc_co_u32_e32 v8, vcc, v14, v8, vcc
	flat_load_dwordx2 v[13:14], v[7:8]
	v_add_u32_e32 v11, s9, v12
	v_ashrrev_i32_e32 v12, 31, v11
	v_lshlrev_b64 v[9:10], 3, v[11:12]
	s_waitcnt vmcnt(0) lgkmcnt(0)
	buffer_store_dword v14, off, s[0:3], 0 offset:28
	buffer_store_dword v13, off, s[0:3], 0 offset:24
	v_add_co_u32_e32 v9, vcc, s4, v9
	v_addc_co_u32_e32 v10, vcc, v15, v10, vcc
	flat_load_dwordx2 v[13:14], v[9:10]
	v_add_u32_e32 v15, s9, v11
	v_ashrrev_i32_e32 v16, 31, v15
	v_lshlrev_b64 v[11:12], 3, v[15:16]
	v_add_u32_e32 v18, s9, v15
	v_add_co_u32_e32 v11, vcc, s4, v11
	v_addc_co_u32_e32 v12, vcc, v17, v12, vcc
	v_ashrrev_i32_e32 v19, 31, v18
	s_waitcnt vmcnt(0) lgkmcnt(0)
	buffer_store_dword v14, off, s[0:3], 0 offset:36
	buffer_store_dword v13, off, s[0:3], 0 offset:32
	flat_load_dwordx2 v[16:17], v[11:12]
	v_lshlrev_b64 v[13:14], 3, v[18:19]
	s_waitcnt vmcnt(0) lgkmcnt(0)
	buffer_store_dword v17, off, s[0:3], 0 offset:44
	buffer_store_dword v16, off, s[0:3], 0 offset:40
	v_add_co_u32_e32 v13, vcc, s4, v13
	v_addc_co_u32_e32 v14, vcc, v20, v14, vcc
	flat_load_dwordx2 v[19:20], v[13:14]
	v_add_u32_e32 v17, s9, v18
	v_ashrrev_i32_e32 v18, 31, v17
	v_lshlrev_b64 v[15:16], 3, v[17:18]
	s_waitcnt vmcnt(0) lgkmcnt(0)
	buffer_store_dword v20, off, s[0:3], 0 offset:52
	buffer_store_dword v19, off, s[0:3], 0 offset:48
	v_add_co_u32_e32 v15, vcc, s4, v15
	v_addc_co_u32_e32 v16, vcc, v21, v16, vcc
	flat_load_dwordx2 v[19:20], v[15:16]
	v_add_u32_e32 v21, s9, v17
	v_ashrrev_i32_e32 v22, 31, v21
	v_lshlrev_b64 v[17:18], 3, v[21:22]
	v_add_u32_e32 v24, s9, v21
	v_add_co_u32_e32 v17, vcc, s4, v17
	v_addc_co_u32_e32 v18, vcc, v23, v18, vcc
	v_ashrrev_i32_e32 v25, 31, v24
	s_waitcnt vmcnt(0) lgkmcnt(0)
	buffer_store_dword v20, off, s[0:3], 0 offset:60
	buffer_store_dword v19, off, s[0:3], 0 offset:56
	;; [unrolled: 27-line block ×7, first 2 shown]
	flat_load_dwordx2 v[52:53], v[47:48]
	v_lshlrev_b64 v[49:50], 3, v[54:55]
	s_waitcnt vmcnt(0) lgkmcnt(0)
	buffer_store_dword v53, off, s[0:3], 0 offset:188
	buffer_store_dword v52, off, s[0:3], 0 offset:184
	v_add_co_u32_e32 v49, vcc, s4, v49
	v_addc_co_u32_e32 v50, vcc, v56, v50, vcc
	flat_load_dwordx2 v[55:56], v[49:50]
	v_add_u32_e32 v53, s9, v54
	v_ashrrev_i32_e32 v54, 31, v53
	v_lshlrev_b64 v[51:52], 3, v[53:54]
	s_waitcnt vmcnt(0) lgkmcnt(0)
	buffer_store_dword v56, off, s[0:3], 0 offset:196
	buffer_store_dword v55, off, s[0:3], 0 offset:192
	v_add_co_u32_e32 v51, vcc, s4, v51
	v_addc_co_u32_e32 v52, vcc, v57, v52, vcc
	flat_load_dwordx2 v[55:56], v[51:52]
	v_add_u32_e32 v57, s9, v53
	v_ashrrev_i32_e32 v58, 31, v57
	v_lshlrev_b64 v[53:54], 3, v[57:58]
	v_add_u32_e32 v60, s9, v57
	v_add_co_u32_e32 v53, vcc, s4, v53
	v_addc_co_u32_e32 v54, vcc, v59, v54, vcc
	s_waitcnt vmcnt(0) lgkmcnt(0)
	buffer_store_dword v56, off, s[0:3], 0 offset:204
	buffer_store_dword v55, off, s[0:3], 0 offset:200
	flat_load_dwordx2 v[58:59], v[53:54]
	v_ashrrev_i32_e32 v61, 31, v60
	v_lshlrev_b64 v[55:56], 3, v[60:61]
	s_waitcnt vmcnt(0) lgkmcnt(0)
	buffer_store_dword v59, off, s[0:3], 0 offset:212
	buffer_store_dword v58, off, s[0:3], 0 offset:208
	v_add_co_u32_e32 v55, vcc, s4, v55
	v_addc_co_u32_e32 v56, vcc, v62, v56, vcc
	flat_load_dwordx2 v[61:62], v[55:56]
	v_add_u32_e32 v59, s9, v60
	v_ashrrev_i32_e32 v60, 31, v59
	v_lshlrev_b64 v[57:58], 3, v[59:60]
	s_waitcnt vmcnt(0) lgkmcnt(0)
	buffer_store_dword v62, off, s[0:3], 0 offset:220
	buffer_store_dword v61, off, s[0:3], 0 offset:216
	v_add_co_u32_e32 v57, vcc, s4, v57
	v_addc_co_u32_e32 v58, vcc, v63, v58, vcc
	flat_load_dwordx2 v[61:62], v[57:58]
	v_add_u32_e32 v63, s9, v59
	;; [unrolled: 9-line block ×11, first 2 shown]
	v_ashrrev_i32_e32 v78, 31, v77
	v_lshlrev_b64 v[77:78], 3, v[77:78]
	s_waitcnt vmcnt(0) lgkmcnt(0)
	buffer_store_dword v80, off, s[0:3], 0 offset:300
	buffer_store_dword v79, off, s[0:3], 0 offset:296
	v_add_co_u32_e32 v77, vcc, s4, v77
	v_addc_co_u32_e32 v78, vcc, v82, v78, vcc
	flat_load_dwordx2 v[79:80], v[77:78]
	s_mov_b64 s[8:9], -1
	s_waitcnt vmcnt(0) lgkmcnt(0)
	buffer_store_dword v80, off, s[0:3], 0 offset:308
	buffer_store_dword v79, off, s[0:3], 0 offset:304
	s_cbranch_scc1 .LBB102_162
; %bb.4:
	v_cmp_eq_u32_e64 s[4:5], 0, v0
	s_and_saveexec_b64 s[8:9], s[4:5]
; %bb.5:
	v_mov_b32_e32 v79, 0
	ds_write_b32 v79, v79 offset:312
; %bb.6:
	s_or_b64 exec, exec, s[8:9]
	v_mov_b32_e32 v79, 0
	v_lshl_add_u32 v79, v0, 3, v79
	s_waitcnt lgkmcnt(0)
	; wave barrier
	buffer_load_dword v82, v79, s[0:3], 0 offen
	buffer_load_dword v83, v79, s[0:3], 0 offen offset:4
	s_waitcnt vmcnt(0)
	v_cmp_eq_f64_e32 vcc, 0, v[82:83]
	s_and_saveexec_b64 s[16:17], vcc
	s_cbranch_execz .LBB102_10
; %bb.7:
	v_mov_b32_e32 v80, 0
	ds_read_b32 v83, v80 offset:312
	v_add_u32_e32 v82, 1, v0
	s_waitcnt lgkmcnt(0)
	v_readfirstlane_b32 s8, v83
	s_cmp_eq_u32 s8, 0
	s_cselect_b64 s[18:19], -1, 0
	v_cmp_gt_i32_e32 vcc, s8, v82
	s_or_b64 s[18:19], s[18:19], vcc
	s_and_b64 exec, exec, s[18:19]
	s_cbranch_execz .LBB102_10
; %bb.8:
	s_mov_b64 s[18:19], 0
	v_mov_b32_e32 v83, s8
.LBB102_9:                              ; =>This Inner Loop Header: Depth=1
	ds_cmpst_rtn_b32 v83, v80, v83, v82 offset:312
	s_waitcnt lgkmcnt(0)
	v_cmp_ne_u32_e32 vcc, 0, v83
	v_cmp_le_i32_e64 s[8:9], v83, v82
	s_and_b64 s[8:9], vcc, s[8:9]
	s_and_b64 s[8:9], exec, s[8:9]
	s_or_b64 s[18:19], s[8:9], s[18:19]
	s_andn2_b64 exec, exec, s[18:19]
	s_cbranch_execnz .LBB102_9
.LBB102_10:
	s_or_b64 exec, exec, s[16:17]
	v_mov_b32_e32 v82, 0
	; wave barrier
	ds_read_b32 v80, v82 offset:312
	s_and_saveexec_b64 s[8:9], s[4:5]
	s_cbranch_execz .LBB102_12
; %bb.11:
	s_lshl_b64 s[16:17], s[6:7], 2
	s_add_u32 s16, s10, s16
	s_addc_u32 s17, s11, s17
	s_waitcnt lgkmcnt(0)
	global_store_dword v82, v80, s[16:17]
.LBB102_12:
	s_or_b64 exec, exec, s[8:9]
	s_waitcnt lgkmcnt(0)
	v_cmp_ne_u32_e32 vcc, 0, v80
	s_mov_b64 s[8:9], 0
	s_cbranch_vccnz .LBB102_162
; %bb.13:
	buffer_load_dword v82, v79, s[0:3], 0 offen
	buffer_load_dword v83, v79, s[0:3], 0 offen offset:4
	s_waitcnt vmcnt(0)
	v_div_scale_f64 v[84:85], s[8:9], v[82:83], v[82:83], 1.0
	v_rcp_f64_e32 v[86:87], v[84:85]
	v_fma_f64 v[88:89], -v[84:85], v[86:87], 1.0
	v_fma_f64 v[86:87], v[86:87], v[88:89], v[86:87]
	v_div_scale_f64 v[88:89], vcc, 1.0, v[82:83], 1.0
	v_fma_f64 v[90:91], -v[84:85], v[86:87], 1.0
	v_fma_f64 v[86:87], v[86:87], v[90:91], v[86:87]
	v_mul_f64 v[90:91], v[88:89], v[86:87]
	v_fma_f64 v[84:85], -v[84:85], v[90:91], v[88:89]
	v_div_fmas_f64 v[84:85], v[84:85], v[86:87], v[90:91]
	v_div_fixup_f64 v[83:84], v[84:85], v[82:83], 1.0
	v_add_u32_e32 v82, 0x140, v81
	buffer_store_dword v84, v79, s[0:3], 0 offen offset:4
	buffer_store_dword v83, v79, s[0:3], 0 offen
	buffer_load_dword v86, off, s[0:3], 0 offset:12
	buffer_load_dword v85, off, s[0:3], 0 offset:8
	v_xor_b32_e32 v84, 0x80000000, v84
	s_waitcnt vmcnt(0)
	ds_write2_b64 v81, v[83:84], v[85:86] offset1:40
	s_waitcnt lgkmcnt(0)
	; wave barrier
	s_and_saveexec_b64 s[8:9], s[4:5]
	s_cbranch_execz .LBB102_15
; %bb.14:
	buffer_load_dword v83, v79, s[0:3], 0 offen
	buffer_load_dword v84, v79, s[0:3], 0 offen offset:4
	ds_read_b64 v[85:86], v82
	v_mov_b32_e32 v80, 0
	ds_read_b64 v[87:88], v80 offset:8
	s_waitcnt vmcnt(0) lgkmcnt(1)
	v_fma_f64 v[83:84], v[83:84], v[85:86], 0
	s_waitcnt lgkmcnt(0)
	v_mul_f64 v[83:84], v[83:84], v[87:88]
	buffer_store_dword v83, off, s[0:3], 0 offset:8
	buffer_store_dword v84, off, s[0:3], 0 offset:12
.LBB102_15:
	s_or_b64 exec, exec, s[8:9]
	; wave barrier
	buffer_load_dword v83, off, s[0:3], 0 offset:16
	buffer_load_dword v84, off, s[0:3], 0 offset:20
	v_cmp_gt_u32_e32 vcc, 2, v0
	s_waitcnt vmcnt(0)
	ds_write_b64 v82, v[83:84]
	s_waitcnt lgkmcnt(0)
	; wave barrier
	s_and_saveexec_b64 s[8:9], vcc
	s_cbranch_execz .LBB102_17
; %bb.16:
	buffer_load_dword v83, v79, s[0:3], 0 offen
	buffer_load_dword v84, v79, s[0:3], 0 offen offset:4
                                        ; kill: killed $vgpr79
	s_nop 0
	buffer_load_dword v79, off, s[0:3], 0 offset:8
	buffer_load_dword v80, off, s[0:3], 0 offset:12
	ds_read_b64 v[85:86], v82
	s_waitcnt vmcnt(2) lgkmcnt(0)
	v_fma_f64 v[87:88], v[83:84], v[85:86], 0
	v_mov_b32_e32 v83, 0
	ds_read2_b64 v[83:86], v83 offset0:2 offset1:41
	s_waitcnt vmcnt(0) lgkmcnt(0)
	v_fma_f64 v[79:80], v[79:80], v[85:86], v[87:88]
	v_cndmask_b32_e64 v80, v88, v80, s[4:5]
	v_cndmask_b32_e64 v79, v87, v79, s[4:5]
	v_mul_f64 v[79:80], v[79:80], v[83:84]
	buffer_store_dword v80, off, s[0:3], 0 offset:20
	buffer_store_dword v79, off, s[0:3], 0 offset:16
.LBB102_17:
	s_or_b64 exec, exec, s[8:9]
	; wave barrier
	buffer_load_dword v79, off, s[0:3], 0 offset:24
	buffer_load_dword v80, off, s[0:3], 0 offset:28
	v_cmp_gt_u32_e32 vcc, 3, v0
	v_add_u32_e32 v83, -1, v0
	s_waitcnt vmcnt(0)
	ds_write_b64 v82, v[79:80]
	s_waitcnt lgkmcnt(0)
	; wave barrier
	s_and_saveexec_b64 s[4:5], vcc
	s_cbranch_execz .LBB102_21
; %bb.18:
	v_mov_b32_e32 v79, 0
	v_add_u32_e32 v84, -1, v0
	v_add_u32_e32 v85, 0x140, v81
	v_mov_b32_e32 v86, v81
	v_mov_b32_e32 v80, 0
	s_mov_b64 s[8:9], 0
.LBB102_19:                             ; =>This Inner Loop Header: Depth=1
	buffer_load_dword v87, v86, s[0:3], 0 offen
	buffer_load_dword v88, v86, s[0:3], 0 offen offset:4
	ds_read_b64 v[89:90], v85
	v_add_u32_e32 v84, 1, v84
	v_cmp_lt_u32_e32 vcc, 1, v84
	v_add_u32_e32 v85, 8, v85
	s_or_b64 s[8:9], vcc, s[8:9]
	v_add_u32_e32 v86, 8, v86
	s_waitcnt vmcnt(0) lgkmcnt(0)
	v_fma_f64 v[79:80], v[87:88], v[89:90], v[79:80]
	s_andn2_b64 exec, exec, s[8:9]
	s_cbranch_execnz .LBB102_19
; %bb.20:
	s_or_b64 exec, exec, s[8:9]
	v_mov_b32_e32 v84, 0
	ds_read_b64 v[84:85], v84 offset:24
	s_waitcnt lgkmcnt(0)
	v_mul_f64 v[79:80], v[79:80], v[84:85]
	buffer_store_dword v80, off, s[0:3], 0 offset:28
	buffer_store_dword v79, off, s[0:3], 0 offset:24
.LBB102_21:
	s_or_b64 exec, exec, s[4:5]
	; wave barrier
	buffer_load_dword v79, off, s[0:3], 0 offset:32
	buffer_load_dword v80, off, s[0:3], 0 offset:36
	v_cmp_gt_u32_e32 vcc, 4, v0
	s_waitcnt vmcnt(0)
	ds_write_b64 v82, v[79:80]
	s_waitcnt lgkmcnt(0)
	; wave barrier
	s_and_saveexec_b64 s[4:5], vcc
	s_cbranch_execz .LBB102_25
; %bb.22:
	v_mov_b32_e32 v79, 0
	v_add_u32_e32 v84, -1, v0
	v_add_u32_e32 v85, 0x140, v81
	v_mov_b32_e32 v86, v81
	v_mov_b32_e32 v80, 0
	s_mov_b64 s[8:9], 0
.LBB102_23:                             ; =>This Inner Loop Header: Depth=1
	buffer_load_dword v87, v86, s[0:3], 0 offen
	buffer_load_dword v88, v86, s[0:3], 0 offen offset:4
	ds_read_b64 v[89:90], v85
	v_add_u32_e32 v84, 1, v84
	v_cmp_lt_u32_e32 vcc, 2, v84
	v_add_u32_e32 v85, 8, v85
	s_or_b64 s[8:9], vcc, s[8:9]
	v_add_u32_e32 v86, 8, v86
	s_waitcnt vmcnt(0) lgkmcnt(0)
	v_fma_f64 v[79:80], v[87:88], v[89:90], v[79:80]
	s_andn2_b64 exec, exec, s[8:9]
	s_cbranch_execnz .LBB102_23
; %bb.24:
	s_or_b64 exec, exec, s[8:9]
	v_mov_b32_e32 v84, 0
	ds_read_b64 v[84:85], v84 offset:32
	s_waitcnt lgkmcnt(0)
	v_mul_f64 v[79:80], v[79:80], v[84:85]
	buffer_store_dword v80, off, s[0:3], 0 offset:36
	buffer_store_dword v79, off, s[0:3], 0 offset:32
.LBB102_25:
	s_or_b64 exec, exec, s[4:5]
	; wave barrier
	buffer_load_dword v79, off, s[0:3], 0 offset:40
	buffer_load_dword v80, off, s[0:3], 0 offset:44
	v_cmp_gt_u32_e32 vcc, 5, v0
	s_waitcnt vmcnt(0)
	ds_write_b64 v82, v[79:80]
	s_waitcnt lgkmcnt(0)
	; wave barrier
	s_and_saveexec_b64 s[4:5], vcc
	s_cbranch_execz .LBB102_29
; %bb.26:
	v_mov_b32_e32 v79, 0
	v_add_u32_e32 v84, -1, v0
	v_add_u32_e32 v85, 0x140, v81
	v_mov_b32_e32 v86, v81
	v_mov_b32_e32 v80, 0
	s_mov_b64 s[8:9], 0
.LBB102_27:                             ; =>This Inner Loop Header: Depth=1
	buffer_load_dword v87, v86, s[0:3], 0 offen
	buffer_load_dword v88, v86, s[0:3], 0 offen offset:4
	ds_read_b64 v[89:90], v85
	v_add_u32_e32 v84, 1, v84
	v_cmp_lt_u32_e32 vcc, 3, v84
	v_add_u32_e32 v85, 8, v85
	s_or_b64 s[8:9], vcc, s[8:9]
	v_add_u32_e32 v86, 8, v86
	s_waitcnt vmcnt(0) lgkmcnt(0)
	v_fma_f64 v[79:80], v[87:88], v[89:90], v[79:80]
	s_andn2_b64 exec, exec, s[8:9]
	s_cbranch_execnz .LBB102_27
; %bb.28:
	s_or_b64 exec, exec, s[8:9]
	v_mov_b32_e32 v84, 0
	ds_read_b64 v[84:85], v84 offset:40
	s_waitcnt lgkmcnt(0)
	v_mul_f64 v[79:80], v[79:80], v[84:85]
	buffer_store_dword v80, off, s[0:3], 0 offset:44
	buffer_store_dword v79, off, s[0:3], 0 offset:40
.LBB102_29:
	s_or_b64 exec, exec, s[4:5]
	; wave barrier
	buffer_load_dword v79, off, s[0:3], 0 offset:48
	buffer_load_dword v80, off, s[0:3], 0 offset:52
	v_cmp_gt_u32_e32 vcc, 6, v0
	s_waitcnt vmcnt(0)
	ds_write_b64 v82, v[79:80]
	s_waitcnt lgkmcnt(0)
	; wave barrier
	s_and_saveexec_b64 s[4:5], vcc
	s_cbranch_execz .LBB102_33
; %bb.30:
	v_mov_b32_e32 v79, 0
	v_add_u32_e32 v84, -1, v0
	v_add_u32_e32 v85, 0x140, v81
	v_mov_b32_e32 v86, v81
	v_mov_b32_e32 v80, 0
	s_mov_b64 s[8:9], 0
.LBB102_31:                             ; =>This Inner Loop Header: Depth=1
	buffer_load_dword v87, v86, s[0:3], 0 offen
	buffer_load_dword v88, v86, s[0:3], 0 offen offset:4
	ds_read_b64 v[89:90], v85
	v_add_u32_e32 v84, 1, v84
	v_cmp_lt_u32_e32 vcc, 4, v84
	v_add_u32_e32 v85, 8, v85
	s_or_b64 s[8:9], vcc, s[8:9]
	v_add_u32_e32 v86, 8, v86
	s_waitcnt vmcnt(0) lgkmcnt(0)
	v_fma_f64 v[79:80], v[87:88], v[89:90], v[79:80]
	s_andn2_b64 exec, exec, s[8:9]
	s_cbranch_execnz .LBB102_31
; %bb.32:
	s_or_b64 exec, exec, s[8:9]
	v_mov_b32_e32 v84, 0
	ds_read_b64 v[84:85], v84 offset:48
	s_waitcnt lgkmcnt(0)
	v_mul_f64 v[79:80], v[79:80], v[84:85]
	buffer_store_dword v80, off, s[0:3], 0 offset:52
	buffer_store_dword v79, off, s[0:3], 0 offset:48
.LBB102_33:
	s_or_b64 exec, exec, s[4:5]
	; wave barrier
	buffer_load_dword v79, off, s[0:3], 0 offset:56
	buffer_load_dword v80, off, s[0:3], 0 offset:60
	v_cmp_gt_u32_e32 vcc, 7, v0
	s_waitcnt vmcnt(0)
	ds_write_b64 v82, v[79:80]
	s_waitcnt lgkmcnt(0)
	; wave barrier
	s_and_saveexec_b64 s[4:5], vcc
	s_cbranch_execz .LBB102_37
; %bb.34:
	v_mov_b32_e32 v79, 0
	v_add_u32_e32 v84, -1, v0
	v_add_u32_e32 v85, 0x140, v81
	v_mov_b32_e32 v86, v81
	v_mov_b32_e32 v80, 0
	s_mov_b64 s[8:9], 0
.LBB102_35:                             ; =>This Inner Loop Header: Depth=1
	buffer_load_dword v87, v86, s[0:3], 0 offen
	buffer_load_dword v88, v86, s[0:3], 0 offen offset:4
	ds_read_b64 v[89:90], v85
	v_add_u32_e32 v84, 1, v84
	v_cmp_lt_u32_e32 vcc, 5, v84
	v_add_u32_e32 v85, 8, v85
	s_or_b64 s[8:9], vcc, s[8:9]
	v_add_u32_e32 v86, 8, v86
	s_waitcnt vmcnt(0) lgkmcnt(0)
	v_fma_f64 v[79:80], v[87:88], v[89:90], v[79:80]
	s_andn2_b64 exec, exec, s[8:9]
	s_cbranch_execnz .LBB102_35
; %bb.36:
	s_or_b64 exec, exec, s[8:9]
	v_mov_b32_e32 v84, 0
	ds_read_b64 v[84:85], v84 offset:56
	s_waitcnt lgkmcnt(0)
	v_mul_f64 v[79:80], v[79:80], v[84:85]
	buffer_store_dword v80, off, s[0:3], 0 offset:60
	buffer_store_dword v79, off, s[0:3], 0 offset:56
.LBB102_37:
	s_or_b64 exec, exec, s[4:5]
	; wave barrier
	buffer_load_dword v79, off, s[0:3], 0 offset:64
	buffer_load_dword v80, off, s[0:3], 0 offset:68
	v_cmp_gt_u32_e32 vcc, 8, v0
	s_waitcnt vmcnt(0)
	ds_write_b64 v82, v[79:80]
	s_waitcnt lgkmcnt(0)
	; wave barrier
	s_and_saveexec_b64 s[4:5], vcc
	s_cbranch_execz .LBB102_41
; %bb.38:
	v_mov_b32_e32 v79, 0
	v_add_u32_e32 v84, -1, v0
	v_add_u32_e32 v85, 0x140, v81
	v_mov_b32_e32 v86, v81
	v_mov_b32_e32 v80, 0
	s_mov_b64 s[8:9], 0
.LBB102_39:                             ; =>This Inner Loop Header: Depth=1
	buffer_load_dword v87, v86, s[0:3], 0 offen
	buffer_load_dword v88, v86, s[0:3], 0 offen offset:4
	ds_read_b64 v[89:90], v85
	v_add_u32_e32 v84, 1, v84
	v_cmp_lt_u32_e32 vcc, 6, v84
	v_add_u32_e32 v85, 8, v85
	s_or_b64 s[8:9], vcc, s[8:9]
	v_add_u32_e32 v86, 8, v86
	s_waitcnt vmcnt(0) lgkmcnt(0)
	v_fma_f64 v[79:80], v[87:88], v[89:90], v[79:80]
	s_andn2_b64 exec, exec, s[8:9]
	s_cbranch_execnz .LBB102_39
; %bb.40:
	s_or_b64 exec, exec, s[8:9]
	v_mov_b32_e32 v84, 0
	ds_read_b64 v[84:85], v84 offset:64
	s_waitcnt lgkmcnt(0)
	v_mul_f64 v[79:80], v[79:80], v[84:85]
	buffer_store_dword v80, off, s[0:3], 0 offset:68
	buffer_store_dword v79, off, s[0:3], 0 offset:64
.LBB102_41:
	s_or_b64 exec, exec, s[4:5]
	; wave barrier
	buffer_load_dword v79, off, s[0:3], 0 offset:72
	buffer_load_dword v80, off, s[0:3], 0 offset:76
	v_cmp_gt_u32_e32 vcc, 9, v0
	s_waitcnt vmcnt(0)
	ds_write_b64 v82, v[79:80]
	s_waitcnt lgkmcnt(0)
	; wave barrier
	s_and_saveexec_b64 s[4:5], vcc
	s_cbranch_execz .LBB102_45
; %bb.42:
	v_mov_b32_e32 v79, 0
	v_add_u32_e32 v84, -1, v0
	v_add_u32_e32 v85, 0x140, v81
	v_mov_b32_e32 v86, v81
	v_mov_b32_e32 v80, 0
	s_mov_b64 s[8:9], 0
.LBB102_43:                             ; =>This Inner Loop Header: Depth=1
	buffer_load_dword v87, v86, s[0:3], 0 offen
	buffer_load_dword v88, v86, s[0:3], 0 offen offset:4
	ds_read_b64 v[89:90], v85
	v_add_u32_e32 v84, 1, v84
	v_cmp_lt_u32_e32 vcc, 7, v84
	v_add_u32_e32 v85, 8, v85
	s_or_b64 s[8:9], vcc, s[8:9]
	v_add_u32_e32 v86, 8, v86
	s_waitcnt vmcnt(0) lgkmcnt(0)
	v_fma_f64 v[79:80], v[87:88], v[89:90], v[79:80]
	s_andn2_b64 exec, exec, s[8:9]
	s_cbranch_execnz .LBB102_43
; %bb.44:
	s_or_b64 exec, exec, s[8:9]
	v_mov_b32_e32 v84, 0
	ds_read_b64 v[84:85], v84 offset:72
	s_waitcnt lgkmcnt(0)
	v_mul_f64 v[79:80], v[79:80], v[84:85]
	buffer_store_dword v80, off, s[0:3], 0 offset:76
	buffer_store_dword v79, off, s[0:3], 0 offset:72
.LBB102_45:
	s_or_b64 exec, exec, s[4:5]
	; wave barrier
	buffer_load_dword v79, off, s[0:3], 0 offset:80
	buffer_load_dword v80, off, s[0:3], 0 offset:84
	v_cmp_gt_u32_e32 vcc, 10, v0
	s_waitcnt vmcnt(0)
	ds_write_b64 v82, v[79:80]
	s_waitcnt lgkmcnt(0)
	; wave barrier
	s_and_saveexec_b64 s[4:5], vcc
	s_cbranch_execz .LBB102_49
; %bb.46:
	v_mov_b32_e32 v79, 0
	v_add_u32_e32 v84, -1, v0
	v_add_u32_e32 v85, 0x140, v81
	v_mov_b32_e32 v86, v81
	v_mov_b32_e32 v80, 0
	s_mov_b64 s[8:9], 0
.LBB102_47:                             ; =>This Inner Loop Header: Depth=1
	buffer_load_dword v87, v86, s[0:3], 0 offen
	buffer_load_dword v88, v86, s[0:3], 0 offen offset:4
	ds_read_b64 v[89:90], v85
	v_add_u32_e32 v84, 1, v84
	v_cmp_lt_u32_e32 vcc, 8, v84
	v_add_u32_e32 v85, 8, v85
	s_or_b64 s[8:9], vcc, s[8:9]
	v_add_u32_e32 v86, 8, v86
	s_waitcnt vmcnt(0) lgkmcnt(0)
	v_fma_f64 v[79:80], v[87:88], v[89:90], v[79:80]
	s_andn2_b64 exec, exec, s[8:9]
	s_cbranch_execnz .LBB102_47
; %bb.48:
	s_or_b64 exec, exec, s[8:9]
	v_mov_b32_e32 v84, 0
	ds_read_b64 v[84:85], v84 offset:80
	s_waitcnt lgkmcnt(0)
	v_mul_f64 v[79:80], v[79:80], v[84:85]
	buffer_store_dword v80, off, s[0:3], 0 offset:84
	buffer_store_dword v79, off, s[0:3], 0 offset:80
.LBB102_49:
	s_or_b64 exec, exec, s[4:5]
	; wave barrier
	buffer_load_dword v79, off, s[0:3], 0 offset:88
	buffer_load_dword v80, off, s[0:3], 0 offset:92
	v_cmp_gt_u32_e32 vcc, 11, v0
	s_waitcnt vmcnt(0)
	ds_write_b64 v82, v[79:80]
	s_waitcnt lgkmcnt(0)
	; wave barrier
	s_and_saveexec_b64 s[4:5], vcc
	s_cbranch_execz .LBB102_53
; %bb.50:
	v_mov_b32_e32 v79, 0
	v_add_u32_e32 v84, -1, v0
	v_add_u32_e32 v85, 0x140, v81
	v_mov_b32_e32 v86, v81
	v_mov_b32_e32 v80, 0
	s_mov_b64 s[8:9], 0
.LBB102_51:                             ; =>This Inner Loop Header: Depth=1
	buffer_load_dword v87, v86, s[0:3], 0 offen
	buffer_load_dword v88, v86, s[0:3], 0 offen offset:4
	ds_read_b64 v[89:90], v85
	v_add_u32_e32 v84, 1, v84
	v_cmp_lt_u32_e32 vcc, 9, v84
	v_add_u32_e32 v85, 8, v85
	s_or_b64 s[8:9], vcc, s[8:9]
	v_add_u32_e32 v86, 8, v86
	s_waitcnt vmcnt(0) lgkmcnt(0)
	v_fma_f64 v[79:80], v[87:88], v[89:90], v[79:80]
	s_andn2_b64 exec, exec, s[8:9]
	s_cbranch_execnz .LBB102_51
; %bb.52:
	s_or_b64 exec, exec, s[8:9]
	v_mov_b32_e32 v84, 0
	ds_read_b64 v[84:85], v84 offset:88
	s_waitcnt lgkmcnt(0)
	v_mul_f64 v[79:80], v[79:80], v[84:85]
	buffer_store_dword v80, off, s[0:3], 0 offset:92
	buffer_store_dword v79, off, s[0:3], 0 offset:88
.LBB102_53:
	s_or_b64 exec, exec, s[4:5]
	; wave barrier
	buffer_load_dword v79, off, s[0:3], 0 offset:96
	buffer_load_dword v80, off, s[0:3], 0 offset:100
	v_cmp_gt_u32_e32 vcc, 12, v0
	s_waitcnt vmcnt(0)
	ds_write_b64 v82, v[79:80]
	s_waitcnt lgkmcnt(0)
	; wave barrier
	s_and_saveexec_b64 s[4:5], vcc
	s_cbranch_execz .LBB102_57
; %bb.54:
	v_mov_b32_e32 v79, 0
	v_add_u32_e32 v84, -1, v0
	v_add_u32_e32 v85, 0x140, v81
	v_mov_b32_e32 v86, v81
	v_mov_b32_e32 v80, 0
	s_mov_b64 s[8:9], 0
.LBB102_55:                             ; =>This Inner Loop Header: Depth=1
	buffer_load_dword v87, v86, s[0:3], 0 offen
	buffer_load_dword v88, v86, s[0:3], 0 offen offset:4
	ds_read_b64 v[89:90], v85
	v_add_u32_e32 v84, 1, v84
	v_cmp_lt_u32_e32 vcc, 10, v84
	v_add_u32_e32 v85, 8, v85
	s_or_b64 s[8:9], vcc, s[8:9]
	v_add_u32_e32 v86, 8, v86
	s_waitcnt vmcnt(0) lgkmcnt(0)
	v_fma_f64 v[79:80], v[87:88], v[89:90], v[79:80]
	s_andn2_b64 exec, exec, s[8:9]
	s_cbranch_execnz .LBB102_55
; %bb.56:
	s_or_b64 exec, exec, s[8:9]
	v_mov_b32_e32 v84, 0
	ds_read_b64 v[84:85], v84 offset:96
	s_waitcnt lgkmcnt(0)
	v_mul_f64 v[79:80], v[79:80], v[84:85]
	buffer_store_dword v80, off, s[0:3], 0 offset:100
	buffer_store_dword v79, off, s[0:3], 0 offset:96
.LBB102_57:
	s_or_b64 exec, exec, s[4:5]
	; wave barrier
	buffer_load_dword v79, off, s[0:3], 0 offset:104
	buffer_load_dword v80, off, s[0:3], 0 offset:108
	v_cmp_gt_u32_e32 vcc, 13, v0
	s_waitcnt vmcnt(0)
	ds_write_b64 v82, v[79:80]
	s_waitcnt lgkmcnt(0)
	; wave barrier
	s_and_saveexec_b64 s[4:5], vcc
	s_cbranch_execz .LBB102_61
; %bb.58:
	v_mov_b32_e32 v79, 0
	v_add_u32_e32 v84, -1, v0
	v_add_u32_e32 v85, 0x140, v81
	v_mov_b32_e32 v86, v81
	v_mov_b32_e32 v80, 0
	s_mov_b64 s[8:9], 0
.LBB102_59:                             ; =>This Inner Loop Header: Depth=1
	buffer_load_dword v87, v86, s[0:3], 0 offen
	buffer_load_dword v88, v86, s[0:3], 0 offen offset:4
	ds_read_b64 v[89:90], v85
	v_add_u32_e32 v84, 1, v84
	v_cmp_lt_u32_e32 vcc, 11, v84
	v_add_u32_e32 v85, 8, v85
	s_or_b64 s[8:9], vcc, s[8:9]
	v_add_u32_e32 v86, 8, v86
	s_waitcnt vmcnt(0) lgkmcnt(0)
	v_fma_f64 v[79:80], v[87:88], v[89:90], v[79:80]
	s_andn2_b64 exec, exec, s[8:9]
	s_cbranch_execnz .LBB102_59
; %bb.60:
	s_or_b64 exec, exec, s[8:9]
	v_mov_b32_e32 v84, 0
	ds_read_b64 v[84:85], v84 offset:104
	s_waitcnt lgkmcnt(0)
	v_mul_f64 v[79:80], v[79:80], v[84:85]
	buffer_store_dword v80, off, s[0:3], 0 offset:108
	buffer_store_dword v79, off, s[0:3], 0 offset:104
.LBB102_61:
	s_or_b64 exec, exec, s[4:5]
	; wave barrier
	buffer_load_dword v79, off, s[0:3], 0 offset:112
	buffer_load_dword v80, off, s[0:3], 0 offset:116
	v_cmp_gt_u32_e32 vcc, 14, v0
	s_waitcnt vmcnt(0)
	ds_write_b64 v82, v[79:80]
	s_waitcnt lgkmcnt(0)
	; wave barrier
	s_and_saveexec_b64 s[4:5], vcc
	s_cbranch_execz .LBB102_65
; %bb.62:
	v_mov_b32_e32 v79, 0
	v_add_u32_e32 v84, -1, v0
	v_add_u32_e32 v85, 0x140, v81
	v_mov_b32_e32 v86, v81
	v_mov_b32_e32 v80, 0
	s_mov_b64 s[8:9], 0
.LBB102_63:                             ; =>This Inner Loop Header: Depth=1
	buffer_load_dword v87, v86, s[0:3], 0 offen
	buffer_load_dword v88, v86, s[0:3], 0 offen offset:4
	ds_read_b64 v[89:90], v85
	v_add_u32_e32 v84, 1, v84
	v_cmp_lt_u32_e32 vcc, 12, v84
	v_add_u32_e32 v85, 8, v85
	s_or_b64 s[8:9], vcc, s[8:9]
	v_add_u32_e32 v86, 8, v86
	s_waitcnt vmcnt(0) lgkmcnt(0)
	v_fma_f64 v[79:80], v[87:88], v[89:90], v[79:80]
	s_andn2_b64 exec, exec, s[8:9]
	s_cbranch_execnz .LBB102_63
; %bb.64:
	s_or_b64 exec, exec, s[8:9]
	v_mov_b32_e32 v84, 0
	ds_read_b64 v[84:85], v84 offset:112
	s_waitcnt lgkmcnt(0)
	v_mul_f64 v[79:80], v[79:80], v[84:85]
	buffer_store_dword v80, off, s[0:3], 0 offset:116
	buffer_store_dword v79, off, s[0:3], 0 offset:112
.LBB102_65:
	s_or_b64 exec, exec, s[4:5]
	; wave barrier
	buffer_load_dword v79, off, s[0:3], 0 offset:120
	buffer_load_dword v80, off, s[0:3], 0 offset:124
	v_cmp_gt_u32_e32 vcc, 15, v0
	s_waitcnt vmcnt(0)
	ds_write_b64 v82, v[79:80]
	s_waitcnt lgkmcnt(0)
	; wave barrier
	s_and_saveexec_b64 s[4:5], vcc
	s_cbranch_execz .LBB102_69
; %bb.66:
	v_mov_b32_e32 v79, 0
	v_add_u32_e32 v84, -1, v0
	v_add_u32_e32 v85, 0x140, v81
	v_mov_b32_e32 v86, v81
	v_mov_b32_e32 v80, 0
	s_mov_b64 s[8:9], 0
.LBB102_67:                             ; =>This Inner Loop Header: Depth=1
	buffer_load_dword v87, v86, s[0:3], 0 offen
	buffer_load_dword v88, v86, s[0:3], 0 offen offset:4
	ds_read_b64 v[89:90], v85
	v_add_u32_e32 v84, 1, v84
	v_cmp_lt_u32_e32 vcc, 13, v84
	v_add_u32_e32 v85, 8, v85
	s_or_b64 s[8:9], vcc, s[8:9]
	v_add_u32_e32 v86, 8, v86
	s_waitcnt vmcnt(0) lgkmcnt(0)
	v_fma_f64 v[79:80], v[87:88], v[89:90], v[79:80]
	s_andn2_b64 exec, exec, s[8:9]
	s_cbranch_execnz .LBB102_67
; %bb.68:
	s_or_b64 exec, exec, s[8:9]
	v_mov_b32_e32 v84, 0
	ds_read_b64 v[84:85], v84 offset:120
	s_waitcnt lgkmcnt(0)
	v_mul_f64 v[79:80], v[79:80], v[84:85]
	buffer_store_dword v80, off, s[0:3], 0 offset:124
	buffer_store_dword v79, off, s[0:3], 0 offset:120
.LBB102_69:
	s_or_b64 exec, exec, s[4:5]
	; wave barrier
	buffer_load_dword v79, off, s[0:3], 0 offset:128
	buffer_load_dword v80, off, s[0:3], 0 offset:132
	v_cmp_gt_u32_e32 vcc, 16, v0
	s_waitcnt vmcnt(0)
	ds_write_b64 v82, v[79:80]
	s_waitcnt lgkmcnt(0)
	; wave barrier
	s_and_saveexec_b64 s[4:5], vcc
	s_cbranch_execz .LBB102_73
; %bb.70:
	v_mov_b32_e32 v79, 0
	v_add_u32_e32 v84, -1, v0
	v_add_u32_e32 v85, 0x140, v81
	v_mov_b32_e32 v86, v81
	v_mov_b32_e32 v80, 0
	s_mov_b64 s[8:9], 0
.LBB102_71:                             ; =>This Inner Loop Header: Depth=1
	buffer_load_dword v87, v86, s[0:3], 0 offen
	buffer_load_dword v88, v86, s[0:3], 0 offen offset:4
	ds_read_b64 v[89:90], v85
	v_add_u32_e32 v84, 1, v84
	v_cmp_lt_u32_e32 vcc, 14, v84
	v_add_u32_e32 v85, 8, v85
	s_or_b64 s[8:9], vcc, s[8:9]
	v_add_u32_e32 v86, 8, v86
	s_waitcnt vmcnt(0) lgkmcnt(0)
	v_fma_f64 v[79:80], v[87:88], v[89:90], v[79:80]
	s_andn2_b64 exec, exec, s[8:9]
	s_cbranch_execnz .LBB102_71
; %bb.72:
	s_or_b64 exec, exec, s[8:9]
	v_mov_b32_e32 v84, 0
	ds_read_b64 v[84:85], v84 offset:128
	s_waitcnt lgkmcnt(0)
	v_mul_f64 v[79:80], v[79:80], v[84:85]
	buffer_store_dword v80, off, s[0:3], 0 offset:132
	buffer_store_dword v79, off, s[0:3], 0 offset:128
.LBB102_73:
	s_or_b64 exec, exec, s[4:5]
	; wave barrier
	buffer_load_dword v79, off, s[0:3], 0 offset:136
	buffer_load_dword v80, off, s[0:3], 0 offset:140
	v_cmp_gt_u32_e32 vcc, 17, v0
	s_waitcnt vmcnt(0)
	ds_write_b64 v82, v[79:80]
	s_waitcnt lgkmcnt(0)
	; wave barrier
	s_and_saveexec_b64 s[4:5], vcc
	s_cbranch_execz .LBB102_77
; %bb.74:
	v_mov_b32_e32 v79, 0
	v_add_u32_e32 v84, -1, v0
	v_add_u32_e32 v85, 0x140, v81
	v_mov_b32_e32 v86, v81
	v_mov_b32_e32 v80, 0
	s_mov_b64 s[8:9], 0
.LBB102_75:                             ; =>This Inner Loop Header: Depth=1
	buffer_load_dword v87, v86, s[0:3], 0 offen
	buffer_load_dword v88, v86, s[0:3], 0 offen offset:4
	ds_read_b64 v[89:90], v85
	v_add_u32_e32 v84, 1, v84
	v_cmp_lt_u32_e32 vcc, 15, v84
	v_add_u32_e32 v85, 8, v85
	s_or_b64 s[8:9], vcc, s[8:9]
	v_add_u32_e32 v86, 8, v86
	s_waitcnt vmcnt(0) lgkmcnt(0)
	v_fma_f64 v[79:80], v[87:88], v[89:90], v[79:80]
	s_andn2_b64 exec, exec, s[8:9]
	s_cbranch_execnz .LBB102_75
; %bb.76:
	s_or_b64 exec, exec, s[8:9]
	v_mov_b32_e32 v84, 0
	ds_read_b64 v[84:85], v84 offset:136
	s_waitcnt lgkmcnt(0)
	v_mul_f64 v[79:80], v[79:80], v[84:85]
	buffer_store_dword v80, off, s[0:3], 0 offset:140
	buffer_store_dword v79, off, s[0:3], 0 offset:136
.LBB102_77:
	s_or_b64 exec, exec, s[4:5]
	; wave barrier
	buffer_load_dword v79, off, s[0:3], 0 offset:144
	buffer_load_dword v80, off, s[0:3], 0 offset:148
	v_cmp_gt_u32_e32 vcc, 18, v0
	s_waitcnt vmcnt(0)
	ds_write_b64 v82, v[79:80]
	s_waitcnt lgkmcnt(0)
	; wave barrier
	s_and_saveexec_b64 s[4:5], vcc
	s_cbranch_execz .LBB102_81
; %bb.78:
	v_mov_b32_e32 v79, 0
	v_add_u32_e32 v84, -1, v0
	v_add_u32_e32 v85, 0x140, v81
	v_mov_b32_e32 v86, v81
	v_mov_b32_e32 v80, 0
	s_mov_b64 s[8:9], 0
.LBB102_79:                             ; =>This Inner Loop Header: Depth=1
	buffer_load_dword v87, v86, s[0:3], 0 offen
	buffer_load_dword v88, v86, s[0:3], 0 offen offset:4
	ds_read_b64 v[89:90], v85
	v_add_u32_e32 v84, 1, v84
	v_cmp_lt_u32_e32 vcc, 16, v84
	v_add_u32_e32 v85, 8, v85
	s_or_b64 s[8:9], vcc, s[8:9]
	v_add_u32_e32 v86, 8, v86
	s_waitcnt vmcnt(0) lgkmcnt(0)
	v_fma_f64 v[79:80], v[87:88], v[89:90], v[79:80]
	s_andn2_b64 exec, exec, s[8:9]
	s_cbranch_execnz .LBB102_79
; %bb.80:
	s_or_b64 exec, exec, s[8:9]
	v_mov_b32_e32 v84, 0
	ds_read_b64 v[84:85], v84 offset:144
	s_waitcnt lgkmcnt(0)
	v_mul_f64 v[79:80], v[79:80], v[84:85]
	buffer_store_dword v80, off, s[0:3], 0 offset:148
	buffer_store_dword v79, off, s[0:3], 0 offset:144
.LBB102_81:
	s_or_b64 exec, exec, s[4:5]
	; wave barrier
	buffer_load_dword v79, off, s[0:3], 0 offset:152
	buffer_load_dword v80, off, s[0:3], 0 offset:156
	v_cmp_gt_u32_e32 vcc, 19, v0
	s_waitcnt vmcnt(0)
	ds_write_b64 v82, v[79:80]
	s_waitcnt lgkmcnt(0)
	; wave barrier
	s_and_saveexec_b64 s[4:5], vcc
	s_cbranch_execz .LBB102_85
; %bb.82:
	v_mov_b32_e32 v79, 0
	v_add_u32_e32 v84, -1, v0
	v_add_u32_e32 v85, 0x140, v81
	v_mov_b32_e32 v86, v81
	v_mov_b32_e32 v80, 0
	s_mov_b64 s[8:9], 0
.LBB102_83:                             ; =>This Inner Loop Header: Depth=1
	buffer_load_dword v87, v86, s[0:3], 0 offen
	buffer_load_dword v88, v86, s[0:3], 0 offen offset:4
	ds_read_b64 v[89:90], v85
	v_add_u32_e32 v84, 1, v84
	v_cmp_lt_u32_e32 vcc, 17, v84
	v_add_u32_e32 v85, 8, v85
	s_or_b64 s[8:9], vcc, s[8:9]
	v_add_u32_e32 v86, 8, v86
	s_waitcnt vmcnt(0) lgkmcnt(0)
	v_fma_f64 v[79:80], v[87:88], v[89:90], v[79:80]
	s_andn2_b64 exec, exec, s[8:9]
	s_cbranch_execnz .LBB102_83
; %bb.84:
	s_or_b64 exec, exec, s[8:9]
	v_mov_b32_e32 v84, 0
	ds_read_b64 v[84:85], v84 offset:152
	s_waitcnt lgkmcnt(0)
	v_mul_f64 v[79:80], v[79:80], v[84:85]
	buffer_store_dword v80, off, s[0:3], 0 offset:156
	buffer_store_dword v79, off, s[0:3], 0 offset:152
.LBB102_85:
	s_or_b64 exec, exec, s[4:5]
	; wave barrier
	buffer_load_dword v79, off, s[0:3], 0 offset:160
	buffer_load_dword v80, off, s[0:3], 0 offset:164
	v_cmp_gt_u32_e32 vcc, 20, v0
	s_waitcnt vmcnt(0)
	ds_write_b64 v82, v[79:80]
	s_waitcnt lgkmcnt(0)
	; wave barrier
	s_and_saveexec_b64 s[4:5], vcc
	s_cbranch_execz .LBB102_89
; %bb.86:
	v_mov_b32_e32 v79, 0
	v_add_u32_e32 v84, -1, v0
	v_add_u32_e32 v85, 0x140, v81
	v_mov_b32_e32 v86, v81
	v_mov_b32_e32 v80, 0
	s_mov_b64 s[8:9], 0
.LBB102_87:                             ; =>This Inner Loop Header: Depth=1
	buffer_load_dword v87, v86, s[0:3], 0 offen
	buffer_load_dword v88, v86, s[0:3], 0 offen offset:4
	ds_read_b64 v[89:90], v85
	v_add_u32_e32 v84, 1, v84
	v_cmp_lt_u32_e32 vcc, 18, v84
	v_add_u32_e32 v85, 8, v85
	s_or_b64 s[8:9], vcc, s[8:9]
	v_add_u32_e32 v86, 8, v86
	s_waitcnt vmcnt(0) lgkmcnt(0)
	v_fma_f64 v[79:80], v[87:88], v[89:90], v[79:80]
	s_andn2_b64 exec, exec, s[8:9]
	s_cbranch_execnz .LBB102_87
; %bb.88:
	s_or_b64 exec, exec, s[8:9]
	v_mov_b32_e32 v84, 0
	ds_read_b64 v[84:85], v84 offset:160
	s_waitcnt lgkmcnt(0)
	v_mul_f64 v[79:80], v[79:80], v[84:85]
	buffer_store_dword v80, off, s[0:3], 0 offset:164
	buffer_store_dword v79, off, s[0:3], 0 offset:160
.LBB102_89:
	s_or_b64 exec, exec, s[4:5]
	; wave barrier
	buffer_load_dword v79, off, s[0:3], 0 offset:168
	buffer_load_dword v80, off, s[0:3], 0 offset:172
	v_cmp_gt_u32_e32 vcc, 21, v0
	s_waitcnt vmcnt(0)
	ds_write_b64 v82, v[79:80]
	s_waitcnt lgkmcnt(0)
	; wave barrier
	s_and_saveexec_b64 s[4:5], vcc
	s_cbranch_execz .LBB102_93
; %bb.90:
	v_mov_b32_e32 v79, 0
	v_add_u32_e32 v84, -1, v0
	v_add_u32_e32 v85, 0x140, v81
	v_mov_b32_e32 v86, v81
	v_mov_b32_e32 v80, 0
	s_mov_b64 s[8:9], 0
.LBB102_91:                             ; =>This Inner Loop Header: Depth=1
	buffer_load_dword v87, v86, s[0:3], 0 offen
	buffer_load_dword v88, v86, s[0:3], 0 offen offset:4
	ds_read_b64 v[89:90], v85
	v_add_u32_e32 v84, 1, v84
	v_cmp_lt_u32_e32 vcc, 19, v84
	v_add_u32_e32 v85, 8, v85
	s_or_b64 s[8:9], vcc, s[8:9]
	v_add_u32_e32 v86, 8, v86
	s_waitcnt vmcnt(0) lgkmcnt(0)
	v_fma_f64 v[79:80], v[87:88], v[89:90], v[79:80]
	s_andn2_b64 exec, exec, s[8:9]
	s_cbranch_execnz .LBB102_91
; %bb.92:
	s_or_b64 exec, exec, s[8:9]
	v_mov_b32_e32 v84, 0
	ds_read_b64 v[84:85], v84 offset:168
	s_waitcnt lgkmcnt(0)
	v_mul_f64 v[79:80], v[79:80], v[84:85]
	buffer_store_dword v80, off, s[0:3], 0 offset:172
	buffer_store_dword v79, off, s[0:3], 0 offset:168
.LBB102_93:
	s_or_b64 exec, exec, s[4:5]
	; wave barrier
	buffer_load_dword v79, off, s[0:3], 0 offset:176
	buffer_load_dword v80, off, s[0:3], 0 offset:180
	v_cmp_gt_u32_e32 vcc, 22, v0
	s_waitcnt vmcnt(0)
	ds_write_b64 v82, v[79:80]
	s_waitcnt lgkmcnt(0)
	; wave barrier
	s_and_saveexec_b64 s[4:5], vcc
	s_cbranch_execz .LBB102_97
; %bb.94:
	v_mov_b32_e32 v79, 0
	v_add_u32_e32 v84, -1, v0
	v_add_u32_e32 v85, 0x140, v81
	v_mov_b32_e32 v86, v81
	v_mov_b32_e32 v80, 0
	s_mov_b64 s[8:9], 0
.LBB102_95:                             ; =>This Inner Loop Header: Depth=1
	buffer_load_dword v87, v86, s[0:3], 0 offen
	buffer_load_dword v88, v86, s[0:3], 0 offen offset:4
	ds_read_b64 v[89:90], v85
	v_add_u32_e32 v84, 1, v84
	v_cmp_lt_u32_e32 vcc, 20, v84
	v_add_u32_e32 v85, 8, v85
	s_or_b64 s[8:9], vcc, s[8:9]
	v_add_u32_e32 v86, 8, v86
	s_waitcnt vmcnt(0) lgkmcnt(0)
	v_fma_f64 v[79:80], v[87:88], v[89:90], v[79:80]
	s_andn2_b64 exec, exec, s[8:9]
	s_cbranch_execnz .LBB102_95
; %bb.96:
	s_or_b64 exec, exec, s[8:9]
	v_mov_b32_e32 v84, 0
	ds_read_b64 v[84:85], v84 offset:176
	s_waitcnt lgkmcnt(0)
	v_mul_f64 v[79:80], v[79:80], v[84:85]
	buffer_store_dword v80, off, s[0:3], 0 offset:180
	buffer_store_dword v79, off, s[0:3], 0 offset:176
.LBB102_97:
	s_or_b64 exec, exec, s[4:5]
	; wave barrier
	buffer_load_dword v79, off, s[0:3], 0 offset:184
	buffer_load_dword v80, off, s[0:3], 0 offset:188
	v_cmp_gt_u32_e32 vcc, 23, v0
	s_waitcnt vmcnt(0)
	ds_write_b64 v82, v[79:80]
	s_waitcnt lgkmcnt(0)
	; wave barrier
	s_and_saveexec_b64 s[4:5], vcc
	s_cbranch_execz .LBB102_101
; %bb.98:
	v_mov_b32_e32 v79, 0
	v_add_u32_e32 v84, -1, v0
	v_add_u32_e32 v85, 0x140, v81
	v_mov_b32_e32 v86, v81
	v_mov_b32_e32 v80, 0
	s_mov_b64 s[8:9], 0
.LBB102_99:                             ; =>This Inner Loop Header: Depth=1
	buffer_load_dword v87, v86, s[0:3], 0 offen
	buffer_load_dword v88, v86, s[0:3], 0 offen offset:4
	ds_read_b64 v[89:90], v85
	v_add_u32_e32 v84, 1, v84
	v_cmp_lt_u32_e32 vcc, 21, v84
	v_add_u32_e32 v85, 8, v85
	s_or_b64 s[8:9], vcc, s[8:9]
	v_add_u32_e32 v86, 8, v86
	s_waitcnt vmcnt(0) lgkmcnt(0)
	v_fma_f64 v[79:80], v[87:88], v[89:90], v[79:80]
	s_andn2_b64 exec, exec, s[8:9]
	s_cbranch_execnz .LBB102_99
; %bb.100:
	s_or_b64 exec, exec, s[8:9]
	v_mov_b32_e32 v84, 0
	ds_read_b64 v[84:85], v84 offset:184
	s_waitcnt lgkmcnt(0)
	v_mul_f64 v[79:80], v[79:80], v[84:85]
	buffer_store_dword v80, off, s[0:3], 0 offset:188
	buffer_store_dword v79, off, s[0:3], 0 offset:184
.LBB102_101:
	s_or_b64 exec, exec, s[4:5]
	; wave barrier
	buffer_load_dword v79, off, s[0:3], 0 offset:192
	buffer_load_dword v80, off, s[0:3], 0 offset:196
	v_cmp_gt_u32_e32 vcc, 24, v0
	s_waitcnt vmcnt(0)
	ds_write_b64 v82, v[79:80]
	s_waitcnt lgkmcnt(0)
	; wave barrier
	s_and_saveexec_b64 s[4:5], vcc
	s_cbranch_execz .LBB102_105
; %bb.102:
	v_mov_b32_e32 v79, 0
	v_add_u32_e32 v84, -1, v0
	v_add_u32_e32 v85, 0x140, v81
	v_mov_b32_e32 v86, v81
	v_mov_b32_e32 v80, 0
	s_mov_b64 s[8:9], 0
.LBB102_103:                            ; =>This Inner Loop Header: Depth=1
	buffer_load_dword v87, v86, s[0:3], 0 offen
	buffer_load_dword v88, v86, s[0:3], 0 offen offset:4
	ds_read_b64 v[89:90], v85
	v_add_u32_e32 v84, 1, v84
	v_cmp_lt_u32_e32 vcc, 22, v84
	v_add_u32_e32 v85, 8, v85
	s_or_b64 s[8:9], vcc, s[8:9]
	v_add_u32_e32 v86, 8, v86
	s_waitcnt vmcnt(0) lgkmcnt(0)
	v_fma_f64 v[79:80], v[87:88], v[89:90], v[79:80]
	s_andn2_b64 exec, exec, s[8:9]
	s_cbranch_execnz .LBB102_103
; %bb.104:
	s_or_b64 exec, exec, s[8:9]
	v_mov_b32_e32 v84, 0
	ds_read_b64 v[84:85], v84 offset:192
	s_waitcnt lgkmcnt(0)
	v_mul_f64 v[79:80], v[79:80], v[84:85]
	buffer_store_dword v80, off, s[0:3], 0 offset:196
	buffer_store_dword v79, off, s[0:3], 0 offset:192
.LBB102_105:
	s_or_b64 exec, exec, s[4:5]
	; wave barrier
	buffer_load_dword v79, off, s[0:3], 0 offset:200
	buffer_load_dword v80, off, s[0:3], 0 offset:204
	v_cmp_gt_u32_e32 vcc, 25, v0
	s_waitcnt vmcnt(0)
	ds_write_b64 v82, v[79:80]
	s_waitcnt lgkmcnt(0)
	; wave barrier
	s_and_saveexec_b64 s[4:5], vcc
	s_cbranch_execz .LBB102_109
; %bb.106:
	v_mov_b32_e32 v79, 0
	v_add_u32_e32 v84, -1, v0
	v_add_u32_e32 v85, 0x140, v81
	v_mov_b32_e32 v86, v81
	v_mov_b32_e32 v80, 0
	s_mov_b64 s[8:9], 0
.LBB102_107:                            ; =>This Inner Loop Header: Depth=1
	buffer_load_dword v87, v86, s[0:3], 0 offen
	buffer_load_dword v88, v86, s[0:3], 0 offen offset:4
	ds_read_b64 v[89:90], v85
	v_add_u32_e32 v84, 1, v84
	v_cmp_lt_u32_e32 vcc, 23, v84
	v_add_u32_e32 v85, 8, v85
	s_or_b64 s[8:9], vcc, s[8:9]
	v_add_u32_e32 v86, 8, v86
	s_waitcnt vmcnt(0) lgkmcnt(0)
	v_fma_f64 v[79:80], v[87:88], v[89:90], v[79:80]
	s_andn2_b64 exec, exec, s[8:9]
	s_cbranch_execnz .LBB102_107
; %bb.108:
	s_or_b64 exec, exec, s[8:9]
	v_mov_b32_e32 v84, 0
	ds_read_b64 v[84:85], v84 offset:200
	s_waitcnt lgkmcnt(0)
	v_mul_f64 v[79:80], v[79:80], v[84:85]
	buffer_store_dword v80, off, s[0:3], 0 offset:204
	buffer_store_dword v79, off, s[0:3], 0 offset:200
.LBB102_109:
	s_or_b64 exec, exec, s[4:5]
	; wave barrier
	buffer_load_dword v79, off, s[0:3], 0 offset:208
	buffer_load_dword v80, off, s[0:3], 0 offset:212
	v_cmp_gt_u32_e32 vcc, 26, v0
	;; [unrolled: 40-line block ×13, first 2 shown]
	s_waitcnt vmcnt(0)
	ds_write_b64 v82, v[79:80]
	s_waitcnt lgkmcnt(0)
	; wave barrier
	s_and_saveexec_b64 s[4:5], vcc
	s_cbranch_execz .LBB102_157
; %bb.154:
	v_mov_b32_e32 v79, 0
	v_add_u32_e32 v84, -1, v0
	v_add_u32_e32 v85, 0x140, v81
	v_mov_b32_e32 v86, v81
	v_mov_b32_e32 v80, 0
	s_mov_b64 s[8:9], 0
.LBB102_155:                            ; =>This Inner Loop Header: Depth=1
	buffer_load_dword v87, v86, s[0:3], 0 offen
	buffer_load_dword v88, v86, s[0:3], 0 offen offset:4
	ds_read_b64 v[89:90], v85
	v_add_u32_e32 v84, 1, v84
	v_cmp_lt_u32_e32 vcc, 35, v84
	v_add_u32_e32 v85, 8, v85
	s_or_b64 s[8:9], vcc, s[8:9]
	v_add_u32_e32 v86, 8, v86
	s_waitcnt vmcnt(0) lgkmcnt(0)
	v_fma_f64 v[79:80], v[87:88], v[89:90], v[79:80]
	s_andn2_b64 exec, exec, s[8:9]
	s_cbranch_execnz .LBB102_155
; %bb.156:
	s_or_b64 exec, exec, s[8:9]
	v_mov_b32_e32 v84, 0
	ds_read_b64 v[84:85], v84 offset:296
	s_waitcnt lgkmcnt(0)
	v_mul_f64 v[79:80], v[79:80], v[84:85]
	buffer_store_dword v80, off, s[0:3], 0 offset:300
	buffer_store_dword v79, off, s[0:3], 0 offset:296
.LBB102_157:
	s_or_b64 exec, exec, s[4:5]
	; wave barrier
	buffer_load_dword v79, off, s[0:3], 0 offset:304
	buffer_load_dword v80, off, s[0:3], 0 offset:308
	v_cmp_ne_u32_e32 vcc, 38, v0
	s_waitcnt vmcnt(0)
	ds_write_b64 v82, v[79:80]
	s_waitcnt lgkmcnt(0)
	; wave barrier
	s_and_saveexec_b64 s[4:5], vcc
	s_cbranch_execz .LBB102_161
; %bb.158:
	v_mov_b32_e32 v79, 0
	v_add_u32_e32 v82, 0x140, v81
	v_mov_b32_e32 v80, 0
	s_mov_b64 s[8:9], 0
.LBB102_159:                            ; =>This Inner Loop Header: Depth=1
	buffer_load_dword v84, v81, s[0:3], 0 offen
	buffer_load_dword v85, v81, s[0:3], 0 offen offset:4
	ds_read_b64 v[86:87], v82
	v_add_u32_e32 v83, 1, v83
	v_cmp_lt_u32_e32 vcc, 36, v83
	v_add_u32_e32 v82, 8, v82
	s_or_b64 s[8:9], vcc, s[8:9]
	v_add_u32_e32 v81, 8, v81
	s_waitcnt vmcnt(0) lgkmcnt(0)
	v_fma_f64 v[79:80], v[84:85], v[86:87], v[79:80]
	s_andn2_b64 exec, exec, s[8:9]
	s_cbranch_execnz .LBB102_159
; %bb.160:
	s_or_b64 exec, exec, s[8:9]
	v_mov_b32_e32 v81, 0
	ds_read_b64 v[81:82], v81 offset:304
	s_waitcnt lgkmcnt(0)
	v_mul_f64 v[79:80], v[79:80], v[81:82]
	buffer_store_dword v80, off, s[0:3], 0 offset:308
	buffer_store_dword v79, off, s[0:3], 0 offset:304
.LBB102_161:
	s_or_b64 exec, exec, s[4:5]
	s_mov_b64 s[8:9], -1
	; wave barrier
.LBB102_162:
	s_and_b64 vcc, exec, s[8:9]
	s_cbranch_vccz .LBB102_164
; %bb.163:
	s_lshl_b64 s[4:5], s[6:7], 2
	s_add_u32 s4, s10, s4
	s_addc_u32 s5, s11, s5
	v_mov_b32_e32 v79, 0
	global_load_dword v79, v79, s[4:5]
	s_waitcnt vmcnt(0)
	v_cmp_ne_u32_e32 vcc, 0, v79
	s_cbranch_vccz .LBB102_165
.LBB102_164:
	s_endpgm
.LBB102_165:
	v_mov_b32_e32 v79, 0x140
	v_lshl_add_u32 v79, v0, 3, v79
	v_cmp_eq_u32_e32 vcc, 38, v0
	s_and_saveexec_b64 s[4:5], vcc
	s_cbranch_execz .LBB102_167
; %bb.166:
	buffer_load_dword v80, off, s[0:3], 0 offset:296
	buffer_load_dword v81, off, s[0:3], 0 offset:300
	v_mov_b32_e32 v82, 0
	buffer_store_dword v82, off, s[0:3], 0 offset:296
	buffer_store_dword v82, off, s[0:3], 0 offset:300
	s_waitcnt vmcnt(2)
	ds_write_b64 v79, v[80:81]
.LBB102_167:
	s_or_b64 exec, exec, s[4:5]
	s_waitcnt lgkmcnt(0)
	; wave barrier
	buffer_load_dword v81, off, s[0:3], 0 offset:304
	buffer_load_dword v82, off, s[0:3], 0 offset:308
	;; [unrolled: 1-line block ×4, first 2 shown]
	v_mov_b32_e32 v80, 0
	ds_read_b64 v[85:86], v80 offset:624
	v_cmp_lt_u32_e32 vcc, 36, v0
	s_waitcnt vmcnt(2) lgkmcnt(0)
	v_fma_f64 v[81:82], v[81:82], v[85:86], 0
	s_waitcnt vmcnt(0)
	v_add_f64 v[81:82], v[83:84], -v[81:82]
	buffer_store_dword v81, off, s[0:3], 0 offset:296
	buffer_store_dword v82, off, s[0:3], 0 offset:300
	s_and_saveexec_b64 s[4:5], vcc
	s_cbranch_execz .LBB102_169
; %bb.168:
	buffer_load_dword v81, off, s[0:3], 0 offset:288
	buffer_load_dword v82, off, s[0:3], 0 offset:292
	s_waitcnt vmcnt(0)
	ds_write_b64 v79, v[81:82]
	buffer_store_dword v80, off, s[0:3], 0 offset:288
	buffer_store_dword v80, off, s[0:3], 0 offset:292
.LBB102_169:
	s_or_b64 exec, exec, s[4:5]
	s_waitcnt lgkmcnt(0)
	; wave barrier
	buffer_load_dword v84, off, s[0:3], 0 offset:296
	buffer_load_dword v85, off, s[0:3], 0 offset:300
	;; [unrolled: 1-line block ×6, first 2 shown]
	ds_read2_b64 v[80:83], v80 offset0:77 offset1:78
	v_cmp_lt_u32_e32 vcc, 35, v0
	s_waitcnt vmcnt(4) lgkmcnt(0)
	v_fma_f64 v[80:81], v[84:85], v[80:81], 0
	s_waitcnt vmcnt(2)
	v_fma_f64 v[80:81], v[86:87], v[82:83], v[80:81]
	s_waitcnt vmcnt(0)
	v_add_f64 v[80:81], v[88:89], -v[80:81]
	buffer_store_dword v80, off, s[0:3], 0 offset:288
	buffer_store_dword v81, off, s[0:3], 0 offset:292
	s_and_saveexec_b64 s[4:5], vcc
	s_cbranch_execz .LBB102_171
; %bb.170:
	buffer_load_dword v80, off, s[0:3], 0 offset:280
	buffer_load_dword v81, off, s[0:3], 0 offset:284
	v_mov_b32_e32 v82, 0
	buffer_store_dword v82, off, s[0:3], 0 offset:280
	buffer_store_dword v82, off, s[0:3], 0 offset:284
	s_waitcnt vmcnt(2)
	ds_write_b64 v79, v[80:81]
.LBB102_171:
	s_or_b64 exec, exec, s[4:5]
	s_waitcnt lgkmcnt(0)
	; wave barrier
	buffer_load_dword v85, off, s[0:3], 0 offset:288
	buffer_load_dword v86, off, s[0:3], 0 offset:292
	;; [unrolled: 1-line block ×8, first 2 shown]
	v_mov_b32_e32 v80, 0
	ds_read_b128 v[81:84], v80 offset:608
	ds_read_b64 v[93:94], v80 offset:624
	v_cmp_lt_u32_e32 vcc, 34, v0
	s_waitcnt vmcnt(6) lgkmcnt(1)
	v_fma_f64 v[81:82], v[85:86], v[81:82], 0
	s_waitcnt vmcnt(4)
	v_fma_f64 v[81:82], v[87:88], v[83:84], v[81:82]
	s_waitcnt vmcnt(2) lgkmcnt(0)
	v_fma_f64 v[81:82], v[89:90], v[93:94], v[81:82]
	s_waitcnt vmcnt(0)
	v_add_f64 v[81:82], v[91:92], -v[81:82]
	buffer_store_dword v81, off, s[0:3], 0 offset:280
	buffer_store_dword v82, off, s[0:3], 0 offset:284
	s_and_saveexec_b64 s[4:5], vcc
	s_cbranch_execz .LBB102_173
; %bb.172:
	buffer_load_dword v81, off, s[0:3], 0 offset:272
	buffer_load_dword v82, off, s[0:3], 0 offset:276
	s_waitcnt vmcnt(0)
	ds_write_b64 v79, v[81:82]
	buffer_store_dword v80, off, s[0:3], 0 offset:272
	buffer_store_dword v80, off, s[0:3], 0 offset:276
.LBB102_173:
	s_or_b64 exec, exec, s[4:5]
	s_waitcnt lgkmcnt(0)
	; wave barrier
	buffer_load_dword v89, off, s[0:3], 0 offset:280
	buffer_load_dword v90, off, s[0:3], 0 offset:284
	;; [unrolled: 1-line block ×10, first 2 shown]
	ds_read2_b64 v[81:84], v80 offset0:75 offset1:76
	ds_read2_b64 v[85:88], v80 offset0:77 offset1:78
	v_cmp_lt_u32_e32 vcc, 33, v0
	s_waitcnt vmcnt(8) lgkmcnt(1)
	v_fma_f64 v[80:81], v[89:90], v[81:82], 0
	s_waitcnt vmcnt(6)
	v_fma_f64 v[80:81], v[91:92], v[83:84], v[80:81]
	s_waitcnt vmcnt(4) lgkmcnt(0)
	v_fma_f64 v[80:81], v[93:94], v[85:86], v[80:81]
	s_waitcnt vmcnt(2)
	v_fma_f64 v[80:81], v[95:96], v[87:88], v[80:81]
	s_waitcnt vmcnt(0)
	v_add_f64 v[80:81], v[97:98], -v[80:81]
	buffer_store_dword v80, off, s[0:3], 0 offset:272
	buffer_store_dword v81, off, s[0:3], 0 offset:276
	s_and_saveexec_b64 s[4:5], vcc
	s_cbranch_execz .LBB102_175
; %bb.174:
	buffer_load_dword v80, off, s[0:3], 0 offset:264
	buffer_load_dword v81, off, s[0:3], 0 offset:268
	v_mov_b32_e32 v82, 0
	buffer_store_dword v82, off, s[0:3], 0 offset:264
	buffer_store_dword v82, off, s[0:3], 0 offset:268
	s_waitcnt vmcnt(2)
	ds_write_b64 v79, v[80:81]
.LBB102_175:
	s_or_b64 exec, exec, s[4:5]
	s_waitcnt lgkmcnt(0)
	; wave barrier
	buffer_load_dword v89, off, s[0:3], 0 offset:272
	buffer_load_dword v90, off, s[0:3], 0 offset:276
	;; [unrolled: 1-line block ×12, first 2 shown]
	v_mov_b32_e32 v80, 0
	ds_read_b128 v[81:84], v80 offset:592
	ds_read_b128 v[85:88], v80 offset:608
	v_cmp_lt_u32_e32 vcc, 32, v0
	s_waitcnt vmcnt(10) lgkmcnt(1)
	v_fma_f64 v[81:82], v[89:90], v[81:82], 0
	s_waitcnt vmcnt(8)
	v_fma_f64 v[81:82], v[91:92], v[83:84], v[81:82]
	ds_read_b64 v[83:84], v80 offset:624
	s_waitcnt vmcnt(6) lgkmcnt(1)
	v_fma_f64 v[81:82], v[93:94], v[85:86], v[81:82]
	s_waitcnt vmcnt(4)
	v_fma_f64 v[81:82], v[95:96], v[87:88], v[81:82]
	s_waitcnt vmcnt(2) lgkmcnt(0)
	v_fma_f64 v[81:82], v[97:98], v[83:84], v[81:82]
	s_waitcnt vmcnt(0)
	v_add_f64 v[81:82], v[99:100], -v[81:82]
	buffer_store_dword v81, off, s[0:3], 0 offset:264
	buffer_store_dword v82, off, s[0:3], 0 offset:268
	s_and_saveexec_b64 s[4:5], vcc
	s_cbranch_execz .LBB102_177
; %bb.176:
	buffer_load_dword v81, off, s[0:3], 0 offset:256
	buffer_load_dword v82, off, s[0:3], 0 offset:260
	s_waitcnt vmcnt(0)
	ds_write_b64 v79, v[81:82]
	buffer_store_dword v80, off, s[0:3], 0 offset:256
	buffer_store_dword v80, off, s[0:3], 0 offset:260
.LBB102_177:
	s_or_b64 exec, exec, s[4:5]
	s_waitcnt lgkmcnt(0)
	; wave barrier
	buffer_load_dword v89, off, s[0:3], 0 offset:264
	buffer_load_dword v90, off, s[0:3], 0 offset:268
	;; [unrolled: 1-line block ×14, first 2 shown]
	ds_read2_b64 v[81:84], v80 offset0:73 offset1:74
	ds_read2_b64 v[85:88], v80 offset0:75 offset1:76
	v_cmp_lt_u32_e32 vcc, 31, v0
	s_waitcnt vmcnt(12) lgkmcnt(1)
	v_fma_f64 v[81:82], v[89:90], v[81:82], 0
	s_waitcnt vmcnt(10)
	v_fma_f64 v[81:82], v[91:92], v[83:84], v[81:82]
	s_waitcnt vmcnt(8) lgkmcnt(0)
	v_fma_f64 v[81:82], v[93:94], v[85:86], v[81:82]
	s_waitcnt vmcnt(6)
	v_fma_f64 v[84:85], v[95:96], v[87:88], v[81:82]
	ds_read2_b64 v[80:83], v80 offset0:77 offset1:78
	s_waitcnt vmcnt(4) lgkmcnt(0)
	v_fma_f64 v[80:81], v[97:98], v[80:81], v[84:85]
	s_waitcnt vmcnt(2)
	v_fma_f64 v[80:81], v[99:100], v[82:83], v[80:81]
	s_waitcnt vmcnt(0)
	v_add_f64 v[80:81], v[101:102], -v[80:81]
	buffer_store_dword v80, off, s[0:3], 0 offset:256
	buffer_store_dword v81, off, s[0:3], 0 offset:260
	s_and_saveexec_b64 s[4:5], vcc
	s_cbranch_execz .LBB102_179
; %bb.178:
	buffer_load_dword v80, off, s[0:3], 0 offset:248
	buffer_load_dword v81, off, s[0:3], 0 offset:252
	v_mov_b32_e32 v82, 0
	buffer_store_dword v82, off, s[0:3], 0 offset:248
	buffer_store_dword v82, off, s[0:3], 0 offset:252
	s_waitcnt vmcnt(2)
	ds_write_b64 v79, v[80:81]
.LBB102_179:
	s_or_b64 exec, exec, s[4:5]
	s_waitcnt lgkmcnt(0)
	; wave barrier
	buffer_load_dword v89, off, s[0:3], 0 offset:256
	buffer_load_dword v90, off, s[0:3], 0 offset:260
	;; [unrolled: 1-line block ×16, first 2 shown]
	v_mov_b32_e32 v80, 0
	ds_read_b128 v[81:84], v80 offset:576
	ds_read_b128 v[85:88], v80 offset:592
	v_cmp_lt_u32_e32 vcc, 30, v0
	s_waitcnt vmcnt(14) lgkmcnt(1)
	v_fma_f64 v[81:82], v[89:90], v[81:82], 0
	s_waitcnt vmcnt(12)
	v_fma_f64 v[81:82], v[91:92], v[83:84], v[81:82]
	s_waitcnt vmcnt(10) lgkmcnt(0)
	v_fma_f64 v[81:82], v[93:94], v[85:86], v[81:82]
	s_waitcnt vmcnt(8)
	v_fma_f64 v[85:86], v[95:96], v[87:88], v[81:82]
	ds_read_b128 v[81:84], v80 offset:608
	ds_read_b64 v[87:88], v80 offset:624
	s_waitcnt vmcnt(6) lgkmcnt(1)
	v_fma_f64 v[81:82], v[97:98], v[81:82], v[85:86]
	s_waitcnt vmcnt(4)
	v_fma_f64 v[81:82], v[99:100], v[83:84], v[81:82]
	s_waitcnt vmcnt(2) lgkmcnt(0)
	v_fma_f64 v[81:82], v[101:102], v[87:88], v[81:82]
	s_waitcnt vmcnt(0)
	v_add_f64 v[81:82], v[103:104], -v[81:82]
	buffer_store_dword v81, off, s[0:3], 0 offset:248
	buffer_store_dword v82, off, s[0:3], 0 offset:252
	s_and_saveexec_b64 s[4:5], vcc
	s_cbranch_execz .LBB102_181
; %bb.180:
	buffer_load_dword v81, off, s[0:3], 0 offset:240
	buffer_load_dword v82, off, s[0:3], 0 offset:244
	s_waitcnt vmcnt(0)
	ds_write_b64 v79, v[81:82]
	buffer_store_dword v80, off, s[0:3], 0 offset:240
	buffer_store_dword v80, off, s[0:3], 0 offset:244
.LBB102_181:
	s_or_b64 exec, exec, s[4:5]
	s_waitcnt lgkmcnt(0)
	; wave barrier
	buffer_load_dword v89, off, s[0:3], 0 offset:248
	buffer_load_dword v90, off, s[0:3], 0 offset:252
	;; [unrolled: 1-line block ×18, first 2 shown]
	ds_read2_b64 v[81:84], v80 offset0:71 offset1:72
	ds_read2_b64 v[85:88], v80 offset0:73 offset1:74
	v_cmp_lt_u32_e32 vcc, 29, v0
	s_waitcnt vmcnt(16) lgkmcnt(1)
	v_fma_f64 v[81:82], v[89:90], v[81:82], 0
	s_waitcnt vmcnt(14)
	v_fma_f64 v[81:82], v[91:92], v[83:84], v[81:82]
	s_waitcnt vmcnt(12) lgkmcnt(0)
	v_fma_f64 v[81:82], v[93:94], v[85:86], v[81:82]
	s_waitcnt vmcnt(10)
	v_fma_f64 v[89:90], v[95:96], v[87:88], v[81:82]
	ds_read2_b64 v[81:84], v80 offset0:75 offset1:76
	ds_read2_b64 v[85:88], v80 offset0:77 offset1:78
	s_waitcnt vmcnt(8) lgkmcnt(1)
	v_fma_f64 v[80:81], v[97:98], v[81:82], v[89:90]
	s_waitcnt vmcnt(6)
	v_fma_f64 v[80:81], v[99:100], v[83:84], v[80:81]
	s_waitcnt vmcnt(4) lgkmcnt(0)
	v_fma_f64 v[80:81], v[101:102], v[85:86], v[80:81]
	s_waitcnt vmcnt(2)
	v_fma_f64 v[80:81], v[103:104], v[87:88], v[80:81]
	s_waitcnt vmcnt(0)
	v_add_f64 v[80:81], v[105:106], -v[80:81]
	buffer_store_dword v80, off, s[0:3], 0 offset:240
	buffer_store_dword v81, off, s[0:3], 0 offset:244
	s_and_saveexec_b64 s[4:5], vcc
	s_cbranch_execz .LBB102_183
; %bb.182:
	buffer_load_dword v80, off, s[0:3], 0 offset:232
	buffer_load_dword v81, off, s[0:3], 0 offset:236
	v_mov_b32_e32 v82, 0
	buffer_store_dword v82, off, s[0:3], 0 offset:232
	buffer_store_dword v82, off, s[0:3], 0 offset:236
	s_waitcnt vmcnt(2)
	ds_write_b64 v79, v[80:81]
.LBB102_183:
	s_or_b64 exec, exec, s[4:5]
	s_waitcnt lgkmcnt(0)
	; wave barrier
	buffer_load_dword v89, off, s[0:3], 0 offset:240
	buffer_load_dword v90, off, s[0:3], 0 offset:244
	;; [unrolled: 1-line block ×20, first 2 shown]
	v_mov_b32_e32 v80, 0
	ds_read_b128 v[81:84], v80 offset:560
	ds_read_b128 v[85:88], v80 offset:576
	v_cmp_lt_u32_e32 vcc, 28, v0
	s_waitcnt vmcnt(18) lgkmcnt(1)
	v_fma_f64 v[81:82], v[89:90], v[81:82], 0
	s_waitcnt vmcnt(16)
	v_fma_f64 v[81:82], v[91:92], v[83:84], v[81:82]
	s_waitcnt vmcnt(14) lgkmcnt(0)
	v_fma_f64 v[81:82], v[93:94], v[85:86], v[81:82]
	s_waitcnt vmcnt(12)
	v_fma_f64 v[89:90], v[95:96], v[87:88], v[81:82]
	ds_read_b128 v[81:84], v80 offset:592
	ds_read_b128 v[85:88], v80 offset:608
	s_waitcnt vmcnt(10) lgkmcnt(1)
	v_fma_f64 v[81:82], v[97:98], v[81:82], v[89:90]
	s_waitcnt vmcnt(8)
	v_fma_f64 v[81:82], v[99:100], v[83:84], v[81:82]
	ds_read_b64 v[83:84], v80 offset:624
	s_waitcnt vmcnt(6) lgkmcnt(1)
	v_fma_f64 v[81:82], v[101:102], v[85:86], v[81:82]
	s_waitcnt vmcnt(3)
	v_fma_f64 v[81:82], v[103:104], v[87:88], v[81:82]
	s_waitcnt vmcnt(2) lgkmcnt(0)
	v_fma_f64 v[81:82], v[105:106], v[83:84], v[81:82]
	s_waitcnt vmcnt(0)
	v_add_f64 v[81:82], v[107:108], -v[81:82]
	buffer_store_dword v81, off, s[0:3], 0 offset:232
	buffer_store_dword v82, off, s[0:3], 0 offset:236
	s_and_saveexec_b64 s[4:5], vcc
	s_cbranch_execz .LBB102_185
; %bb.184:
	buffer_load_dword v81, off, s[0:3], 0 offset:224
	buffer_load_dword v82, off, s[0:3], 0 offset:228
	s_waitcnt vmcnt(0)
	ds_write_b64 v79, v[81:82]
	buffer_store_dword v80, off, s[0:3], 0 offset:224
	buffer_store_dword v80, off, s[0:3], 0 offset:228
.LBB102_185:
	s_or_b64 exec, exec, s[4:5]
	s_waitcnt lgkmcnt(0)
	; wave barrier
	buffer_load_dword v89, off, s[0:3], 0 offset:232
	buffer_load_dword v90, off, s[0:3], 0 offset:236
	;; [unrolled: 1-line block ×20, first 2 shown]
	ds_read2_b64 v[81:84], v80 offset0:69 offset1:70
	buffer_load_dword v109, off, s[0:3], 0 offset:224
	buffer_load_dword v110, off, s[0:3], 0 offset:228
	ds_read2_b64 v[85:88], v80 offset0:71 offset1:72
	v_cmp_lt_u32_e32 vcc, 27, v0
	s_waitcnt vmcnt(20) lgkmcnt(1)
	v_fma_f64 v[81:82], v[89:90], v[81:82], 0
	s_waitcnt vmcnt(18)
	v_fma_f64 v[81:82], v[91:92], v[83:84], v[81:82]
	s_waitcnt vmcnt(16) lgkmcnt(0)
	v_fma_f64 v[81:82], v[93:94], v[85:86], v[81:82]
	s_waitcnt vmcnt(14)
	v_fma_f64 v[89:90], v[95:96], v[87:88], v[81:82]
	ds_read2_b64 v[81:84], v80 offset0:73 offset1:74
	ds_read2_b64 v[85:88], v80 offset0:75 offset1:76
	s_waitcnt vmcnt(12) lgkmcnt(1)
	v_fma_f64 v[81:82], v[97:98], v[81:82], v[89:90]
	s_waitcnt vmcnt(10)
	v_fma_f64 v[81:82], v[99:100], v[83:84], v[81:82]
	s_waitcnt vmcnt(8) lgkmcnt(0)
	v_fma_f64 v[81:82], v[101:102], v[85:86], v[81:82]
	s_waitcnt vmcnt(4)
	v_fma_f64 v[84:85], v[103:104], v[87:88], v[81:82]
	ds_read2_b64 v[80:83], v80 offset0:77 offset1:78
	s_waitcnt vmcnt(3) lgkmcnt(0)
	v_fma_f64 v[80:81], v[107:108], v[80:81], v[84:85]
	s_waitcnt vmcnt(2)
	v_fma_f64 v[80:81], v[105:106], v[82:83], v[80:81]
	s_waitcnt vmcnt(0)
	v_add_f64 v[80:81], v[109:110], -v[80:81]
	buffer_store_dword v80, off, s[0:3], 0 offset:224
	buffer_store_dword v81, off, s[0:3], 0 offset:228
	s_and_saveexec_b64 s[4:5], vcc
	s_cbranch_execz .LBB102_187
; %bb.186:
	buffer_load_dword v80, off, s[0:3], 0 offset:216
	buffer_load_dword v81, off, s[0:3], 0 offset:220
	v_mov_b32_e32 v82, 0
	buffer_store_dword v82, off, s[0:3], 0 offset:216
	buffer_store_dword v82, off, s[0:3], 0 offset:220
	s_waitcnt vmcnt(2)
	ds_write_b64 v79, v[80:81]
.LBB102_187:
	s_or_b64 exec, exec, s[4:5]
	s_waitcnt lgkmcnt(0)
	; wave barrier
	buffer_load_dword v89, off, s[0:3], 0 offset:224
	buffer_load_dword v90, off, s[0:3], 0 offset:228
	;; [unrolled: 1-line block ×21, first 2 shown]
	v_mov_b32_e32 v80, 0
	ds_read_b128 v[81:84], v80 offset:544
	ds_read_b128 v[85:88], v80 offset:560
	buffer_load_dword v106, off, s[0:3], 0 offset:308
	v_cmp_lt_u32_e32 vcc, 26, v0
	s_waitcnt vmcnt(20) lgkmcnt(1)
	v_fma_f64 v[81:82], v[89:90], v[81:82], 0
	buffer_load_dword v89, off, s[0:3], 0 offset:216
	buffer_load_dword v90, off, s[0:3], 0 offset:220
	s_waitcnt vmcnt(20)
	v_fma_f64 v[81:82], v[91:92], v[83:84], v[81:82]
	s_waitcnt vmcnt(18) lgkmcnt(0)
	v_fma_f64 v[81:82], v[93:94], v[85:86], v[81:82]
	s_waitcnt vmcnt(16)
	v_fma_f64 v[91:92], v[95:96], v[87:88], v[81:82]
	ds_read_b128 v[81:84], v80 offset:576
	ds_read_b128 v[85:88], v80 offset:592
	s_waitcnt vmcnt(14) lgkmcnt(1)
	v_fma_f64 v[81:82], v[97:98], v[81:82], v[91:92]
	s_waitcnt vmcnt(12)
	v_fma_f64 v[81:82], v[99:100], v[83:84], v[81:82]
	s_waitcnt vmcnt(10) lgkmcnt(0)
	v_fma_f64 v[81:82], v[101:102], v[85:86], v[81:82]
	s_waitcnt vmcnt(5)
	v_fma_f64 v[85:86], v[103:104], v[87:88], v[81:82]
	ds_read_b128 v[81:84], v80 offset:608
	ds_read_b64 v[87:88], v80 offset:624
	s_waitcnt vmcnt(4) lgkmcnt(1)
	v_fma_f64 v[81:82], v[109:110], v[81:82], v[85:86]
	s_waitcnt vmcnt(3)
	v_fma_f64 v[81:82], v[107:108], v[83:84], v[81:82]
	s_waitcnt vmcnt(2) lgkmcnt(0)
	v_fma_f64 v[81:82], v[105:106], v[87:88], v[81:82]
	s_waitcnt vmcnt(0)
	v_add_f64 v[81:82], v[89:90], -v[81:82]
	buffer_store_dword v82, off, s[0:3], 0 offset:220
	buffer_store_dword v81, off, s[0:3], 0 offset:216
	s_and_saveexec_b64 s[4:5], vcc
	s_cbranch_execz .LBB102_189
; %bb.188:
	buffer_load_dword v81, off, s[0:3], 0 offset:208
	buffer_load_dword v82, off, s[0:3], 0 offset:212
	s_waitcnt vmcnt(0)
	ds_write_b64 v79, v[81:82]
	buffer_store_dword v80, off, s[0:3], 0 offset:208
	buffer_store_dword v80, off, s[0:3], 0 offset:212
.LBB102_189:
	s_or_b64 exec, exec, s[4:5]
	s_waitcnt lgkmcnt(0)
	; wave barrier
	buffer_load_dword v89, off, s[0:3], 0 offset:216
	buffer_load_dword v90, off, s[0:3], 0 offset:220
	;; [unrolled: 1-line block ×21, first 2 shown]
	ds_read2_b64 v[81:84], v80 offset0:67 offset1:68
	ds_read2_b64 v[85:88], v80 offset0:69 offset1:70
	buffer_load_dword v106, off, s[0:3], 0 offset:300
	v_cmp_lt_u32_e32 vcc, 25, v0
	s_waitcnt vmcnt(20) lgkmcnt(1)
	v_fma_f64 v[81:82], v[89:90], v[81:82], 0
	buffer_load_dword v90, off, s[0:3], 0 offset:308
	buffer_load_dword v89, off, s[0:3], 0 offset:304
	s_waitcnt vmcnt(20)
	v_fma_f64 v[81:82], v[91:92], v[83:84], v[81:82]
	buffer_load_dword v91, off, s[0:3], 0 offset:208
	buffer_load_dword v92, off, s[0:3], 0 offset:212
	s_waitcnt vmcnt(20) lgkmcnt(0)
	v_fma_f64 v[81:82], v[93:94], v[85:86], v[81:82]
	s_waitcnt vmcnt(18)
	v_fma_f64 v[93:94], v[95:96], v[87:88], v[81:82]
	ds_read2_b64 v[81:84], v80 offset0:71 offset1:72
	ds_read2_b64 v[85:88], v80 offset0:73 offset1:74
	s_waitcnt vmcnt(16) lgkmcnt(1)
	v_fma_f64 v[81:82], v[97:98], v[81:82], v[93:94]
	s_waitcnt vmcnt(14)
	v_fma_f64 v[81:82], v[99:100], v[83:84], v[81:82]
	s_waitcnt vmcnt(12) lgkmcnt(0)
	v_fma_f64 v[81:82], v[101:102], v[85:86], v[81:82]
	s_waitcnt vmcnt(7)
	v_fma_f64 v[93:94], v[103:104], v[87:88], v[81:82]
	ds_read2_b64 v[81:84], v80 offset0:75 offset1:76
	ds_read2_b64 v[85:88], v80 offset0:77 offset1:78
	s_waitcnt vmcnt(6) lgkmcnt(1)
	v_fma_f64 v[80:81], v[109:110], v[81:82], v[93:94]
	s_waitcnt vmcnt(5)
	v_fma_f64 v[80:81], v[107:108], v[83:84], v[80:81]
	s_waitcnt vmcnt(4) lgkmcnt(0)
	v_fma_f64 v[80:81], v[105:106], v[85:86], v[80:81]
	s_waitcnt vmcnt(2)
	v_fma_f64 v[80:81], v[89:90], v[87:88], v[80:81]
	s_waitcnt vmcnt(0)
	v_add_f64 v[80:81], v[91:92], -v[80:81]
	buffer_store_dword v81, off, s[0:3], 0 offset:212
	buffer_store_dword v80, off, s[0:3], 0 offset:208
	s_and_saveexec_b64 s[4:5], vcc
	s_cbranch_execz .LBB102_191
; %bb.190:
	buffer_load_dword v80, off, s[0:3], 0 offset:200
	buffer_load_dword v81, off, s[0:3], 0 offset:204
	v_mov_b32_e32 v82, 0
	buffer_store_dword v82, off, s[0:3], 0 offset:200
	buffer_store_dword v82, off, s[0:3], 0 offset:204
	s_waitcnt vmcnt(2)
	ds_write_b64 v79, v[80:81]
.LBB102_191:
	s_or_b64 exec, exec, s[4:5]
	s_waitcnt lgkmcnt(0)
	; wave barrier
	buffer_load_dword v89, off, s[0:3], 0 offset:208
	buffer_load_dword v90, off, s[0:3], 0 offset:212
	;; [unrolled: 1-line block ×21, first 2 shown]
	v_mov_b32_e32 v80, 0
	ds_read_b128 v[81:84], v80 offset:528
	ds_read_b128 v[85:88], v80 offset:544
	buffer_load_dword v106, off, s[0:3], 0 offset:292
	v_cmp_lt_u32_e32 vcc, 24, v0
	s_waitcnt vmcnt(20) lgkmcnt(1)
	v_fma_f64 v[81:82], v[89:90], v[81:82], 0
	s_waitcnt vmcnt(18)
	v_fma_f64 v[81:82], v[91:92], v[83:84], v[81:82]
	buffer_load_dword v90, off, s[0:3], 0 offset:300
	buffer_load_dword v91, off, s[0:3], 0 offset:304
	;; [unrolled: 1-line block ×4, first 2 shown]
	s_waitcnt vmcnt(20) lgkmcnt(0)
	v_fma_f64 v[81:82], v[93:94], v[85:86], v[81:82]
	buffer_load_dword v93, off, s[0:3], 0 offset:200
	buffer_load_dword v94, off, s[0:3], 0 offset:204
	s_waitcnt vmcnt(20)
	v_fma_f64 v[95:96], v[95:96], v[87:88], v[81:82]
	ds_read_b128 v[81:84], v80 offset:560
	ds_read_b128 v[85:88], v80 offset:576
	s_waitcnt vmcnt(18) lgkmcnt(1)
	v_fma_f64 v[81:82], v[97:98], v[81:82], v[95:96]
	s_waitcnt vmcnt(16)
	v_fma_f64 v[81:82], v[99:100], v[83:84], v[81:82]
	s_waitcnt vmcnt(14) lgkmcnt(0)
	v_fma_f64 v[81:82], v[101:102], v[85:86], v[81:82]
	s_waitcnt vmcnt(9)
	v_fma_f64 v[95:96], v[103:104], v[87:88], v[81:82]
	ds_read_b128 v[81:84], v80 offset:592
	ds_read_b128 v[85:88], v80 offset:608
	s_waitcnt vmcnt(8) lgkmcnt(1)
	v_fma_f64 v[81:82], v[109:110], v[81:82], v[95:96]
	s_waitcnt vmcnt(7)
	v_fma_f64 v[81:82], v[107:108], v[83:84], v[81:82]
	ds_read_b64 v[83:84], v80 offset:624
	s_waitcnt vmcnt(6) lgkmcnt(1)
	v_fma_f64 v[81:82], v[105:106], v[85:86], v[81:82]
	s_waitcnt vmcnt(3)
	v_fma_f64 v[81:82], v[89:90], v[87:88], v[81:82]
	s_waitcnt vmcnt(2) lgkmcnt(0)
	v_fma_f64 v[81:82], v[91:92], v[83:84], v[81:82]
	s_waitcnt vmcnt(0)
	v_add_f64 v[81:82], v[93:94], -v[81:82]
	buffer_store_dword v82, off, s[0:3], 0 offset:204
	buffer_store_dword v81, off, s[0:3], 0 offset:200
	s_and_saveexec_b64 s[4:5], vcc
	s_cbranch_execz .LBB102_193
; %bb.192:
	buffer_load_dword v81, off, s[0:3], 0 offset:192
	buffer_load_dword v82, off, s[0:3], 0 offset:196
	s_waitcnt vmcnt(0)
	ds_write_b64 v79, v[81:82]
	buffer_store_dword v80, off, s[0:3], 0 offset:192
	buffer_store_dword v80, off, s[0:3], 0 offset:196
.LBB102_193:
	s_or_b64 exec, exec, s[4:5]
	s_waitcnt lgkmcnt(0)
	; wave barrier
	buffer_load_dword v89, off, s[0:3], 0 offset:200
	buffer_load_dword v90, off, s[0:3], 0 offset:204
	;; [unrolled: 1-line block ×22, first 2 shown]
	ds_read2_b64 v[81:84], v80 offset0:65 offset1:66
	ds_read2_b64 v[85:88], v80 offset0:67 offset1:68
	v_cmp_lt_u32_e32 vcc, 23, v0
	s_waitcnt vmcnt(20) lgkmcnt(1)
	v_fma_f64 v[81:82], v[89:90], v[81:82], 0
	s_waitcnt vmcnt(18)
	v_fma_f64 v[81:82], v[91:92], v[83:84], v[81:82]
	buffer_load_dword v90, off, s[0:3], 0 offset:292
	buffer_load_dword v91, off, s[0:3], 0 offset:304
	;; [unrolled: 1-line block ×6, first 2 shown]
	s_waitcnt vmcnt(22) lgkmcnt(0)
	v_fma_f64 v[81:82], v[93:94], v[85:86], v[81:82]
	s_waitcnt vmcnt(20)
	v_fma_f64 v[93:94], v[95:96], v[87:88], v[81:82]
	ds_read2_b64 v[81:84], v80 offset0:69 offset1:70
	buffer_load_dword v95, off, s[0:3], 0 offset:192
	buffer_load_dword v96, off, s[0:3], 0 offset:196
	ds_read2_b64 v[85:88], v80 offset0:71 offset1:72
	s_waitcnt vmcnt(20) lgkmcnt(1)
	v_fma_f64 v[81:82], v[97:98], v[81:82], v[93:94]
	s_waitcnt vmcnt(18)
	v_fma_f64 v[81:82], v[99:100], v[83:84], v[81:82]
	s_waitcnt vmcnt(16) lgkmcnt(0)
	v_fma_f64 v[81:82], v[101:102], v[85:86], v[81:82]
	s_waitcnt vmcnt(11)
	v_fma_f64 v[93:94], v[103:104], v[87:88], v[81:82]
	ds_read2_b64 v[81:84], v80 offset0:73 offset1:74
	ds_read2_b64 v[85:88], v80 offset0:75 offset1:76
	s_waitcnt vmcnt(10) lgkmcnt(1)
	v_fma_f64 v[81:82], v[109:110], v[81:82], v[93:94]
	s_waitcnt vmcnt(9)
	v_fma_f64 v[81:82], v[107:108], v[83:84], v[81:82]
	s_waitcnt vmcnt(8) lgkmcnt(0)
	v_fma_f64 v[81:82], v[105:106], v[85:86], v[81:82]
	s_waitcnt vmcnt(4)
	v_fma_f64 v[84:85], v[89:90], v[87:88], v[81:82]
	ds_read2_b64 v[80:83], v80 offset0:77 offset1:78
	s_waitcnt vmcnt(3) lgkmcnt(0)
	v_fma_f64 v[80:81], v[111:112], v[80:81], v[84:85]
	s_waitcnt vmcnt(2)
	v_fma_f64 v[80:81], v[91:92], v[82:83], v[80:81]
	s_waitcnt vmcnt(0)
	v_add_f64 v[80:81], v[95:96], -v[80:81]
	buffer_store_dword v81, off, s[0:3], 0 offset:196
	buffer_store_dword v80, off, s[0:3], 0 offset:192
	s_and_saveexec_b64 s[4:5], vcc
	s_cbranch_execz .LBB102_195
; %bb.194:
	buffer_load_dword v80, off, s[0:3], 0 offset:184
	buffer_load_dword v81, off, s[0:3], 0 offset:188
	v_mov_b32_e32 v82, 0
	buffer_store_dword v82, off, s[0:3], 0 offset:184
	buffer_store_dword v82, off, s[0:3], 0 offset:188
	s_waitcnt vmcnt(2)
	ds_write_b64 v79, v[80:81]
.LBB102_195:
	s_or_b64 exec, exec, s[4:5]
	s_waitcnt lgkmcnt(0)
	; wave barrier
	buffer_load_dword v89, off, s[0:3], 0 offset:192
	buffer_load_dword v90, off, s[0:3], 0 offset:196
	;; [unrolled: 1-line block ×22, first 2 shown]
	v_mov_b32_e32 v80, 0
	ds_read_b128 v[81:84], v80 offset:512
	ds_read_b128 v[85:88], v80 offset:528
	v_cmp_lt_u32_e32 vcc, 22, v0
	s_waitcnt vmcnt(20) lgkmcnt(1)
	v_fma_f64 v[81:82], v[89:90], v[81:82], 0
	s_waitcnt vmcnt(18)
	v_fma_f64 v[81:82], v[91:92], v[83:84], v[81:82]
	buffer_load_dword v90, off, s[0:3], 0 offset:284
	buffer_load_dword v91, off, s[0:3], 0 offset:304
	buffer_load_dword v111, off, s[0:3], 0 offset:296
	buffer_load_dword v113, off, s[0:3], 0 offset:288
	buffer_load_dword v89, off, s[0:3], 0 offset:280
	buffer_load_dword v114, off, s[0:3], 0 offset:292
	buffer_load_dword v112, off, s[0:3], 0 offset:300
	buffer_load_dword v92, off, s[0:3], 0 offset:308
	s_waitcnt vmcnt(24) lgkmcnt(0)
	v_fma_f64 v[81:82], v[93:94], v[85:86], v[81:82]
	s_waitcnt vmcnt(22)
	v_fma_f64 v[93:94], v[95:96], v[87:88], v[81:82]
	ds_read_b128 v[81:84], v80 offset:544
	ds_read_b128 v[85:88], v80 offset:560
	s_waitcnt vmcnt(20) lgkmcnt(1)
	v_fma_f64 v[81:82], v[97:98], v[81:82], v[93:94]
	buffer_load_dword v93, off, s[0:3], 0 offset:184
	buffer_load_dword v94, off, s[0:3], 0 offset:188
	s_waitcnt vmcnt(20)
	v_fma_f64 v[81:82], v[99:100], v[83:84], v[81:82]
	s_waitcnt vmcnt(18) lgkmcnt(0)
	v_fma_f64 v[81:82], v[101:102], v[85:86], v[81:82]
	s_waitcnt vmcnt(13)
	v_fma_f64 v[95:96], v[103:104], v[87:88], v[81:82]
	ds_read_b128 v[81:84], v80 offset:576
	ds_read_b128 v[85:88], v80 offset:592
	s_waitcnt vmcnt(12) lgkmcnt(1)
	v_fma_f64 v[81:82], v[109:110], v[81:82], v[95:96]
	s_waitcnt vmcnt(11)
	v_fma_f64 v[81:82], v[107:108], v[83:84], v[81:82]
	s_waitcnt vmcnt(10) lgkmcnt(0)
	v_fma_f64 v[81:82], v[105:106], v[85:86], v[81:82]
	s_waitcnt vmcnt(5)
	v_fma_f64 v[85:86], v[89:90], v[87:88], v[81:82]
	ds_read_b128 v[81:84], v80 offset:608
	ds_read_b64 v[87:88], v80 offset:624
	s_waitcnt vmcnt(4) lgkmcnt(1)
	v_fma_f64 v[81:82], v[113:114], v[81:82], v[85:86]
	s_waitcnt vmcnt(3)
	v_fma_f64 v[81:82], v[111:112], v[83:84], v[81:82]
	s_waitcnt vmcnt(2) lgkmcnt(0)
	v_fma_f64 v[81:82], v[91:92], v[87:88], v[81:82]
	s_waitcnt vmcnt(0)
	v_add_f64 v[81:82], v[93:94], -v[81:82]
	buffer_store_dword v82, off, s[0:3], 0 offset:188
	buffer_store_dword v81, off, s[0:3], 0 offset:184
	s_and_saveexec_b64 s[4:5], vcc
	s_cbranch_execz .LBB102_197
; %bb.196:
	buffer_load_dword v81, off, s[0:3], 0 offset:176
	buffer_load_dword v82, off, s[0:3], 0 offset:180
	s_waitcnt vmcnt(0)
	ds_write_b64 v79, v[81:82]
	buffer_store_dword v80, off, s[0:3], 0 offset:176
	buffer_store_dword v80, off, s[0:3], 0 offset:180
.LBB102_197:
	s_or_b64 exec, exec, s[4:5]
	s_waitcnt lgkmcnt(0)
	; wave barrier
	buffer_load_dword v89, off, s[0:3], 0 offset:184
	buffer_load_dword v90, off, s[0:3], 0 offset:188
	;; [unrolled: 1-line block ×22, first 2 shown]
	ds_read2_b64 v[81:84], v80 offset0:63 offset1:64
	ds_read2_b64 v[85:88], v80 offset0:65 offset1:66
	v_cmp_lt_u32_e32 vcc, 21, v0
	s_waitcnt vmcnt(20) lgkmcnt(1)
	v_fma_f64 v[81:82], v[89:90], v[81:82], 0
	s_waitcnt vmcnt(18)
	v_fma_f64 v[81:82], v[91:92], v[83:84], v[81:82]
	buffer_load_dword v90, off, s[0:3], 0 offset:276
	buffer_load_dword v91, off, s[0:3], 0 offset:296
	;; [unrolled: 1-line block ×8, first 2 shown]
	s_waitcnt vmcnt(24) lgkmcnt(0)
	v_fma_f64 v[81:82], v[93:94], v[85:86], v[81:82]
	s_waitcnt vmcnt(22)
	v_fma_f64 v[93:94], v[95:96], v[87:88], v[81:82]
	ds_read2_b64 v[81:84], v80 offset0:67 offset1:68
	ds_read2_b64 v[85:88], v80 offset0:69 offset1:70
	s_waitcnt vmcnt(20) lgkmcnt(1)
	v_fma_f64 v[81:82], v[97:98], v[81:82], v[93:94]
	buffer_load_dword v94, off, s[0:3], 0 offset:308
	buffer_load_dword v93, off, s[0:3], 0 offset:304
	;; [unrolled: 1-line block ×4, first 2 shown]
	s_waitcnt vmcnt(22)
	v_fma_f64 v[81:82], v[99:100], v[83:84], v[81:82]
	s_waitcnt vmcnt(20) lgkmcnt(0)
	v_fma_f64 v[81:82], v[101:102], v[85:86], v[81:82]
	s_waitcnt vmcnt(15)
	v_fma_f64 v[97:98], v[103:104], v[87:88], v[81:82]
	ds_read2_b64 v[81:84], v80 offset0:71 offset1:72
	ds_read2_b64 v[85:88], v80 offset0:73 offset1:74
	s_waitcnt vmcnt(14) lgkmcnt(1)
	v_fma_f64 v[81:82], v[109:110], v[81:82], v[97:98]
	s_waitcnt vmcnt(13)
	v_fma_f64 v[81:82], v[107:108], v[83:84], v[81:82]
	s_waitcnt vmcnt(12) lgkmcnt(0)
	v_fma_f64 v[81:82], v[105:106], v[85:86], v[81:82]
	s_waitcnt vmcnt(7)
	v_fma_f64 v[89:90], v[89:90], v[87:88], v[81:82]
	ds_read2_b64 v[81:84], v80 offset0:75 offset1:76
	ds_read2_b64 v[85:88], v80 offset0:77 offset1:78
	s_waitcnt vmcnt(6) lgkmcnt(1)
	v_fma_f64 v[80:81], v[113:114], v[81:82], v[89:90]
	s_waitcnt vmcnt(5)
	v_fma_f64 v[80:81], v[111:112], v[83:84], v[80:81]
	s_waitcnt vmcnt(4) lgkmcnt(0)
	v_fma_f64 v[80:81], v[91:92], v[85:86], v[80:81]
	s_waitcnt vmcnt(2)
	v_fma_f64 v[80:81], v[93:94], v[87:88], v[80:81]
	s_waitcnt vmcnt(0)
	v_add_f64 v[80:81], v[95:96], -v[80:81]
	buffer_store_dword v81, off, s[0:3], 0 offset:180
	buffer_store_dword v80, off, s[0:3], 0 offset:176
	s_and_saveexec_b64 s[4:5], vcc
	s_cbranch_execz .LBB102_199
; %bb.198:
	buffer_load_dword v80, off, s[0:3], 0 offset:168
	buffer_load_dword v81, off, s[0:3], 0 offset:172
	v_mov_b32_e32 v82, 0
	buffer_store_dword v82, off, s[0:3], 0 offset:168
	buffer_store_dword v82, off, s[0:3], 0 offset:172
	s_waitcnt vmcnt(2)
	ds_write_b64 v79, v[80:81]
.LBB102_199:
	s_or_b64 exec, exec, s[4:5]
	s_waitcnt lgkmcnt(0)
	; wave barrier
	buffer_load_dword v89, off, s[0:3], 0 offset:176
	buffer_load_dword v90, off, s[0:3], 0 offset:180
	;; [unrolled: 1-line block ×22, first 2 shown]
	v_mov_b32_e32 v80, 0
	ds_read_b128 v[81:84], v80 offset:496
	ds_read_b128 v[85:88], v80 offset:512
	v_cmp_lt_u32_e32 vcc, 20, v0
	s_waitcnt vmcnt(20) lgkmcnt(1)
	v_fma_f64 v[81:82], v[89:90], v[81:82], 0
	s_waitcnt vmcnt(18)
	v_fma_f64 v[81:82], v[91:92], v[83:84], v[81:82]
	buffer_load_dword v90, off, s[0:3], 0 offset:268
	buffer_load_dword v91, off, s[0:3], 0 offset:288
	;; [unrolled: 1-line block ×7, first 2 shown]
	s_waitcnt vmcnt(23) lgkmcnt(0)
	v_fma_f64 v[81:82], v[93:94], v[85:86], v[81:82]
	s_waitcnt vmcnt(21)
	v_fma_f64 v[92:93], v[95:96], v[87:88], v[81:82]
	ds_read_b128 v[81:84], v80 offset:528
	ds_read_b128 v[85:88], v80 offset:544
	s_waitcnt vmcnt(19) lgkmcnt(1)
	v_fma_f64 v[81:82], v[97:98], v[81:82], v[92:93]
	buffer_load_dword v92, off, s[0:3], 0 offset:292
	buffer_load_dword v94, off, s[0:3], 0 offset:300
	;; [unrolled: 1-line block ×7, first 2 shown]
	s_waitcnt vmcnt(24)
	v_fma_f64 v[81:82], v[99:100], v[83:84], v[81:82]
	s_waitcnt vmcnt(22) lgkmcnt(0)
	v_fma_f64 v[81:82], v[101:102], v[85:86], v[81:82]
	s_waitcnt vmcnt(17)
	v_fma_f64 v[99:100], v[103:104], v[87:88], v[81:82]
	ds_read_b128 v[81:84], v80 offset:560
	ds_read_b128 v[85:88], v80 offset:576
	s_waitcnt vmcnt(16) lgkmcnt(1)
	v_fma_f64 v[81:82], v[109:110], v[81:82], v[99:100]
	s_waitcnt vmcnt(15)
	v_fma_f64 v[81:82], v[107:108], v[83:84], v[81:82]
	s_waitcnt vmcnt(14) lgkmcnt(0)
	v_fma_f64 v[81:82], v[105:106], v[85:86], v[81:82]
	s_waitcnt vmcnt(9)
	v_fma_f64 v[89:90], v[89:90], v[87:88], v[81:82]
	ds_read_b128 v[81:84], v80 offset:592
	ds_read_b128 v[85:88], v80 offset:608
	s_waitcnt vmcnt(8) lgkmcnt(1)
	v_fma_f64 v[81:82], v[113:114], v[81:82], v[89:90]
	s_waitcnt vmcnt(7)
	v_fma_f64 v[81:82], v[111:112], v[83:84], v[81:82]
	ds_read_b64 v[83:84], v80 offset:624
	s_waitcnt vmcnt(6) lgkmcnt(1)
	v_fma_f64 v[81:82], v[91:92], v[85:86], v[81:82]
	s_waitcnt vmcnt(3)
	v_fma_f64 v[81:82], v[93:94], v[87:88], v[81:82]
	s_waitcnt vmcnt(2) lgkmcnt(0)
	v_fma_f64 v[81:82], v[95:96], v[83:84], v[81:82]
	s_waitcnt vmcnt(0)
	v_add_f64 v[81:82], v[97:98], -v[81:82]
	buffer_store_dword v82, off, s[0:3], 0 offset:172
	buffer_store_dword v81, off, s[0:3], 0 offset:168
	s_and_saveexec_b64 s[4:5], vcc
	s_cbranch_execz .LBB102_201
; %bb.200:
	buffer_load_dword v81, off, s[0:3], 0 offset:160
	buffer_load_dword v82, off, s[0:3], 0 offset:164
	s_waitcnt vmcnt(0)
	ds_write_b64 v79, v[81:82]
	buffer_store_dword v80, off, s[0:3], 0 offset:160
	buffer_store_dword v80, off, s[0:3], 0 offset:164
.LBB102_201:
	s_or_b64 exec, exec, s[4:5]
	s_waitcnt lgkmcnt(0)
	; wave barrier
	buffer_load_dword v89, off, s[0:3], 0 offset:168
	buffer_load_dword v90, off, s[0:3], 0 offset:172
	;; [unrolled: 1-line block ×22, first 2 shown]
	ds_read2_b64 v[81:84], v80 offset0:61 offset1:62
	ds_read2_b64 v[85:88], v80 offset0:63 offset1:64
	v_cmp_lt_u32_e32 vcc, 19, v0
	s_waitcnt vmcnt(20) lgkmcnt(1)
	v_fma_f64 v[81:82], v[89:90], v[81:82], 0
	s_waitcnt vmcnt(18)
	v_fma_f64 v[81:82], v[91:92], v[83:84], v[81:82]
	buffer_load_dword v90, off, s[0:3], 0 offset:260
	buffer_load_dword v91, off, s[0:3], 0 offset:280
	;; [unrolled: 1-line block ×7, first 2 shown]
	s_waitcnt vmcnt(23) lgkmcnt(0)
	v_fma_f64 v[81:82], v[93:94], v[85:86], v[81:82]
	s_waitcnt vmcnt(21)
	v_fma_f64 v[92:93], v[95:96], v[87:88], v[81:82]
	ds_read2_b64 v[81:84], v80 offset0:65 offset1:66
	ds_read2_b64 v[85:88], v80 offset0:67 offset1:68
	s_waitcnt vmcnt(19) lgkmcnt(1)
	v_fma_f64 v[81:82], v[97:98], v[81:82], v[92:93]
	buffer_load_dword v92, off, s[0:3], 0 offset:284
	buffer_load_dword v94, off, s[0:3], 0 offset:292
	;; [unrolled: 1-line block ×7, first 2 shown]
	s_waitcnt vmcnt(24)
	v_fma_f64 v[81:82], v[99:100], v[83:84], v[81:82]
	s_waitcnt vmcnt(22) lgkmcnt(0)
	v_fma_f64 v[81:82], v[101:102], v[85:86], v[81:82]
	s_waitcnt vmcnt(17)
	v_fma_f64 v[99:100], v[103:104], v[87:88], v[81:82]
	ds_read2_b64 v[81:84], v80 offset0:69 offset1:70
	buffer_load_dword v101, off, s[0:3], 0 offset:160
	buffer_load_dword v102, off, s[0:3], 0 offset:164
	ds_read2_b64 v[85:88], v80 offset0:71 offset1:72
	s_waitcnt vmcnt(18) lgkmcnt(1)
	v_fma_f64 v[81:82], v[109:110], v[81:82], v[99:100]
	s_waitcnt vmcnt(17)
	v_fma_f64 v[81:82], v[107:108], v[83:84], v[81:82]
	s_waitcnt vmcnt(16) lgkmcnt(0)
	v_fma_f64 v[81:82], v[105:106], v[85:86], v[81:82]
	s_waitcnt vmcnt(11)
	v_fma_f64 v[89:90], v[89:90], v[87:88], v[81:82]
	ds_read2_b64 v[81:84], v80 offset0:73 offset1:74
	ds_read2_b64 v[85:88], v80 offset0:75 offset1:76
	s_waitcnt vmcnt(10) lgkmcnt(1)
	v_fma_f64 v[81:82], v[113:114], v[81:82], v[89:90]
	s_waitcnt vmcnt(9)
	v_fma_f64 v[81:82], v[111:112], v[83:84], v[81:82]
	s_waitcnt vmcnt(8) lgkmcnt(0)
	v_fma_f64 v[81:82], v[91:92], v[85:86], v[81:82]
	s_waitcnt vmcnt(4)
	v_fma_f64 v[84:85], v[93:94], v[87:88], v[81:82]
	ds_read2_b64 v[80:83], v80 offset0:77 offset1:78
	s_waitcnt vmcnt(3) lgkmcnt(0)
	v_fma_f64 v[80:81], v[97:98], v[80:81], v[84:85]
	s_waitcnt vmcnt(2)
	v_fma_f64 v[80:81], v[95:96], v[82:83], v[80:81]
	s_waitcnt vmcnt(0)
	v_add_f64 v[80:81], v[101:102], -v[80:81]
	buffer_store_dword v81, off, s[0:3], 0 offset:164
	buffer_store_dword v80, off, s[0:3], 0 offset:160
	s_and_saveexec_b64 s[4:5], vcc
	s_cbranch_execz .LBB102_203
; %bb.202:
	buffer_load_dword v80, off, s[0:3], 0 offset:152
	buffer_load_dword v81, off, s[0:3], 0 offset:156
	v_mov_b32_e32 v82, 0
	buffer_store_dword v82, off, s[0:3], 0 offset:152
	buffer_store_dword v82, off, s[0:3], 0 offset:156
	s_waitcnt vmcnt(2)
	ds_write_b64 v79, v[80:81]
.LBB102_203:
	s_or_b64 exec, exec, s[4:5]
	s_waitcnt lgkmcnt(0)
	; wave barrier
	buffer_load_dword v89, off, s[0:3], 0 offset:160
	buffer_load_dword v90, off, s[0:3], 0 offset:164
	;; [unrolled: 1-line block ×22, first 2 shown]
	v_mov_b32_e32 v80, 0
	ds_read_b128 v[81:84], v80 offset:480
	ds_read_b128 v[85:88], v80 offset:496
	v_cmp_lt_u32_e32 vcc, 18, v0
	s_waitcnt vmcnt(20) lgkmcnt(1)
	v_fma_f64 v[81:82], v[89:90], v[81:82], 0
	s_waitcnt vmcnt(18)
	v_fma_f64 v[81:82], v[91:92], v[83:84], v[81:82]
	buffer_load_dword v90, off, s[0:3], 0 offset:252
	buffer_load_dword v91, off, s[0:3], 0 offset:272
	;; [unrolled: 1-line block ×7, first 2 shown]
	s_waitcnt vmcnt(23) lgkmcnt(0)
	v_fma_f64 v[81:82], v[93:94], v[85:86], v[81:82]
	s_waitcnt vmcnt(21)
	v_fma_f64 v[92:93], v[95:96], v[87:88], v[81:82]
	ds_read_b128 v[81:84], v80 offset:512
	ds_read_b128 v[85:88], v80 offset:528
	s_waitcnt vmcnt(19) lgkmcnt(1)
	v_fma_f64 v[81:82], v[97:98], v[81:82], v[92:93]
	buffer_load_dword v92, off, s[0:3], 0 offset:276
	s_waitcnt vmcnt(18)
	v_fma_f64 v[81:82], v[99:100], v[83:84], v[81:82]
	buffer_load_dword v94, off, s[0:3], 0 offset:284
	buffer_load_dword v95, off, s[0:3], 0 offset:304
	;; [unrolled: 1-line block ×8, first 2 shown]
	s_waitcnt vmcnt(24) lgkmcnt(0)
	v_fma_f64 v[81:82], v[101:102], v[85:86], v[81:82]
	s_waitcnt vmcnt(19)
	v_fma_f64 v[101:102], v[103:104], v[87:88], v[81:82]
	ds_read_b128 v[81:84], v80 offset:544
	ds_read_b128 v[85:88], v80 offset:560
	s_waitcnt vmcnt(18) lgkmcnt(1)
	v_fma_f64 v[81:82], v[109:110], v[81:82], v[101:102]
	buffer_load_dword v101, off, s[0:3], 0 offset:152
	buffer_load_dword v102, off, s[0:3], 0 offset:156
	s_waitcnt vmcnt(19)
	v_fma_f64 v[81:82], v[107:108], v[83:84], v[81:82]
	s_waitcnt vmcnt(18) lgkmcnt(0)
	v_fma_f64 v[81:82], v[105:106], v[85:86], v[81:82]
	s_waitcnt vmcnt(13)
	v_fma_f64 v[89:90], v[89:90], v[87:88], v[81:82]
	ds_read_b128 v[81:84], v80 offset:576
	ds_read_b128 v[85:88], v80 offset:592
	s_waitcnt vmcnt(12) lgkmcnt(1)
	v_fma_f64 v[81:82], v[113:114], v[81:82], v[89:90]
	s_waitcnt vmcnt(11)
	v_fma_f64 v[81:82], v[111:112], v[83:84], v[81:82]
	s_waitcnt vmcnt(10) lgkmcnt(0)
	v_fma_f64 v[81:82], v[91:92], v[85:86], v[81:82]
	s_waitcnt vmcnt(5)
	v_fma_f64 v[85:86], v[93:94], v[87:88], v[81:82]
	ds_read_b128 v[81:84], v80 offset:608
	ds_read_b64 v[87:88], v80 offset:624
	s_waitcnt vmcnt(4) lgkmcnt(1)
	v_fma_f64 v[81:82], v[99:100], v[81:82], v[85:86]
	s_waitcnt vmcnt(3)
	v_fma_f64 v[81:82], v[97:98], v[83:84], v[81:82]
	s_waitcnt vmcnt(2) lgkmcnt(0)
	v_fma_f64 v[81:82], v[95:96], v[87:88], v[81:82]
	s_waitcnt vmcnt(0)
	v_add_f64 v[81:82], v[101:102], -v[81:82]
	buffer_store_dword v82, off, s[0:3], 0 offset:156
	buffer_store_dword v81, off, s[0:3], 0 offset:152
	s_and_saveexec_b64 s[4:5], vcc
	s_cbranch_execz .LBB102_205
; %bb.204:
	buffer_load_dword v81, off, s[0:3], 0 offset:144
	buffer_load_dword v82, off, s[0:3], 0 offset:148
	s_waitcnt vmcnt(0)
	ds_write_b64 v79, v[81:82]
	buffer_store_dword v80, off, s[0:3], 0 offset:144
	buffer_store_dword v80, off, s[0:3], 0 offset:148
.LBB102_205:
	s_or_b64 exec, exec, s[4:5]
	s_waitcnt lgkmcnt(0)
	; wave barrier
	buffer_load_dword v89, off, s[0:3], 0 offset:152
	buffer_load_dword v90, off, s[0:3], 0 offset:156
	;; [unrolled: 1-line block ×22, first 2 shown]
	ds_read2_b64 v[81:84], v80 offset0:59 offset1:60
	ds_read2_b64 v[85:88], v80 offset0:61 offset1:62
	v_cmp_lt_u32_e32 vcc, 17, v0
	s_waitcnt vmcnt(20) lgkmcnt(1)
	v_fma_f64 v[81:82], v[89:90], v[81:82], 0
	s_waitcnt vmcnt(18)
	v_fma_f64 v[81:82], v[91:92], v[83:84], v[81:82]
	buffer_load_dword v90, off, s[0:3], 0 offset:244
	buffer_load_dword v91, off, s[0:3], 0 offset:264
	;; [unrolled: 1-line block ×7, first 2 shown]
	s_waitcnt vmcnt(23) lgkmcnt(0)
	v_fma_f64 v[81:82], v[93:94], v[85:86], v[81:82]
	s_waitcnt vmcnt(21)
	v_fma_f64 v[92:93], v[95:96], v[87:88], v[81:82]
	ds_read2_b64 v[81:84], v80 offset0:63 offset1:64
	ds_read2_b64 v[85:88], v80 offset0:65 offset1:66
	s_waitcnt vmcnt(19) lgkmcnt(1)
	v_fma_f64 v[81:82], v[97:98], v[81:82], v[92:93]
	buffer_load_dword v92, off, s[0:3], 0 offset:268
	s_waitcnt vmcnt(18)
	v_fma_f64 v[81:82], v[99:100], v[83:84], v[81:82]
	buffer_load_dword v94, off, s[0:3], 0 offset:276
	buffer_load_dword v95, off, s[0:3], 0 offset:296
	buffer_load_dword v97, off, s[0:3], 0 offset:288
	buffer_load_dword v99, off, s[0:3], 0 offset:280
	buffer_load_dword v93, off, s[0:3], 0 offset:272
	buffer_load_dword v100, off, s[0:3], 0 offset:284
	buffer_load_dword v98, off, s[0:3], 0 offset:292
	buffer_load_dword v96, off, s[0:3], 0 offset:300
	s_waitcnt vmcnt(24) lgkmcnt(0)
	v_fma_f64 v[81:82], v[101:102], v[85:86], v[81:82]
	s_waitcnt vmcnt(19)
	v_fma_f64 v[101:102], v[103:104], v[87:88], v[81:82]
	ds_read2_b64 v[81:84], v80 offset0:67 offset1:68
	ds_read2_b64 v[85:88], v80 offset0:69 offset1:70
	s_waitcnt vmcnt(18) lgkmcnt(1)
	v_fma_f64 v[81:82], v[109:110], v[81:82], v[101:102]
	buffer_load_dword v102, off, s[0:3], 0 offset:308
	buffer_load_dword v101, off, s[0:3], 0 offset:304
	;; [unrolled: 1-line block ×4, first 2 shown]
	s_waitcnt vmcnt(21)
	v_fma_f64 v[81:82], v[107:108], v[83:84], v[81:82]
	s_waitcnt vmcnt(20) lgkmcnt(0)
	v_fma_f64 v[81:82], v[105:106], v[85:86], v[81:82]
	s_waitcnt vmcnt(15)
	v_fma_f64 v[89:90], v[89:90], v[87:88], v[81:82]
	ds_read2_b64 v[81:84], v80 offset0:71 offset1:72
	ds_read2_b64 v[85:88], v80 offset0:73 offset1:74
	s_waitcnt vmcnt(14) lgkmcnt(1)
	v_fma_f64 v[81:82], v[113:114], v[81:82], v[89:90]
	s_waitcnt vmcnt(13)
	v_fma_f64 v[81:82], v[111:112], v[83:84], v[81:82]
	s_waitcnt vmcnt(12) lgkmcnt(0)
	v_fma_f64 v[81:82], v[91:92], v[85:86], v[81:82]
	s_waitcnt vmcnt(7)
	v_fma_f64 v[89:90], v[93:94], v[87:88], v[81:82]
	ds_read2_b64 v[81:84], v80 offset0:75 offset1:76
	ds_read2_b64 v[85:88], v80 offset0:77 offset1:78
	s_waitcnt vmcnt(6) lgkmcnt(1)
	v_fma_f64 v[80:81], v[99:100], v[81:82], v[89:90]
	s_waitcnt vmcnt(5)
	v_fma_f64 v[80:81], v[97:98], v[83:84], v[80:81]
	s_waitcnt vmcnt(4) lgkmcnt(0)
	v_fma_f64 v[80:81], v[95:96], v[85:86], v[80:81]
	s_waitcnt vmcnt(2)
	v_fma_f64 v[80:81], v[101:102], v[87:88], v[80:81]
	s_waitcnt vmcnt(0)
	v_add_f64 v[80:81], v[103:104], -v[80:81]
	buffer_store_dword v81, off, s[0:3], 0 offset:148
	buffer_store_dword v80, off, s[0:3], 0 offset:144
	s_and_saveexec_b64 s[4:5], vcc
	s_cbranch_execz .LBB102_207
; %bb.206:
	buffer_load_dword v80, off, s[0:3], 0 offset:136
	buffer_load_dword v81, off, s[0:3], 0 offset:140
	v_mov_b32_e32 v82, 0
	buffer_store_dword v82, off, s[0:3], 0 offset:136
	buffer_store_dword v82, off, s[0:3], 0 offset:140
	s_waitcnt vmcnt(2)
	ds_write_b64 v79, v[80:81]
.LBB102_207:
	s_or_b64 exec, exec, s[4:5]
	s_waitcnt lgkmcnt(0)
	; wave barrier
	buffer_load_dword v89, off, s[0:3], 0 offset:144
	buffer_load_dword v90, off, s[0:3], 0 offset:148
	;; [unrolled: 1-line block ×21, first 2 shown]
	v_mov_b32_e32 v80, 0
	ds_read_b128 v[81:84], v80 offset:464
	ds_read_b128 v[85:88], v80 offset:480
	buffer_load_dword v106, off, s[0:3], 0 offset:228
	v_cmp_lt_u32_e32 vcc, 16, v0
	s_waitcnt vmcnt(20) lgkmcnt(1)
	v_fma_f64 v[81:82], v[89:90], v[81:82], 0
	s_waitcnt vmcnt(18)
	v_fma_f64 v[81:82], v[91:92], v[83:84], v[81:82]
	buffer_load_dword v90, off, s[0:3], 0 offset:236
	buffer_load_dword v91, off, s[0:3], 0 offset:256
	;; [unrolled: 1-line block ×7, first 2 shown]
	s_waitcnt vmcnt(23) lgkmcnt(0)
	v_fma_f64 v[81:82], v[93:94], v[85:86], v[81:82]
	s_waitcnt vmcnt(21)
	v_fma_f64 v[92:93], v[95:96], v[87:88], v[81:82]
	ds_read_b128 v[81:84], v80 offset:496
	ds_read_b128 v[85:88], v80 offset:512
	s_waitcnt vmcnt(19) lgkmcnt(1)
	v_fma_f64 v[81:82], v[97:98], v[81:82], v[92:93]
	buffer_load_dword v92, off, s[0:3], 0 offset:260
	s_waitcnt vmcnt(18)
	v_fma_f64 v[81:82], v[99:100], v[83:84], v[81:82]
	buffer_load_dword v94, off, s[0:3], 0 offset:268
	buffer_load_dword v95, off, s[0:3], 0 offset:288
	;; [unrolled: 1-line block ×7, first 2 shown]
	s_waitcnt vmcnt(23) lgkmcnt(0)
	v_fma_f64 v[81:82], v[101:102], v[85:86], v[81:82]
	s_waitcnt vmcnt(18)
	v_fma_f64 v[101:102], v[103:104], v[87:88], v[81:82]
	ds_read_b128 v[81:84], v80 offset:528
	ds_read_b128 v[85:88], v80 offset:544
	buffer_load_dword v96, off, s[0:3], 0 offset:292
	s_waitcnt vmcnt(18) lgkmcnt(1)
	v_fma_f64 v[81:82], v[109:110], v[81:82], v[101:102]
	buffer_load_dword v102, off, s[0:3], 0 offset:300
	buffer_load_dword v103, off, s[0:3], 0 offset:304
	;; [unrolled: 1-line block ×4, first 2 shown]
	s_waitcnt vmcnt(21)
	v_fma_f64 v[81:82], v[107:108], v[83:84], v[81:82]
	s_waitcnt vmcnt(20) lgkmcnt(0)
	v_fma_f64 v[81:82], v[105:106], v[85:86], v[81:82]
	buffer_load_dword v105, off, s[0:3], 0 offset:136
	buffer_load_dword v106, off, s[0:3], 0 offset:140
	s_waitcnt vmcnt(17)
	v_fma_f64 v[89:90], v[89:90], v[87:88], v[81:82]
	ds_read_b128 v[81:84], v80 offset:560
	ds_read_b128 v[85:88], v80 offset:576
	s_waitcnt vmcnt(16) lgkmcnt(1)
	v_fma_f64 v[81:82], v[113:114], v[81:82], v[89:90]
	s_waitcnt vmcnt(15)
	v_fma_f64 v[81:82], v[111:112], v[83:84], v[81:82]
	s_waitcnt vmcnt(14) lgkmcnt(0)
	v_fma_f64 v[81:82], v[91:92], v[85:86], v[81:82]
	s_waitcnt vmcnt(9)
	v_fma_f64 v[89:90], v[93:94], v[87:88], v[81:82]
	ds_read_b128 v[81:84], v80 offset:592
	ds_read_b128 v[85:88], v80 offset:608
	s_waitcnt vmcnt(8) lgkmcnt(1)
	v_fma_f64 v[81:82], v[99:100], v[81:82], v[89:90]
	s_waitcnt vmcnt(7)
	v_fma_f64 v[81:82], v[97:98], v[83:84], v[81:82]
	ds_read_b64 v[83:84], v80 offset:624
	s_waitcnt vmcnt(6) lgkmcnt(1)
	v_fma_f64 v[81:82], v[95:96], v[85:86], v[81:82]
	s_waitcnt vmcnt(3)
	v_fma_f64 v[81:82], v[101:102], v[87:88], v[81:82]
	s_waitcnt vmcnt(2) lgkmcnt(0)
	v_fma_f64 v[81:82], v[103:104], v[83:84], v[81:82]
	s_waitcnt vmcnt(0)
	v_add_f64 v[81:82], v[105:106], -v[81:82]
	buffer_store_dword v82, off, s[0:3], 0 offset:140
	buffer_store_dword v81, off, s[0:3], 0 offset:136
	s_and_saveexec_b64 s[4:5], vcc
	s_cbranch_execz .LBB102_209
; %bb.208:
	buffer_load_dword v81, off, s[0:3], 0 offset:128
	buffer_load_dword v82, off, s[0:3], 0 offset:132
	s_waitcnt vmcnt(0)
	ds_write_b64 v79, v[81:82]
	buffer_store_dword v80, off, s[0:3], 0 offset:128
	buffer_store_dword v80, off, s[0:3], 0 offset:132
.LBB102_209:
	s_or_b64 exec, exec, s[4:5]
	s_waitcnt lgkmcnt(0)
	; wave barrier
	buffer_load_dword v89, off, s[0:3], 0 offset:136
	buffer_load_dword v90, off, s[0:3], 0 offset:140
	;; [unrolled: 1-line block ×21, first 2 shown]
	ds_read2_b64 v[81:84], v80 offset0:57 offset1:58
	ds_read2_b64 v[85:88], v80 offset0:59 offset1:60
	buffer_load_dword v106, off, s[0:3], 0 offset:220
	v_cmp_lt_u32_e32 vcc, 15, v0
	s_waitcnt vmcnt(20) lgkmcnt(1)
	v_fma_f64 v[81:82], v[89:90], v[81:82], 0
	s_waitcnt vmcnt(18)
	v_fma_f64 v[81:82], v[91:92], v[83:84], v[81:82]
	buffer_load_dword v90, off, s[0:3], 0 offset:228
	buffer_load_dword v91, off, s[0:3], 0 offset:248
	buffer_load_dword v111, off, s[0:3], 0 offset:240
	buffer_load_dword v113, off, s[0:3], 0 offset:232
	buffer_load_dword v89, off, s[0:3], 0 offset:224
	buffer_load_dword v114, off, s[0:3], 0 offset:236
	buffer_load_dword v112, off, s[0:3], 0 offset:244
	s_waitcnt vmcnt(23) lgkmcnt(0)
	v_fma_f64 v[81:82], v[93:94], v[85:86], v[81:82]
	s_waitcnt vmcnt(21)
	v_fma_f64 v[92:93], v[95:96], v[87:88], v[81:82]
	ds_read2_b64 v[81:84], v80 offset0:61 offset1:62
	ds_read2_b64 v[85:88], v80 offset0:63 offset1:64
	s_waitcnt vmcnt(19) lgkmcnt(1)
	v_fma_f64 v[81:82], v[97:98], v[81:82], v[92:93]
	buffer_load_dword v92, off, s[0:3], 0 offset:252
	s_waitcnt vmcnt(18)
	v_fma_f64 v[81:82], v[99:100], v[83:84], v[81:82]
	buffer_load_dword v94, off, s[0:3], 0 offset:260
	buffer_load_dword v95, off, s[0:3], 0 offset:280
	;; [unrolled: 1-line block ×8, first 2 shown]
	s_waitcnt vmcnt(24) lgkmcnt(0)
	v_fma_f64 v[81:82], v[101:102], v[85:86], v[81:82]
	s_waitcnt vmcnt(19)
	v_fma_f64 v[101:102], v[103:104], v[87:88], v[81:82]
	ds_read2_b64 v[81:84], v80 offset0:65 offset1:66
	ds_read2_b64 v[85:88], v80 offset0:67 offset1:68
	s_waitcnt vmcnt(18) lgkmcnt(1)
	v_fma_f64 v[81:82], v[109:110], v[81:82], v[101:102]
	s_waitcnt vmcnt(17)
	v_fma_f64 v[81:82], v[107:108], v[83:84], v[81:82]
	buffer_load_dword v102, off, s[0:3], 0 offset:292
	buffer_load_dword v103, off, s[0:3], 0 offset:304
	;; [unrolled: 1-line block ×6, first 2 shown]
	s_waitcnt vmcnt(22) lgkmcnt(0)
	v_fma_f64 v[81:82], v[105:106], v[85:86], v[81:82]
	s_waitcnt vmcnt(17)
	v_fma_f64 v[89:90], v[89:90], v[87:88], v[81:82]
	ds_read2_b64 v[81:84], v80 offset0:69 offset1:70
	buffer_load_dword v105, off, s[0:3], 0 offset:128
	buffer_load_dword v106, off, s[0:3], 0 offset:132
	ds_read2_b64 v[85:88], v80 offset0:71 offset1:72
	s_waitcnt vmcnt(18) lgkmcnt(1)
	v_fma_f64 v[81:82], v[113:114], v[81:82], v[89:90]
	s_waitcnt vmcnt(17)
	v_fma_f64 v[81:82], v[111:112], v[83:84], v[81:82]
	s_waitcnt vmcnt(16) lgkmcnt(0)
	v_fma_f64 v[81:82], v[91:92], v[85:86], v[81:82]
	s_waitcnt vmcnt(11)
	v_fma_f64 v[89:90], v[93:94], v[87:88], v[81:82]
	ds_read2_b64 v[81:84], v80 offset0:73 offset1:74
	ds_read2_b64 v[85:88], v80 offset0:75 offset1:76
	s_waitcnt vmcnt(10) lgkmcnt(1)
	v_fma_f64 v[81:82], v[99:100], v[81:82], v[89:90]
	s_waitcnt vmcnt(9)
	v_fma_f64 v[81:82], v[97:98], v[83:84], v[81:82]
	s_waitcnt vmcnt(8) lgkmcnt(0)
	v_fma_f64 v[81:82], v[95:96], v[85:86], v[81:82]
	s_waitcnt vmcnt(4)
	v_fma_f64 v[84:85], v[101:102], v[87:88], v[81:82]
	ds_read2_b64 v[80:83], v80 offset0:77 offset1:78
	s_waitcnt vmcnt(3) lgkmcnt(0)
	v_fma_f64 v[80:81], v[107:108], v[80:81], v[84:85]
	s_waitcnt vmcnt(2)
	v_fma_f64 v[80:81], v[103:104], v[82:83], v[80:81]
	s_waitcnt vmcnt(0)
	v_add_f64 v[80:81], v[105:106], -v[80:81]
	buffer_store_dword v81, off, s[0:3], 0 offset:132
	buffer_store_dword v80, off, s[0:3], 0 offset:128
	s_and_saveexec_b64 s[4:5], vcc
	s_cbranch_execz .LBB102_211
; %bb.210:
	buffer_load_dword v80, off, s[0:3], 0 offset:120
	buffer_load_dword v81, off, s[0:3], 0 offset:124
	v_mov_b32_e32 v82, 0
	buffer_store_dword v82, off, s[0:3], 0 offset:120
	buffer_store_dword v82, off, s[0:3], 0 offset:124
	s_waitcnt vmcnt(2)
	ds_write_b64 v79, v[80:81]
.LBB102_211:
	s_or_b64 exec, exec, s[4:5]
	s_waitcnt lgkmcnt(0)
	; wave barrier
	buffer_load_dword v89, off, s[0:3], 0 offset:128
	buffer_load_dword v90, off, s[0:3], 0 offset:132
	buffer_load_dword v91, off, s[0:3], 0 offset:136
	buffer_load_dword v92, off, s[0:3], 0 offset:140
	buffer_load_dword v93, off, s[0:3], 0 offset:144
	buffer_load_dword v94, off, s[0:3], 0 offset:148
	buffer_load_dword v95, off, s[0:3], 0 offset:152
	buffer_load_dword v96, off, s[0:3], 0 offset:156
	buffer_load_dword v97, off, s[0:3], 0 offset:160
	buffer_load_dword v98, off, s[0:3], 0 offset:164
	buffer_load_dword v99, off, s[0:3], 0 offset:168
	buffer_load_dword v100, off, s[0:3], 0 offset:172
	buffer_load_dword v101, off, s[0:3], 0 offset:176
	buffer_load_dword v102, off, s[0:3], 0 offset:180
	buffer_load_dword v104, off, s[0:3], 0 offset:188
	buffer_load_dword v105, off, s[0:3], 0 offset:208
	buffer_load_dword v107, off, s[0:3], 0 offset:200
	buffer_load_dword v109, off, s[0:3], 0 offset:192
	buffer_load_dword v103, off, s[0:3], 0 offset:184
	buffer_load_dword v110, off, s[0:3], 0 offset:196
	buffer_load_dword v108, off, s[0:3], 0 offset:204
	v_mov_b32_e32 v80, 0
	ds_read_b128 v[81:84], v80 offset:448
	ds_read_b128 v[85:88], v80 offset:464
	buffer_load_dword v106, off, s[0:3], 0 offset:212
	v_cmp_lt_u32_e32 vcc, 14, v0
	s_waitcnt vmcnt(20) lgkmcnt(1)
	v_fma_f64 v[81:82], v[89:90], v[81:82], 0
	s_waitcnt vmcnt(18)
	v_fma_f64 v[81:82], v[91:92], v[83:84], v[81:82]
	buffer_load_dword v90, off, s[0:3], 0 offset:220
	buffer_load_dword v91, off, s[0:3], 0 offset:240
	;; [unrolled: 1-line block ×7, first 2 shown]
	s_waitcnt vmcnt(23) lgkmcnt(0)
	v_fma_f64 v[81:82], v[93:94], v[85:86], v[81:82]
	s_waitcnt vmcnt(21)
	v_fma_f64 v[92:93], v[95:96], v[87:88], v[81:82]
	ds_read_b128 v[81:84], v80 offset:480
	ds_read_b128 v[85:88], v80 offset:496
	s_waitcnt vmcnt(19) lgkmcnt(1)
	v_fma_f64 v[81:82], v[97:98], v[81:82], v[92:93]
	buffer_load_dword v92, off, s[0:3], 0 offset:244
	s_waitcnt vmcnt(18)
	v_fma_f64 v[81:82], v[99:100], v[83:84], v[81:82]
	buffer_load_dword v94, off, s[0:3], 0 offset:252
	buffer_load_dword v95, off, s[0:3], 0 offset:272
	;; [unrolled: 1-line block ×8, first 2 shown]
	s_waitcnt vmcnt(24) lgkmcnt(0)
	v_fma_f64 v[81:82], v[101:102], v[85:86], v[81:82]
	s_waitcnt vmcnt(19)
	v_fma_f64 v[101:102], v[103:104], v[87:88], v[81:82]
	ds_read_b128 v[81:84], v80 offset:512
	ds_read_b128 v[85:88], v80 offset:528
	s_waitcnt vmcnt(18) lgkmcnt(1)
	v_fma_f64 v[81:82], v[109:110], v[81:82], v[101:102]
	s_waitcnt vmcnt(17)
	v_fma_f64 v[81:82], v[107:108], v[83:84], v[81:82]
	buffer_load_dword v102, off, s[0:3], 0 offset:284
	buffer_load_dword v103, off, s[0:3], 0 offset:304
	;; [unrolled: 1-line block ×8, first 2 shown]
	s_waitcnt vmcnt(24) lgkmcnt(0)
	v_fma_f64 v[81:82], v[105:106], v[85:86], v[81:82]
	s_waitcnt vmcnt(19)
	v_fma_f64 v[89:90], v[89:90], v[87:88], v[81:82]
	ds_read_b128 v[81:84], v80 offset:544
	ds_read_b128 v[85:88], v80 offset:560
	s_waitcnt vmcnt(18) lgkmcnt(1)
	v_fma_f64 v[81:82], v[113:114], v[81:82], v[89:90]
	buffer_load_dword v89, off, s[0:3], 0 offset:120
	buffer_load_dword v90, off, s[0:3], 0 offset:124
	s_waitcnt vmcnt(19)
	v_fma_f64 v[81:82], v[111:112], v[83:84], v[81:82]
	s_waitcnt vmcnt(18) lgkmcnt(0)
	v_fma_f64 v[81:82], v[91:92], v[85:86], v[81:82]
	s_waitcnt vmcnt(13)
	v_fma_f64 v[91:92], v[93:94], v[87:88], v[81:82]
	ds_read_b128 v[81:84], v80 offset:576
	ds_read_b128 v[85:88], v80 offset:592
	s_waitcnt vmcnt(12) lgkmcnt(1)
	v_fma_f64 v[81:82], v[99:100], v[81:82], v[91:92]
	s_waitcnt vmcnt(11)
	v_fma_f64 v[81:82], v[97:98], v[83:84], v[81:82]
	s_waitcnt vmcnt(10) lgkmcnt(0)
	v_fma_f64 v[81:82], v[95:96], v[85:86], v[81:82]
	s_waitcnt vmcnt(5)
	v_fma_f64 v[85:86], v[101:102], v[87:88], v[81:82]
	ds_read_b128 v[81:84], v80 offset:608
	ds_read_b64 v[87:88], v80 offset:624
	s_waitcnt vmcnt(4) lgkmcnt(1)
	v_fma_f64 v[81:82], v[109:110], v[81:82], v[85:86]
	s_waitcnt vmcnt(3)
	v_fma_f64 v[81:82], v[107:108], v[83:84], v[81:82]
	s_waitcnt vmcnt(2) lgkmcnt(0)
	v_fma_f64 v[81:82], v[103:104], v[87:88], v[81:82]
	s_waitcnt vmcnt(0)
	v_add_f64 v[81:82], v[89:90], -v[81:82]
	buffer_store_dword v82, off, s[0:3], 0 offset:124
	buffer_store_dword v81, off, s[0:3], 0 offset:120
	s_and_saveexec_b64 s[4:5], vcc
	s_cbranch_execz .LBB102_213
; %bb.212:
	buffer_load_dword v81, off, s[0:3], 0 offset:112
	buffer_load_dword v82, off, s[0:3], 0 offset:116
	s_waitcnt vmcnt(0)
	ds_write_b64 v79, v[81:82]
	buffer_store_dword v80, off, s[0:3], 0 offset:112
	buffer_store_dword v80, off, s[0:3], 0 offset:116
.LBB102_213:
	s_or_b64 exec, exec, s[4:5]
	s_waitcnt lgkmcnt(0)
	; wave barrier
	buffer_load_dword v89, off, s[0:3], 0 offset:120
	buffer_load_dword v90, off, s[0:3], 0 offset:124
	;; [unrolled: 1-line block ×21, first 2 shown]
	ds_read2_b64 v[81:84], v80 offset0:55 offset1:56
	ds_read2_b64 v[85:88], v80 offset0:57 offset1:58
	buffer_load_dword v106, off, s[0:3], 0 offset:204
	v_cmp_lt_u32_e32 vcc, 13, v0
	s_waitcnt vmcnt(20) lgkmcnt(1)
	v_fma_f64 v[81:82], v[89:90], v[81:82], 0
	s_waitcnt vmcnt(18)
	v_fma_f64 v[81:82], v[91:92], v[83:84], v[81:82]
	buffer_load_dword v90, off, s[0:3], 0 offset:212
	buffer_load_dword v91, off, s[0:3], 0 offset:232
	;; [unrolled: 1-line block ×7, first 2 shown]
	s_waitcnt vmcnt(23) lgkmcnt(0)
	v_fma_f64 v[81:82], v[93:94], v[85:86], v[81:82]
	s_waitcnt vmcnt(21)
	v_fma_f64 v[92:93], v[95:96], v[87:88], v[81:82]
	ds_read2_b64 v[81:84], v80 offset0:59 offset1:60
	ds_read2_b64 v[85:88], v80 offset0:61 offset1:62
	s_waitcnt vmcnt(19) lgkmcnt(1)
	v_fma_f64 v[81:82], v[97:98], v[81:82], v[92:93]
	buffer_load_dword v92, off, s[0:3], 0 offset:236
	s_waitcnt vmcnt(18)
	v_fma_f64 v[81:82], v[99:100], v[83:84], v[81:82]
	buffer_load_dword v94, off, s[0:3], 0 offset:244
	buffer_load_dword v95, off, s[0:3], 0 offset:264
	;; [unrolled: 1-line block ×8, first 2 shown]
	s_waitcnt vmcnt(24) lgkmcnt(0)
	v_fma_f64 v[81:82], v[101:102], v[85:86], v[81:82]
	s_waitcnt vmcnt(19)
	v_fma_f64 v[101:102], v[103:104], v[87:88], v[81:82]
	ds_read2_b64 v[81:84], v80 offset0:63 offset1:64
	ds_read2_b64 v[85:88], v80 offset0:65 offset1:66
	s_waitcnt vmcnt(18) lgkmcnt(1)
	v_fma_f64 v[81:82], v[109:110], v[81:82], v[101:102]
	s_waitcnt vmcnt(17)
	v_fma_f64 v[81:82], v[107:108], v[83:84], v[81:82]
	buffer_load_dword v102, off, s[0:3], 0 offset:276
	buffer_load_dword v103, off, s[0:3], 0 offset:296
	;; [unrolled: 1-line block ×8, first 2 shown]
	s_waitcnt vmcnt(24) lgkmcnt(0)
	v_fma_f64 v[81:82], v[105:106], v[85:86], v[81:82]
	s_waitcnt vmcnt(19)
	v_fma_f64 v[89:90], v[89:90], v[87:88], v[81:82]
	ds_read2_b64 v[81:84], v80 offset0:67 offset1:68
	ds_read2_b64 v[85:88], v80 offset0:69 offset1:70
	s_waitcnt vmcnt(18) lgkmcnt(1)
	v_fma_f64 v[81:82], v[113:114], v[81:82], v[89:90]
	buffer_load_dword v90, off, s[0:3], 0 offset:308
	buffer_load_dword v89, off, s[0:3], 0 offset:304
	;; [unrolled: 1-line block ×4, first 2 shown]
	s_waitcnt vmcnt(21)
	v_fma_f64 v[81:82], v[111:112], v[83:84], v[81:82]
	s_waitcnt vmcnt(20) lgkmcnt(0)
	v_fma_f64 v[81:82], v[91:92], v[85:86], v[81:82]
	s_waitcnt vmcnt(15)
	v_fma_f64 v[91:92], v[93:94], v[87:88], v[81:82]
	ds_read2_b64 v[81:84], v80 offset0:71 offset1:72
	ds_read2_b64 v[85:88], v80 offset0:73 offset1:74
	s_waitcnt vmcnt(14) lgkmcnt(1)
	v_fma_f64 v[81:82], v[99:100], v[81:82], v[91:92]
	s_waitcnt vmcnt(13)
	v_fma_f64 v[81:82], v[97:98], v[83:84], v[81:82]
	s_waitcnt vmcnt(12) lgkmcnt(0)
	v_fma_f64 v[81:82], v[95:96], v[85:86], v[81:82]
	s_waitcnt vmcnt(7)
	v_fma_f64 v[91:92], v[101:102], v[87:88], v[81:82]
	ds_read2_b64 v[81:84], v80 offset0:75 offset1:76
	ds_read2_b64 v[85:88], v80 offset0:77 offset1:78
	s_waitcnt vmcnt(6) lgkmcnt(1)
	v_fma_f64 v[80:81], v[109:110], v[81:82], v[91:92]
	s_waitcnt vmcnt(5)
	v_fma_f64 v[80:81], v[107:108], v[83:84], v[80:81]
	s_waitcnt vmcnt(4) lgkmcnt(0)
	v_fma_f64 v[80:81], v[103:104], v[85:86], v[80:81]
	s_waitcnt vmcnt(2)
	v_fma_f64 v[80:81], v[89:90], v[87:88], v[80:81]
	s_waitcnt vmcnt(0)
	v_add_f64 v[80:81], v[105:106], -v[80:81]
	buffer_store_dword v81, off, s[0:3], 0 offset:116
	buffer_store_dword v80, off, s[0:3], 0 offset:112
	s_and_saveexec_b64 s[4:5], vcc
	s_cbranch_execz .LBB102_215
; %bb.214:
	buffer_load_dword v80, off, s[0:3], 0 offset:104
	buffer_load_dword v81, off, s[0:3], 0 offset:108
	v_mov_b32_e32 v82, 0
	buffer_store_dword v82, off, s[0:3], 0 offset:104
	buffer_store_dword v82, off, s[0:3], 0 offset:108
	s_waitcnt vmcnt(2)
	ds_write_b64 v79, v[80:81]
.LBB102_215:
	s_or_b64 exec, exec, s[4:5]
	s_waitcnt lgkmcnt(0)
	; wave barrier
	buffer_load_dword v89, off, s[0:3], 0 offset:112
	buffer_load_dword v90, off, s[0:3], 0 offset:116
	;; [unrolled: 1-line block ×21, first 2 shown]
	v_mov_b32_e32 v80, 0
	ds_read_b128 v[81:84], v80 offset:432
	ds_read_b128 v[85:88], v80 offset:448
	buffer_load_dword v106, off, s[0:3], 0 offset:196
	v_cmp_lt_u32_e32 vcc, 12, v0
	s_waitcnt vmcnt(20) lgkmcnt(1)
	v_fma_f64 v[81:82], v[89:90], v[81:82], 0
	s_waitcnt vmcnt(18)
	v_fma_f64 v[81:82], v[91:92], v[83:84], v[81:82]
	buffer_load_dword v90, off, s[0:3], 0 offset:204
	buffer_load_dword v91, off, s[0:3], 0 offset:224
	;; [unrolled: 1-line block ×7, first 2 shown]
	s_waitcnt vmcnt(23) lgkmcnt(0)
	v_fma_f64 v[81:82], v[93:94], v[85:86], v[81:82]
	s_waitcnt vmcnt(21)
	v_fma_f64 v[92:93], v[95:96], v[87:88], v[81:82]
	ds_read_b128 v[81:84], v80 offset:464
	ds_read_b128 v[85:88], v80 offset:480
	s_waitcnt vmcnt(19) lgkmcnt(1)
	v_fma_f64 v[81:82], v[97:98], v[81:82], v[92:93]
	buffer_load_dword v92, off, s[0:3], 0 offset:228
	s_waitcnt vmcnt(18)
	v_fma_f64 v[81:82], v[99:100], v[83:84], v[81:82]
	buffer_load_dword v94, off, s[0:3], 0 offset:236
	buffer_load_dword v95, off, s[0:3], 0 offset:256
	;; [unrolled: 1-line block ×8, first 2 shown]
	s_waitcnt vmcnt(24) lgkmcnt(0)
	v_fma_f64 v[81:82], v[101:102], v[85:86], v[81:82]
	s_waitcnt vmcnt(19)
	v_fma_f64 v[101:102], v[103:104], v[87:88], v[81:82]
	ds_read_b128 v[81:84], v80 offset:496
	ds_read_b128 v[85:88], v80 offset:512
	s_waitcnt vmcnt(18) lgkmcnt(1)
	v_fma_f64 v[81:82], v[109:110], v[81:82], v[101:102]
	s_waitcnt vmcnt(17)
	v_fma_f64 v[81:82], v[107:108], v[83:84], v[81:82]
	buffer_load_dword v102, off, s[0:3], 0 offset:268
	buffer_load_dword v103, off, s[0:3], 0 offset:288
	buffer_load_dword v107, off, s[0:3], 0 offset:280
	buffer_load_dword v109, off, s[0:3], 0 offset:272
	buffer_load_dword v101, off, s[0:3], 0 offset:264
	buffer_load_dword v110, off, s[0:3], 0 offset:276
	buffer_load_dword v108, off, s[0:3], 0 offset:284
	s_waitcnt vmcnt(23) lgkmcnt(0)
	v_fma_f64 v[81:82], v[105:106], v[85:86], v[81:82]
	s_waitcnt vmcnt(18)
	v_fma_f64 v[89:90], v[89:90], v[87:88], v[81:82]
	ds_read_b128 v[81:84], v80 offset:528
	ds_read_b128 v[85:88], v80 offset:544
	buffer_load_dword v104, off, s[0:3], 0 offset:292
	s_waitcnt vmcnt(18) lgkmcnt(1)
	v_fma_f64 v[81:82], v[113:114], v[81:82], v[89:90]
	buffer_load_dword v90, off, s[0:3], 0 offset:300
	buffer_load_dword v105, off, s[0:3], 0 offset:304
	;; [unrolled: 1-line block ×4, first 2 shown]
	s_waitcnt vmcnt(21)
	v_fma_f64 v[81:82], v[111:112], v[83:84], v[81:82]
	s_waitcnt vmcnt(20) lgkmcnt(0)
	v_fma_f64 v[81:82], v[91:92], v[85:86], v[81:82]
	buffer_load_dword v91, off, s[0:3], 0 offset:104
	buffer_load_dword v92, off, s[0:3], 0 offset:108
	s_waitcnt vmcnt(17)
	v_fma_f64 v[93:94], v[93:94], v[87:88], v[81:82]
	ds_read_b128 v[81:84], v80 offset:560
	ds_read_b128 v[85:88], v80 offset:576
	s_waitcnt vmcnt(16) lgkmcnt(1)
	v_fma_f64 v[81:82], v[99:100], v[81:82], v[93:94]
	s_waitcnt vmcnt(15)
	v_fma_f64 v[81:82], v[97:98], v[83:84], v[81:82]
	s_waitcnt vmcnt(14) lgkmcnt(0)
	v_fma_f64 v[81:82], v[95:96], v[85:86], v[81:82]
	s_waitcnt vmcnt(9)
	v_fma_f64 v[93:94], v[101:102], v[87:88], v[81:82]
	ds_read_b128 v[81:84], v80 offset:592
	ds_read_b128 v[85:88], v80 offset:608
	s_waitcnt vmcnt(8) lgkmcnt(1)
	v_fma_f64 v[81:82], v[109:110], v[81:82], v[93:94]
	s_waitcnt vmcnt(7)
	v_fma_f64 v[81:82], v[107:108], v[83:84], v[81:82]
	ds_read_b64 v[83:84], v80 offset:624
	s_waitcnt vmcnt(6) lgkmcnt(1)
	v_fma_f64 v[81:82], v[103:104], v[85:86], v[81:82]
	s_waitcnt vmcnt(3)
	v_fma_f64 v[81:82], v[89:90], v[87:88], v[81:82]
	s_waitcnt vmcnt(2) lgkmcnt(0)
	v_fma_f64 v[81:82], v[105:106], v[83:84], v[81:82]
	s_waitcnt vmcnt(0)
	v_add_f64 v[81:82], v[91:92], -v[81:82]
	buffer_store_dword v82, off, s[0:3], 0 offset:108
	buffer_store_dword v81, off, s[0:3], 0 offset:104
	s_and_saveexec_b64 s[4:5], vcc
	s_cbranch_execz .LBB102_217
; %bb.216:
	buffer_load_dword v81, off, s[0:3], 0 offset:96
	buffer_load_dword v82, off, s[0:3], 0 offset:100
	s_waitcnt vmcnt(0)
	ds_write_b64 v79, v[81:82]
	buffer_store_dword v80, off, s[0:3], 0 offset:96
	buffer_store_dword v80, off, s[0:3], 0 offset:100
.LBB102_217:
	s_or_b64 exec, exec, s[4:5]
	s_waitcnt lgkmcnt(0)
	; wave barrier
	buffer_load_dword v89, off, s[0:3], 0 offset:104
	buffer_load_dword v90, off, s[0:3], 0 offset:108
	;; [unrolled: 1-line block ×22, first 2 shown]
	ds_read2_b64 v[81:84], v80 offset0:53 offset1:54
	ds_read2_b64 v[85:88], v80 offset0:55 offset1:56
	v_cmp_lt_u32_e32 vcc, 11, v0
	s_waitcnt vmcnt(20) lgkmcnt(1)
	v_fma_f64 v[81:82], v[89:90], v[81:82], 0
	s_waitcnt vmcnt(18)
	v_fma_f64 v[81:82], v[91:92], v[83:84], v[81:82]
	buffer_load_dword v90, off, s[0:3], 0 offset:196
	buffer_load_dword v91, off, s[0:3], 0 offset:216
	;; [unrolled: 1-line block ×7, first 2 shown]
	s_waitcnt vmcnt(23) lgkmcnt(0)
	v_fma_f64 v[81:82], v[93:94], v[85:86], v[81:82]
	s_waitcnt vmcnt(21)
	v_fma_f64 v[92:93], v[95:96], v[87:88], v[81:82]
	ds_read2_b64 v[81:84], v80 offset0:57 offset1:58
	ds_read2_b64 v[85:88], v80 offset0:59 offset1:60
	s_waitcnt vmcnt(19) lgkmcnt(1)
	v_fma_f64 v[81:82], v[97:98], v[81:82], v[92:93]
	buffer_load_dword v92, off, s[0:3], 0 offset:220
	s_waitcnt vmcnt(18)
	v_fma_f64 v[81:82], v[99:100], v[83:84], v[81:82]
	buffer_load_dword v94, off, s[0:3], 0 offset:228
	buffer_load_dword v95, off, s[0:3], 0 offset:248
	;; [unrolled: 1-line block ×8, first 2 shown]
	s_waitcnt vmcnt(24) lgkmcnt(0)
	v_fma_f64 v[81:82], v[101:102], v[85:86], v[81:82]
	s_waitcnt vmcnt(19)
	v_fma_f64 v[101:102], v[103:104], v[87:88], v[81:82]
	ds_read2_b64 v[81:84], v80 offset0:61 offset1:62
	ds_read2_b64 v[85:88], v80 offset0:63 offset1:64
	s_waitcnt vmcnt(18) lgkmcnt(1)
	v_fma_f64 v[81:82], v[109:110], v[81:82], v[101:102]
	s_waitcnt vmcnt(17)
	v_fma_f64 v[81:82], v[107:108], v[83:84], v[81:82]
	buffer_load_dword v102, off, s[0:3], 0 offset:260
	buffer_load_dword v103, off, s[0:3], 0 offset:280
	;; [unrolled: 1-line block ×8, first 2 shown]
	s_waitcnt vmcnt(24) lgkmcnt(0)
	v_fma_f64 v[81:82], v[105:106], v[85:86], v[81:82]
	s_waitcnt vmcnt(19)
	v_fma_f64 v[89:90], v[89:90], v[87:88], v[81:82]
	ds_read2_b64 v[81:84], v80 offset0:65 offset1:66
	ds_read2_b64 v[85:88], v80 offset0:67 offset1:68
	s_waitcnt vmcnt(18) lgkmcnt(1)
	v_fma_f64 v[81:82], v[113:114], v[81:82], v[89:90]
	s_waitcnt vmcnt(17)
	v_fma_f64 v[81:82], v[111:112], v[83:84], v[81:82]
	buffer_load_dword v90, off, s[0:3], 0 offset:292
	buffer_load_dword v105, off, s[0:3], 0 offset:304
	;; [unrolled: 1-line block ×6, first 2 shown]
	s_waitcnt vmcnt(22) lgkmcnt(0)
	v_fma_f64 v[81:82], v[91:92], v[85:86], v[81:82]
	s_waitcnt vmcnt(17)
	v_fma_f64 v[91:92], v[93:94], v[87:88], v[81:82]
	ds_read2_b64 v[81:84], v80 offset0:69 offset1:70
	buffer_load_dword v93, off, s[0:3], 0 offset:96
	buffer_load_dword v94, off, s[0:3], 0 offset:100
	ds_read2_b64 v[85:88], v80 offset0:71 offset1:72
	s_waitcnt vmcnt(18) lgkmcnt(1)
	v_fma_f64 v[81:82], v[99:100], v[81:82], v[91:92]
	s_waitcnt vmcnt(17)
	v_fma_f64 v[81:82], v[97:98], v[83:84], v[81:82]
	s_waitcnt vmcnt(16) lgkmcnt(0)
	v_fma_f64 v[81:82], v[95:96], v[85:86], v[81:82]
	s_waitcnt vmcnt(11)
	v_fma_f64 v[91:92], v[101:102], v[87:88], v[81:82]
	ds_read2_b64 v[81:84], v80 offset0:73 offset1:74
	ds_read2_b64 v[85:88], v80 offset0:75 offset1:76
	s_waitcnt vmcnt(10) lgkmcnt(1)
	v_fma_f64 v[81:82], v[109:110], v[81:82], v[91:92]
	s_waitcnt vmcnt(9)
	v_fma_f64 v[81:82], v[107:108], v[83:84], v[81:82]
	s_waitcnt vmcnt(8) lgkmcnt(0)
	v_fma_f64 v[81:82], v[103:104], v[85:86], v[81:82]
	s_waitcnt vmcnt(4)
	v_fma_f64 v[84:85], v[89:90], v[87:88], v[81:82]
	ds_read2_b64 v[80:83], v80 offset0:77 offset1:78
	s_waitcnt vmcnt(3) lgkmcnt(0)
	v_fma_f64 v[80:81], v[111:112], v[80:81], v[84:85]
	s_waitcnt vmcnt(2)
	v_fma_f64 v[80:81], v[105:106], v[82:83], v[80:81]
	s_waitcnt vmcnt(0)
	v_add_f64 v[80:81], v[93:94], -v[80:81]
	buffer_store_dword v81, off, s[0:3], 0 offset:100
	buffer_store_dword v80, off, s[0:3], 0 offset:96
	s_and_saveexec_b64 s[4:5], vcc
	s_cbranch_execz .LBB102_219
; %bb.218:
	buffer_load_dword v80, off, s[0:3], 0 offset:88
	buffer_load_dword v81, off, s[0:3], 0 offset:92
	v_mov_b32_e32 v82, 0
	buffer_store_dword v82, off, s[0:3], 0 offset:88
	buffer_store_dword v82, off, s[0:3], 0 offset:92
	s_waitcnt vmcnt(2)
	ds_write_b64 v79, v[80:81]
.LBB102_219:
	s_or_b64 exec, exec, s[4:5]
	s_waitcnt lgkmcnt(0)
	; wave barrier
	buffer_load_dword v89, off, s[0:3], 0 offset:96
	buffer_load_dword v90, off, s[0:3], 0 offset:100
	buffer_load_dword v91, off, s[0:3], 0 offset:104
	buffer_load_dword v92, off, s[0:3], 0 offset:108
	buffer_load_dword v93, off, s[0:3], 0 offset:112
	buffer_load_dword v94, off, s[0:3], 0 offset:116
	buffer_load_dword v95, off, s[0:3], 0 offset:120
	buffer_load_dword v96, off, s[0:3], 0 offset:124
	buffer_load_dword v97, off, s[0:3], 0 offset:128
	buffer_load_dword v98, off, s[0:3], 0 offset:132
	buffer_load_dword v99, off, s[0:3], 0 offset:136
	buffer_load_dword v100, off, s[0:3], 0 offset:140
	buffer_load_dword v101, off, s[0:3], 0 offset:144
	buffer_load_dword v102, off, s[0:3], 0 offset:148
	buffer_load_dword v104, off, s[0:3], 0 offset:156
	buffer_load_dword v105, off, s[0:3], 0 offset:176
	buffer_load_dword v107, off, s[0:3], 0 offset:168
	buffer_load_dword v109, off, s[0:3], 0 offset:160
	buffer_load_dword v103, off, s[0:3], 0 offset:152
	buffer_load_dword v110, off, s[0:3], 0 offset:164
	buffer_load_dword v108, off, s[0:3], 0 offset:172
	buffer_load_dword v106, off, s[0:3], 0 offset:180
	v_mov_b32_e32 v80, 0
	ds_read_b128 v[81:84], v80 offset:416
	ds_read_b128 v[85:88], v80 offset:432
	v_cmp_lt_u32_e32 vcc, 10, v0
	s_waitcnt vmcnt(20) lgkmcnt(1)
	v_fma_f64 v[81:82], v[89:90], v[81:82], 0
	s_waitcnt vmcnt(18)
	v_fma_f64 v[81:82], v[91:92], v[83:84], v[81:82]
	buffer_load_dword v90, off, s[0:3], 0 offset:188
	buffer_load_dword v91, off, s[0:3], 0 offset:208
	;; [unrolled: 1-line block ×7, first 2 shown]
	s_waitcnt vmcnt(23) lgkmcnt(0)
	v_fma_f64 v[81:82], v[93:94], v[85:86], v[81:82]
	s_waitcnt vmcnt(21)
	v_fma_f64 v[92:93], v[95:96], v[87:88], v[81:82]
	ds_read_b128 v[81:84], v80 offset:448
	ds_read_b128 v[85:88], v80 offset:464
	s_waitcnt vmcnt(19) lgkmcnt(1)
	v_fma_f64 v[81:82], v[97:98], v[81:82], v[92:93]
	buffer_load_dword v92, off, s[0:3], 0 offset:212
	s_waitcnt vmcnt(18)
	v_fma_f64 v[81:82], v[99:100], v[83:84], v[81:82]
	buffer_load_dword v94, off, s[0:3], 0 offset:220
	buffer_load_dword v95, off, s[0:3], 0 offset:240
	buffer_load_dword v97, off, s[0:3], 0 offset:232
	buffer_load_dword v99, off, s[0:3], 0 offset:224
	buffer_load_dword v93, off, s[0:3], 0 offset:216
	buffer_load_dword v100, off, s[0:3], 0 offset:228
	buffer_load_dword v98, off, s[0:3], 0 offset:236
	buffer_load_dword v96, off, s[0:3], 0 offset:244
	s_waitcnt vmcnt(24) lgkmcnt(0)
	v_fma_f64 v[81:82], v[101:102], v[85:86], v[81:82]
	s_waitcnt vmcnt(19)
	v_fma_f64 v[101:102], v[103:104], v[87:88], v[81:82]
	ds_read_b128 v[81:84], v80 offset:480
	ds_read_b128 v[85:88], v80 offset:496
	s_waitcnt vmcnt(18) lgkmcnt(1)
	v_fma_f64 v[81:82], v[109:110], v[81:82], v[101:102]
	s_waitcnt vmcnt(17)
	v_fma_f64 v[81:82], v[107:108], v[83:84], v[81:82]
	buffer_load_dword v102, off, s[0:3], 0 offset:252
	buffer_load_dword v103, off, s[0:3], 0 offset:272
	buffer_load_dword v107, off, s[0:3], 0 offset:264
	buffer_load_dword v109, off, s[0:3], 0 offset:256
	buffer_load_dword v101, off, s[0:3], 0 offset:248
	buffer_load_dword v110, off, s[0:3], 0 offset:260
	buffer_load_dword v108, off, s[0:3], 0 offset:268
	buffer_load_dword v104, off, s[0:3], 0 offset:276
	s_waitcnt vmcnt(24) lgkmcnt(0)
	v_fma_f64 v[81:82], v[105:106], v[85:86], v[81:82]
	s_waitcnt vmcnt(19)
	v_fma_f64 v[89:90], v[89:90], v[87:88], v[81:82]
	ds_read_b128 v[81:84], v80 offset:512
	ds_read_b128 v[85:88], v80 offset:528
	s_waitcnt vmcnt(18) lgkmcnt(1)
	v_fma_f64 v[81:82], v[113:114], v[81:82], v[89:90]
	;; [unrolled: 18-line block ×3, first 2 shown]
	buffer_load_dword v91, off, s[0:3], 0 offset:88
	buffer_load_dword v92, off, s[0:3], 0 offset:92
	s_waitcnt vmcnt(19)
	v_fma_f64 v[81:82], v[97:98], v[83:84], v[81:82]
	s_waitcnt vmcnt(18) lgkmcnt(0)
	v_fma_f64 v[81:82], v[95:96], v[85:86], v[81:82]
	s_waitcnt vmcnt(13)
	v_fma_f64 v[93:94], v[101:102], v[87:88], v[81:82]
	ds_read_b128 v[81:84], v80 offset:576
	ds_read_b128 v[85:88], v80 offset:592
	s_waitcnt vmcnt(12) lgkmcnt(1)
	v_fma_f64 v[81:82], v[109:110], v[81:82], v[93:94]
	s_waitcnt vmcnt(11)
	v_fma_f64 v[81:82], v[107:108], v[83:84], v[81:82]
	s_waitcnt vmcnt(10) lgkmcnt(0)
	v_fma_f64 v[81:82], v[103:104], v[85:86], v[81:82]
	s_waitcnt vmcnt(5)
	v_fma_f64 v[85:86], v[89:90], v[87:88], v[81:82]
	ds_read_b128 v[81:84], v80 offset:608
	ds_read_b64 v[87:88], v80 offset:624
	s_waitcnt vmcnt(4) lgkmcnt(1)
	v_fma_f64 v[81:82], v[113:114], v[81:82], v[85:86]
	s_waitcnt vmcnt(3)
	v_fma_f64 v[81:82], v[111:112], v[83:84], v[81:82]
	s_waitcnt vmcnt(2) lgkmcnt(0)
	v_fma_f64 v[81:82], v[105:106], v[87:88], v[81:82]
	s_waitcnt vmcnt(0)
	v_add_f64 v[81:82], v[91:92], -v[81:82]
	buffer_store_dword v82, off, s[0:3], 0 offset:92
	buffer_store_dword v81, off, s[0:3], 0 offset:88
	s_and_saveexec_b64 s[4:5], vcc
	s_cbranch_execz .LBB102_221
; %bb.220:
	buffer_load_dword v81, off, s[0:3], 0 offset:80
	buffer_load_dword v82, off, s[0:3], 0 offset:84
	s_waitcnt vmcnt(0)
	ds_write_b64 v79, v[81:82]
	buffer_store_dword v80, off, s[0:3], 0 offset:80
	buffer_store_dword v80, off, s[0:3], 0 offset:84
.LBB102_221:
	s_or_b64 exec, exec, s[4:5]
	s_waitcnt lgkmcnt(0)
	; wave barrier
	buffer_load_dword v89, off, s[0:3], 0 offset:88
	buffer_load_dword v90, off, s[0:3], 0 offset:92
	;; [unrolled: 1-line block ×22, first 2 shown]
	ds_read2_b64 v[81:84], v80 offset0:51 offset1:52
	ds_read2_b64 v[85:88], v80 offset0:53 offset1:54
	v_cmp_lt_u32_e32 vcc, 9, v0
	s_waitcnt vmcnt(20) lgkmcnt(1)
	v_fma_f64 v[81:82], v[89:90], v[81:82], 0
	s_waitcnt vmcnt(18)
	v_fma_f64 v[81:82], v[91:92], v[83:84], v[81:82]
	buffer_load_dword v90, off, s[0:3], 0 offset:180
	buffer_load_dword v91, off, s[0:3], 0 offset:200
	;; [unrolled: 1-line block ×7, first 2 shown]
	s_waitcnt vmcnt(23) lgkmcnt(0)
	v_fma_f64 v[81:82], v[93:94], v[85:86], v[81:82]
	s_waitcnt vmcnt(21)
	v_fma_f64 v[92:93], v[95:96], v[87:88], v[81:82]
	ds_read2_b64 v[81:84], v80 offset0:55 offset1:56
	ds_read2_b64 v[85:88], v80 offset0:57 offset1:58
	s_waitcnt vmcnt(19) lgkmcnt(1)
	v_fma_f64 v[81:82], v[97:98], v[81:82], v[92:93]
	buffer_load_dword v92, off, s[0:3], 0 offset:204
	s_waitcnt vmcnt(18)
	v_fma_f64 v[81:82], v[99:100], v[83:84], v[81:82]
	buffer_load_dword v94, off, s[0:3], 0 offset:212
	buffer_load_dword v95, off, s[0:3], 0 offset:232
	buffer_load_dword v97, off, s[0:3], 0 offset:224
	buffer_load_dword v99, off, s[0:3], 0 offset:216
	buffer_load_dword v93, off, s[0:3], 0 offset:208
	buffer_load_dword v100, off, s[0:3], 0 offset:220
	buffer_load_dword v98, off, s[0:3], 0 offset:228
	buffer_load_dword v96, off, s[0:3], 0 offset:236
	s_waitcnt vmcnt(24) lgkmcnt(0)
	v_fma_f64 v[81:82], v[101:102], v[85:86], v[81:82]
	s_waitcnt vmcnt(19)
	v_fma_f64 v[101:102], v[103:104], v[87:88], v[81:82]
	ds_read2_b64 v[81:84], v80 offset0:59 offset1:60
	ds_read2_b64 v[85:88], v80 offset0:61 offset1:62
	s_waitcnt vmcnt(18) lgkmcnt(1)
	v_fma_f64 v[81:82], v[109:110], v[81:82], v[101:102]
	s_waitcnt vmcnt(17)
	v_fma_f64 v[81:82], v[107:108], v[83:84], v[81:82]
	buffer_load_dword v102, off, s[0:3], 0 offset:244
	buffer_load_dword v103, off, s[0:3], 0 offset:264
	buffer_load_dword v107, off, s[0:3], 0 offset:256
	buffer_load_dword v109, off, s[0:3], 0 offset:248
	buffer_load_dword v101, off, s[0:3], 0 offset:240
	buffer_load_dword v110, off, s[0:3], 0 offset:252
	buffer_load_dword v108, off, s[0:3], 0 offset:260
	buffer_load_dword v104, off, s[0:3], 0 offset:268
	s_waitcnt vmcnt(24) lgkmcnt(0)
	v_fma_f64 v[81:82], v[105:106], v[85:86], v[81:82]
	s_waitcnt vmcnt(19)
	v_fma_f64 v[89:90], v[89:90], v[87:88], v[81:82]
	ds_read2_b64 v[81:84], v80 offset0:63 offset1:64
	ds_read2_b64 v[85:88], v80 offset0:65 offset1:66
	s_waitcnt vmcnt(18) lgkmcnt(1)
	v_fma_f64 v[81:82], v[113:114], v[81:82], v[89:90]
	;; [unrolled: 18-line block ×3, first 2 shown]
	buffer_load_dword v92, off, s[0:3], 0 offset:308
	buffer_load_dword v91, off, s[0:3], 0 offset:304
	;; [unrolled: 1-line block ×4, first 2 shown]
	s_waitcnt vmcnt(21)
	v_fma_f64 v[81:82], v[97:98], v[83:84], v[81:82]
	s_waitcnt vmcnt(20) lgkmcnt(0)
	v_fma_f64 v[81:82], v[95:96], v[85:86], v[81:82]
	s_waitcnt vmcnt(15)
	v_fma_f64 v[95:96], v[101:102], v[87:88], v[81:82]
	ds_read2_b64 v[81:84], v80 offset0:71 offset1:72
	ds_read2_b64 v[85:88], v80 offset0:73 offset1:74
	s_waitcnt vmcnt(14) lgkmcnt(1)
	v_fma_f64 v[81:82], v[109:110], v[81:82], v[95:96]
	s_waitcnt vmcnt(13)
	v_fma_f64 v[81:82], v[107:108], v[83:84], v[81:82]
	s_waitcnt vmcnt(12) lgkmcnt(0)
	v_fma_f64 v[81:82], v[103:104], v[85:86], v[81:82]
	s_waitcnt vmcnt(7)
	v_fma_f64 v[89:90], v[89:90], v[87:88], v[81:82]
	ds_read2_b64 v[81:84], v80 offset0:75 offset1:76
	ds_read2_b64 v[85:88], v80 offset0:77 offset1:78
	s_waitcnt vmcnt(6) lgkmcnt(1)
	v_fma_f64 v[80:81], v[113:114], v[81:82], v[89:90]
	s_waitcnt vmcnt(5)
	v_fma_f64 v[80:81], v[111:112], v[83:84], v[80:81]
	s_waitcnt vmcnt(4) lgkmcnt(0)
	v_fma_f64 v[80:81], v[105:106], v[85:86], v[80:81]
	s_waitcnt vmcnt(2)
	v_fma_f64 v[80:81], v[91:92], v[87:88], v[80:81]
	s_waitcnt vmcnt(0)
	v_add_f64 v[80:81], v[93:94], -v[80:81]
	buffer_store_dword v81, off, s[0:3], 0 offset:84
	buffer_store_dword v80, off, s[0:3], 0 offset:80
	s_and_saveexec_b64 s[4:5], vcc
	s_cbranch_execz .LBB102_223
; %bb.222:
	buffer_load_dword v80, off, s[0:3], 0 offset:72
	buffer_load_dword v81, off, s[0:3], 0 offset:76
	v_mov_b32_e32 v82, 0
	buffer_store_dword v82, off, s[0:3], 0 offset:72
	buffer_store_dword v82, off, s[0:3], 0 offset:76
	s_waitcnt vmcnt(2)
	ds_write_b64 v79, v[80:81]
.LBB102_223:
	s_or_b64 exec, exec, s[4:5]
	s_waitcnt lgkmcnt(0)
	; wave barrier
	buffer_load_dword v89, off, s[0:3], 0 offset:80
	buffer_load_dword v90, off, s[0:3], 0 offset:84
	buffer_load_dword v91, off, s[0:3], 0 offset:88
	buffer_load_dword v92, off, s[0:3], 0 offset:92
	buffer_load_dword v93, off, s[0:3], 0 offset:96
	buffer_load_dword v94, off, s[0:3], 0 offset:100
	buffer_load_dword v95, off, s[0:3], 0 offset:104
	buffer_load_dword v96, off, s[0:3], 0 offset:108
	buffer_load_dword v97, off, s[0:3], 0 offset:112
	buffer_load_dword v98, off, s[0:3], 0 offset:116
	buffer_load_dword v99, off, s[0:3], 0 offset:120
	buffer_load_dword v100, off, s[0:3], 0 offset:124
	buffer_load_dword v101, off, s[0:3], 0 offset:128
	buffer_load_dword v102, off, s[0:3], 0 offset:132
	buffer_load_dword v104, off, s[0:3], 0 offset:140
	buffer_load_dword v105, off, s[0:3], 0 offset:160
	buffer_load_dword v107, off, s[0:3], 0 offset:152
	buffer_load_dword v109, off, s[0:3], 0 offset:144
	buffer_load_dword v103, off, s[0:3], 0 offset:136
	buffer_load_dword v110, off, s[0:3], 0 offset:148
	buffer_load_dword v108, off, s[0:3], 0 offset:156
	buffer_load_dword v106, off, s[0:3], 0 offset:164
	v_mov_b32_e32 v80, 0
	ds_read_b128 v[81:84], v80 offset:400
	ds_read_b128 v[85:88], v80 offset:416
	v_cmp_lt_u32_e32 vcc, 8, v0
	s_waitcnt vmcnt(20) lgkmcnt(1)
	v_fma_f64 v[81:82], v[89:90], v[81:82], 0
	s_waitcnt vmcnt(18)
	v_fma_f64 v[81:82], v[91:92], v[83:84], v[81:82]
	buffer_load_dword v90, off, s[0:3], 0 offset:172
	buffer_load_dword v91, off, s[0:3], 0 offset:192
	;; [unrolled: 1-line block ×7, first 2 shown]
	s_waitcnt vmcnt(23) lgkmcnt(0)
	v_fma_f64 v[81:82], v[93:94], v[85:86], v[81:82]
	s_waitcnt vmcnt(21)
	v_fma_f64 v[92:93], v[95:96], v[87:88], v[81:82]
	ds_read_b128 v[81:84], v80 offset:432
	ds_read_b128 v[85:88], v80 offset:448
	s_waitcnt vmcnt(19) lgkmcnt(1)
	v_fma_f64 v[81:82], v[97:98], v[81:82], v[92:93]
	buffer_load_dword v92, off, s[0:3], 0 offset:196
	s_waitcnt vmcnt(18)
	v_fma_f64 v[81:82], v[99:100], v[83:84], v[81:82]
	buffer_load_dword v94, off, s[0:3], 0 offset:204
	buffer_load_dword v95, off, s[0:3], 0 offset:224
	;; [unrolled: 1-line block ×7, first 2 shown]
	s_waitcnt vmcnt(23) lgkmcnt(0)
	v_fma_f64 v[81:82], v[101:102], v[85:86], v[81:82]
	s_waitcnt vmcnt(18)
	v_fma_f64 v[101:102], v[103:104], v[87:88], v[81:82]
	ds_read_b128 v[81:84], v80 offset:464
	ds_read_b128 v[85:88], v80 offset:480
	buffer_load_dword v96, off, s[0:3], 0 offset:228
	s_waitcnt vmcnt(18) lgkmcnt(1)
	v_fma_f64 v[81:82], v[109:110], v[81:82], v[101:102]
	s_waitcnt vmcnt(17)
	v_fma_f64 v[81:82], v[107:108], v[83:84], v[81:82]
	buffer_load_dword v102, off, s[0:3], 0 offset:236
	buffer_load_dword v103, off, s[0:3], 0 offset:256
	;; [unrolled: 1-line block ×8, first 2 shown]
	s_waitcnt vmcnt(24) lgkmcnt(0)
	v_fma_f64 v[81:82], v[105:106], v[85:86], v[81:82]
	s_waitcnt vmcnt(19)
	v_fma_f64 v[89:90], v[89:90], v[87:88], v[81:82]
	ds_read_b128 v[81:84], v80 offset:496
	ds_read_b128 v[85:88], v80 offset:512
	s_waitcnt vmcnt(18) lgkmcnt(1)
	v_fma_f64 v[81:82], v[113:114], v[81:82], v[89:90]
	s_waitcnt vmcnt(17)
	v_fma_f64 v[81:82], v[111:112], v[83:84], v[81:82]
	buffer_load_dword v90, off, s[0:3], 0 offset:268
	buffer_load_dword v105, off, s[0:3], 0 offset:288
	;; [unrolled: 1-line block ×7, first 2 shown]
	s_waitcnt vmcnt(23) lgkmcnt(0)
	v_fma_f64 v[81:82], v[91:92], v[85:86], v[81:82]
	s_waitcnt vmcnt(18)
	v_fma_f64 v[91:92], v[93:94], v[87:88], v[81:82]
	ds_read_b128 v[81:84], v80 offset:528
	ds_read_b128 v[85:88], v80 offset:544
	buffer_load_dword v106, off, s[0:3], 0 offset:292
	s_waitcnt vmcnt(18) lgkmcnt(1)
	v_fma_f64 v[81:82], v[99:100], v[81:82], v[91:92]
	buffer_load_dword v92, off, s[0:3], 0 offset:300
	buffer_load_dword v93, off, s[0:3], 0 offset:304
	;; [unrolled: 1-line block ×4, first 2 shown]
	s_waitcnt vmcnt(21)
	v_fma_f64 v[81:82], v[97:98], v[83:84], v[81:82]
	s_waitcnt vmcnt(20) lgkmcnt(0)
	v_fma_f64 v[81:82], v[95:96], v[85:86], v[81:82]
	buffer_load_dword v95, off, s[0:3], 0 offset:72
	buffer_load_dword v96, off, s[0:3], 0 offset:76
	s_waitcnt vmcnt(17)
	v_fma_f64 v[97:98], v[101:102], v[87:88], v[81:82]
	ds_read_b128 v[81:84], v80 offset:560
	ds_read_b128 v[85:88], v80 offset:576
	s_waitcnt vmcnt(16) lgkmcnt(1)
	v_fma_f64 v[81:82], v[109:110], v[81:82], v[97:98]
	s_waitcnt vmcnt(15)
	v_fma_f64 v[81:82], v[107:108], v[83:84], v[81:82]
	s_waitcnt vmcnt(14) lgkmcnt(0)
	v_fma_f64 v[81:82], v[103:104], v[85:86], v[81:82]
	s_waitcnt vmcnt(9)
	v_fma_f64 v[89:90], v[89:90], v[87:88], v[81:82]
	ds_read_b128 v[81:84], v80 offset:592
	ds_read_b128 v[85:88], v80 offset:608
	s_waitcnt vmcnt(8) lgkmcnt(1)
	v_fma_f64 v[81:82], v[113:114], v[81:82], v[89:90]
	s_waitcnt vmcnt(7)
	v_fma_f64 v[81:82], v[111:112], v[83:84], v[81:82]
	ds_read_b64 v[83:84], v80 offset:624
	s_waitcnt vmcnt(6) lgkmcnt(1)
	v_fma_f64 v[81:82], v[105:106], v[85:86], v[81:82]
	s_waitcnt vmcnt(3)
	v_fma_f64 v[81:82], v[91:92], v[87:88], v[81:82]
	s_waitcnt vmcnt(2) lgkmcnt(0)
	v_fma_f64 v[81:82], v[93:94], v[83:84], v[81:82]
	s_waitcnt vmcnt(0)
	v_add_f64 v[81:82], v[95:96], -v[81:82]
	buffer_store_dword v82, off, s[0:3], 0 offset:76
	buffer_store_dword v81, off, s[0:3], 0 offset:72
	s_and_saveexec_b64 s[4:5], vcc
	s_cbranch_execz .LBB102_225
; %bb.224:
	buffer_load_dword v81, off, s[0:3], 0 offset:64
	buffer_load_dword v82, off, s[0:3], 0 offset:68
	s_waitcnt vmcnt(0)
	ds_write_b64 v79, v[81:82]
	buffer_store_dword v80, off, s[0:3], 0 offset:64
	buffer_store_dword v80, off, s[0:3], 0 offset:68
.LBB102_225:
	s_or_b64 exec, exec, s[4:5]
	s_waitcnt lgkmcnt(0)
	; wave barrier
	buffer_load_dword v89, off, s[0:3], 0 offset:72
	buffer_load_dword v90, off, s[0:3], 0 offset:76
	;; [unrolled: 1-line block ×22, first 2 shown]
	ds_read2_b64 v[81:84], v80 offset0:49 offset1:50
	ds_read2_b64 v[85:88], v80 offset0:51 offset1:52
	v_cmp_lt_u32_e32 vcc, 7, v0
	s_waitcnt vmcnt(20) lgkmcnt(1)
	v_fma_f64 v[81:82], v[89:90], v[81:82], 0
	s_waitcnt vmcnt(18)
	v_fma_f64 v[81:82], v[91:92], v[83:84], v[81:82]
	buffer_load_dword v90, off, s[0:3], 0 offset:164
	buffer_load_dword v91, off, s[0:3], 0 offset:184
	;; [unrolled: 1-line block ×7, first 2 shown]
	s_waitcnt vmcnt(23) lgkmcnt(0)
	v_fma_f64 v[81:82], v[93:94], v[85:86], v[81:82]
	s_waitcnt vmcnt(21)
	v_fma_f64 v[92:93], v[95:96], v[87:88], v[81:82]
	ds_read2_b64 v[81:84], v80 offset0:53 offset1:54
	ds_read2_b64 v[85:88], v80 offset0:55 offset1:56
	s_waitcnt vmcnt(19) lgkmcnt(1)
	v_fma_f64 v[81:82], v[97:98], v[81:82], v[92:93]
	buffer_load_dword v92, off, s[0:3], 0 offset:188
	s_waitcnt vmcnt(18)
	v_fma_f64 v[81:82], v[99:100], v[83:84], v[81:82]
	buffer_load_dword v94, off, s[0:3], 0 offset:196
	buffer_load_dword v95, off, s[0:3], 0 offset:216
	;; [unrolled: 1-line block ×7, first 2 shown]
	s_waitcnt vmcnt(23) lgkmcnt(0)
	v_fma_f64 v[81:82], v[101:102], v[85:86], v[81:82]
	s_waitcnt vmcnt(18)
	v_fma_f64 v[101:102], v[103:104], v[87:88], v[81:82]
	ds_read2_b64 v[81:84], v80 offset0:57 offset1:58
	ds_read2_b64 v[85:88], v80 offset0:59 offset1:60
	buffer_load_dword v96, off, s[0:3], 0 offset:220
	s_waitcnt vmcnt(18) lgkmcnt(1)
	v_fma_f64 v[81:82], v[109:110], v[81:82], v[101:102]
	s_waitcnt vmcnt(17)
	v_fma_f64 v[81:82], v[107:108], v[83:84], v[81:82]
	buffer_load_dword v102, off, s[0:3], 0 offset:228
	buffer_load_dword v103, off, s[0:3], 0 offset:248
	;; [unrolled: 1-line block ×8, first 2 shown]
	s_waitcnt vmcnt(24) lgkmcnt(0)
	v_fma_f64 v[81:82], v[105:106], v[85:86], v[81:82]
	s_waitcnt vmcnt(19)
	v_fma_f64 v[89:90], v[89:90], v[87:88], v[81:82]
	ds_read2_b64 v[81:84], v80 offset0:61 offset1:62
	ds_read2_b64 v[85:88], v80 offset0:63 offset1:64
	s_waitcnt vmcnt(18) lgkmcnt(1)
	v_fma_f64 v[81:82], v[113:114], v[81:82], v[89:90]
	s_waitcnt vmcnt(17)
	v_fma_f64 v[81:82], v[111:112], v[83:84], v[81:82]
	buffer_load_dword v90, off, s[0:3], 0 offset:260
	buffer_load_dword v105, off, s[0:3], 0 offset:280
	;; [unrolled: 1-line block ×8, first 2 shown]
	s_waitcnt vmcnt(24) lgkmcnt(0)
	v_fma_f64 v[81:82], v[91:92], v[85:86], v[81:82]
	s_waitcnt vmcnt(19)
	v_fma_f64 v[91:92], v[93:94], v[87:88], v[81:82]
	ds_read2_b64 v[81:84], v80 offset0:65 offset1:66
	ds_read2_b64 v[85:88], v80 offset0:67 offset1:68
	s_waitcnt vmcnt(18) lgkmcnt(1)
	v_fma_f64 v[81:82], v[99:100], v[81:82], v[91:92]
	s_waitcnt vmcnt(17)
	v_fma_f64 v[81:82], v[97:98], v[83:84], v[81:82]
	buffer_load_dword v92, off, s[0:3], 0 offset:292
	buffer_load_dword v93, off, s[0:3], 0 offset:304
	;; [unrolled: 1-line block ×6, first 2 shown]
	s_waitcnt vmcnt(22) lgkmcnt(0)
	v_fma_f64 v[81:82], v[95:96], v[85:86], v[81:82]
	s_waitcnt vmcnt(17)
	v_fma_f64 v[95:96], v[101:102], v[87:88], v[81:82]
	ds_read2_b64 v[81:84], v80 offset0:69 offset1:70
	buffer_load_dword v99, off, s[0:3], 0 offset:64
	buffer_load_dword v100, off, s[0:3], 0 offset:68
	ds_read2_b64 v[85:88], v80 offset0:71 offset1:72
	s_waitcnt vmcnt(18) lgkmcnt(1)
	v_fma_f64 v[81:82], v[109:110], v[81:82], v[95:96]
	s_waitcnt vmcnt(17)
	v_fma_f64 v[81:82], v[107:108], v[83:84], v[81:82]
	s_waitcnt vmcnt(16) lgkmcnt(0)
	v_fma_f64 v[81:82], v[103:104], v[85:86], v[81:82]
	s_waitcnt vmcnt(11)
	v_fma_f64 v[89:90], v[89:90], v[87:88], v[81:82]
	ds_read2_b64 v[81:84], v80 offset0:73 offset1:74
	ds_read2_b64 v[85:88], v80 offset0:75 offset1:76
	s_waitcnt vmcnt(10) lgkmcnt(1)
	v_fma_f64 v[81:82], v[113:114], v[81:82], v[89:90]
	s_waitcnt vmcnt(9)
	v_fma_f64 v[81:82], v[111:112], v[83:84], v[81:82]
	s_waitcnt vmcnt(8) lgkmcnt(0)
	v_fma_f64 v[81:82], v[105:106], v[85:86], v[81:82]
	s_waitcnt vmcnt(4)
	v_fma_f64 v[84:85], v[91:92], v[87:88], v[81:82]
	ds_read2_b64 v[80:83], v80 offset0:77 offset1:78
	s_waitcnt vmcnt(3) lgkmcnt(0)
	v_fma_f64 v[80:81], v[97:98], v[80:81], v[84:85]
	s_waitcnt vmcnt(2)
	v_fma_f64 v[80:81], v[93:94], v[82:83], v[80:81]
	s_waitcnt vmcnt(0)
	v_add_f64 v[80:81], v[99:100], -v[80:81]
	buffer_store_dword v81, off, s[0:3], 0 offset:68
	buffer_store_dword v80, off, s[0:3], 0 offset:64
	s_and_saveexec_b64 s[4:5], vcc
	s_cbranch_execz .LBB102_227
; %bb.226:
	buffer_load_dword v80, off, s[0:3], 0 offset:56
	buffer_load_dword v81, off, s[0:3], 0 offset:60
	v_mov_b32_e32 v82, 0
	buffer_store_dword v82, off, s[0:3], 0 offset:56
	buffer_store_dword v82, off, s[0:3], 0 offset:60
	s_waitcnt vmcnt(2)
	ds_write_b64 v79, v[80:81]
.LBB102_227:
	s_or_b64 exec, exec, s[4:5]
	s_waitcnt lgkmcnt(0)
	; wave barrier
	buffer_load_dword v89, off, s[0:3], 0 offset:64
	buffer_load_dword v90, off, s[0:3], 0 offset:68
	;; [unrolled: 1-line block ×22, first 2 shown]
	v_mov_b32_e32 v80, 0
	ds_read_b128 v[81:84], v80 offset:384
	ds_read_b128 v[85:88], v80 offset:400
	v_cmp_lt_u32_e32 vcc, 6, v0
	s_waitcnt vmcnt(20) lgkmcnt(1)
	v_fma_f64 v[81:82], v[89:90], v[81:82], 0
	s_waitcnt vmcnt(18)
	v_fma_f64 v[81:82], v[91:92], v[83:84], v[81:82]
	buffer_load_dword v90, off, s[0:3], 0 offset:156
	buffer_load_dword v91, off, s[0:3], 0 offset:176
	buffer_load_dword v111, off, s[0:3], 0 offset:168
	buffer_load_dword v113, off, s[0:3], 0 offset:160
	buffer_load_dword v89, off, s[0:3], 0 offset:152
	buffer_load_dword v114, off, s[0:3], 0 offset:164
	buffer_load_dword v112, off, s[0:3], 0 offset:172
	s_waitcnt vmcnt(23) lgkmcnt(0)
	v_fma_f64 v[81:82], v[93:94], v[85:86], v[81:82]
	s_waitcnt vmcnt(21)
	v_fma_f64 v[92:93], v[95:96], v[87:88], v[81:82]
	ds_read_b128 v[81:84], v80 offset:416
	ds_read_b128 v[85:88], v80 offset:432
	s_waitcnt vmcnt(19) lgkmcnt(1)
	v_fma_f64 v[81:82], v[97:98], v[81:82], v[92:93]
	buffer_load_dword v92, off, s[0:3], 0 offset:180
	s_waitcnt vmcnt(18)
	v_fma_f64 v[81:82], v[99:100], v[83:84], v[81:82]
	buffer_load_dword v94, off, s[0:3], 0 offset:188
	buffer_load_dword v95, off, s[0:3], 0 offset:208
	;; [unrolled: 1-line block ×7, first 2 shown]
	s_waitcnt vmcnt(23) lgkmcnt(0)
	v_fma_f64 v[81:82], v[101:102], v[85:86], v[81:82]
	s_waitcnt vmcnt(18)
	v_fma_f64 v[101:102], v[103:104], v[87:88], v[81:82]
	ds_read_b128 v[81:84], v80 offset:448
	ds_read_b128 v[85:88], v80 offset:464
	buffer_load_dword v96, off, s[0:3], 0 offset:212
	s_waitcnt vmcnt(18) lgkmcnt(1)
	v_fma_f64 v[81:82], v[109:110], v[81:82], v[101:102]
	s_waitcnt vmcnt(17)
	v_fma_f64 v[81:82], v[107:108], v[83:84], v[81:82]
	buffer_load_dword v102, off, s[0:3], 0 offset:220
	buffer_load_dword v103, off, s[0:3], 0 offset:240
	buffer_load_dword v107, off, s[0:3], 0 offset:232
	buffer_load_dword v109, off, s[0:3], 0 offset:224
	buffer_load_dword v101, off, s[0:3], 0 offset:216
	buffer_load_dword v110, off, s[0:3], 0 offset:228
	buffer_load_dword v108, off, s[0:3], 0 offset:236
	buffer_load_dword v104, off, s[0:3], 0 offset:244
	s_waitcnt vmcnt(24) lgkmcnt(0)
	v_fma_f64 v[81:82], v[105:106], v[85:86], v[81:82]
	s_waitcnt vmcnt(19)
	v_fma_f64 v[89:90], v[89:90], v[87:88], v[81:82]
	ds_read_b128 v[81:84], v80 offset:480
	ds_read_b128 v[85:88], v80 offset:496
	s_waitcnt vmcnt(18) lgkmcnt(1)
	v_fma_f64 v[81:82], v[113:114], v[81:82], v[89:90]
	s_waitcnt vmcnt(17)
	v_fma_f64 v[81:82], v[111:112], v[83:84], v[81:82]
	buffer_load_dword v90, off, s[0:3], 0 offset:252
	buffer_load_dword v105, off, s[0:3], 0 offset:272
	buffer_load_dword v111, off, s[0:3], 0 offset:264
	buffer_load_dword v113, off, s[0:3], 0 offset:256
	buffer_load_dword v89, off, s[0:3], 0 offset:248
	buffer_load_dword v114, off, s[0:3], 0 offset:260
	buffer_load_dword v112, off, s[0:3], 0 offset:268
	buffer_load_dword v106, off, s[0:3], 0 offset:276
	s_waitcnt vmcnt(24) lgkmcnt(0)
	v_fma_f64 v[81:82], v[91:92], v[85:86], v[81:82]
	s_waitcnt vmcnt(19)
	v_fma_f64 v[91:92], v[93:94], v[87:88], v[81:82]
	ds_read_b128 v[81:84], v80 offset:512
	ds_read_b128 v[85:88], v80 offset:528
	;; [unrolled: 18-line block ×3, first 2 shown]
	s_waitcnt vmcnt(18) lgkmcnt(1)
	v_fma_f64 v[81:82], v[109:110], v[81:82], v[95:96]
	buffer_load_dword v95, off, s[0:3], 0 offset:56
	buffer_load_dword v96, off, s[0:3], 0 offset:60
	s_waitcnt vmcnt(19)
	v_fma_f64 v[81:82], v[107:108], v[83:84], v[81:82]
	s_waitcnt vmcnt(18) lgkmcnt(0)
	v_fma_f64 v[81:82], v[103:104], v[85:86], v[81:82]
	s_waitcnt vmcnt(13)
	v_fma_f64 v[89:90], v[89:90], v[87:88], v[81:82]
	ds_read_b128 v[81:84], v80 offset:576
	ds_read_b128 v[85:88], v80 offset:592
	s_waitcnt vmcnt(12) lgkmcnt(1)
	v_fma_f64 v[81:82], v[113:114], v[81:82], v[89:90]
	s_waitcnt vmcnt(11)
	v_fma_f64 v[81:82], v[111:112], v[83:84], v[81:82]
	s_waitcnt vmcnt(10) lgkmcnt(0)
	v_fma_f64 v[81:82], v[105:106], v[85:86], v[81:82]
	s_waitcnt vmcnt(5)
	v_fma_f64 v[85:86], v[91:92], v[87:88], v[81:82]
	ds_read_b128 v[81:84], v80 offset:608
	ds_read_b64 v[87:88], v80 offset:624
	s_waitcnt vmcnt(4) lgkmcnt(1)
	v_fma_f64 v[81:82], v[99:100], v[81:82], v[85:86]
	s_waitcnt vmcnt(3)
	v_fma_f64 v[81:82], v[97:98], v[83:84], v[81:82]
	s_waitcnt vmcnt(2) lgkmcnt(0)
	v_fma_f64 v[81:82], v[93:94], v[87:88], v[81:82]
	s_waitcnt vmcnt(0)
	v_add_f64 v[81:82], v[95:96], -v[81:82]
	buffer_store_dword v82, off, s[0:3], 0 offset:60
	buffer_store_dword v81, off, s[0:3], 0 offset:56
	s_and_saveexec_b64 s[4:5], vcc
	s_cbranch_execz .LBB102_229
; %bb.228:
	buffer_load_dword v81, off, s[0:3], 0 offset:48
	buffer_load_dword v82, off, s[0:3], 0 offset:52
	s_waitcnt vmcnt(0)
	ds_write_b64 v79, v[81:82]
	buffer_store_dword v80, off, s[0:3], 0 offset:48
	buffer_store_dword v80, off, s[0:3], 0 offset:52
.LBB102_229:
	s_or_b64 exec, exec, s[4:5]
	s_waitcnt lgkmcnt(0)
	; wave barrier
	buffer_load_dword v89, off, s[0:3], 0 offset:56
	buffer_load_dword v90, off, s[0:3], 0 offset:60
	;; [unrolled: 1-line block ×22, first 2 shown]
	ds_read2_b64 v[81:84], v80 offset0:47 offset1:48
	ds_read2_b64 v[85:88], v80 offset0:49 offset1:50
	v_cmp_lt_u32_e32 vcc, 5, v0
	s_waitcnt vmcnt(20) lgkmcnt(1)
	v_fma_f64 v[81:82], v[89:90], v[81:82], 0
	s_waitcnt vmcnt(18)
	v_fma_f64 v[81:82], v[91:92], v[83:84], v[81:82]
	buffer_load_dword v90, off, s[0:3], 0 offset:148
	buffer_load_dword v91, off, s[0:3], 0 offset:168
	;; [unrolled: 1-line block ×7, first 2 shown]
	s_waitcnt vmcnt(23) lgkmcnt(0)
	v_fma_f64 v[81:82], v[93:94], v[85:86], v[81:82]
	s_waitcnt vmcnt(21)
	v_fma_f64 v[92:93], v[95:96], v[87:88], v[81:82]
	ds_read2_b64 v[81:84], v80 offset0:51 offset1:52
	ds_read2_b64 v[85:88], v80 offset0:53 offset1:54
	s_waitcnt vmcnt(19) lgkmcnt(1)
	v_fma_f64 v[81:82], v[97:98], v[81:82], v[92:93]
	buffer_load_dword v92, off, s[0:3], 0 offset:172
	s_waitcnt vmcnt(18)
	v_fma_f64 v[81:82], v[99:100], v[83:84], v[81:82]
	buffer_load_dword v94, off, s[0:3], 0 offset:180
	buffer_load_dword v95, off, s[0:3], 0 offset:200
	;; [unrolled: 1-line block ×7, first 2 shown]
	s_waitcnt vmcnt(23) lgkmcnt(0)
	v_fma_f64 v[81:82], v[101:102], v[85:86], v[81:82]
	s_waitcnt vmcnt(18)
	v_fma_f64 v[101:102], v[103:104], v[87:88], v[81:82]
	ds_read2_b64 v[81:84], v80 offset0:55 offset1:56
	ds_read2_b64 v[85:88], v80 offset0:57 offset1:58
	buffer_load_dword v96, off, s[0:3], 0 offset:204
	s_waitcnt vmcnt(18) lgkmcnt(1)
	v_fma_f64 v[81:82], v[109:110], v[81:82], v[101:102]
	s_waitcnt vmcnt(17)
	v_fma_f64 v[81:82], v[107:108], v[83:84], v[81:82]
	buffer_load_dword v102, off, s[0:3], 0 offset:212
	buffer_load_dword v103, off, s[0:3], 0 offset:232
	buffer_load_dword v107, off, s[0:3], 0 offset:224
	buffer_load_dword v109, off, s[0:3], 0 offset:216
	buffer_load_dword v101, off, s[0:3], 0 offset:208
	buffer_load_dword v110, off, s[0:3], 0 offset:220
	buffer_load_dword v108, off, s[0:3], 0 offset:228
	buffer_load_dword v104, off, s[0:3], 0 offset:236
	s_waitcnt vmcnt(24) lgkmcnt(0)
	v_fma_f64 v[81:82], v[105:106], v[85:86], v[81:82]
	s_waitcnt vmcnt(19)
	v_fma_f64 v[89:90], v[89:90], v[87:88], v[81:82]
	ds_read2_b64 v[81:84], v80 offset0:59 offset1:60
	ds_read2_b64 v[85:88], v80 offset0:61 offset1:62
	s_waitcnt vmcnt(18) lgkmcnt(1)
	v_fma_f64 v[81:82], v[113:114], v[81:82], v[89:90]
	s_waitcnt vmcnt(17)
	v_fma_f64 v[81:82], v[111:112], v[83:84], v[81:82]
	buffer_load_dword v90, off, s[0:3], 0 offset:244
	buffer_load_dword v105, off, s[0:3], 0 offset:264
	buffer_load_dword v111, off, s[0:3], 0 offset:256
	buffer_load_dword v113, off, s[0:3], 0 offset:248
	buffer_load_dword v89, off, s[0:3], 0 offset:240
	buffer_load_dword v114, off, s[0:3], 0 offset:252
	buffer_load_dword v112, off, s[0:3], 0 offset:260
	buffer_load_dword v106, off, s[0:3], 0 offset:268
	s_waitcnt vmcnt(24) lgkmcnt(0)
	v_fma_f64 v[81:82], v[91:92], v[85:86], v[81:82]
	s_waitcnt vmcnt(19)
	v_fma_f64 v[91:92], v[93:94], v[87:88], v[81:82]
	ds_read2_b64 v[81:84], v80 offset0:63 offset1:64
	ds_read2_b64 v[85:88], v80 offset0:65 offset1:66
	;; [unrolled: 18-line block ×3, first 2 shown]
	s_waitcnt vmcnt(18) lgkmcnt(1)
	v_fma_f64 v[81:82], v[109:110], v[81:82], v[95:96]
	buffer_load_dword v96, off, s[0:3], 0 offset:308
	buffer_load_dword v95, off, s[0:3], 0 offset:304
	;; [unrolled: 1-line block ×4, first 2 shown]
	s_waitcnt vmcnt(21)
	v_fma_f64 v[81:82], v[107:108], v[83:84], v[81:82]
	s_waitcnt vmcnt(20) lgkmcnt(0)
	v_fma_f64 v[81:82], v[103:104], v[85:86], v[81:82]
	s_waitcnt vmcnt(15)
	v_fma_f64 v[89:90], v[89:90], v[87:88], v[81:82]
	ds_read2_b64 v[81:84], v80 offset0:71 offset1:72
	ds_read2_b64 v[85:88], v80 offset0:73 offset1:74
	s_waitcnt vmcnt(14) lgkmcnt(1)
	v_fma_f64 v[81:82], v[113:114], v[81:82], v[89:90]
	s_waitcnt vmcnt(13)
	v_fma_f64 v[81:82], v[111:112], v[83:84], v[81:82]
	s_waitcnt vmcnt(12) lgkmcnt(0)
	v_fma_f64 v[81:82], v[105:106], v[85:86], v[81:82]
	s_waitcnt vmcnt(7)
	v_fma_f64 v[89:90], v[91:92], v[87:88], v[81:82]
	ds_read2_b64 v[81:84], v80 offset0:75 offset1:76
	ds_read2_b64 v[85:88], v80 offset0:77 offset1:78
	s_waitcnt vmcnt(6) lgkmcnt(1)
	v_fma_f64 v[80:81], v[99:100], v[81:82], v[89:90]
	s_waitcnt vmcnt(5)
	v_fma_f64 v[80:81], v[97:98], v[83:84], v[80:81]
	s_waitcnt vmcnt(4) lgkmcnt(0)
	v_fma_f64 v[80:81], v[93:94], v[85:86], v[80:81]
	s_waitcnt vmcnt(2)
	v_fma_f64 v[80:81], v[95:96], v[87:88], v[80:81]
	s_waitcnt vmcnt(0)
	v_add_f64 v[80:81], v[101:102], -v[80:81]
	buffer_store_dword v81, off, s[0:3], 0 offset:52
	buffer_store_dword v80, off, s[0:3], 0 offset:48
	s_and_saveexec_b64 s[4:5], vcc
	s_cbranch_execz .LBB102_231
; %bb.230:
	buffer_load_dword v80, off, s[0:3], 0 offset:40
	buffer_load_dword v81, off, s[0:3], 0 offset:44
	v_mov_b32_e32 v82, 0
	buffer_store_dword v82, off, s[0:3], 0 offset:40
	buffer_store_dword v82, off, s[0:3], 0 offset:44
	s_waitcnt vmcnt(2)
	ds_write_b64 v79, v[80:81]
.LBB102_231:
	s_or_b64 exec, exec, s[4:5]
	s_waitcnt lgkmcnt(0)
	; wave barrier
	buffer_load_dword v89, off, s[0:3], 0 offset:48
	buffer_load_dword v90, off, s[0:3], 0 offset:52
	;; [unrolled: 1-line block ×21, first 2 shown]
	v_mov_b32_e32 v80, 0
	ds_read_b128 v[81:84], v80 offset:368
	ds_read_b128 v[85:88], v80 offset:384
	buffer_load_dword v106, off, s[0:3], 0 offset:132
	v_cmp_lt_u32_e32 vcc, 4, v0
	s_waitcnt vmcnt(20) lgkmcnt(1)
	v_fma_f64 v[81:82], v[89:90], v[81:82], 0
	s_waitcnt vmcnt(18)
	v_fma_f64 v[81:82], v[91:92], v[83:84], v[81:82]
	buffer_load_dword v90, off, s[0:3], 0 offset:140
	buffer_load_dword v91, off, s[0:3], 0 offset:160
	;; [unrolled: 1-line block ×7, first 2 shown]
	s_waitcnt vmcnt(23) lgkmcnt(0)
	v_fma_f64 v[81:82], v[93:94], v[85:86], v[81:82]
	s_waitcnt vmcnt(21)
	v_fma_f64 v[92:93], v[95:96], v[87:88], v[81:82]
	ds_read_b128 v[81:84], v80 offset:400
	ds_read_b128 v[85:88], v80 offset:416
	s_waitcnt vmcnt(19) lgkmcnt(1)
	v_fma_f64 v[81:82], v[97:98], v[81:82], v[92:93]
	buffer_load_dword v92, off, s[0:3], 0 offset:164
	s_waitcnt vmcnt(18)
	v_fma_f64 v[81:82], v[99:100], v[83:84], v[81:82]
	buffer_load_dword v94, off, s[0:3], 0 offset:172
	buffer_load_dword v95, off, s[0:3], 0 offset:192
	;; [unrolled: 1-line block ×7, first 2 shown]
	s_waitcnt vmcnt(23) lgkmcnt(0)
	v_fma_f64 v[81:82], v[101:102], v[85:86], v[81:82]
	s_waitcnt vmcnt(18)
	v_fma_f64 v[101:102], v[103:104], v[87:88], v[81:82]
	ds_read_b128 v[81:84], v80 offset:432
	ds_read_b128 v[85:88], v80 offset:448
	buffer_load_dword v96, off, s[0:3], 0 offset:196
	s_waitcnt vmcnt(18) lgkmcnt(1)
	v_fma_f64 v[81:82], v[109:110], v[81:82], v[101:102]
	s_waitcnt vmcnt(17)
	v_fma_f64 v[81:82], v[107:108], v[83:84], v[81:82]
	buffer_load_dword v102, off, s[0:3], 0 offset:204
	buffer_load_dword v103, off, s[0:3], 0 offset:224
	buffer_load_dword v107, off, s[0:3], 0 offset:216
	buffer_load_dword v109, off, s[0:3], 0 offset:208
	buffer_load_dword v101, off, s[0:3], 0 offset:200
	buffer_load_dword v110, off, s[0:3], 0 offset:212
	buffer_load_dword v108, off, s[0:3], 0 offset:220
	s_waitcnt vmcnt(23) lgkmcnt(0)
	v_fma_f64 v[81:82], v[105:106], v[85:86], v[81:82]
	s_waitcnt vmcnt(18)
	v_fma_f64 v[89:90], v[89:90], v[87:88], v[81:82]
	ds_read_b128 v[81:84], v80 offset:464
	ds_read_b128 v[85:88], v80 offset:480
	buffer_load_dword v104, off, s[0:3], 0 offset:228
	s_waitcnt vmcnt(18) lgkmcnt(1)
	v_fma_f64 v[81:82], v[113:114], v[81:82], v[89:90]
	s_waitcnt vmcnt(17)
	v_fma_f64 v[81:82], v[111:112], v[83:84], v[81:82]
	buffer_load_dword v90, off, s[0:3], 0 offset:236
	buffer_load_dword v105, off, s[0:3], 0 offset:256
	;; [unrolled: 1-line block ×8, first 2 shown]
	s_waitcnt vmcnt(24) lgkmcnt(0)
	v_fma_f64 v[81:82], v[91:92], v[85:86], v[81:82]
	s_waitcnt vmcnt(19)
	v_fma_f64 v[91:92], v[93:94], v[87:88], v[81:82]
	ds_read_b128 v[81:84], v80 offset:496
	ds_read_b128 v[85:88], v80 offset:512
	s_waitcnt vmcnt(18) lgkmcnt(1)
	v_fma_f64 v[81:82], v[99:100], v[81:82], v[91:92]
	s_waitcnt vmcnt(17)
	v_fma_f64 v[81:82], v[97:98], v[83:84], v[81:82]
	buffer_load_dword v92, off, s[0:3], 0 offset:268
	buffer_load_dword v93, off, s[0:3], 0 offset:288
	;; [unrolled: 1-line block ×7, first 2 shown]
	s_waitcnt vmcnt(23) lgkmcnt(0)
	v_fma_f64 v[81:82], v[95:96], v[85:86], v[81:82]
	s_waitcnt vmcnt(18)
	v_fma_f64 v[94:95], v[101:102], v[87:88], v[81:82]
	ds_read_b128 v[81:84], v80 offset:528
	ds_read_b128 v[85:88], v80 offset:544
	s_waitcnt vmcnt(17) lgkmcnt(1)
	v_fma_f64 v[81:82], v[109:110], v[81:82], v[94:95]
	buffer_load_dword v94, off, s[0:3], 0 offset:292
	buffer_load_dword v96, off, s[0:3], 0 offset:300
	;; [unrolled: 1-line block ×5, first 2 shown]
	s_waitcnt vmcnt(21)
	v_fma_f64 v[81:82], v[107:108], v[83:84], v[81:82]
	s_waitcnt vmcnt(20) lgkmcnt(0)
	v_fma_f64 v[81:82], v[103:104], v[85:86], v[81:82]
	buffer_load_dword v103, off, s[0:3], 0 offset:40
	buffer_load_dword v104, off, s[0:3], 0 offset:44
	s_waitcnt vmcnt(17)
	v_fma_f64 v[89:90], v[89:90], v[87:88], v[81:82]
	ds_read_b128 v[81:84], v80 offset:560
	ds_read_b128 v[85:88], v80 offset:576
	s_waitcnt vmcnt(16) lgkmcnt(1)
	v_fma_f64 v[81:82], v[113:114], v[81:82], v[89:90]
	s_waitcnt vmcnt(15)
	v_fma_f64 v[81:82], v[111:112], v[83:84], v[81:82]
	s_waitcnt vmcnt(14) lgkmcnt(0)
	v_fma_f64 v[81:82], v[105:106], v[85:86], v[81:82]
	s_waitcnt vmcnt(9)
	v_fma_f64 v[89:90], v[91:92], v[87:88], v[81:82]
	ds_read_b128 v[81:84], v80 offset:592
	ds_read_b128 v[85:88], v80 offset:608
	s_waitcnt vmcnt(8) lgkmcnt(1)
	v_fma_f64 v[81:82], v[99:100], v[81:82], v[89:90]
	s_waitcnt vmcnt(7)
	v_fma_f64 v[81:82], v[97:98], v[83:84], v[81:82]
	ds_read_b64 v[83:84], v80 offset:624
	s_waitcnt vmcnt(6) lgkmcnt(1)
	v_fma_f64 v[81:82], v[93:94], v[85:86], v[81:82]
	s_waitcnt vmcnt(3)
	v_fma_f64 v[81:82], v[95:96], v[87:88], v[81:82]
	s_waitcnt vmcnt(2) lgkmcnt(0)
	v_fma_f64 v[81:82], v[101:102], v[83:84], v[81:82]
	s_waitcnt vmcnt(0)
	v_add_f64 v[81:82], v[103:104], -v[81:82]
	buffer_store_dword v82, off, s[0:3], 0 offset:44
	buffer_store_dword v81, off, s[0:3], 0 offset:40
	s_and_saveexec_b64 s[4:5], vcc
	s_cbranch_execz .LBB102_233
; %bb.232:
	buffer_load_dword v81, off, s[0:3], 0 offset:32
	buffer_load_dword v82, off, s[0:3], 0 offset:36
	s_waitcnt vmcnt(0)
	ds_write_b64 v79, v[81:82]
	buffer_store_dword v80, off, s[0:3], 0 offset:32
	buffer_store_dword v80, off, s[0:3], 0 offset:36
.LBB102_233:
	s_or_b64 exec, exec, s[4:5]
	s_waitcnt lgkmcnt(0)
	; wave barrier
	buffer_load_dword v89, off, s[0:3], 0 offset:40
	buffer_load_dword v90, off, s[0:3], 0 offset:44
	;; [unrolled: 1-line block ×21, first 2 shown]
	ds_read2_b64 v[81:84], v80 offset0:45 offset1:46
	ds_read2_b64 v[85:88], v80 offset0:47 offset1:48
	buffer_load_dword v106, off, s[0:3], 0 offset:124
	v_cmp_lt_u32_e32 vcc, 3, v0
	s_waitcnt vmcnt(20) lgkmcnt(1)
	v_fma_f64 v[81:82], v[89:90], v[81:82], 0
	s_waitcnt vmcnt(18)
	v_fma_f64 v[81:82], v[91:92], v[83:84], v[81:82]
	buffer_load_dword v90, off, s[0:3], 0 offset:132
	buffer_load_dword v91, off, s[0:3], 0 offset:152
	buffer_load_dword v111, off, s[0:3], 0 offset:144
	buffer_load_dword v113, off, s[0:3], 0 offset:136
	buffer_load_dword v89, off, s[0:3], 0 offset:128
	buffer_load_dword v114, off, s[0:3], 0 offset:140
	buffer_load_dword v112, off, s[0:3], 0 offset:148
	s_waitcnt vmcnt(23) lgkmcnt(0)
	v_fma_f64 v[81:82], v[93:94], v[85:86], v[81:82]
	s_waitcnt vmcnt(21)
	v_fma_f64 v[92:93], v[95:96], v[87:88], v[81:82]
	ds_read2_b64 v[81:84], v80 offset0:49 offset1:50
	ds_read2_b64 v[85:88], v80 offset0:51 offset1:52
	s_waitcnt vmcnt(19) lgkmcnt(1)
	v_fma_f64 v[81:82], v[97:98], v[81:82], v[92:93]
	buffer_load_dword v92, off, s[0:3], 0 offset:156
	s_waitcnt vmcnt(18)
	v_fma_f64 v[81:82], v[99:100], v[83:84], v[81:82]
	buffer_load_dword v94, off, s[0:3], 0 offset:164
	buffer_load_dword v95, off, s[0:3], 0 offset:184
	;; [unrolled: 1-line block ×8, first 2 shown]
	s_waitcnt vmcnt(24) lgkmcnt(0)
	v_fma_f64 v[81:82], v[101:102], v[85:86], v[81:82]
	s_waitcnt vmcnt(19)
	v_fma_f64 v[101:102], v[103:104], v[87:88], v[81:82]
	ds_read2_b64 v[81:84], v80 offset0:53 offset1:54
	ds_read2_b64 v[85:88], v80 offset0:55 offset1:56
	s_waitcnt vmcnt(18) lgkmcnt(1)
	v_fma_f64 v[81:82], v[109:110], v[81:82], v[101:102]
	s_waitcnt vmcnt(17)
	v_fma_f64 v[81:82], v[107:108], v[83:84], v[81:82]
	buffer_load_dword v102, off, s[0:3], 0 offset:196
	buffer_load_dword v103, off, s[0:3], 0 offset:216
	;; [unrolled: 1-line block ×7, first 2 shown]
	s_waitcnt vmcnt(23) lgkmcnt(0)
	v_fma_f64 v[81:82], v[105:106], v[85:86], v[81:82]
	s_waitcnt vmcnt(18)
	v_fma_f64 v[89:90], v[89:90], v[87:88], v[81:82]
	ds_read2_b64 v[81:84], v80 offset0:57 offset1:58
	ds_read2_b64 v[85:88], v80 offset0:59 offset1:60
	buffer_load_dword v104, off, s[0:3], 0 offset:220
	s_waitcnt vmcnt(18) lgkmcnt(1)
	v_fma_f64 v[81:82], v[113:114], v[81:82], v[89:90]
	s_waitcnt vmcnt(17)
	v_fma_f64 v[81:82], v[111:112], v[83:84], v[81:82]
	buffer_load_dword v90, off, s[0:3], 0 offset:228
	buffer_load_dword v105, off, s[0:3], 0 offset:248
	buffer_load_dword v111, off, s[0:3], 0 offset:240
	buffer_load_dword v113, off, s[0:3], 0 offset:232
	buffer_load_dword v89, off, s[0:3], 0 offset:224
	buffer_load_dword v114, off, s[0:3], 0 offset:236
	buffer_load_dword v112, off, s[0:3], 0 offset:244
	buffer_load_dword v106, off, s[0:3], 0 offset:252
	s_waitcnt vmcnt(24) lgkmcnt(0)
	v_fma_f64 v[81:82], v[91:92], v[85:86], v[81:82]
	s_waitcnt vmcnt(19)
	v_fma_f64 v[91:92], v[93:94], v[87:88], v[81:82]
	ds_read2_b64 v[81:84], v80 offset0:61 offset1:62
	ds_read2_b64 v[85:88], v80 offset0:63 offset1:64
	s_waitcnt vmcnt(18) lgkmcnt(1)
	v_fma_f64 v[81:82], v[99:100], v[81:82], v[91:92]
	s_waitcnt vmcnt(17)
	v_fma_f64 v[81:82], v[97:98], v[83:84], v[81:82]
	buffer_load_dword v92, off, s[0:3], 0 offset:260
	buffer_load_dword v93, off, s[0:3], 0 offset:280
	;; [unrolled: 1-line block ×7, first 2 shown]
	s_waitcnt vmcnt(23) lgkmcnt(0)
	v_fma_f64 v[81:82], v[95:96], v[85:86], v[81:82]
	s_waitcnt vmcnt(18)
	v_fma_f64 v[94:95], v[101:102], v[87:88], v[81:82]
	ds_read2_b64 v[81:84], v80 offset0:65 offset1:66
	ds_read2_b64 v[85:88], v80 offset0:67 offset1:68
	s_waitcnt vmcnt(17) lgkmcnt(1)
	v_fma_f64 v[81:82], v[109:110], v[81:82], v[94:95]
	buffer_load_dword v94, off, s[0:3], 0 offset:284
	s_waitcnt vmcnt(17)
	v_fma_f64 v[81:82], v[107:108], v[83:84], v[81:82]
	buffer_load_dword v96, off, s[0:3], 0 offset:292
	buffer_load_dword v101, off, s[0:3], 0 offset:304
	;; [unrolled: 1-line block ×6, first 2 shown]
	s_waitcnt vmcnt(22) lgkmcnt(0)
	v_fma_f64 v[81:82], v[103:104], v[85:86], v[81:82]
	s_waitcnt vmcnt(17)
	v_fma_f64 v[89:90], v[89:90], v[87:88], v[81:82]
	ds_read2_b64 v[81:84], v80 offset0:69 offset1:70
	buffer_load_dword v103, off, s[0:3], 0 offset:32
	buffer_load_dword v104, off, s[0:3], 0 offset:36
	ds_read2_b64 v[85:88], v80 offset0:71 offset1:72
	s_waitcnt vmcnt(18) lgkmcnt(1)
	v_fma_f64 v[81:82], v[113:114], v[81:82], v[89:90]
	s_waitcnt vmcnt(17)
	v_fma_f64 v[81:82], v[111:112], v[83:84], v[81:82]
	s_waitcnt vmcnt(16) lgkmcnt(0)
	v_fma_f64 v[81:82], v[105:106], v[85:86], v[81:82]
	s_waitcnt vmcnt(11)
	v_fma_f64 v[89:90], v[91:92], v[87:88], v[81:82]
	ds_read2_b64 v[81:84], v80 offset0:73 offset1:74
	ds_read2_b64 v[85:88], v80 offset0:75 offset1:76
	s_waitcnt vmcnt(10) lgkmcnt(1)
	v_fma_f64 v[81:82], v[99:100], v[81:82], v[89:90]
	s_waitcnt vmcnt(9)
	v_fma_f64 v[81:82], v[97:98], v[83:84], v[81:82]
	s_waitcnt vmcnt(8) lgkmcnt(0)
	v_fma_f64 v[81:82], v[93:94], v[85:86], v[81:82]
	s_waitcnt vmcnt(4)
	v_fma_f64 v[84:85], v[95:96], v[87:88], v[81:82]
	ds_read2_b64 v[80:83], v80 offset0:77 offset1:78
	s_waitcnt vmcnt(3) lgkmcnt(0)
	v_fma_f64 v[80:81], v[107:108], v[80:81], v[84:85]
	s_waitcnt vmcnt(2)
	v_fma_f64 v[80:81], v[101:102], v[82:83], v[80:81]
	s_waitcnt vmcnt(0)
	v_add_f64 v[80:81], v[103:104], -v[80:81]
	buffer_store_dword v81, off, s[0:3], 0 offset:36
	buffer_store_dword v80, off, s[0:3], 0 offset:32
	s_and_saveexec_b64 s[4:5], vcc
	s_cbranch_execz .LBB102_235
; %bb.234:
	buffer_load_dword v80, off, s[0:3], 0 offset:24
	buffer_load_dword v81, off, s[0:3], 0 offset:28
	v_mov_b32_e32 v82, 0
	buffer_store_dword v82, off, s[0:3], 0 offset:24
	buffer_store_dword v82, off, s[0:3], 0 offset:28
	s_waitcnt vmcnt(2)
	ds_write_b64 v79, v[80:81]
.LBB102_235:
	s_or_b64 exec, exec, s[4:5]
	s_waitcnt lgkmcnt(0)
	; wave barrier
	buffer_load_dword v89, off, s[0:3], 0 offset:32
	buffer_load_dword v90, off, s[0:3], 0 offset:36
	;; [unrolled: 1-line block ×21, first 2 shown]
	v_mov_b32_e32 v80, 0
	ds_read_b128 v[81:84], v80 offset:352
	ds_read_b128 v[85:88], v80 offset:368
	buffer_load_dword v106, off, s[0:3], 0 offset:116
	v_cmp_lt_u32_e32 vcc, 2, v0
	s_waitcnt vmcnt(20) lgkmcnt(1)
	v_fma_f64 v[81:82], v[89:90], v[81:82], 0
	s_waitcnt vmcnt(18)
	v_fma_f64 v[81:82], v[91:92], v[83:84], v[81:82]
	buffer_load_dword v90, off, s[0:3], 0 offset:124
	buffer_load_dword v91, off, s[0:3], 0 offset:144
	;; [unrolled: 1-line block ×7, first 2 shown]
	s_waitcnt vmcnt(23) lgkmcnt(0)
	v_fma_f64 v[81:82], v[93:94], v[85:86], v[81:82]
	s_waitcnt vmcnt(21)
	v_fma_f64 v[92:93], v[95:96], v[87:88], v[81:82]
	ds_read_b128 v[81:84], v80 offset:384
	ds_read_b128 v[85:88], v80 offset:400
	s_waitcnt vmcnt(19) lgkmcnt(1)
	v_fma_f64 v[81:82], v[97:98], v[81:82], v[92:93]
	buffer_load_dword v92, off, s[0:3], 0 offset:148
	s_waitcnt vmcnt(18)
	v_fma_f64 v[81:82], v[99:100], v[83:84], v[81:82]
	buffer_load_dword v94, off, s[0:3], 0 offset:156
	buffer_load_dword v95, off, s[0:3], 0 offset:176
	;; [unrolled: 1-line block ×8, first 2 shown]
	s_waitcnt vmcnt(24) lgkmcnt(0)
	v_fma_f64 v[81:82], v[101:102], v[85:86], v[81:82]
	s_waitcnt vmcnt(19)
	v_fma_f64 v[101:102], v[103:104], v[87:88], v[81:82]
	ds_read_b128 v[81:84], v80 offset:416
	ds_read_b128 v[85:88], v80 offset:432
	s_waitcnt vmcnt(18) lgkmcnt(1)
	v_fma_f64 v[81:82], v[109:110], v[81:82], v[101:102]
	s_waitcnt vmcnt(17)
	v_fma_f64 v[81:82], v[107:108], v[83:84], v[81:82]
	buffer_load_dword v102, off, s[0:3], 0 offset:188
	buffer_load_dword v103, off, s[0:3], 0 offset:208
	;; [unrolled: 1-line block ×7, first 2 shown]
	s_waitcnt vmcnt(23) lgkmcnt(0)
	v_fma_f64 v[81:82], v[105:106], v[85:86], v[81:82]
	s_waitcnt vmcnt(18)
	v_fma_f64 v[89:90], v[89:90], v[87:88], v[81:82]
	ds_read_b128 v[81:84], v80 offset:448
	ds_read_b128 v[85:88], v80 offset:464
	buffer_load_dword v104, off, s[0:3], 0 offset:212
	s_waitcnt vmcnt(18) lgkmcnt(1)
	v_fma_f64 v[81:82], v[113:114], v[81:82], v[89:90]
	s_waitcnt vmcnt(17)
	v_fma_f64 v[81:82], v[111:112], v[83:84], v[81:82]
	buffer_load_dword v90, off, s[0:3], 0 offset:220
	buffer_load_dword v105, off, s[0:3], 0 offset:240
	;; [unrolled: 1-line block ×8, first 2 shown]
	s_waitcnt vmcnt(24) lgkmcnt(0)
	v_fma_f64 v[81:82], v[91:92], v[85:86], v[81:82]
	s_waitcnt vmcnt(19)
	v_fma_f64 v[91:92], v[93:94], v[87:88], v[81:82]
	ds_read_b128 v[81:84], v80 offset:480
	ds_read_b128 v[85:88], v80 offset:496
	s_waitcnt vmcnt(18) lgkmcnt(1)
	v_fma_f64 v[81:82], v[99:100], v[81:82], v[91:92]
	s_waitcnt vmcnt(17)
	v_fma_f64 v[81:82], v[97:98], v[83:84], v[81:82]
	buffer_load_dword v92, off, s[0:3], 0 offset:252
	buffer_load_dword v93, off, s[0:3], 0 offset:272
	;; [unrolled: 1-line block ×7, first 2 shown]
	s_waitcnt vmcnt(23) lgkmcnt(0)
	v_fma_f64 v[81:82], v[95:96], v[85:86], v[81:82]
	s_waitcnt vmcnt(18)
	v_fma_f64 v[94:95], v[101:102], v[87:88], v[81:82]
	ds_read_b128 v[81:84], v80 offset:512
	ds_read_b128 v[85:88], v80 offset:528
	s_waitcnt vmcnt(17) lgkmcnt(1)
	v_fma_f64 v[81:82], v[109:110], v[81:82], v[94:95]
	buffer_load_dword v94, off, s[0:3], 0 offset:276
	s_waitcnt vmcnt(17)
	v_fma_f64 v[81:82], v[107:108], v[83:84], v[81:82]
	buffer_load_dword v96, off, s[0:3], 0 offset:284
	buffer_load_dword v101, off, s[0:3], 0 offset:304
	;; [unrolled: 1-line block ×8, first 2 shown]
	s_waitcnt vmcnt(24) lgkmcnt(0)
	v_fma_f64 v[81:82], v[103:104], v[85:86], v[81:82]
	s_waitcnt vmcnt(19)
	v_fma_f64 v[89:90], v[89:90], v[87:88], v[81:82]
	ds_read_b128 v[81:84], v80 offset:544
	ds_read_b128 v[85:88], v80 offset:560
	s_waitcnt vmcnt(18) lgkmcnt(1)
	v_fma_f64 v[81:82], v[113:114], v[81:82], v[89:90]
	buffer_load_dword v89, off, s[0:3], 0 offset:24
	buffer_load_dword v90, off, s[0:3], 0 offset:28
	s_waitcnt vmcnt(19)
	v_fma_f64 v[81:82], v[111:112], v[83:84], v[81:82]
	s_waitcnt vmcnt(18) lgkmcnt(0)
	v_fma_f64 v[81:82], v[105:106], v[85:86], v[81:82]
	s_waitcnt vmcnt(13)
	v_fma_f64 v[91:92], v[91:92], v[87:88], v[81:82]
	ds_read_b128 v[81:84], v80 offset:576
	ds_read_b128 v[85:88], v80 offset:592
	s_waitcnt vmcnt(12) lgkmcnt(1)
	v_fma_f64 v[81:82], v[99:100], v[81:82], v[91:92]
	s_waitcnt vmcnt(11)
	v_fma_f64 v[81:82], v[97:98], v[83:84], v[81:82]
	s_waitcnt vmcnt(10) lgkmcnt(0)
	v_fma_f64 v[81:82], v[93:94], v[85:86], v[81:82]
	s_waitcnt vmcnt(5)
	v_fma_f64 v[85:86], v[95:96], v[87:88], v[81:82]
	ds_read_b128 v[81:84], v80 offset:608
	ds_read_b64 v[87:88], v80 offset:624
	s_waitcnt vmcnt(4) lgkmcnt(1)
	v_fma_f64 v[81:82], v[109:110], v[81:82], v[85:86]
	s_waitcnt vmcnt(3)
	v_fma_f64 v[81:82], v[107:108], v[83:84], v[81:82]
	s_waitcnt vmcnt(2) lgkmcnt(0)
	v_fma_f64 v[81:82], v[101:102], v[87:88], v[81:82]
	s_waitcnt vmcnt(0)
	v_add_f64 v[81:82], v[89:90], -v[81:82]
	buffer_store_dword v82, off, s[0:3], 0 offset:28
	buffer_store_dword v81, off, s[0:3], 0 offset:24
	s_and_saveexec_b64 s[4:5], vcc
	s_cbranch_execz .LBB102_237
; %bb.236:
	buffer_load_dword v81, off, s[0:3], 0 offset:16
	buffer_load_dword v82, off, s[0:3], 0 offset:20
	s_waitcnt vmcnt(0)
	ds_write_b64 v79, v[81:82]
	buffer_store_dword v80, off, s[0:3], 0 offset:16
	buffer_store_dword v80, off, s[0:3], 0 offset:20
.LBB102_237:
	s_or_b64 exec, exec, s[4:5]
	s_waitcnt lgkmcnt(0)
	; wave barrier
	buffer_load_dword v89, off, s[0:3], 0 offset:24
	buffer_load_dword v90, off, s[0:3], 0 offset:28
	;; [unrolled: 1-line block ×21, first 2 shown]
	ds_read2_b64 v[81:84], v80 offset0:43 offset1:44
	ds_read2_b64 v[85:88], v80 offset0:45 offset1:46
	buffer_load_dword v106, off, s[0:3], 0 offset:108
	v_cmp_lt_u32_e32 vcc, 1, v0
	s_waitcnt vmcnt(20) lgkmcnt(1)
	v_fma_f64 v[81:82], v[89:90], v[81:82], 0
	s_waitcnt vmcnt(18)
	v_fma_f64 v[81:82], v[91:92], v[83:84], v[81:82]
	buffer_load_dword v90, off, s[0:3], 0 offset:116
	buffer_load_dword v91, off, s[0:3], 0 offset:136
	;; [unrolled: 1-line block ×7, first 2 shown]
	s_waitcnt vmcnt(23) lgkmcnt(0)
	v_fma_f64 v[81:82], v[93:94], v[85:86], v[81:82]
	s_waitcnt vmcnt(21)
	v_fma_f64 v[92:93], v[95:96], v[87:88], v[81:82]
	ds_read2_b64 v[81:84], v80 offset0:47 offset1:48
	ds_read2_b64 v[85:88], v80 offset0:49 offset1:50
	s_waitcnt vmcnt(19) lgkmcnt(1)
	v_fma_f64 v[81:82], v[97:98], v[81:82], v[92:93]
	buffer_load_dword v92, off, s[0:3], 0 offset:140
	s_waitcnt vmcnt(18)
	v_fma_f64 v[81:82], v[99:100], v[83:84], v[81:82]
	buffer_load_dword v94, off, s[0:3], 0 offset:148
	buffer_load_dword v95, off, s[0:3], 0 offset:168
	;; [unrolled: 1-line block ×8, first 2 shown]
	s_waitcnt vmcnt(24) lgkmcnt(0)
	v_fma_f64 v[81:82], v[101:102], v[85:86], v[81:82]
	s_waitcnt vmcnt(19)
	v_fma_f64 v[101:102], v[103:104], v[87:88], v[81:82]
	ds_read2_b64 v[81:84], v80 offset0:51 offset1:52
	ds_read2_b64 v[85:88], v80 offset0:53 offset1:54
	s_waitcnt vmcnt(18) lgkmcnt(1)
	v_fma_f64 v[81:82], v[109:110], v[81:82], v[101:102]
	s_waitcnt vmcnt(17)
	v_fma_f64 v[81:82], v[107:108], v[83:84], v[81:82]
	buffer_load_dword v102, off, s[0:3], 0 offset:180
	buffer_load_dword v103, off, s[0:3], 0 offset:200
	;; [unrolled: 1-line block ×7, first 2 shown]
	s_waitcnt vmcnt(23) lgkmcnt(0)
	v_fma_f64 v[81:82], v[105:106], v[85:86], v[81:82]
	s_waitcnt vmcnt(18)
	v_fma_f64 v[89:90], v[89:90], v[87:88], v[81:82]
	ds_read2_b64 v[81:84], v80 offset0:55 offset1:56
	ds_read2_b64 v[85:88], v80 offset0:57 offset1:58
	buffer_load_dword v104, off, s[0:3], 0 offset:204
	s_waitcnt vmcnt(18) lgkmcnt(1)
	v_fma_f64 v[81:82], v[113:114], v[81:82], v[89:90]
	s_waitcnt vmcnt(17)
	v_fma_f64 v[81:82], v[111:112], v[83:84], v[81:82]
	buffer_load_dword v90, off, s[0:3], 0 offset:212
	buffer_load_dword v105, off, s[0:3], 0 offset:232
	;; [unrolled: 1-line block ×8, first 2 shown]
	s_waitcnt vmcnt(24) lgkmcnt(0)
	v_fma_f64 v[81:82], v[91:92], v[85:86], v[81:82]
	s_waitcnt vmcnt(19)
	v_fma_f64 v[91:92], v[93:94], v[87:88], v[81:82]
	ds_read2_b64 v[81:84], v80 offset0:59 offset1:60
	ds_read2_b64 v[85:88], v80 offset0:61 offset1:62
	s_waitcnt vmcnt(18) lgkmcnt(1)
	v_fma_f64 v[81:82], v[99:100], v[81:82], v[91:92]
	s_waitcnt vmcnt(17)
	v_fma_f64 v[81:82], v[97:98], v[83:84], v[81:82]
	buffer_load_dword v92, off, s[0:3], 0 offset:244
	buffer_load_dword v93, off, s[0:3], 0 offset:264
	;; [unrolled: 1-line block ×7, first 2 shown]
	s_waitcnt vmcnt(23) lgkmcnt(0)
	v_fma_f64 v[81:82], v[95:96], v[85:86], v[81:82]
	s_waitcnt vmcnt(18)
	v_fma_f64 v[94:95], v[101:102], v[87:88], v[81:82]
	ds_read2_b64 v[81:84], v80 offset0:63 offset1:64
	ds_read2_b64 v[85:88], v80 offset0:65 offset1:66
	s_waitcnt vmcnt(17) lgkmcnt(1)
	v_fma_f64 v[81:82], v[109:110], v[81:82], v[94:95]
	buffer_load_dword v94, off, s[0:3], 0 offset:268
	s_waitcnt vmcnt(17)
	v_fma_f64 v[81:82], v[107:108], v[83:84], v[81:82]
	buffer_load_dword v96, off, s[0:3], 0 offset:276
	buffer_load_dword v101, off, s[0:3], 0 offset:296
	;; [unrolled: 1-line block ×8, first 2 shown]
	s_waitcnt vmcnt(24) lgkmcnt(0)
	v_fma_f64 v[81:82], v[103:104], v[85:86], v[81:82]
	s_waitcnt vmcnt(19)
	v_fma_f64 v[89:90], v[89:90], v[87:88], v[81:82]
	ds_read2_b64 v[81:84], v80 offset0:67 offset1:68
	ds_read2_b64 v[85:88], v80 offset0:69 offset1:70
	s_waitcnt vmcnt(18) lgkmcnt(1)
	v_fma_f64 v[81:82], v[113:114], v[81:82], v[89:90]
	buffer_load_dword v90, off, s[0:3], 0 offset:308
	buffer_load_dword v89, off, s[0:3], 0 offset:304
	;; [unrolled: 1-line block ×4, first 2 shown]
	s_waitcnt vmcnt(21)
	v_fma_f64 v[81:82], v[111:112], v[83:84], v[81:82]
	s_waitcnt vmcnt(20) lgkmcnt(0)
	v_fma_f64 v[81:82], v[105:106], v[85:86], v[81:82]
	s_waitcnt vmcnt(15)
	v_fma_f64 v[91:92], v[91:92], v[87:88], v[81:82]
	ds_read2_b64 v[81:84], v80 offset0:71 offset1:72
	ds_read2_b64 v[85:88], v80 offset0:73 offset1:74
	s_waitcnt vmcnt(14) lgkmcnt(1)
	v_fma_f64 v[81:82], v[99:100], v[81:82], v[91:92]
	s_waitcnt vmcnt(13)
	v_fma_f64 v[81:82], v[97:98], v[83:84], v[81:82]
	s_waitcnt vmcnt(12) lgkmcnt(0)
	v_fma_f64 v[81:82], v[93:94], v[85:86], v[81:82]
	s_waitcnt vmcnt(7)
	v_fma_f64 v[91:92], v[95:96], v[87:88], v[81:82]
	ds_read2_b64 v[81:84], v80 offset0:75 offset1:76
	ds_read2_b64 v[85:88], v80 offset0:77 offset1:78
	s_waitcnt vmcnt(6) lgkmcnt(1)
	v_fma_f64 v[80:81], v[109:110], v[81:82], v[91:92]
	s_waitcnt vmcnt(5)
	v_fma_f64 v[80:81], v[107:108], v[83:84], v[80:81]
	s_waitcnt vmcnt(4) lgkmcnt(0)
	v_fma_f64 v[80:81], v[101:102], v[85:86], v[80:81]
	s_waitcnt vmcnt(2)
	v_fma_f64 v[80:81], v[89:90], v[87:88], v[80:81]
	s_waitcnt vmcnt(0)
	v_add_f64 v[80:81], v[103:104], -v[80:81]
	buffer_store_dword v81, off, s[0:3], 0 offset:20
	buffer_store_dword v80, off, s[0:3], 0 offset:16
	s_and_saveexec_b64 s[4:5], vcc
	s_cbranch_execz .LBB102_239
; %bb.238:
	buffer_load_dword v80, off, s[0:3], 0 offset:8
	buffer_load_dword v81, off, s[0:3], 0 offset:12
	v_mov_b32_e32 v82, 0
	buffer_store_dword v82, off, s[0:3], 0 offset:8
	buffer_store_dword v82, off, s[0:3], 0 offset:12
	s_waitcnt vmcnt(2)
	ds_write_b64 v79, v[80:81]
.LBB102_239:
	s_or_b64 exec, exec, s[4:5]
	s_waitcnt lgkmcnt(0)
	; wave barrier
	buffer_load_dword v90, off, s[0:3], 0 offset:16
	buffer_load_dword v91, off, s[0:3], 0 offset:20
	;; [unrolled: 1-line block ×21, first 2 shown]
	v_mov_b32_e32 v81, 0
	ds_read_b128 v[82:85], v81 offset:336
	ds_read_b128 v[86:89], v81 offset:352
	buffer_load_dword v107, off, s[0:3], 0 offset:100
	v_cmp_ne_u32_e32 vcc, 0, v0
	s_waitcnt vmcnt(20) lgkmcnt(1)
	v_fma_f64 v[82:83], v[90:91], v[82:83], 0
	s_waitcnt vmcnt(18)
	v_fma_f64 v[82:83], v[92:93], v[84:85], v[82:83]
	buffer_load_dword v91, off, s[0:3], 0 offset:108
	buffer_load_dword v92, off, s[0:3], 0 offset:128
	;; [unrolled: 1-line block ×7, first 2 shown]
	s_waitcnt vmcnt(23) lgkmcnt(0)
	v_fma_f64 v[82:83], v[94:95], v[86:87], v[82:83]
	s_waitcnt vmcnt(21)
	v_fma_f64 v[93:94], v[96:97], v[88:89], v[82:83]
	ds_read_b128 v[82:85], v81 offset:368
	ds_read_b128 v[86:89], v81 offset:384
	s_waitcnt vmcnt(19) lgkmcnt(1)
	v_fma_f64 v[82:83], v[98:99], v[82:83], v[93:94]
	buffer_load_dword v93, off, s[0:3], 0 offset:132
	s_waitcnt vmcnt(18)
	v_fma_f64 v[82:83], v[100:101], v[84:85], v[82:83]
	buffer_load_dword v95, off, s[0:3], 0 offset:140
	buffer_load_dword v96, off, s[0:3], 0 offset:160
	buffer_load_dword v98, off, s[0:3], 0 offset:152
	buffer_load_dword v100, off, s[0:3], 0 offset:144
	buffer_load_dword v94, off, s[0:3], 0 offset:136
	buffer_load_dword v101, off, s[0:3], 0 offset:148
	buffer_load_dword v99, off, s[0:3], 0 offset:156
	buffer_load_dword v97, off, s[0:3], 0 offset:164
	s_waitcnt vmcnt(24) lgkmcnt(0)
	v_fma_f64 v[82:83], v[102:103], v[86:87], v[82:83]
	s_waitcnt vmcnt(19)
	v_fma_f64 v[102:103], v[104:105], v[88:89], v[82:83]
	ds_read_b128 v[82:85], v81 offset:400
	ds_read_b128 v[86:89], v81 offset:416
	s_waitcnt vmcnt(18) lgkmcnt(1)
	v_fma_f64 v[82:83], v[110:111], v[82:83], v[102:103]
	s_waitcnt vmcnt(17)
	v_fma_f64 v[82:83], v[108:109], v[84:85], v[82:83]
	buffer_load_dword v103, off, s[0:3], 0 offset:172
	buffer_load_dword v104, off, s[0:3], 0 offset:192
	;; [unrolled: 1-line block ×7, first 2 shown]
	s_waitcnt vmcnt(23) lgkmcnt(0)
	v_fma_f64 v[82:83], v[106:107], v[86:87], v[82:83]
	s_waitcnt vmcnt(18)
	v_fma_f64 v[90:91], v[90:91], v[88:89], v[82:83]
	ds_read_b128 v[82:85], v81 offset:432
	ds_read_b128 v[86:89], v81 offset:448
	buffer_load_dword v105, off, s[0:3], 0 offset:196
	s_waitcnt vmcnt(18) lgkmcnt(1)
	v_fma_f64 v[82:83], v[114:115], v[82:83], v[90:91]
	s_waitcnt vmcnt(17)
	v_fma_f64 v[82:83], v[112:113], v[84:85], v[82:83]
	buffer_load_dword v91, off, s[0:3], 0 offset:204
	buffer_load_dword v106, off, s[0:3], 0 offset:224
	;; [unrolled: 1-line block ×7, first 2 shown]
	s_waitcnt vmcnt(23) lgkmcnt(0)
	v_fma_f64 v[82:83], v[92:93], v[86:87], v[82:83]
	s_waitcnt vmcnt(18)
	v_fma_f64 v[92:93], v[94:95], v[88:89], v[82:83]
	ds_read_b128 v[82:85], v81 offset:464
	ds_read_b128 v[86:89], v81 offset:480
	buffer_load_dword v107, off, s[0:3], 0 offset:228
	s_waitcnt vmcnt(18) lgkmcnt(1)
	v_fma_f64 v[82:83], v[100:101], v[82:83], v[92:93]
	s_waitcnt vmcnt(17)
	v_fma_f64 v[82:83], v[98:99], v[84:85], v[82:83]
	buffer_load_dword v93, off, s[0:3], 0 offset:236
	buffer_load_dword v94, off, s[0:3], 0 offset:256
	;; [unrolled: 1-line block ×7, first 2 shown]
	s_waitcnt vmcnt(23) lgkmcnt(0)
	v_fma_f64 v[82:83], v[96:97], v[86:87], v[82:83]
	s_waitcnt vmcnt(18)
	v_fma_f64 v[95:96], v[102:103], v[88:89], v[82:83]
	ds_read_b128 v[82:85], v81 offset:496
	ds_read_b128 v[86:89], v81 offset:512
	s_waitcnt vmcnt(17) lgkmcnt(1)
	v_fma_f64 v[82:83], v[110:111], v[82:83], v[95:96]
	buffer_load_dword v95, off, s[0:3], 0 offset:260
	s_waitcnt vmcnt(17)
	v_fma_f64 v[82:83], v[108:109], v[84:85], v[82:83]
	buffer_load_dword v97, off, s[0:3], 0 offset:268
	buffer_load_dword v102, off, s[0:3], 0 offset:288
	;; [unrolled: 1-line block ×7, first 2 shown]
	s_waitcnt vmcnt(23) lgkmcnt(0)
	v_fma_f64 v[82:83], v[104:105], v[86:87], v[82:83]
	s_waitcnt vmcnt(18)
	v_fma_f64 v[90:91], v[90:91], v[88:89], v[82:83]
	ds_read_b128 v[82:85], v81 offset:528
	ds_read_b128 v[86:89], v81 offset:544
	buffer_load_dword v103, off, s[0:3], 0 offset:292
	s_waitcnt vmcnt(18) lgkmcnt(1)
	v_fma_f64 v[82:83], v[114:115], v[82:83], v[90:91]
	buffer_load_dword v91, off, s[0:3], 0 offset:300
	buffer_load_dword v104, off, s[0:3], 0 offset:304
	;; [unrolled: 1-line block ×4, first 2 shown]
	s_waitcnt vmcnt(21)
	v_fma_f64 v[82:83], v[112:113], v[84:85], v[82:83]
	s_waitcnt vmcnt(20) lgkmcnt(0)
	v_fma_f64 v[82:83], v[106:107], v[86:87], v[82:83]
	buffer_load_dword v106, off, s[0:3], 0 offset:8
	buffer_load_dword v107, off, s[0:3], 0 offset:12
	s_waitcnt vmcnt(17)
	v_fma_f64 v[92:93], v[92:93], v[88:89], v[82:83]
	ds_read_b128 v[82:85], v81 offset:560
	ds_read_b128 v[86:89], v81 offset:576
	s_waitcnt vmcnt(16) lgkmcnt(1)
	v_fma_f64 v[82:83], v[100:101], v[82:83], v[92:93]
	s_waitcnt vmcnt(15)
	v_fma_f64 v[82:83], v[98:99], v[84:85], v[82:83]
	s_waitcnt vmcnt(14) lgkmcnt(0)
	v_fma_f64 v[82:83], v[94:95], v[86:87], v[82:83]
	s_waitcnt vmcnt(9)
	v_fma_f64 v[92:93], v[96:97], v[88:89], v[82:83]
	ds_read_b128 v[82:85], v81 offset:592
	ds_read_b128 v[86:89], v81 offset:608
	s_waitcnt vmcnt(8) lgkmcnt(1)
	v_fma_f64 v[82:83], v[110:111], v[82:83], v[92:93]
	s_waitcnt vmcnt(7)
	v_fma_f64 v[82:83], v[108:109], v[84:85], v[82:83]
	ds_read_b64 v[84:85], v81 offset:624
	s_waitcnt vmcnt(6) lgkmcnt(1)
	v_fma_f64 v[82:83], v[102:103], v[86:87], v[82:83]
	s_waitcnt vmcnt(3)
	v_fma_f64 v[82:83], v[90:91], v[88:89], v[82:83]
	s_waitcnt vmcnt(2) lgkmcnt(0)
	v_fma_f64 v[82:83], v[104:105], v[84:85], v[82:83]
	s_waitcnt vmcnt(0)
	v_add_f64 v[82:83], v[106:107], -v[82:83]
	buffer_store_dword v83, off, s[0:3], 0 offset:12
	buffer_store_dword v82, off, s[0:3], 0 offset:8
	s_and_saveexec_b64 s[4:5], vcc
	s_cbranch_execz .LBB102_241
; %bb.240:
	buffer_load_dword v82, off, s[0:3], 0
	buffer_load_dword v83, off, s[0:3], 0 offset:4
	s_waitcnt vmcnt(0)
	ds_write_b64 v79, v[82:83]
	buffer_store_dword v81, off, s[0:3], 0
	buffer_store_dword v81, off, s[0:3], 0 offset:4
.LBB102_241:
	s_or_b64 exec, exec, s[4:5]
	s_waitcnt lgkmcnt(0)
	; wave barrier
	buffer_load_dword v79, off, s[0:3], 0 offset:8
	buffer_load_dword v80, off, s[0:3], 0 offset:12
	buffer_load_dword v90, off, s[0:3], 0 offset:16
	buffer_load_dword v91, off, s[0:3], 0 offset:20
	buffer_load_dword v92, off, s[0:3], 0 offset:24
	buffer_load_dword v93, off, s[0:3], 0 offset:28
	buffer_load_dword v94, off, s[0:3], 0 offset:32
	buffer_load_dword v95, off, s[0:3], 0 offset:36
	buffer_load_dword v96, off, s[0:3], 0 offset:40
	buffer_load_dword v97, off, s[0:3], 0 offset:44
	buffer_load_dword v98, off, s[0:3], 0 offset:48
	buffer_load_dword v99, off, s[0:3], 0 offset:52
	buffer_load_dword v100, off, s[0:3], 0 offset:56
	buffer_load_dword v101, off, s[0:3], 0 offset:60
	buffer_load_dword v103, off, s[0:3], 0 offset:68
	buffer_load_dword v104, off, s[0:3], 0 offset:88
	buffer_load_dword v106, off, s[0:3], 0 offset:80
	buffer_load_dword v108, off, s[0:3], 0 offset:72
	buffer_load_dword v102, off, s[0:3], 0 offset:64
	buffer_load_dword v109, off, s[0:3], 0 offset:76
	buffer_load_dword v107, off, s[0:3], 0 offset:84
	buffer_load_dword v105, off, s[0:3], 0 offset:92
	ds_read2_b64 v[82:85], v81 offset0:41 offset1:42
	ds_read2_b64 v[86:89], v81 offset0:43 offset1:44
	s_and_b64 vcc, exec, s[14:15]
	s_waitcnt vmcnt(20) lgkmcnt(1)
	v_fma_f64 v[79:80], v[79:80], v[82:83], 0
	s_waitcnt vmcnt(18)
	v_fma_f64 v[79:80], v[90:91], v[84:85], v[79:80]
	buffer_load_dword v91, off, s[0:3], 0 offset:100
	buffer_load_dword v110, off, s[0:3], 0 offset:120
	;; [unrolled: 1-line block ×7, first 2 shown]
	s_waitcnt vmcnt(23) lgkmcnt(0)
	v_fma_f64 v[79:80], v[92:93], v[86:87], v[79:80]
	s_waitcnt vmcnt(21)
	v_fma_f64 v[79:80], v[94:95], v[88:89], v[79:80]
	ds_read2_b64 v[82:85], v81 offset0:45 offset1:46
	ds_read2_b64 v[86:89], v81 offset0:47 offset1:48
	buffer_load_dword v111, off, s[0:3], 0 offset:124
	s_waitcnt vmcnt(20) lgkmcnt(1)
	v_fma_f64 v[79:80], v[96:97], v[82:83], v[79:80]
	s_waitcnt vmcnt(18)
	v_fma_f64 v[79:80], v[98:99], v[84:85], v[79:80]
	buffer_load_dword v93, off, s[0:3], 0 offset:132
	buffer_load_dword v94, off, s[0:3], 0 offset:152
	;; [unrolled: 1-line block ×8, first 2 shown]
	ds_read2_b64 v[82:85], v81 offset0:49 offset1:50
	s_waitcnt vmcnt(24) lgkmcnt(1)
	v_fma_f64 v[79:80], v[100:101], v[86:87], v[79:80]
	s_waitcnt vmcnt(19)
	v_fma_f64 v[79:80], v[102:103], v[88:89], v[79:80]
	ds_read2_b64 v[86:89], v81 offset0:51 offset1:52
	s_waitcnt vmcnt(18) lgkmcnt(1)
	v_fma_f64 v[79:80], v[108:109], v[82:83], v[79:80]
	s_waitcnt vmcnt(17)
	v_fma_f64 v[79:80], v[106:107], v[84:85], v[79:80]
	buffer_load_dword v101, off, s[0:3], 0 offset:164
	buffer_load_dword v102, off, s[0:3], 0 offset:184
	buffer_load_dword v106, off, s[0:3], 0 offset:176
	buffer_load_dword v108, off, s[0:3], 0 offset:168
	buffer_load_dword v100, off, s[0:3], 0 offset:160
	buffer_load_dword v109, off, s[0:3], 0 offset:172
	buffer_load_dword v107, off, s[0:3], 0 offset:180
	buffer_load_dword v103, off, s[0:3], 0 offset:188
	ds_read2_b64 v[82:85], v81 offset0:53 offset1:54
	s_waitcnt vmcnt(24) lgkmcnt(1)
	v_fma_f64 v[79:80], v[104:105], v[86:87], v[79:80]
	s_waitcnt vmcnt(19)
	v_fma_f64 v[79:80], v[90:91], v[88:89], v[79:80]
	ds_read2_b64 v[86:89], v81 offset0:55 offset1:56
	s_waitcnt vmcnt(18) lgkmcnt(1)
	v_fma_f64 v[79:80], v[114:115], v[82:83], v[79:80]
	s_waitcnt vmcnt(17)
	v_fma_f64 v[79:80], v[112:113], v[84:85], v[79:80]
	buffer_load_dword v91, off, s[0:3], 0 offset:196
	buffer_load_dword v104, off, s[0:3], 0 offset:216
	;; [unrolled: 1-line block ×7, first 2 shown]
	s_waitcnt vmcnt(23) lgkmcnt(0)
	v_fma_f64 v[79:80], v[110:111], v[86:87], v[79:80]
	s_waitcnt vmcnt(18)
	v_fma_f64 v[79:80], v[92:93], v[88:89], v[79:80]
	ds_read2_b64 v[82:85], v81 offset0:57 offset1:58
	ds_read2_b64 v[86:89], v81 offset0:59 offset1:60
	buffer_load_dword v105, off, s[0:3], 0 offset:220
	s_waitcnt vmcnt(18) lgkmcnt(1)
	v_fma_f64 v[79:80], v[98:99], v[82:83], v[79:80]
	s_waitcnt vmcnt(17)
	v_fma_f64 v[79:80], v[96:97], v[84:85], v[79:80]
	buffer_load_dword v93, off, s[0:3], 0 offset:228
	buffer_load_dword v96, off, s[0:3], 0 offset:248
	;; [unrolled: 1-line block ×8, first 2 shown]
	ds_read2_b64 v[82:85], v81 offset0:61 offset1:62
	s_waitcnt vmcnt(24) lgkmcnt(1)
	v_fma_f64 v[79:80], v[94:95], v[86:87], v[79:80]
	s_waitcnt vmcnt(19)
	v_fma_f64 v[79:80], v[100:101], v[88:89], v[79:80]
	ds_read2_b64 v[86:89], v81 offset0:63 offset1:64
	s_waitcnt vmcnt(18) lgkmcnt(1)
	v_fma_f64 v[79:80], v[108:109], v[82:83], v[79:80]
	s_waitcnt vmcnt(17)
	v_fma_f64 v[79:80], v[106:107], v[84:85], v[79:80]
	buffer_load_dword v95, off, s[0:3], 0 offset:260
	buffer_load_dword v100, off, s[0:3], 0 offset:280
	;; [unrolled: 1-line block ×8, first 2 shown]
	ds_read2_b64 v[82:85], v81 offset0:65 offset1:66
	s_waitcnt vmcnt(24) lgkmcnt(1)
	v_fma_f64 v[79:80], v[102:103], v[86:87], v[79:80]
	s_waitcnt vmcnt(19)
	v_fma_f64 v[79:80], v[90:91], v[88:89], v[79:80]
	ds_read2_b64 v[86:89], v81 offset0:67 offset1:68
	s_waitcnt vmcnt(18) lgkmcnt(1)
	v_fma_f64 v[79:80], v[114:115], v[82:83], v[79:80]
	s_waitcnt vmcnt(17)
	v_fma_f64 v[82:83], v[112:113], v[84:85], v[79:80]
	buffer_load_dword v91, off, s[0:3], 0 offset:292
	buffer_load_dword v102, off, s[0:3], 0 offset:304
	;; [unrolled: 1-line block ×6, first 2 shown]
	s_waitcnt vmcnt(22) lgkmcnt(0)
	v_fma_f64 v[82:83], v[104:105], v[86:87], v[82:83]
	s_waitcnt vmcnt(17)
	v_fma_f64 v[92:93], v[92:93], v[88:89], v[82:83]
	ds_read2_b64 v[82:85], v81 offset0:69 offset1:70
	buffer_load_dword v104, off, s[0:3], 0
	buffer_load_dword v105, off, s[0:3], 0 offset:4
	ds_read2_b64 v[86:89], v81 offset0:71 offset1:72
	s_waitcnt vmcnt(18) lgkmcnt(1)
	v_fma_f64 v[82:83], v[110:111], v[82:83], v[92:93]
	s_waitcnt vmcnt(17)
	v_fma_f64 v[82:83], v[98:99], v[84:85], v[82:83]
	s_waitcnt vmcnt(16) lgkmcnt(0)
	v_fma_f64 v[82:83], v[96:97], v[86:87], v[82:83]
	s_waitcnt vmcnt(11)
	v_fma_f64 v[92:93], v[94:95], v[88:89], v[82:83]
	ds_read2_b64 v[82:85], v81 offset0:73 offset1:74
	ds_read2_b64 v[86:89], v81 offset0:75 offset1:76
	s_waitcnt vmcnt(10) lgkmcnt(1)
	v_fma_f64 v[82:83], v[108:109], v[82:83], v[92:93]
	s_waitcnt vmcnt(9)
	v_fma_f64 v[82:83], v[106:107], v[84:85], v[82:83]
	s_waitcnt vmcnt(8) lgkmcnt(0)
	v_fma_f64 v[82:83], v[100:101], v[86:87], v[82:83]
	s_waitcnt vmcnt(4)
	v_fma_f64 v[85:86], v[90:91], v[88:89], v[82:83]
	ds_read2_b64 v[81:84], v81 offset0:77 offset1:78
	s_waitcnt vmcnt(3) lgkmcnt(0)
	v_fma_f64 v[81:82], v[79:80], v[81:82], v[85:86]
	s_waitcnt vmcnt(2)
	v_fma_f64 v[81:82], v[102:103], v[83:84], v[81:82]
	s_waitcnt vmcnt(0)
	v_add_f64 v[81:82], v[104:105], -v[81:82]
	buffer_store_dword v82, off, s[0:3], 0 offset:4
	buffer_store_dword v81, off, s[0:3], 0
	s_cbranch_vccz .LBB102_318
; %bb.242:
	v_mov_b32_e32 v0, 0
	global_load_dword v81, v0, s[12:13] offset:148
	s_waitcnt vmcnt(0)
	v_add_u32_e32 v81, -1, v81
	v_cmp_ne_u32_e32 vcc, 37, v81
	s_cbranch_vccz .LBB102_244
; %bb.243:
	v_lshlrev_b32_e32 v81, 3, v81
	buffer_load_dword v82, v81, s[0:3], 0 offen
	buffer_load_dword v83, v81, s[0:3], 0 offen offset:4
	s_waitcnt vmcnt(1)
	buffer_store_dword v82, off, s[0:3], 0 offset:296
	s_waitcnt vmcnt(1)
	buffer_store_dword v83, off, s[0:3], 0 offset:300
	buffer_store_dword v79, v81, s[0:3], 0 offen
	buffer_store_dword v80, v81, s[0:3], 0 offen offset:4
.LBB102_244:
	global_load_dword v0, v0, s[12:13] offset:144
	s_waitcnt vmcnt(0)
	v_add_u32_e32 v0, -1, v0
	v_cmp_eq_u32_e32 vcc, 36, v0
	s_cbranch_vccnz .LBB102_246
; %bb.245:
	v_lshlrev_b32_e32 v0, 3, v0
	buffer_load_dword v79, v0, s[0:3], 0 offen
	buffer_load_dword v80, v0, s[0:3], 0 offen offset:4
	buffer_load_dword v81, off, s[0:3], 0 offset:292
	buffer_load_dword v82, off, s[0:3], 0 offset:288
	s_waitcnt vmcnt(3)
	buffer_store_dword v79, off, s[0:3], 0 offset:288
	s_waitcnt vmcnt(3)
	buffer_store_dword v80, off, s[0:3], 0 offset:292
	s_waitcnt vmcnt(3)
	buffer_store_dword v81, v0, s[0:3], 0 offen offset:4
	s_waitcnt vmcnt(3)
	buffer_store_dword v82, v0, s[0:3], 0 offen
.LBB102_246:
	v_mov_b32_e32 v0, 0
	global_load_dword v79, v0, s[12:13] offset:140
	s_waitcnt vmcnt(0)
	v_add_u32_e32 v79, -1, v79
	v_cmp_eq_u32_e32 vcc, 35, v79
	s_cbranch_vccnz .LBB102_248
; %bb.247:
	v_lshlrev_b32_e32 v79, 3, v79
	buffer_load_dword v80, v79, s[0:3], 0 offen
	buffer_load_dword v81, v79, s[0:3], 0 offen offset:4
	buffer_load_dword v82, off, s[0:3], 0 offset:280
	buffer_load_dword v83, off, s[0:3], 0 offset:284
	s_waitcnt vmcnt(3)
	buffer_store_dword v80, off, s[0:3], 0 offset:280
	s_waitcnt vmcnt(3)
	buffer_store_dword v81, off, s[0:3], 0 offset:284
	s_waitcnt vmcnt(3)
	buffer_store_dword v82, v79, s[0:3], 0 offen
	s_waitcnt vmcnt(3)
	buffer_store_dword v83, v79, s[0:3], 0 offen offset:4
.LBB102_248:
	global_load_dword v0, v0, s[12:13] offset:136
	s_waitcnt vmcnt(0)
	v_add_u32_e32 v0, -1, v0
	v_cmp_eq_u32_e32 vcc, 34, v0
	s_cbranch_vccnz .LBB102_250
; %bb.249:
	v_lshlrev_b32_e32 v0, 3, v0
	buffer_load_dword v79, v0, s[0:3], 0 offen
	buffer_load_dword v80, v0, s[0:3], 0 offen offset:4
	buffer_load_dword v81, off, s[0:3], 0 offset:276
	buffer_load_dword v82, off, s[0:3], 0 offset:272
	s_waitcnt vmcnt(3)
	buffer_store_dword v79, off, s[0:3], 0 offset:272
	s_waitcnt vmcnt(3)
	buffer_store_dword v80, off, s[0:3], 0 offset:276
	s_waitcnt vmcnt(3)
	buffer_store_dword v81, v0, s[0:3], 0 offen offset:4
	s_waitcnt vmcnt(3)
	buffer_store_dword v82, v0, s[0:3], 0 offen
.LBB102_250:
	v_mov_b32_e32 v0, 0
	global_load_dword v79, v0, s[12:13] offset:132
	s_waitcnt vmcnt(0)
	v_add_u32_e32 v79, -1, v79
	v_cmp_eq_u32_e32 vcc, 33, v79
	s_cbranch_vccnz .LBB102_252
; %bb.251:
	v_lshlrev_b32_e32 v79, 3, v79
	buffer_load_dword v80, v79, s[0:3], 0 offen
	buffer_load_dword v81, v79, s[0:3], 0 offen offset:4
	buffer_load_dword v82, off, s[0:3], 0 offset:264
	buffer_load_dword v83, off, s[0:3], 0 offset:268
	s_waitcnt vmcnt(3)
	buffer_store_dword v80, off, s[0:3], 0 offset:264
	s_waitcnt vmcnt(3)
	buffer_store_dword v81, off, s[0:3], 0 offset:268
	s_waitcnt vmcnt(3)
	buffer_store_dword v82, v79, s[0:3], 0 offen
	s_waitcnt vmcnt(3)
	buffer_store_dword v83, v79, s[0:3], 0 offen offset:4
.LBB102_252:
	global_load_dword v0, v0, s[12:13] offset:128
	s_waitcnt vmcnt(0)
	v_add_u32_e32 v0, -1, v0
	v_cmp_eq_u32_e32 vcc, 32, v0
	s_cbranch_vccnz .LBB102_254
; %bb.253:
	v_lshlrev_b32_e32 v0, 3, v0
	buffer_load_dword v79, v0, s[0:3], 0 offen
	buffer_load_dword v80, v0, s[0:3], 0 offen offset:4
	buffer_load_dword v81, off, s[0:3], 0 offset:260
	buffer_load_dword v82, off, s[0:3], 0 offset:256
	s_waitcnt vmcnt(3)
	buffer_store_dword v79, off, s[0:3], 0 offset:256
	s_waitcnt vmcnt(3)
	buffer_store_dword v80, off, s[0:3], 0 offset:260
	s_waitcnt vmcnt(3)
	buffer_store_dword v81, v0, s[0:3], 0 offen offset:4
	s_waitcnt vmcnt(3)
	buffer_store_dword v82, v0, s[0:3], 0 offen
.LBB102_254:
	v_mov_b32_e32 v0, 0
	global_load_dword v79, v0, s[12:13] offset:124
	s_waitcnt vmcnt(0)
	v_add_u32_e32 v79, -1, v79
	v_cmp_eq_u32_e32 vcc, 31, v79
	s_cbranch_vccnz .LBB102_256
; %bb.255:
	v_lshlrev_b32_e32 v79, 3, v79
	buffer_load_dword v80, v79, s[0:3], 0 offen
	buffer_load_dword v81, v79, s[0:3], 0 offen offset:4
	buffer_load_dword v82, off, s[0:3], 0 offset:248
	buffer_load_dword v83, off, s[0:3], 0 offset:252
	s_waitcnt vmcnt(3)
	buffer_store_dword v80, off, s[0:3], 0 offset:248
	s_waitcnt vmcnt(3)
	buffer_store_dword v81, off, s[0:3], 0 offset:252
	s_waitcnt vmcnt(3)
	buffer_store_dword v82, v79, s[0:3], 0 offen
	s_waitcnt vmcnt(3)
	buffer_store_dword v83, v79, s[0:3], 0 offen offset:4
.LBB102_256:
	global_load_dword v0, v0, s[12:13] offset:120
	s_waitcnt vmcnt(0)
	v_add_u32_e32 v0, -1, v0
	v_cmp_eq_u32_e32 vcc, 30, v0
	s_cbranch_vccnz .LBB102_258
; %bb.257:
	v_lshlrev_b32_e32 v0, 3, v0
	buffer_load_dword v79, v0, s[0:3], 0 offen
	buffer_load_dword v80, v0, s[0:3], 0 offen offset:4
	buffer_load_dword v81, off, s[0:3], 0 offset:244
	buffer_load_dword v82, off, s[0:3], 0 offset:240
	s_waitcnt vmcnt(3)
	buffer_store_dword v79, off, s[0:3], 0 offset:240
	s_waitcnt vmcnt(3)
	buffer_store_dword v80, off, s[0:3], 0 offset:244
	s_waitcnt vmcnt(3)
	buffer_store_dword v81, v0, s[0:3], 0 offen offset:4
	s_waitcnt vmcnt(3)
	buffer_store_dword v82, v0, s[0:3], 0 offen
.LBB102_258:
	v_mov_b32_e32 v0, 0
	global_load_dword v79, v0, s[12:13] offset:116
	s_waitcnt vmcnt(0)
	v_add_u32_e32 v79, -1, v79
	v_cmp_eq_u32_e32 vcc, 29, v79
	s_cbranch_vccnz .LBB102_260
; %bb.259:
	v_lshlrev_b32_e32 v79, 3, v79
	buffer_load_dword v80, v79, s[0:3], 0 offen
	buffer_load_dword v81, v79, s[0:3], 0 offen offset:4
	buffer_load_dword v82, off, s[0:3], 0 offset:232
	buffer_load_dword v83, off, s[0:3], 0 offset:236
	s_waitcnt vmcnt(3)
	buffer_store_dword v80, off, s[0:3], 0 offset:232
	s_waitcnt vmcnt(3)
	buffer_store_dword v81, off, s[0:3], 0 offset:236
	s_waitcnt vmcnt(3)
	buffer_store_dword v82, v79, s[0:3], 0 offen
	s_waitcnt vmcnt(3)
	buffer_store_dword v83, v79, s[0:3], 0 offen offset:4
.LBB102_260:
	global_load_dword v0, v0, s[12:13] offset:112
	s_waitcnt vmcnt(0)
	v_add_u32_e32 v0, -1, v0
	v_cmp_eq_u32_e32 vcc, 28, v0
	s_cbranch_vccnz .LBB102_262
; %bb.261:
	v_lshlrev_b32_e32 v0, 3, v0
	buffer_load_dword v79, v0, s[0:3], 0 offen
	buffer_load_dword v80, v0, s[0:3], 0 offen offset:4
	buffer_load_dword v81, off, s[0:3], 0 offset:228
	buffer_load_dword v82, off, s[0:3], 0 offset:224
	s_waitcnt vmcnt(3)
	buffer_store_dword v79, off, s[0:3], 0 offset:224
	s_waitcnt vmcnt(3)
	buffer_store_dword v80, off, s[0:3], 0 offset:228
	s_waitcnt vmcnt(3)
	buffer_store_dword v81, v0, s[0:3], 0 offen offset:4
	s_waitcnt vmcnt(3)
	buffer_store_dword v82, v0, s[0:3], 0 offen
.LBB102_262:
	v_mov_b32_e32 v0, 0
	global_load_dword v79, v0, s[12:13] offset:108
	s_waitcnt vmcnt(0)
	v_add_u32_e32 v79, -1, v79
	v_cmp_eq_u32_e32 vcc, 27, v79
	s_cbranch_vccnz .LBB102_264
; %bb.263:
	v_lshlrev_b32_e32 v79, 3, v79
	buffer_load_dword v80, v79, s[0:3], 0 offen
	buffer_load_dword v81, v79, s[0:3], 0 offen offset:4
	buffer_load_dword v82, off, s[0:3], 0 offset:216
	buffer_load_dword v83, off, s[0:3], 0 offset:220
	s_waitcnt vmcnt(3)
	buffer_store_dword v80, off, s[0:3], 0 offset:216
	s_waitcnt vmcnt(3)
	buffer_store_dword v81, off, s[0:3], 0 offset:220
	s_waitcnt vmcnt(3)
	buffer_store_dword v82, v79, s[0:3], 0 offen
	s_waitcnt vmcnt(3)
	buffer_store_dword v83, v79, s[0:3], 0 offen offset:4
.LBB102_264:
	global_load_dword v0, v0, s[12:13] offset:104
	s_waitcnt vmcnt(0)
	v_add_u32_e32 v0, -1, v0
	v_cmp_eq_u32_e32 vcc, 26, v0
	s_cbranch_vccnz .LBB102_266
; %bb.265:
	v_lshlrev_b32_e32 v0, 3, v0
	buffer_load_dword v79, v0, s[0:3], 0 offen
	buffer_load_dword v80, v0, s[0:3], 0 offen offset:4
	buffer_load_dword v81, off, s[0:3], 0 offset:212
	buffer_load_dword v82, off, s[0:3], 0 offset:208
	s_waitcnt vmcnt(3)
	buffer_store_dword v79, off, s[0:3], 0 offset:208
	s_waitcnt vmcnt(3)
	buffer_store_dword v80, off, s[0:3], 0 offset:212
	s_waitcnt vmcnt(3)
	buffer_store_dword v81, v0, s[0:3], 0 offen offset:4
	s_waitcnt vmcnt(3)
	buffer_store_dword v82, v0, s[0:3], 0 offen
.LBB102_266:
	v_mov_b32_e32 v0, 0
	global_load_dword v79, v0, s[12:13] offset:100
	s_waitcnt vmcnt(0)
	v_add_u32_e32 v79, -1, v79
	v_cmp_eq_u32_e32 vcc, 25, v79
	s_cbranch_vccnz .LBB102_268
; %bb.267:
	v_lshlrev_b32_e32 v79, 3, v79
	buffer_load_dword v80, v79, s[0:3], 0 offen
	buffer_load_dword v81, v79, s[0:3], 0 offen offset:4
	buffer_load_dword v82, off, s[0:3], 0 offset:200
	buffer_load_dword v83, off, s[0:3], 0 offset:204
	s_waitcnt vmcnt(3)
	buffer_store_dword v80, off, s[0:3], 0 offset:200
	s_waitcnt vmcnt(3)
	buffer_store_dword v81, off, s[0:3], 0 offset:204
	s_waitcnt vmcnt(3)
	buffer_store_dword v82, v79, s[0:3], 0 offen
	s_waitcnt vmcnt(3)
	buffer_store_dword v83, v79, s[0:3], 0 offen offset:4
.LBB102_268:
	global_load_dword v0, v0, s[12:13] offset:96
	s_waitcnt vmcnt(0)
	v_add_u32_e32 v0, -1, v0
	v_cmp_eq_u32_e32 vcc, 24, v0
	s_cbranch_vccnz .LBB102_270
; %bb.269:
	v_lshlrev_b32_e32 v0, 3, v0
	buffer_load_dword v79, v0, s[0:3], 0 offen
	buffer_load_dword v80, v0, s[0:3], 0 offen offset:4
	buffer_load_dword v81, off, s[0:3], 0 offset:196
	buffer_load_dword v82, off, s[0:3], 0 offset:192
	s_waitcnt vmcnt(3)
	buffer_store_dword v79, off, s[0:3], 0 offset:192
	s_waitcnt vmcnt(3)
	buffer_store_dword v80, off, s[0:3], 0 offset:196
	s_waitcnt vmcnt(3)
	buffer_store_dword v81, v0, s[0:3], 0 offen offset:4
	s_waitcnt vmcnt(3)
	buffer_store_dword v82, v0, s[0:3], 0 offen
.LBB102_270:
	v_mov_b32_e32 v0, 0
	global_load_dword v79, v0, s[12:13] offset:92
	s_waitcnt vmcnt(0)
	v_add_u32_e32 v79, -1, v79
	v_cmp_eq_u32_e32 vcc, 23, v79
	s_cbranch_vccnz .LBB102_272
; %bb.271:
	v_lshlrev_b32_e32 v79, 3, v79
	buffer_load_dword v80, v79, s[0:3], 0 offen
	buffer_load_dword v81, v79, s[0:3], 0 offen offset:4
	buffer_load_dword v82, off, s[0:3], 0 offset:184
	buffer_load_dword v83, off, s[0:3], 0 offset:188
	s_waitcnt vmcnt(3)
	buffer_store_dword v80, off, s[0:3], 0 offset:184
	s_waitcnt vmcnt(3)
	buffer_store_dword v81, off, s[0:3], 0 offset:188
	s_waitcnt vmcnt(3)
	buffer_store_dword v82, v79, s[0:3], 0 offen
	s_waitcnt vmcnt(3)
	buffer_store_dword v83, v79, s[0:3], 0 offen offset:4
.LBB102_272:
	global_load_dword v0, v0, s[12:13] offset:88
	s_waitcnt vmcnt(0)
	v_add_u32_e32 v0, -1, v0
	v_cmp_eq_u32_e32 vcc, 22, v0
	s_cbranch_vccnz .LBB102_274
; %bb.273:
	v_lshlrev_b32_e32 v0, 3, v0
	buffer_load_dword v79, v0, s[0:3], 0 offen
	buffer_load_dword v80, v0, s[0:3], 0 offen offset:4
	buffer_load_dword v81, off, s[0:3], 0 offset:180
	buffer_load_dword v82, off, s[0:3], 0 offset:176
	s_waitcnt vmcnt(3)
	buffer_store_dword v79, off, s[0:3], 0 offset:176
	s_waitcnt vmcnt(3)
	buffer_store_dword v80, off, s[0:3], 0 offset:180
	s_waitcnt vmcnt(3)
	buffer_store_dword v81, v0, s[0:3], 0 offen offset:4
	s_waitcnt vmcnt(3)
	buffer_store_dword v82, v0, s[0:3], 0 offen
.LBB102_274:
	v_mov_b32_e32 v0, 0
	global_load_dword v79, v0, s[12:13] offset:84
	s_waitcnt vmcnt(0)
	v_add_u32_e32 v79, -1, v79
	v_cmp_eq_u32_e32 vcc, 21, v79
	s_cbranch_vccnz .LBB102_276
; %bb.275:
	v_lshlrev_b32_e32 v79, 3, v79
	buffer_load_dword v80, v79, s[0:3], 0 offen
	buffer_load_dword v81, v79, s[0:3], 0 offen offset:4
	buffer_load_dword v82, off, s[0:3], 0 offset:168
	buffer_load_dword v83, off, s[0:3], 0 offset:172
	s_waitcnt vmcnt(3)
	buffer_store_dword v80, off, s[0:3], 0 offset:168
	s_waitcnt vmcnt(3)
	buffer_store_dword v81, off, s[0:3], 0 offset:172
	s_waitcnt vmcnt(3)
	buffer_store_dword v82, v79, s[0:3], 0 offen
	s_waitcnt vmcnt(3)
	buffer_store_dword v83, v79, s[0:3], 0 offen offset:4
.LBB102_276:
	global_load_dword v0, v0, s[12:13] offset:80
	s_waitcnt vmcnt(0)
	v_add_u32_e32 v0, -1, v0
	v_cmp_eq_u32_e32 vcc, 20, v0
	s_cbranch_vccnz .LBB102_278
; %bb.277:
	v_lshlrev_b32_e32 v0, 3, v0
	buffer_load_dword v79, v0, s[0:3], 0 offen
	buffer_load_dword v80, v0, s[0:3], 0 offen offset:4
	buffer_load_dword v81, off, s[0:3], 0 offset:164
	buffer_load_dword v82, off, s[0:3], 0 offset:160
	s_waitcnt vmcnt(3)
	buffer_store_dword v79, off, s[0:3], 0 offset:160
	s_waitcnt vmcnt(3)
	buffer_store_dword v80, off, s[0:3], 0 offset:164
	s_waitcnt vmcnt(3)
	buffer_store_dword v81, v0, s[0:3], 0 offen offset:4
	s_waitcnt vmcnt(3)
	buffer_store_dword v82, v0, s[0:3], 0 offen
.LBB102_278:
	v_mov_b32_e32 v0, 0
	global_load_dword v79, v0, s[12:13] offset:76
	s_waitcnt vmcnt(0)
	v_add_u32_e32 v79, -1, v79
	v_cmp_eq_u32_e32 vcc, 19, v79
	s_cbranch_vccnz .LBB102_280
; %bb.279:
	v_lshlrev_b32_e32 v79, 3, v79
	buffer_load_dword v80, v79, s[0:3], 0 offen
	buffer_load_dword v81, v79, s[0:3], 0 offen offset:4
	buffer_load_dword v82, off, s[0:3], 0 offset:152
	buffer_load_dword v83, off, s[0:3], 0 offset:156
	s_waitcnt vmcnt(3)
	buffer_store_dword v80, off, s[0:3], 0 offset:152
	s_waitcnt vmcnt(3)
	buffer_store_dword v81, off, s[0:3], 0 offset:156
	s_waitcnt vmcnt(3)
	buffer_store_dword v82, v79, s[0:3], 0 offen
	s_waitcnt vmcnt(3)
	buffer_store_dword v83, v79, s[0:3], 0 offen offset:4
.LBB102_280:
	global_load_dword v0, v0, s[12:13] offset:72
	s_waitcnt vmcnt(0)
	v_add_u32_e32 v0, -1, v0
	v_cmp_eq_u32_e32 vcc, 18, v0
	s_cbranch_vccnz .LBB102_282
; %bb.281:
	v_lshlrev_b32_e32 v0, 3, v0
	buffer_load_dword v79, v0, s[0:3], 0 offen
	buffer_load_dword v80, v0, s[0:3], 0 offen offset:4
	buffer_load_dword v81, off, s[0:3], 0 offset:148
	buffer_load_dword v82, off, s[0:3], 0 offset:144
	s_waitcnt vmcnt(3)
	buffer_store_dword v79, off, s[0:3], 0 offset:144
	s_waitcnt vmcnt(3)
	buffer_store_dword v80, off, s[0:3], 0 offset:148
	s_waitcnt vmcnt(3)
	buffer_store_dword v81, v0, s[0:3], 0 offen offset:4
	s_waitcnt vmcnt(3)
	buffer_store_dword v82, v0, s[0:3], 0 offen
.LBB102_282:
	v_mov_b32_e32 v0, 0
	global_load_dword v79, v0, s[12:13] offset:68
	s_waitcnt vmcnt(0)
	v_add_u32_e32 v79, -1, v79
	v_cmp_eq_u32_e32 vcc, 17, v79
	s_cbranch_vccnz .LBB102_284
; %bb.283:
	v_lshlrev_b32_e32 v79, 3, v79
	buffer_load_dword v80, v79, s[0:3], 0 offen
	buffer_load_dword v81, v79, s[0:3], 0 offen offset:4
	buffer_load_dword v82, off, s[0:3], 0 offset:136
	buffer_load_dword v83, off, s[0:3], 0 offset:140
	s_waitcnt vmcnt(3)
	buffer_store_dword v80, off, s[0:3], 0 offset:136
	s_waitcnt vmcnt(3)
	buffer_store_dword v81, off, s[0:3], 0 offset:140
	s_waitcnt vmcnt(3)
	buffer_store_dword v82, v79, s[0:3], 0 offen
	s_waitcnt vmcnt(3)
	buffer_store_dword v83, v79, s[0:3], 0 offen offset:4
.LBB102_284:
	global_load_dword v0, v0, s[12:13] offset:64
	s_waitcnt vmcnt(0)
	v_add_u32_e32 v0, -1, v0
	v_cmp_eq_u32_e32 vcc, 16, v0
	s_cbranch_vccnz .LBB102_286
; %bb.285:
	v_lshlrev_b32_e32 v0, 3, v0
	buffer_load_dword v79, v0, s[0:3], 0 offen
	buffer_load_dword v80, v0, s[0:3], 0 offen offset:4
	buffer_load_dword v81, off, s[0:3], 0 offset:132
	buffer_load_dword v82, off, s[0:3], 0 offset:128
	s_waitcnt vmcnt(3)
	buffer_store_dword v79, off, s[0:3], 0 offset:128
	s_waitcnt vmcnt(3)
	buffer_store_dword v80, off, s[0:3], 0 offset:132
	s_waitcnt vmcnt(3)
	buffer_store_dword v81, v0, s[0:3], 0 offen offset:4
	s_waitcnt vmcnt(3)
	buffer_store_dword v82, v0, s[0:3], 0 offen
.LBB102_286:
	v_mov_b32_e32 v0, 0
	global_load_dword v79, v0, s[12:13] offset:60
	s_waitcnt vmcnt(0)
	v_add_u32_e32 v79, -1, v79
	v_cmp_eq_u32_e32 vcc, 15, v79
	s_cbranch_vccnz .LBB102_288
; %bb.287:
	v_lshlrev_b32_e32 v79, 3, v79
	buffer_load_dword v80, v79, s[0:3], 0 offen
	buffer_load_dword v81, v79, s[0:3], 0 offen offset:4
	buffer_load_dword v82, off, s[0:3], 0 offset:120
	buffer_load_dword v83, off, s[0:3], 0 offset:124
	s_waitcnt vmcnt(3)
	buffer_store_dword v80, off, s[0:3], 0 offset:120
	s_waitcnt vmcnt(3)
	buffer_store_dword v81, off, s[0:3], 0 offset:124
	s_waitcnt vmcnt(3)
	buffer_store_dword v82, v79, s[0:3], 0 offen
	s_waitcnt vmcnt(3)
	buffer_store_dword v83, v79, s[0:3], 0 offen offset:4
.LBB102_288:
	global_load_dword v0, v0, s[12:13] offset:56
	s_waitcnt vmcnt(0)
	v_add_u32_e32 v0, -1, v0
	v_cmp_eq_u32_e32 vcc, 14, v0
	s_cbranch_vccnz .LBB102_290
; %bb.289:
	v_lshlrev_b32_e32 v0, 3, v0
	buffer_load_dword v79, v0, s[0:3], 0 offen
	buffer_load_dword v80, v0, s[0:3], 0 offen offset:4
	buffer_load_dword v81, off, s[0:3], 0 offset:116
	buffer_load_dword v82, off, s[0:3], 0 offset:112
	s_waitcnt vmcnt(3)
	buffer_store_dword v79, off, s[0:3], 0 offset:112
	s_waitcnt vmcnt(3)
	buffer_store_dword v80, off, s[0:3], 0 offset:116
	s_waitcnt vmcnt(3)
	buffer_store_dword v81, v0, s[0:3], 0 offen offset:4
	s_waitcnt vmcnt(3)
	buffer_store_dword v82, v0, s[0:3], 0 offen
.LBB102_290:
	v_mov_b32_e32 v0, 0
	global_load_dword v79, v0, s[12:13] offset:52
	s_waitcnt vmcnt(0)
	v_add_u32_e32 v79, -1, v79
	v_cmp_eq_u32_e32 vcc, 13, v79
	s_cbranch_vccnz .LBB102_292
; %bb.291:
	v_lshlrev_b32_e32 v79, 3, v79
	buffer_load_dword v80, v79, s[0:3], 0 offen
	buffer_load_dword v81, v79, s[0:3], 0 offen offset:4
	buffer_load_dword v82, off, s[0:3], 0 offset:104
	buffer_load_dword v83, off, s[0:3], 0 offset:108
	s_waitcnt vmcnt(3)
	buffer_store_dword v80, off, s[0:3], 0 offset:104
	s_waitcnt vmcnt(3)
	buffer_store_dword v81, off, s[0:3], 0 offset:108
	s_waitcnt vmcnt(3)
	buffer_store_dword v82, v79, s[0:3], 0 offen
	s_waitcnt vmcnt(3)
	buffer_store_dword v83, v79, s[0:3], 0 offen offset:4
.LBB102_292:
	global_load_dword v0, v0, s[12:13] offset:48
	s_waitcnt vmcnt(0)
	v_add_u32_e32 v0, -1, v0
	v_cmp_eq_u32_e32 vcc, 12, v0
	s_cbranch_vccnz .LBB102_294
; %bb.293:
	v_lshlrev_b32_e32 v0, 3, v0
	buffer_load_dword v79, v0, s[0:3], 0 offen
	buffer_load_dword v80, v0, s[0:3], 0 offen offset:4
	buffer_load_dword v81, off, s[0:3], 0 offset:100
	buffer_load_dword v82, off, s[0:3], 0 offset:96
	s_waitcnt vmcnt(3)
	buffer_store_dword v79, off, s[0:3], 0 offset:96
	s_waitcnt vmcnt(3)
	buffer_store_dword v80, off, s[0:3], 0 offset:100
	s_waitcnt vmcnt(3)
	buffer_store_dword v81, v0, s[0:3], 0 offen offset:4
	s_waitcnt vmcnt(3)
	buffer_store_dword v82, v0, s[0:3], 0 offen
.LBB102_294:
	v_mov_b32_e32 v0, 0
	global_load_dword v79, v0, s[12:13] offset:44
	s_waitcnt vmcnt(0)
	v_add_u32_e32 v79, -1, v79
	v_cmp_eq_u32_e32 vcc, 11, v79
	s_cbranch_vccnz .LBB102_296
; %bb.295:
	v_lshlrev_b32_e32 v79, 3, v79
	buffer_load_dword v80, v79, s[0:3], 0 offen
	buffer_load_dword v81, v79, s[0:3], 0 offen offset:4
	buffer_load_dword v82, off, s[0:3], 0 offset:88
	buffer_load_dword v83, off, s[0:3], 0 offset:92
	s_waitcnt vmcnt(3)
	buffer_store_dword v80, off, s[0:3], 0 offset:88
	s_waitcnt vmcnt(3)
	buffer_store_dword v81, off, s[0:3], 0 offset:92
	s_waitcnt vmcnt(3)
	buffer_store_dword v82, v79, s[0:3], 0 offen
	s_waitcnt vmcnt(3)
	buffer_store_dword v83, v79, s[0:3], 0 offen offset:4
.LBB102_296:
	global_load_dword v0, v0, s[12:13] offset:40
	s_waitcnt vmcnt(0)
	v_add_u32_e32 v0, -1, v0
	v_cmp_eq_u32_e32 vcc, 10, v0
	s_cbranch_vccnz .LBB102_298
; %bb.297:
	v_lshlrev_b32_e32 v0, 3, v0
	buffer_load_dword v79, v0, s[0:3], 0 offen
	buffer_load_dword v80, v0, s[0:3], 0 offen offset:4
	buffer_load_dword v81, off, s[0:3], 0 offset:84
	buffer_load_dword v82, off, s[0:3], 0 offset:80
	s_waitcnt vmcnt(3)
	buffer_store_dword v79, off, s[0:3], 0 offset:80
	s_waitcnt vmcnt(3)
	buffer_store_dword v80, off, s[0:3], 0 offset:84
	s_waitcnt vmcnt(3)
	buffer_store_dword v81, v0, s[0:3], 0 offen offset:4
	s_waitcnt vmcnt(3)
	buffer_store_dword v82, v0, s[0:3], 0 offen
.LBB102_298:
	v_mov_b32_e32 v0, 0
	global_load_dword v79, v0, s[12:13] offset:36
	s_waitcnt vmcnt(0)
	v_add_u32_e32 v79, -1, v79
	v_cmp_eq_u32_e32 vcc, 9, v79
	s_cbranch_vccnz .LBB102_300
; %bb.299:
	v_lshlrev_b32_e32 v79, 3, v79
	buffer_load_dword v80, v79, s[0:3], 0 offen
	buffer_load_dword v81, v79, s[0:3], 0 offen offset:4
	buffer_load_dword v82, off, s[0:3], 0 offset:72
	buffer_load_dword v83, off, s[0:3], 0 offset:76
	s_waitcnt vmcnt(3)
	buffer_store_dword v80, off, s[0:3], 0 offset:72
	s_waitcnt vmcnt(3)
	buffer_store_dword v81, off, s[0:3], 0 offset:76
	s_waitcnt vmcnt(3)
	buffer_store_dword v82, v79, s[0:3], 0 offen
	s_waitcnt vmcnt(3)
	buffer_store_dword v83, v79, s[0:3], 0 offen offset:4
.LBB102_300:
	global_load_dword v0, v0, s[12:13] offset:32
	s_waitcnt vmcnt(0)
	v_add_u32_e32 v0, -1, v0
	v_cmp_eq_u32_e32 vcc, 8, v0
	s_cbranch_vccnz .LBB102_302
; %bb.301:
	v_lshlrev_b32_e32 v0, 3, v0
	buffer_load_dword v79, v0, s[0:3], 0 offen
	buffer_load_dword v80, v0, s[0:3], 0 offen offset:4
	buffer_load_dword v81, off, s[0:3], 0 offset:68
	buffer_load_dword v82, off, s[0:3], 0 offset:64
	s_waitcnt vmcnt(3)
	buffer_store_dword v79, off, s[0:3], 0 offset:64
	s_waitcnt vmcnt(3)
	buffer_store_dword v80, off, s[0:3], 0 offset:68
	s_waitcnt vmcnt(3)
	buffer_store_dword v81, v0, s[0:3], 0 offen offset:4
	s_waitcnt vmcnt(3)
	buffer_store_dword v82, v0, s[0:3], 0 offen
.LBB102_302:
	v_mov_b32_e32 v0, 0
	global_load_dword v79, v0, s[12:13] offset:28
	s_waitcnt vmcnt(0)
	v_add_u32_e32 v79, -1, v79
	v_cmp_eq_u32_e32 vcc, 7, v79
	s_cbranch_vccnz .LBB102_304
; %bb.303:
	v_lshlrev_b32_e32 v79, 3, v79
	buffer_load_dword v80, v79, s[0:3], 0 offen
	buffer_load_dword v81, v79, s[0:3], 0 offen offset:4
	buffer_load_dword v82, off, s[0:3], 0 offset:56
	buffer_load_dword v83, off, s[0:3], 0 offset:60
	s_waitcnt vmcnt(3)
	buffer_store_dword v80, off, s[0:3], 0 offset:56
	s_waitcnt vmcnt(3)
	buffer_store_dword v81, off, s[0:3], 0 offset:60
	s_waitcnt vmcnt(3)
	buffer_store_dword v82, v79, s[0:3], 0 offen
	s_waitcnt vmcnt(3)
	buffer_store_dword v83, v79, s[0:3], 0 offen offset:4
.LBB102_304:
	global_load_dword v0, v0, s[12:13] offset:24
	s_waitcnt vmcnt(0)
	v_add_u32_e32 v0, -1, v0
	v_cmp_eq_u32_e32 vcc, 6, v0
	s_cbranch_vccnz .LBB102_306
; %bb.305:
	v_lshlrev_b32_e32 v0, 3, v0
	buffer_load_dword v79, v0, s[0:3], 0 offen
	buffer_load_dword v80, v0, s[0:3], 0 offen offset:4
	buffer_load_dword v81, off, s[0:3], 0 offset:52
	buffer_load_dword v82, off, s[0:3], 0 offset:48
	s_waitcnt vmcnt(3)
	buffer_store_dword v79, off, s[0:3], 0 offset:48
	s_waitcnt vmcnt(3)
	buffer_store_dword v80, off, s[0:3], 0 offset:52
	s_waitcnt vmcnt(3)
	buffer_store_dword v81, v0, s[0:3], 0 offen offset:4
	s_waitcnt vmcnt(3)
	buffer_store_dword v82, v0, s[0:3], 0 offen
.LBB102_306:
	v_mov_b32_e32 v0, 0
	global_load_dword v79, v0, s[12:13] offset:20
	s_waitcnt vmcnt(0)
	v_add_u32_e32 v79, -1, v79
	v_cmp_eq_u32_e32 vcc, 5, v79
	s_cbranch_vccnz .LBB102_308
; %bb.307:
	v_lshlrev_b32_e32 v79, 3, v79
	buffer_load_dword v80, v79, s[0:3], 0 offen
	buffer_load_dword v81, v79, s[0:3], 0 offen offset:4
	buffer_load_dword v82, off, s[0:3], 0 offset:40
	buffer_load_dword v83, off, s[0:3], 0 offset:44
	s_waitcnt vmcnt(3)
	buffer_store_dword v80, off, s[0:3], 0 offset:40
	s_waitcnt vmcnt(3)
	buffer_store_dword v81, off, s[0:3], 0 offset:44
	s_waitcnt vmcnt(3)
	buffer_store_dword v82, v79, s[0:3], 0 offen
	s_waitcnt vmcnt(3)
	buffer_store_dword v83, v79, s[0:3], 0 offen offset:4
.LBB102_308:
	global_load_dword v0, v0, s[12:13] offset:16
	s_waitcnt vmcnt(0)
	v_add_u32_e32 v0, -1, v0
	v_cmp_eq_u32_e32 vcc, 4, v0
	s_cbranch_vccnz .LBB102_310
; %bb.309:
	v_lshlrev_b32_e32 v0, 3, v0
	buffer_load_dword v79, v0, s[0:3], 0 offen
	buffer_load_dword v80, v0, s[0:3], 0 offen offset:4
	buffer_load_dword v81, off, s[0:3], 0 offset:36
	buffer_load_dword v82, off, s[0:3], 0 offset:32
	s_waitcnt vmcnt(3)
	buffer_store_dword v79, off, s[0:3], 0 offset:32
	s_waitcnt vmcnt(3)
	buffer_store_dword v80, off, s[0:3], 0 offset:36
	s_waitcnt vmcnt(3)
	buffer_store_dword v81, v0, s[0:3], 0 offen offset:4
	s_waitcnt vmcnt(3)
	buffer_store_dword v82, v0, s[0:3], 0 offen
.LBB102_310:
	v_mov_b32_e32 v0, 0
	global_load_dword v79, v0, s[12:13] offset:12
	s_waitcnt vmcnt(0)
	v_add_u32_e32 v79, -1, v79
	v_cmp_eq_u32_e32 vcc, 3, v79
	s_cbranch_vccnz .LBB102_312
; %bb.311:
	v_lshlrev_b32_e32 v79, 3, v79
	buffer_load_dword v80, v79, s[0:3], 0 offen
	buffer_load_dword v81, v79, s[0:3], 0 offen offset:4
	buffer_load_dword v82, off, s[0:3], 0 offset:24
	buffer_load_dword v83, off, s[0:3], 0 offset:28
	s_waitcnt vmcnt(3)
	buffer_store_dword v80, off, s[0:3], 0 offset:24
	s_waitcnt vmcnt(3)
	buffer_store_dword v81, off, s[0:3], 0 offset:28
	s_waitcnt vmcnt(3)
	buffer_store_dword v82, v79, s[0:3], 0 offen
	s_waitcnt vmcnt(3)
	buffer_store_dword v83, v79, s[0:3], 0 offen offset:4
.LBB102_312:
	global_load_dword v0, v0, s[12:13] offset:8
	s_waitcnt vmcnt(0)
	v_add_u32_e32 v0, -1, v0
	v_cmp_eq_u32_e32 vcc, 2, v0
	s_cbranch_vccnz .LBB102_314
; %bb.313:
	v_lshlrev_b32_e32 v0, 3, v0
	buffer_load_dword v79, v0, s[0:3], 0 offen
	buffer_load_dword v80, v0, s[0:3], 0 offen offset:4
	buffer_load_dword v81, off, s[0:3], 0 offset:20
	buffer_load_dword v82, off, s[0:3], 0 offset:16
	s_waitcnt vmcnt(3)
	buffer_store_dword v79, off, s[0:3], 0 offset:16
	s_waitcnt vmcnt(3)
	buffer_store_dword v80, off, s[0:3], 0 offset:20
	s_waitcnt vmcnt(3)
	buffer_store_dword v81, v0, s[0:3], 0 offen offset:4
	s_waitcnt vmcnt(3)
	buffer_store_dword v82, v0, s[0:3], 0 offen
.LBB102_314:
	v_mov_b32_e32 v0, 0
	global_load_dword v79, v0, s[12:13] offset:4
	s_waitcnt vmcnt(0)
	v_add_u32_e32 v79, -1, v79
	v_cmp_eq_u32_e32 vcc, 1, v79
	s_cbranch_vccnz .LBB102_316
; %bb.315:
	v_lshlrev_b32_e32 v79, 3, v79
	buffer_load_dword v80, v79, s[0:3], 0 offen
	buffer_load_dword v81, v79, s[0:3], 0 offen offset:4
	buffer_load_dword v82, off, s[0:3], 0 offset:8
	buffer_load_dword v83, off, s[0:3], 0 offset:12
	s_waitcnt vmcnt(3)
	buffer_store_dword v80, off, s[0:3], 0 offset:8
	s_waitcnt vmcnt(3)
	buffer_store_dword v81, off, s[0:3], 0 offset:12
	s_waitcnt vmcnt(3)
	buffer_store_dword v82, v79, s[0:3], 0 offen
	s_waitcnt vmcnt(3)
	buffer_store_dword v83, v79, s[0:3], 0 offen offset:4
.LBB102_316:
	global_load_dword v0, v0, s[12:13]
	s_nop 0
	buffer_load_dword v81, off, s[0:3], 0
	buffer_load_dword v82, off, s[0:3], 0 offset:4
	s_waitcnt vmcnt(2)
	v_add_u32_e32 v0, -1, v0
	v_cmp_eq_u32_e32 vcc, 0, v0
	s_cbranch_vccnz .LBB102_318
; %bb.317:
	v_lshlrev_b32_e32 v0, 3, v0
	buffer_load_dword v79, v0, s[0:3], 0 offen offset:4
	buffer_load_dword v80, v0, s[0:3], 0 offen
	s_waitcnt vmcnt(1)
	buffer_store_dword v79, off, s[0:3], 0 offset:4
	s_waitcnt vmcnt(1)
	buffer_store_dword v80, off, s[0:3], 0
	buffer_store_dword v82, v0, s[0:3], 0 offen offset:4
	buffer_store_dword v81, v0, s[0:3], 0 offen
	buffer_load_dword v81, off, s[0:3], 0
	s_nop 0
	buffer_load_dword v82, off, s[0:3], 0 offset:4
.LBB102_318:
	s_waitcnt vmcnt(0)
	flat_store_dwordx2 v[1:2], v[81:82]
	buffer_load_dword v0, off, s[0:3], 0 offset:8
	s_nop 0
	buffer_load_dword v1, off, s[0:3], 0 offset:12
	s_waitcnt vmcnt(0)
	flat_store_dwordx2 v[3:4], v[0:1]
	buffer_load_dword v0, off, s[0:3], 0 offset:16
	s_nop 0
	buffer_load_dword v1, off, s[0:3], 0 offset:20
	;; [unrolled: 5-line block ×38, first 2 shown]
	s_waitcnt vmcnt(0)
	flat_store_dwordx2 v[77:78], v[0:1]
	s_endpgm
	.section	.rodata,"a",@progbits
	.p2align	6, 0x0
	.amdhsa_kernel _ZN9rocsolver6v33100L18getri_kernel_smallILi39EdPKPdEEvT1_iilPiilS6_bb
		.amdhsa_group_segment_fixed_size 632
		.amdhsa_private_segment_fixed_size 320
		.amdhsa_kernarg_size 60
		.amdhsa_user_sgpr_count 6
		.amdhsa_user_sgpr_private_segment_buffer 1
		.amdhsa_user_sgpr_dispatch_ptr 0
		.amdhsa_user_sgpr_queue_ptr 0
		.amdhsa_user_sgpr_kernarg_segment_ptr 1
		.amdhsa_user_sgpr_dispatch_id 0
		.amdhsa_user_sgpr_flat_scratch_init 0
		.amdhsa_user_sgpr_private_segment_size 0
		.amdhsa_uses_dynamic_stack 0
		.amdhsa_system_sgpr_private_segment_wavefront_offset 1
		.amdhsa_system_sgpr_workgroup_id_x 1
		.amdhsa_system_sgpr_workgroup_id_y 0
		.amdhsa_system_sgpr_workgroup_id_z 0
		.amdhsa_system_sgpr_workgroup_info 0
		.amdhsa_system_vgpr_workitem_id 0
		.amdhsa_next_free_vgpr 116
		.amdhsa_next_free_sgpr 21
		.amdhsa_reserve_vcc 1
		.amdhsa_reserve_flat_scratch 0
		.amdhsa_float_round_mode_32 0
		.amdhsa_float_round_mode_16_64 0
		.amdhsa_float_denorm_mode_32 3
		.amdhsa_float_denorm_mode_16_64 3
		.amdhsa_dx10_clamp 1
		.amdhsa_ieee_mode 1
		.amdhsa_fp16_overflow 0
		.amdhsa_exception_fp_ieee_invalid_op 0
		.amdhsa_exception_fp_denorm_src 0
		.amdhsa_exception_fp_ieee_div_zero 0
		.amdhsa_exception_fp_ieee_overflow 0
		.amdhsa_exception_fp_ieee_underflow 0
		.amdhsa_exception_fp_ieee_inexact 0
		.amdhsa_exception_int_div_zero 0
	.end_amdhsa_kernel
	.section	.text._ZN9rocsolver6v33100L18getri_kernel_smallILi39EdPKPdEEvT1_iilPiilS6_bb,"axG",@progbits,_ZN9rocsolver6v33100L18getri_kernel_smallILi39EdPKPdEEvT1_iilPiilS6_bb,comdat
.Lfunc_end102:
	.size	_ZN9rocsolver6v33100L18getri_kernel_smallILi39EdPKPdEEvT1_iilPiilS6_bb, .Lfunc_end102-_ZN9rocsolver6v33100L18getri_kernel_smallILi39EdPKPdEEvT1_iilPiilS6_bb
                                        ; -- End function
	.set _ZN9rocsolver6v33100L18getri_kernel_smallILi39EdPKPdEEvT1_iilPiilS6_bb.num_vgpr, 116
	.set _ZN9rocsolver6v33100L18getri_kernel_smallILi39EdPKPdEEvT1_iilPiilS6_bb.num_agpr, 0
	.set _ZN9rocsolver6v33100L18getri_kernel_smallILi39EdPKPdEEvT1_iilPiilS6_bb.numbered_sgpr, 21
	.set _ZN9rocsolver6v33100L18getri_kernel_smallILi39EdPKPdEEvT1_iilPiilS6_bb.num_named_barrier, 0
	.set _ZN9rocsolver6v33100L18getri_kernel_smallILi39EdPKPdEEvT1_iilPiilS6_bb.private_seg_size, 320
	.set _ZN9rocsolver6v33100L18getri_kernel_smallILi39EdPKPdEEvT1_iilPiilS6_bb.uses_vcc, 1
	.set _ZN9rocsolver6v33100L18getri_kernel_smallILi39EdPKPdEEvT1_iilPiilS6_bb.uses_flat_scratch, 0
	.set _ZN9rocsolver6v33100L18getri_kernel_smallILi39EdPKPdEEvT1_iilPiilS6_bb.has_dyn_sized_stack, 0
	.set _ZN9rocsolver6v33100L18getri_kernel_smallILi39EdPKPdEEvT1_iilPiilS6_bb.has_recursion, 0
	.set _ZN9rocsolver6v33100L18getri_kernel_smallILi39EdPKPdEEvT1_iilPiilS6_bb.has_indirect_call, 0
	.section	.AMDGPU.csdata,"",@progbits
; Kernel info:
; codeLenInByte = 43200
; TotalNumSgprs: 25
; NumVgprs: 116
; ScratchSize: 320
; MemoryBound: 1
; FloatMode: 240
; IeeeMode: 1
; LDSByteSize: 632 bytes/workgroup (compile time only)
; SGPRBlocks: 3
; VGPRBlocks: 28
; NumSGPRsForWavesPerEU: 25
; NumVGPRsForWavesPerEU: 116
; Occupancy: 2
; WaveLimiterHint : 1
; COMPUTE_PGM_RSRC2:SCRATCH_EN: 1
; COMPUTE_PGM_RSRC2:USER_SGPR: 6
; COMPUTE_PGM_RSRC2:TRAP_HANDLER: 0
; COMPUTE_PGM_RSRC2:TGID_X_EN: 1
; COMPUTE_PGM_RSRC2:TGID_Y_EN: 0
; COMPUTE_PGM_RSRC2:TGID_Z_EN: 0
; COMPUTE_PGM_RSRC2:TIDIG_COMP_CNT: 0
	.section	.text._ZN9rocsolver6v33100L18getri_kernel_smallILi40EdPKPdEEvT1_iilPiilS6_bb,"axG",@progbits,_ZN9rocsolver6v33100L18getri_kernel_smallILi40EdPKPdEEvT1_iilPiilS6_bb,comdat
	.globl	_ZN9rocsolver6v33100L18getri_kernel_smallILi40EdPKPdEEvT1_iilPiilS6_bb ; -- Begin function _ZN9rocsolver6v33100L18getri_kernel_smallILi40EdPKPdEEvT1_iilPiilS6_bb
	.p2align	8
	.type	_ZN9rocsolver6v33100L18getri_kernel_smallILi40EdPKPdEEvT1_iilPiilS6_bb,@function
_ZN9rocsolver6v33100L18getri_kernel_smallILi40EdPKPdEEvT1_iilPiilS6_bb: ; @_ZN9rocsolver6v33100L18getri_kernel_smallILi40EdPKPdEEvT1_iilPiilS6_bb
; %bb.0:
	s_add_u32 s0, s0, s7
	s_addc_u32 s1, s1, 0
	v_cmp_gt_u32_e32 vcc, 40, v0
	s_and_saveexec_b64 s[8:9], vcc
	s_cbranch_execz .LBB103_168
; %bb.1:
	s_load_dword s18, s[4:5], 0x38
	s_load_dwordx2 s[12:13], s[4:5], 0x0
	s_load_dwordx4 s[8:11], s[4:5], 0x28
	s_waitcnt lgkmcnt(0)
	s_bitcmp1_b32 s18, 8
	s_cselect_b64 s[14:15], -1, 0
	s_ashr_i32 s7, s6, 31
	s_lshl_b64 s[16:17], s[6:7], 3
	s_add_u32 s12, s12, s16
	s_addc_u32 s13, s13, s17
	s_load_dwordx2 s[16:17], s[12:13], 0x0
	s_bfe_u32 s12, s18, 0x10008
	s_cmp_eq_u32 s12, 0
                                        ; implicit-def: $sgpr12_sgpr13
	s_cbranch_scc1 .LBB103_3
; %bb.2:
	s_load_dword s12, s[4:5], 0x20
	s_load_dwordx2 s[18:19], s[4:5], 0x18
	s_mul_i32 s13, s8, s7
	s_mul_hi_u32 s20, s8, s6
	s_add_i32 s20, s20, s13
	s_mul_i32 s9, s9, s6
	s_add_i32 s9, s20, s9
	s_mul_i32 s8, s8, s6
	s_waitcnt lgkmcnt(0)
	s_ashr_i32 s13, s12, 31
	s_lshl_b64 s[8:9], s[8:9], 2
	s_add_u32 s18, s18, s8
	s_addc_u32 s19, s19, s9
	s_lshl_b64 s[8:9], s[12:13], 2
	s_add_u32 s12, s18, s8
	s_addc_u32 s13, s19, s9
.LBB103_3:
	s_load_dwordx2 s[8:9], s[4:5], 0x8
	s_load_dword s18, s[4:5], 0x38
	v_lshlrev_b32_e32 v83, 3, v0
	s_waitcnt lgkmcnt(0)
	s_ashr_i32 s5, s8, 31
	s_mov_b32 s4, s8
	s_lshl_b64 s[4:5], s[4:5], 3
	s_add_u32 s4, s16, s4
	s_addc_u32 s5, s17, s5
	v_mov_b32_e32 v2, s5
	v_add_co_u32_e32 v1, vcc, s4, v83
	v_addc_co_u32_e32 v2, vcc, 0, v2, vcc
	flat_load_dwordx2 v[5:6], v[1:2]
	s_mov_b32 s16, s9
	s_ashr_i32 s17, s9, 31
	s_lshl_b64 s[16:17], s[16:17], 3
	v_mov_b32_e32 v4, s17
	v_add_co_u32_e32 v3, vcc, s16, v1
	v_addc_co_u32_e32 v4, vcc, v2, v4, vcc
	s_add_i32 s8, s9, s9
	v_add_u32_e32 v9, s8, v0
	v_ashrrev_i32_e32 v10, 31, v9
	v_mov_b32_e32 v11, s5
	v_add_u32_e32 v12, s9, v9
	v_ashrrev_i32_e32 v13, 31, v12
	v_mov_b32_e32 v14, s5
	v_mov_b32_e32 v15, s5
	;; [unrolled: 1-line block ×36, first 2 shown]
	s_bitcmp0_b32 s18, 0
	s_waitcnt vmcnt(0) lgkmcnt(0)
	buffer_store_dword v6, off, s[0:3], 0 offset:4
	buffer_store_dword v5, off, s[0:3], 0
	flat_load_dwordx2 v[7:8], v[3:4]
	v_lshlrev_b64 v[5:6], 3, v[9:10]
	s_waitcnt vmcnt(0) lgkmcnt(0)
	buffer_store_dword v8, off, s[0:3], 0 offset:12
	buffer_store_dword v7, off, s[0:3], 0 offset:8
	v_add_co_u32_e32 v5, vcc, s4, v5
	v_addc_co_u32_e32 v6, vcc, v11, v6, vcc
	flat_load_dwordx2 v[10:11], v[5:6]
	v_lshlrev_b64 v[7:8], 3, v[12:13]
	s_waitcnt vmcnt(0) lgkmcnt(0)
	buffer_store_dword v11, off, s[0:3], 0 offset:20
	buffer_store_dword v10, off, s[0:3], 0 offset:16
	v_add_co_u32_e32 v7, vcc, s4, v7
	v_addc_co_u32_e32 v8, vcc, v14, v8, vcc
	flat_load_dwordx2 v[13:14], v[7:8]
	v_add_u32_e32 v11, s9, v12
	v_ashrrev_i32_e32 v12, 31, v11
	v_lshlrev_b64 v[9:10], 3, v[11:12]
	s_waitcnt vmcnt(0) lgkmcnt(0)
	buffer_store_dword v14, off, s[0:3], 0 offset:28
	buffer_store_dword v13, off, s[0:3], 0 offset:24
	v_add_co_u32_e32 v9, vcc, s4, v9
	v_addc_co_u32_e32 v10, vcc, v15, v10, vcc
	flat_load_dwordx2 v[13:14], v[9:10]
	v_add_u32_e32 v15, s9, v11
	v_ashrrev_i32_e32 v16, 31, v15
	v_lshlrev_b64 v[11:12], 3, v[15:16]
	v_add_u32_e32 v18, s9, v15
	v_add_co_u32_e32 v11, vcc, s4, v11
	v_addc_co_u32_e32 v12, vcc, v17, v12, vcc
	v_ashrrev_i32_e32 v19, 31, v18
	s_waitcnt vmcnt(0) lgkmcnt(0)
	buffer_store_dword v14, off, s[0:3], 0 offset:36
	buffer_store_dword v13, off, s[0:3], 0 offset:32
	flat_load_dwordx2 v[16:17], v[11:12]
	v_lshlrev_b64 v[13:14], 3, v[18:19]
	s_waitcnt vmcnt(0) lgkmcnt(0)
	buffer_store_dword v17, off, s[0:3], 0 offset:44
	buffer_store_dword v16, off, s[0:3], 0 offset:40
	v_add_co_u32_e32 v13, vcc, s4, v13
	v_addc_co_u32_e32 v14, vcc, v20, v14, vcc
	flat_load_dwordx2 v[19:20], v[13:14]
	v_add_u32_e32 v17, s9, v18
	v_ashrrev_i32_e32 v18, 31, v17
	v_lshlrev_b64 v[15:16], 3, v[17:18]
	s_waitcnt vmcnt(0) lgkmcnt(0)
	buffer_store_dword v20, off, s[0:3], 0 offset:52
	buffer_store_dword v19, off, s[0:3], 0 offset:48
	v_add_co_u32_e32 v15, vcc, s4, v15
	v_addc_co_u32_e32 v16, vcc, v21, v16, vcc
	flat_load_dwordx2 v[19:20], v[15:16]
	v_add_u32_e32 v21, s9, v17
	v_ashrrev_i32_e32 v22, 31, v21
	v_lshlrev_b64 v[17:18], 3, v[21:22]
	v_add_u32_e32 v24, s9, v21
	v_add_co_u32_e32 v17, vcc, s4, v17
	v_addc_co_u32_e32 v18, vcc, v23, v18, vcc
	v_ashrrev_i32_e32 v25, 31, v24
	s_waitcnt vmcnt(0) lgkmcnt(0)
	buffer_store_dword v20, off, s[0:3], 0 offset:60
	buffer_store_dword v19, off, s[0:3], 0 offset:56
	;; [unrolled: 27-line block ×7, first 2 shown]
	flat_load_dwordx2 v[52:53], v[47:48]
	v_lshlrev_b64 v[49:50], 3, v[54:55]
	s_waitcnt vmcnt(0) lgkmcnt(0)
	buffer_store_dword v53, off, s[0:3], 0 offset:188
	buffer_store_dword v52, off, s[0:3], 0 offset:184
	v_add_co_u32_e32 v49, vcc, s4, v49
	v_addc_co_u32_e32 v50, vcc, v56, v50, vcc
	flat_load_dwordx2 v[55:56], v[49:50]
	v_add_u32_e32 v53, s9, v54
	v_ashrrev_i32_e32 v54, 31, v53
	v_lshlrev_b64 v[51:52], 3, v[53:54]
	s_waitcnt vmcnt(0) lgkmcnt(0)
	buffer_store_dword v56, off, s[0:3], 0 offset:196
	buffer_store_dword v55, off, s[0:3], 0 offset:192
	v_add_co_u32_e32 v51, vcc, s4, v51
	v_addc_co_u32_e32 v52, vcc, v57, v52, vcc
	flat_load_dwordx2 v[55:56], v[51:52]
	v_add_u32_e32 v57, s9, v53
	v_ashrrev_i32_e32 v58, 31, v57
	v_lshlrev_b64 v[53:54], 3, v[57:58]
	v_add_u32_e32 v60, s9, v57
	v_add_co_u32_e32 v53, vcc, s4, v53
	v_addc_co_u32_e32 v54, vcc, v59, v54, vcc
	s_waitcnt vmcnt(0) lgkmcnt(0)
	buffer_store_dword v56, off, s[0:3], 0 offset:204
	buffer_store_dword v55, off, s[0:3], 0 offset:200
	flat_load_dwordx2 v[58:59], v[53:54]
	v_ashrrev_i32_e32 v61, 31, v60
	v_lshlrev_b64 v[55:56], 3, v[60:61]
	s_waitcnt vmcnt(0) lgkmcnt(0)
	buffer_store_dword v59, off, s[0:3], 0 offset:212
	buffer_store_dword v58, off, s[0:3], 0 offset:208
	v_add_co_u32_e32 v55, vcc, s4, v55
	v_addc_co_u32_e32 v56, vcc, v62, v56, vcc
	flat_load_dwordx2 v[61:62], v[55:56]
	v_add_u32_e32 v59, s9, v60
	v_ashrrev_i32_e32 v60, 31, v59
	v_lshlrev_b64 v[57:58], 3, v[59:60]
	s_waitcnt vmcnt(0) lgkmcnt(0)
	buffer_store_dword v62, off, s[0:3], 0 offset:220
	buffer_store_dword v61, off, s[0:3], 0 offset:216
	v_add_co_u32_e32 v57, vcc, s4, v57
	v_addc_co_u32_e32 v58, vcc, v63, v58, vcc
	flat_load_dwordx2 v[61:62], v[57:58]
	v_add_u32_e32 v63, s9, v59
	;; [unrolled: 9-line block ×12, first 2 shown]
	v_ashrrev_i32_e32 v80, 31, v79
	v_lshlrev_b64 v[79:80], 3, v[79:80]
	v_mov_b32_e32 v82, s5
	v_add_co_u32_e32 v79, vcc, s4, v79
	v_addc_co_u32_e32 v80, vcc, v82, v80, vcc
	s_waitcnt vmcnt(0) lgkmcnt(0)
	buffer_store_dword v85, off, s[0:3], 0 offset:308
	buffer_store_dword v84, off, s[0:3], 0 offset:304
	flat_load_dwordx2 v[81:82], v[79:80]
	s_mov_b64 s[8:9], -1
	s_waitcnt vmcnt(0) lgkmcnt(0)
	buffer_store_dword v82, off, s[0:3], 0 offset:316
	buffer_store_dword v81, off, s[0:3], 0 offset:312
	s_cbranch_scc1 .LBB103_166
; %bb.4:
	v_cmp_eq_u32_e64 s[4:5], 0, v0
	s_and_saveexec_b64 s[8:9], s[4:5]
; %bb.5:
	v_mov_b32_e32 v81, 0
	ds_write_b32 v81, v81 offset:640
; %bb.6:
	s_or_b64 exec, exec, s[8:9]
	v_mov_b32_e32 v81, 0
	v_lshl_add_u32 v81, v0, 3, v81
	s_waitcnt lgkmcnt(0)
	; wave barrier
	buffer_load_dword v84, v81, s[0:3], 0 offen
	buffer_load_dword v85, v81, s[0:3], 0 offen offset:4
	s_waitcnt vmcnt(0)
	v_cmp_eq_f64_e32 vcc, 0, v[84:85]
	s_and_saveexec_b64 s[16:17], vcc
	s_cbranch_execz .LBB103_10
; %bb.7:
	v_mov_b32_e32 v82, 0
	ds_read_b32 v85, v82 offset:640
	v_add_u32_e32 v84, 1, v0
	s_waitcnt lgkmcnt(0)
	v_readfirstlane_b32 s8, v85
	s_cmp_eq_u32 s8, 0
	s_cselect_b64 s[18:19], -1, 0
	v_cmp_gt_i32_e32 vcc, s8, v84
	s_or_b64 s[18:19], s[18:19], vcc
	s_and_b64 exec, exec, s[18:19]
	s_cbranch_execz .LBB103_10
; %bb.8:
	s_mov_b64 s[18:19], 0
	v_mov_b32_e32 v85, s8
.LBB103_9:                              ; =>This Inner Loop Header: Depth=1
	ds_cmpst_rtn_b32 v85, v82, v85, v84 offset:640
	s_waitcnt lgkmcnt(0)
	v_cmp_ne_u32_e32 vcc, 0, v85
	v_cmp_le_i32_e64 s[8:9], v85, v84
	s_and_b64 s[8:9], vcc, s[8:9]
	s_and_b64 s[8:9], exec, s[8:9]
	s_or_b64 s[18:19], s[8:9], s[18:19]
	s_andn2_b64 exec, exec, s[18:19]
	s_cbranch_execnz .LBB103_9
.LBB103_10:
	s_or_b64 exec, exec, s[16:17]
	v_mov_b32_e32 v84, 0
	; wave barrier
	ds_read_b32 v82, v84 offset:640
	s_and_saveexec_b64 s[8:9], s[4:5]
	s_cbranch_execz .LBB103_12
; %bb.11:
	s_lshl_b64 s[16:17], s[6:7], 2
	s_add_u32 s16, s10, s16
	s_addc_u32 s17, s11, s17
	s_waitcnt lgkmcnt(0)
	global_store_dword v84, v82, s[16:17]
.LBB103_12:
	s_or_b64 exec, exec, s[8:9]
	s_waitcnt lgkmcnt(0)
	v_cmp_ne_u32_e32 vcc, 0, v82
	s_mov_b64 s[8:9], 0
	s_cbranch_vccnz .LBB103_166
; %bb.13:
	buffer_load_dword v84, v81, s[0:3], 0 offen
	buffer_load_dword v85, v81, s[0:3], 0 offen offset:4
	s_waitcnt vmcnt(0)
	v_div_scale_f64 v[86:87], s[8:9], v[84:85], v[84:85], 1.0
	v_rcp_f64_e32 v[88:89], v[86:87]
	v_fma_f64 v[90:91], -v[86:87], v[88:89], 1.0
	v_fma_f64 v[88:89], v[88:89], v[90:91], v[88:89]
	v_div_scale_f64 v[90:91], vcc, 1.0, v[84:85], 1.0
	v_fma_f64 v[92:93], -v[86:87], v[88:89], 1.0
	v_fma_f64 v[88:89], v[88:89], v[92:93], v[88:89]
	v_mul_f64 v[92:93], v[90:91], v[88:89]
	v_fma_f64 v[86:87], -v[86:87], v[92:93], v[90:91]
	v_div_fmas_f64 v[86:87], v[86:87], v[88:89], v[92:93]
	v_div_fixup_f64 v[85:86], v[86:87], v[84:85], 1.0
	v_add_u32_e32 v84, 0x140, v83
	buffer_store_dword v86, v81, s[0:3], 0 offen offset:4
	buffer_store_dword v85, v81, s[0:3], 0 offen
	buffer_load_dword v88, off, s[0:3], 0 offset:12
	buffer_load_dword v87, off, s[0:3], 0 offset:8
	v_xor_b32_e32 v86, 0x80000000, v86
	s_waitcnt vmcnt(0)
	ds_write2_b64 v83, v[85:86], v[87:88] offset1:40
	s_waitcnt lgkmcnt(0)
	; wave barrier
	s_and_saveexec_b64 s[8:9], s[4:5]
	s_cbranch_execz .LBB103_15
; %bb.14:
	buffer_load_dword v85, v81, s[0:3], 0 offen
	buffer_load_dword v86, v81, s[0:3], 0 offen offset:4
	ds_read_b64 v[87:88], v84
	v_mov_b32_e32 v82, 0
	ds_read_b64 v[89:90], v82 offset:8
	s_waitcnt vmcnt(0) lgkmcnt(1)
	v_fma_f64 v[85:86], v[85:86], v[87:88], 0
	s_waitcnt lgkmcnt(0)
	v_mul_f64 v[85:86], v[85:86], v[89:90]
	buffer_store_dword v85, off, s[0:3], 0 offset:8
	buffer_store_dword v86, off, s[0:3], 0 offset:12
.LBB103_15:
	s_or_b64 exec, exec, s[8:9]
	; wave barrier
	buffer_load_dword v85, off, s[0:3], 0 offset:16
	buffer_load_dword v86, off, s[0:3], 0 offset:20
	v_cmp_gt_u32_e32 vcc, 2, v0
	s_waitcnt vmcnt(0)
	ds_write_b64 v84, v[85:86]
	s_waitcnt lgkmcnt(0)
	; wave barrier
	s_and_saveexec_b64 s[8:9], vcc
	s_cbranch_execz .LBB103_17
; %bb.16:
	buffer_load_dword v85, v81, s[0:3], 0 offen
	buffer_load_dword v86, v81, s[0:3], 0 offen offset:4
                                        ; kill: killed $vgpr81
	s_nop 0
	buffer_load_dword v81, off, s[0:3], 0 offset:8
	buffer_load_dword v82, off, s[0:3], 0 offset:12
	ds_read_b64 v[87:88], v84
	s_waitcnt vmcnt(2) lgkmcnt(0)
	v_fma_f64 v[89:90], v[85:86], v[87:88], 0
	v_mov_b32_e32 v85, 0
	ds_read2_b64 v[85:88], v85 offset0:2 offset1:41
	s_waitcnt vmcnt(0) lgkmcnt(0)
	v_fma_f64 v[81:82], v[81:82], v[87:88], v[89:90]
	v_cndmask_b32_e64 v82, v90, v82, s[4:5]
	v_cndmask_b32_e64 v81, v89, v81, s[4:5]
	v_mul_f64 v[81:82], v[81:82], v[85:86]
	buffer_store_dword v82, off, s[0:3], 0 offset:20
	buffer_store_dword v81, off, s[0:3], 0 offset:16
.LBB103_17:
	s_or_b64 exec, exec, s[8:9]
	; wave barrier
	buffer_load_dword v81, off, s[0:3], 0 offset:24
	buffer_load_dword v82, off, s[0:3], 0 offset:28
	v_cmp_gt_u32_e32 vcc, 3, v0
	v_add_u32_e32 v85, -1, v0
	s_waitcnt vmcnt(0)
	ds_write_b64 v84, v[81:82]
	s_waitcnt lgkmcnt(0)
	; wave barrier
	s_and_saveexec_b64 s[4:5], vcc
	s_cbranch_execz .LBB103_21
; %bb.18:
	v_mov_b32_e32 v81, 0
	v_add_u32_e32 v86, -1, v0
	v_add_u32_e32 v87, 0x140, v83
	v_mov_b32_e32 v88, v83
	v_mov_b32_e32 v82, 0
	s_mov_b64 s[8:9], 0
.LBB103_19:                             ; =>This Inner Loop Header: Depth=1
	buffer_load_dword v89, v88, s[0:3], 0 offen
	buffer_load_dword v90, v88, s[0:3], 0 offen offset:4
	ds_read_b64 v[91:92], v87
	v_add_u32_e32 v86, 1, v86
	v_cmp_lt_u32_e32 vcc, 1, v86
	v_add_u32_e32 v87, 8, v87
	s_or_b64 s[8:9], vcc, s[8:9]
	v_add_u32_e32 v88, 8, v88
	s_waitcnt vmcnt(0) lgkmcnt(0)
	v_fma_f64 v[81:82], v[89:90], v[91:92], v[81:82]
	s_andn2_b64 exec, exec, s[8:9]
	s_cbranch_execnz .LBB103_19
; %bb.20:
	s_or_b64 exec, exec, s[8:9]
	v_mov_b32_e32 v86, 0
	ds_read_b64 v[86:87], v86 offset:24
	s_waitcnt lgkmcnt(0)
	v_mul_f64 v[81:82], v[81:82], v[86:87]
	buffer_store_dword v82, off, s[0:3], 0 offset:28
	buffer_store_dword v81, off, s[0:3], 0 offset:24
.LBB103_21:
	s_or_b64 exec, exec, s[4:5]
	; wave barrier
	buffer_load_dword v81, off, s[0:3], 0 offset:32
	buffer_load_dword v82, off, s[0:3], 0 offset:36
	v_cmp_gt_u32_e32 vcc, 4, v0
	s_waitcnt vmcnt(0)
	ds_write_b64 v84, v[81:82]
	s_waitcnt lgkmcnt(0)
	; wave barrier
	s_and_saveexec_b64 s[4:5], vcc
	s_cbranch_execz .LBB103_25
; %bb.22:
	v_mov_b32_e32 v81, 0
	v_add_u32_e32 v86, -1, v0
	v_add_u32_e32 v87, 0x140, v83
	v_mov_b32_e32 v88, v83
	v_mov_b32_e32 v82, 0
	s_mov_b64 s[8:9], 0
.LBB103_23:                             ; =>This Inner Loop Header: Depth=1
	buffer_load_dword v89, v88, s[0:3], 0 offen
	buffer_load_dword v90, v88, s[0:3], 0 offen offset:4
	ds_read_b64 v[91:92], v87
	v_add_u32_e32 v86, 1, v86
	v_cmp_lt_u32_e32 vcc, 2, v86
	v_add_u32_e32 v87, 8, v87
	s_or_b64 s[8:9], vcc, s[8:9]
	v_add_u32_e32 v88, 8, v88
	s_waitcnt vmcnt(0) lgkmcnt(0)
	v_fma_f64 v[81:82], v[89:90], v[91:92], v[81:82]
	s_andn2_b64 exec, exec, s[8:9]
	s_cbranch_execnz .LBB103_23
; %bb.24:
	s_or_b64 exec, exec, s[8:9]
	v_mov_b32_e32 v86, 0
	ds_read_b64 v[86:87], v86 offset:32
	s_waitcnt lgkmcnt(0)
	v_mul_f64 v[81:82], v[81:82], v[86:87]
	buffer_store_dword v82, off, s[0:3], 0 offset:36
	buffer_store_dword v81, off, s[0:3], 0 offset:32
.LBB103_25:
	s_or_b64 exec, exec, s[4:5]
	; wave barrier
	buffer_load_dword v81, off, s[0:3], 0 offset:40
	buffer_load_dword v82, off, s[0:3], 0 offset:44
	v_cmp_gt_u32_e32 vcc, 5, v0
	;; [unrolled: 40-line block ×21, first 2 shown]
	s_waitcnt vmcnt(0)
	ds_write_b64 v84, v[81:82]
	s_waitcnt lgkmcnt(0)
	; wave barrier
	s_and_saveexec_b64 s[4:5], vcc
	s_cbranch_execz .LBB103_105
; %bb.102:
	v_mov_b32_e32 v81, 0
	v_add_u32_e32 v86, -1, v0
	v_add_u32_e32 v87, 0x140, v83
	v_mov_b32_e32 v88, v83
	v_mov_b32_e32 v82, 0
	s_mov_b64 s[8:9], 0
.LBB103_103:                            ; =>This Inner Loop Header: Depth=1
	buffer_load_dword v89, v88, s[0:3], 0 offen
	buffer_load_dword v90, v88, s[0:3], 0 offen offset:4
	ds_read_b64 v[91:92], v87
	v_add_u32_e32 v86, 1, v86
	v_cmp_lt_u32_e32 vcc, 22, v86
	v_add_u32_e32 v87, 8, v87
	s_or_b64 s[8:9], vcc, s[8:9]
	v_add_u32_e32 v88, 8, v88
	s_waitcnt vmcnt(0) lgkmcnt(0)
	v_fma_f64 v[81:82], v[89:90], v[91:92], v[81:82]
	s_andn2_b64 exec, exec, s[8:9]
	s_cbranch_execnz .LBB103_103
; %bb.104:
	s_or_b64 exec, exec, s[8:9]
	v_mov_b32_e32 v86, 0
	ds_read_b64 v[86:87], v86 offset:192
	s_waitcnt lgkmcnt(0)
	v_mul_f64 v[81:82], v[81:82], v[86:87]
	buffer_store_dword v82, off, s[0:3], 0 offset:196
	buffer_store_dword v81, off, s[0:3], 0 offset:192
.LBB103_105:
	s_or_b64 exec, exec, s[4:5]
	; wave barrier
	buffer_load_dword v81, off, s[0:3], 0 offset:200
	buffer_load_dword v82, off, s[0:3], 0 offset:204
	v_cmp_gt_u32_e32 vcc, 25, v0
	s_waitcnt vmcnt(0)
	ds_write_b64 v84, v[81:82]
	s_waitcnt lgkmcnt(0)
	; wave barrier
	s_and_saveexec_b64 s[4:5], vcc
	s_cbranch_execz .LBB103_109
; %bb.106:
	v_mov_b32_e32 v81, 0
	v_add_u32_e32 v86, -1, v0
	v_add_u32_e32 v87, 0x140, v83
	v_mov_b32_e32 v88, v83
	v_mov_b32_e32 v82, 0
	s_mov_b64 s[8:9], 0
.LBB103_107:                            ; =>This Inner Loop Header: Depth=1
	buffer_load_dword v89, v88, s[0:3], 0 offen
	buffer_load_dword v90, v88, s[0:3], 0 offen offset:4
	ds_read_b64 v[91:92], v87
	v_add_u32_e32 v86, 1, v86
	v_cmp_lt_u32_e32 vcc, 23, v86
	v_add_u32_e32 v87, 8, v87
	s_or_b64 s[8:9], vcc, s[8:9]
	v_add_u32_e32 v88, 8, v88
	s_waitcnt vmcnt(0) lgkmcnt(0)
	v_fma_f64 v[81:82], v[89:90], v[91:92], v[81:82]
	s_andn2_b64 exec, exec, s[8:9]
	s_cbranch_execnz .LBB103_107
; %bb.108:
	s_or_b64 exec, exec, s[8:9]
	v_mov_b32_e32 v86, 0
	ds_read_b64 v[86:87], v86 offset:200
	s_waitcnt lgkmcnt(0)
	v_mul_f64 v[81:82], v[81:82], v[86:87]
	buffer_store_dword v82, off, s[0:3], 0 offset:204
	buffer_store_dword v81, off, s[0:3], 0 offset:200
.LBB103_109:
	s_or_b64 exec, exec, s[4:5]
	; wave barrier
	buffer_load_dword v81, off, s[0:3], 0 offset:208
	buffer_load_dword v82, off, s[0:3], 0 offset:212
	v_cmp_gt_u32_e32 vcc, 26, v0
	;; [unrolled: 40-line block ×14, first 2 shown]
	s_waitcnt vmcnt(0)
	ds_write_b64 v84, v[81:82]
	s_waitcnt lgkmcnt(0)
	; wave barrier
	s_and_saveexec_b64 s[4:5], vcc
	s_cbranch_execz .LBB103_161
; %bb.158:
	v_mov_b32_e32 v81, 0
	v_add_u32_e32 v86, -1, v0
	v_add_u32_e32 v87, 0x140, v83
	v_mov_b32_e32 v88, v83
	v_mov_b32_e32 v82, 0
	s_mov_b64 s[8:9], 0
.LBB103_159:                            ; =>This Inner Loop Header: Depth=1
	buffer_load_dword v89, v88, s[0:3], 0 offen
	buffer_load_dword v90, v88, s[0:3], 0 offen offset:4
	ds_read_b64 v[91:92], v87
	v_add_u32_e32 v86, 1, v86
	v_cmp_lt_u32_e32 vcc, 36, v86
	v_add_u32_e32 v87, 8, v87
	s_or_b64 s[8:9], vcc, s[8:9]
	v_add_u32_e32 v88, 8, v88
	s_waitcnt vmcnt(0) lgkmcnt(0)
	v_fma_f64 v[81:82], v[89:90], v[91:92], v[81:82]
	s_andn2_b64 exec, exec, s[8:9]
	s_cbranch_execnz .LBB103_159
; %bb.160:
	s_or_b64 exec, exec, s[8:9]
	v_mov_b32_e32 v86, 0
	ds_read_b64 v[86:87], v86 offset:304
	s_waitcnt lgkmcnt(0)
	v_mul_f64 v[81:82], v[81:82], v[86:87]
	buffer_store_dword v82, off, s[0:3], 0 offset:308
	buffer_store_dword v81, off, s[0:3], 0 offset:304
.LBB103_161:
	s_or_b64 exec, exec, s[4:5]
	; wave barrier
	buffer_load_dword v81, off, s[0:3], 0 offset:312
	buffer_load_dword v82, off, s[0:3], 0 offset:316
	v_cmp_ne_u32_e32 vcc, 39, v0
	s_waitcnt vmcnt(0)
	ds_write_b64 v84, v[81:82]
	s_waitcnt lgkmcnt(0)
	; wave barrier
	s_and_saveexec_b64 s[4:5], vcc
	s_cbranch_execz .LBB103_165
; %bb.162:
	v_mov_b32_e32 v81, 0
	v_add_u32_e32 v84, 0x140, v83
	v_mov_b32_e32 v82, 0
	s_mov_b64 s[8:9], 0
.LBB103_163:                            ; =>This Inner Loop Header: Depth=1
	buffer_load_dword v86, v83, s[0:3], 0 offen
	buffer_load_dword v87, v83, s[0:3], 0 offen offset:4
	ds_read_b64 v[88:89], v84
	v_add_u32_e32 v85, 1, v85
	v_cmp_lt_u32_e32 vcc, 37, v85
	v_add_u32_e32 v84, 8, v84
	s_or_b64 s[8:9], vcc, s[8:9]
	v_add_u32_e32 v83, 8, v83
	s_waitcnt vmcnt(0) lgkmcnt(0)
	v_fma_f64 v[81:82], v[86:87], v[88:89], v[81:82]
	s_andn2_b64 exec, exec, s[8:9]
	s_cbranch_execnz .LBB103_163
; %bb.164:
	s_or_b64 exec, exec, s[8:9]
	v_mov_b32_e32 v83, 0
	ds_read_b64 v[83:84], v83 offset:312
	s_waitcnt lgkmcnt(0)
	v_mul_f64 v[81:82], v[81:82], v[83:84]
	buffer_store_dword v82, off, s[0:3], 0 offset:316
	buffer_store_dword v81, off, s[0:3], 0 offset:312
.LBB103_165:
	s_or_b64 exec, exec, s[4:5]
	s_mov_b64 s[8:9], -1
	; wave barrier
.LBB103_166:
	s_and_b64 vcc, exec, s[8:9]
	s_cbranch_vccz .LBB103_168
; %bb.167:
	s_lshl_b64 s[4:5], s[6:7], 2
	s_add_u32 s4, s10, s4
	s_addc_u32 s5, s11, s5
	v_mov_b32_e32 v81, 0
	global_load_dword v81, v81, s[4:5]
	s_waitcnt vmcnt(0)
	v_cmp_ne_u32_e32 vcc, 0, v81
	s_cbranch_vccz .LBB103_169
.LBB103_168:
	s_endpgm
.LBB103_169:
	v_mov_b32_e32 v81, 0x140
	v_lshl_add_u32 v81, v0, 3, v81
	v_cmp_eq_u32_e32 vcc, 39, v0
	s_and_saveexec_b64 s[4:5], vcc
	s_cbranch_execz .LBB103_171
; %bb.170:
	buffer_load_dword v82, off, s[0:3], 0 offset:304
	buffer_load_dword v83, off, s[0:3], 0 offset:308
	v_mov_b32_e32 v84, 0
	buffer_store_dword v84, off, s[0:3], 0 offset:304
	buffer_store_dword v84, off, s[0:3], 0 offset:308
	s_waitcnt vmcnt(2)
	ds_write_b64 v81, v[82:83]
.LBB103_171:
	s_or_b64 exec, exec, s[4:5]
	s_waitcnt lgkmcnt(0)
	; wave barrier
	buffer_load_dword v83, off, s[0:3], 0 offset:312
	buffer_load_dword v84, off, s[0:3], 0 offset:316
	;; [unrolled: 1-line block ×4, first 2 shown]
	v_mov_b32_e32 v82, 0
	ds_read_b64 v[87:88], v82 offset:632
	v_cmp_lt_u32_e32 vcc, 37, v0
	s_waitcnt vmcnt(2) lgkmcnt(0)
	v_fma_f64 v[83:84], v[83:84], v[87:88], 0
	s_waitcnt vmcnt(0)
	v_add_f64 v[83:84], v[85:86], -v[83:84]
	buffer_store_dword v83, off, s[0:3], 0 offset:304
	buffer_store_dword v84, off, s[0:3], 0 offset:308
	s_and_saveexec_b64 s[4:5], vcc
	s_cbranch_execz .LBB103_173
; %bb.172:
	buffer_load_dword v83, off, s[0:3], 0 offset:296
	buffer_load_dword v84, off, s[0:3], 0 offset:300
	s_waitcnt vmcnt(0)
	ds_write_b64 v81, v[83:84]
	buffer_store_dword v82, off, s[0:3], 0 offset:296
	buffer_store_dword v82, off, s[0:3], 0 offset:300
.LBB103_173:
	s_or_b64 exec, exec, s[4:5]
	s_waitcnt lgkmcnt(0)
	; wave barrier
	buffer_load_dword v86, off, s[0:3], 0 offset:304
	buffer_load_dword v87, off, s[0:3], 0 offset:308
	;; [unrolled: 1-line block ×6, first 2 shown]
	ds_read_b128 v[82:85], v82 offset:624
	v_cmp_lt_u32_e32 vcc, 36, v0
	s_waitcnt vmcnt(4) lgkmcnt(0)
	v_fma_f64 v[82:83], v[86:87], v[82:83], 0
	s_waitcnt vmcnt(2)
	v_fma_f64 v[82:83], v[88:89], v[84:85], v[82:83]
	s_waitcnt vmcnt(0)
	v_add_f64 v[82:83], v[90:91], -v[82:83]
	buffer_store_dword v82, off, s[0:3], 0 offset:296
	buffer_store_dword v83, off, s[0:3], 0 offset:300
	s_and_saveexec_b64 s[4:5], vcc
	s_cbranch_execz .LBB103_175
; %bb.174:
	buffer_load_dword v82, off, s[0:3], 0 offset:288
	buffer_load_dword v83, off, s[0:3], 0 offset:292
	v_mov_b32_e32 v84, 0
	buffer_store_dword v84, off, s[0:3], 0 offset:288
	buffer_store_dword v84, off, s[0:3], 0 offset:292
	s_waitcnt vmcnt(2)
	ds_write_b64 v81, v[82:83]
.LBB103_175:
	s_or_b64 exec, exec, s[4:5]
	s_waitcnt lgkmcnt(0)
	; wave barrier
	buffer_load_dword v87, off, s[0:3], 0 offset:296
	buffer_load_dword v88, off, s[0:3], 0 offset:300
	;; [unrolled: 1-line block ×8, first 2 shown]
	v_mov_b32_e32 v82, 0
	ds_read2_b64 v[83:86], v82 offset0:77 offset1:78
	ds_read_b64 v[95:96], v82 offset:632
	v_cmp_lt_u32_e32 vcc, 35, v0
	s_waitcnt vmcnt(6) lgkmcnt(1)
	v_fma_f64 v[83:84], v[87:88], v[83:84], 0
	s_waitcnt vmcnt(4)
	v_fma_f64 v[83:84], v[89:90], v[85:86], v[83:84]
	s_waitcnt vmcnt(2) lgkmcnt(0)
	v_fma_f64 v[83:84], v[91:92], v[95:96], v[83:84]
	s_waitcnt vmcnt(0)
	v_add_f64 v[83:84], v[93:94], -v[83:84]
	buffer_store_dword v83, off, s[0:3], 0 offset:288
	buffer_store_dword v84, off, s[0:3], 0 offset:292
	s_and_saveexec_b64 s[4:5], vcc
	s_cbranch_execz .LBB103_177
; %bb.176:
	buffer_load_dword v83, off, s[0:3], 0 offset:280
	buffer_load_dword v84, off, s[0:3], 0 offset:284
	s_waitcnt vmcnt(0)
	ds_write_b64 v81, v[83:84]
	buffer_store_dword v82, off, s[0:3], 0 offset:280
	buffer_store_dword v82, off, s[0:3], 0 offset:284
.LBB103_177:
	s_or_b64 exec, exec, s[4:5]
	s_waitcnt lgkmcnt(0)
	; wave barrier
	buffer_load_dword v91, off, s[0:3], 0 offset:288
	buffer_load_dword v92, off, s[0:3], 0 offset:292
	;; [unrolled: 1-line block ×10, first 2 shown]
	ds_read_b128 v[83:86], v82 offset:608
	ds_read_b128 v[87:90], v82 offset:624
	v_cmp_lt_u32_e32 vcc, 34, v0
	s_waitcnt vmcnt(8) lgkmcnt(1)
	v_fma_f64 v[82:83], v[91:92], v[83:84], 0
	s_waitcnt vmcnt(6)
	v_fma_f64 v[82:83], v[93:94], v[85:86], v[82:83]
	s_waitcnt vmcnt(4) lgkmcnt(0)
	v_fma_f64 v[82:83], v[95:96], v[87:88], v[82:83]
	s_waitcnt vmcnt(2)
	v_fma_f64 v[82:83], v[97:98], v[89:90], v[82:83]
	s_waitcnt vmcnt(0)
	v_add_f64 v[82:83], v[99:100], -v[82:83]
	buffer_store_dword v82, off, s[0:3], 0 offset:280
	buffer_store_dword v83, off, s[0:3], 0 offset:284
	s_and_saveexec_b64 s[4:5], vcc
	s_cbranch_execz .LBB103_179
; %bb.178:
	buffer_load_dword v82, off, s[0:3], 0 offset:272
	buffer_load_dword v83, off, s[0:3], 0 offset:276
	v_mov_b32_e32 v84, 0
	buffer_store_dword v84, off, s[0:3], 0 offset:272
	buffer_store_dword v84, off, s[0:3], 0 offset:276
	s_waitcnt vmcnt(2)
	ds_write_b64 v81, v[82:83]
.LBB103_179:
	s_or_b64 exec, exec, s[4:5]
	s_waitcnt lgkmcnt(0)
	; wave barrier
	buffer_load_dword v91, off, s[0:3], 0 offset:280
	buffer_load_dword v92, off, s[0:3], 0 offset:284
	;; [unrolled: 1-line block ×12, first 2 shown]
	v_mov_b32_e32 v82, 0
	ds_read2_b64 v[83:86], v82 offset0:75 offset1:76
	ds_read2_b64 v[87:90], v82 offset0:77 offset1:78
	v_cmp_lt_u32_e32 vcc, 33, v0
	s_waitcnt vmcnt(10) lgkmcnt(1)
	v_fma_f64 v[83:84], v[91:92], v[83:84], 0
	s_waitcnt vmcnt(8)
	v_fma_f64 v[83:84], v[93:94], v[85:86], v[83:84]
	ds_read_b64 v[85:86], v82 offset:632
	s_waitcnt vmcnt(6) lgkmcnt(1)
	v_fma_f64 v[83:84], v[95:96], v[87:88], v[83:84]
	s_waitcnt vmcnt(4)
	v_fma_f64 v[83:84], v[97:98], v[89:90], v[83:84]
	s_waitcnt vmcnt(2) lgkmcnt(0)
	v_fma_f64 v[83:84], v[99:100], v[85:86], v[83:84]
	s_waitcnt vmcnt(0)
	v_add_f64 v[83:84], v[101:102], -v[83:84]
	buffer_store_dword v83, off, s[0:3], 0 offset:272
	buffer_store_dword v84, off, s[0:3], 0 offset:276
	s_and_saveexec_b64 s[4:5], vcc
	s_cbranch_execz .LBB103_181
; %bb.180:
	buffer_load_dword v83, off, s[0:3], 0 offset:264
	buffer_load_dword v84, off, s[0:3], 0 offset:268
	s_waitcnt vmcnt(0)
	ds_write_b64 v81, v[83:84]
	buffer_store_dword v82, off, s[0:3], 0 offset:264
	buffer_store_dword v82, off, s[0:3], 0 offset:268
.LBB103_181:
	s_or_b64 exec, exec, s[4:5]
	s_waitcnt lgkmcnt(0)
	; wave barrier
	buffer_load_dword v91, off, s[0:3], 0 offset:272
	buffer_load_dword v92, off, s[0:3], 0 offset:276
	buffer_load_dword v93, off, s[0:3], 0 offset:280
	buffer_load_dword v94, off, s[0:3], 0 offset:284
	buffer_load_dword v95, off, s[0:3], 0 offset:288
	buffer_load_dword v96, off, s[0:3], 0 offset:292
	buffer_load_dword v97, off, s[0:3], 0 offset:296
	buffer_load_dword v98, off, s[0:3], 0 offset:300
	buffer_load_dword v99, off, s[0:3], 0 offset:304
	buffer_load_dword v100, off, s[0:3], 0 offset:308
	buffer_load_dword v101, off, s[0:3], 0 offset:312
	buffer_load_dword v102, off, s[0:3], 0 offset:316
	buffer_load_dword v103, off, s[0:3], 0 offset:264
	buffer_load_dword v104, off, s[0:3], 0 offset:268
	ds_read_b128 v[83:86], v82 offset:592
	ds_read_b128 v[87:90], v82 offset:608
	v_cmp_lt_u32_e32 vcc, 32, v0
	s_waitcnt vmcnt(12) lgkmcnt(1)
	v_fma_f64 v[83:84], v[91:92], v[83:84], 0
	s_waitcnt vmcnt(10)
	v_fma_f64 v[83:84], v[93:94], v[85:86], v[83:84]
	s_waitcnt vmcnt(8) lgkmcnt(0)
	v_fma_f64 v[83:84], v[95:96], v[87:88], v[83:84]
	s_waitcnt vmcnt(6)
	v_fma_f64 v[86:87], v[97:98], v[89:90], v[83:84]
	ds_read_b128 v[82:85], v82 offset:624
	s_waitcnt vmcnt(4) lgkmcnt(0)
	v_fma_f64 v[82:83], v[99:100], v[82:83], v[86:87]
	s_waitcnt vmcnt(2)
	v_fma_f64 v[82:83], v[101:102], v[84:85], v[82:83]
	s_waitcnt vmcnt(0)
	v_add_f64 v[82:83], v[103:104], -v[82:83]
	buffer_store_dword v82, off, s[0:3], 0 offset:264
	buffer_store_dword v83, off, s[0:3], 0 offset:268
	s_and_saveexec_b64 s[4:5], vcc
	s_cbranch_execz .LBB103_183
; %bb.182:
	buffer_load_dword v82, off, s[0:3], 0 offset:256
	buffer_load_dword v83, off, s[0:3], 0 offset:260
	v_mov_b32_e32 v84, 0
	buffer_store_dword v84, off, s[0:3], 0 offset:256
	buffer_store_dword v84, off, s[0:3], 0 offset:260
	s_waitcnt vmcnt(2)
	ds_write_b64 v81, v[82:83]
.LBB103_183:
	s_or_b64 exec, exec, s[4:5]
	s_waitcnt lgkmcnt(0)
	; wave barrier
	buffer_load_dword v91, off, s[0:3], 0 offset:264
	buffer_load_dword v92, off, s[0:3], 0 offset:268
	;; [unrolled: 1-line block ×16, first 2 shown]
	v_mov_b32_e32 v82, 0
	ds_read2_b64 v[83:86], v82 offset0:73 offset1:74
	ds_read2_b64 v[87:90], v82 offset0:75 offset1:76
	v_cmp_lt_u32_e32 vcc, 31, v0
	s_waitcnt vmcnt(14) lgkmcnt(1)
	v_fma_f64 v[83:84], v[91:92], v[83:84], 0
	s_waitcnt vmcnt(12)
	v_fma_f64 v[83:84], v[93:94], v[85:86], v[83:84]
	s_waitcnt vmcnt(10) lgkmcnt(0)
	v_fma_f64 v[83:84], v[95:96], v[87:88], v[83:84]
	s_waitcnt vmcnt(8)
	v_fma_f64 v[87:88], v[97:98], v[89:90], v[83:84]
	ds_read2_b64 v[83:86], v82 offset0:77 offset1:78
	ds_read_b64 v[89:90], v82 offset:632
	s_waitcnt vmcnt(6) lgkmcnt(1)
	v_fma_f64 v[83:84], v[99:100], v[83:84], v[87:88]
	s_waitcnt vmcnt(4)
	v_fma_f64 v[83:84], v[101:102], v[85:86], v[83:84]
	s_waitcnt vmcnt(2) lgkmcnt(0)
	v_fma_f64 v[83:84], v[103:104], v[89:90], v[83:84]
	s_waitcnt vmcnt(0)
	v_add_f64 v[83:84], v[105:106], -v[83:84]
	buffer_store_dword v83, off, s[0:3], 0 offset:256
	buffer_store_dword v84, off, s[0:3], 0 offset:260
	s_and_saveexec_b64 s[4:5], vcc
	s_cbranch_execz .LBB103_185
; %bb.184:
	buffer_load_dword v83, off, s[0:3], 0 offset:248
	buffer_load_dword v84, off, s[0:3], 0 offset:252
	s_waitcnt vmcnt(0)
	ds_write_b64 v81, v[83:84]
	buffer_store_dword v82, off, s[0:3], 0 offset:248
	buffer_store_dword v82, off, s[0:3], 0 offset:252
.LBB103_185:
	s_or_b64 exec, exec, s[4:5]
	s_waitcnt lgkmcnt(0)
	; wave barrier
	buffer_load_dword v91, off, s[0:3], 0 offset:256
	buffer_load_dword v92, off, s[0:3], 0 offset:260
	;; [unrolled: 1-line block ×18, first 2 shown]
	ds_read_b128 v[83:86], v82 offset:576
	ds_read_b128 v[87:90], v82 offset:592
	v_cmp_lt_u32_e32 vcc, 30, v0
	s_waitcnt vmcnt(16) lgkmcnt(1)
	v_fma_f64 v[83:84], v[91:92], v[83:84], 0
	s_waitcnt vmcnt(14)
	v_fma_f64 v[83:84], v[93:94], v[85:86], v[83:84]
	s_waitcnt vmcnt(12) lgkmcnt(0)
	v_fma_f64 v[83:84], v[95:96], v[87:88], v[83:84]
	s_waitcnt vmcnt(10)
	v_fma_f64 v[91:92], v[97:98], v[89:90], v[83:84]
	ds_read_b128 v[83:86], v82 offset:608
	ds_read_b128 v[87:90], v82 offset:624
	s_waitcnt vmcnt(8) lgkmcnt(1)
	v_fma_f64 v[82:83], v[99:100], v[83:84], v[91:92]
	s_waitcnt vmcnt(6)
	v_fma_f64 v[82:83], v[101:102], v[85:86], v[82:83]
	s_waitcnt vmcnt(4) lgkmcnt(0)
	v_fma_f64 v[82:83], v[103:104], v[87:88], v[82:83]
	s_waitcnt vmcnt(2)
	v_fma_f64 v[82:83], v[105:106], v[89:90], v[82:83]
	s_waitcnt vmcnt(0)
	v_add_f64 v[82:83], v[107:108], -v[82:83]
	buffer_store_dword v82, off, s[0:3], 0 offset:248
	buffer_store_dword v83, off, s[0:3], 0 offset:252
	s_and_saveexec_b64 s[4:5], vcc
	s_cbranch_execz .LBB103_187
; %bb.186:
	buffer_load_dword v82, off, s[0:3], 0 offset:240
	buffer_load_dword v83, off, s[0:3], 0 offset:244
	v_mov_b32_e32 v84, 0
	buffer_store_dword v84, off, s[0:3], 0 offset:240
	buffer_store_dword v84, off, s[0:3], 0 offset:244
	s_waitcnt vmcnt(2)
	ds_write_b64 v81, v[82:83]
.LBB103_187:
	s_or_b64 exec, exec, s[4:5]
	s_waitcnt lgkmcnt(0)
	; wave barrier
	buffer_load_dword v91, off, s[0:3], 0 offset:248
	buffer_load_dword v92, off, s[0:3], 0 offset:252
	;; [unrolled: 1-line block ×20, first 2 shown]
	v_mov_b32_e32 v82, 0
	ds_read2_b64 v[83:86], v82 offset0:71 offset1:72
	ds_read2_b64 v[87:90], v82 offset0:73 offset1:74
	v_cmp_lt_u32_e32 vcc, 29, v0
	s_waitcnt vmcnt(18) lgkmcnt(1)
	v_fma_f64 v[83:84], v[91:92], v[83:84], 0
	s_waitcnt vmcnt(16)
	v_fma_f64 v[83:84], v[93:94], v[85:86], v[83:84]
	s_waitcnt vmcnt(14) lgkmcnt(0)
	v_fma_f64 v[83:84], v[95:96], v[87:88], v[83:84]
	s_waitcnt vmcnt(12)
	v_fma_f64 v[91:92], v[97:98], v[89:90], v[83:84]
	ds_read2_b64 v[83:86], v82 offset0:75 offset1:76
	ds_read2_b64 v[87:90], v82 offset0:77 offset1:78
	s_waitcnt vmcnt(10) lgkmcnt(1)
	v_fma_f64 v[83:84], v[99:100], v[83:84], v[91:92]
	s_waitcnt vmcnt(8)
	v_fma_f64 v[83:84], v[101:102], v[85:86], v[83:84]
	ds_read_b64 v[85:86], v82 offset:632
	s_waitcnt vmcnt(6) lgkmcnt(1)
	v_fma_f64 v[83:84], v[103:104], v[87:88], v[83:84]
	s_waitcnt vmcnt(3)
	v_fma_f64 v[83:84], v[105:106], v[89:90], v[83:84]
	s_waitcnt vmcnt(2) lgkmcnt(0)
	v_fma_f64 v[83:84], v[107:108], v[85:86], v[83:84]
	s_waitcnt vmcnt(0)
	v_add_f64 v[83:84], v[109:110], -v[83:84]
	buffer_store_dword v83, off, s[0:3], 0 offset:240
	buffer_store_dword v84, off, s[0:3], 0 offset:244
	s_and_saveexec_b64 s[4:5], vcc
	s_cbranch_execz .LBB103_189
; %bb.188:
	buffer_load_dword v83, off, s[0:3], 0 offset:232
	buffer_load_dword v84, off, s[0:3], 0 offset:236
	s_waitcnt vmcnt(0)
	ds_write_b64 v81, v[83:84]
	buffer_store_dword v82, off, s[0:3], 0 offset:232
	buffer_store_dword v82, off, s[0:3], 0 offset:236
.LBB103_189:
	s_or_b64 exec, exec, s[4:5]
	s_waitcnt lgkmcnt(0)
	; wave barrier
	buffer_load_dword v91, off, s[0:3], 0 offset:240
	buffer_load_dword v92, off, s[0:3], 0 offset:244
	;; [unrolled: 1-line block ×20, first 2 shown]
	ds_read_b128 v[83:86], v82 offset:560
	buffer_load_dword v111, off, s[0:3], 0 offset:232
	buffer_load_dword v112, off, s[0:3], 0 offset:236
	ds_read_b128 v[87:90], v82 offset:576
	v_cmp_lt_u32_e32 vcc, 28, v0
	s_waitcnt vmcnt(20) lgkmcnt(1)
	v_fma_f64 v[83:84], v[91:92], v[83:84], 0
	s_waitcnt vmcnt(18)
	v_fma_f64 v[83:84], v[93:94], v[85:86], v[83:84]
	s_waitcnt vmcnt(16) lgkmcnt(0)
	v_fma_f64 v[83:84], v[95:96], v[87:88], v[83:84]
	s_waitcnt vmcnt(14)
	v_fma_f64 v[91:92], v[97:98], v[89:90], v[83:84]
	ds_read_b128 v[83:86], v82 offset:592
	ds_read_b128 v[87:90], v82 offset:608
	s_waitcnt vmcnt(12) lgkmcnt(1)
	v_fma_f64 v[83:84], v[99:100], v[83:84], v[91:92]
	s_waitcnt vmcnt(10)
	v_fma_f64 v[83:84], v[101:102], v[85:86], v[83:84]
	s_waitcnt vmcnt(8) lgkmcnt(0)
	v_fma_f64 v[83:84], v[103:104], v[87:88], v[83:84]
	s_waitcnt vmcnt(4)
	v_fma_f64 v[86:87], v[105:106], v[89:90], v[83:84]
	ds_read_b128 v[82:85], v82 offset:624
	s_waitcnt vmcnt(3) lgkmcnt(0)
	v_fma_f64 v[82:83], v[109:110], v[82:83], v[86:87]
	s_waitcnt vmcnt(2)
	v_fma_f64 v[82:83], v[107:108], v[84:85], v[82:83]
	s_waitcnt vmcnt(0)
	v_add_f64 v[82:83], v[111:112], -v[82:83]
	buffer_store_dword v82, off, s[0:3], 0 offset:232
	buffer_store_dword v83, off, s[0:3], 0 offset:236
	s_and_saveexec_b64 s[4:5], vcc
	s_cbranch_execz .LBB103_191
; %bb.190:
	buffer_load_dword v82, off, s[0:3], 0 offset:224
	buffer_load_dword v83, off, s[0:3], 0 offset:228
	v_mov_b32_e32 v84, 0
	buffer_store_dword v84, off, s[0:3], 0 offset:224
	buffer_store_dword v84, off, s[0:3], 0 offset:228
	s_waitcnt vmcnt(2)
	ds_write_b64 v81, v[82:83]
.LBB103_191:
	s_or_b64 exec, exec, s[4:5]
	s_waitcnt lgkmcnt(0)
	; wave barrier
	buffer_load_dword v91, off, s[0:3], 0 offset:232
	buffer_load_dword v92, off, s[0:3], 0 offset:236
	;; [unrolled: 1-line block ×21, first 2 shown]
	v_mov_b32_e32 v82, 0
	ds_read2_b64 v[83:86], v82 offset0:69 offset1:70
	ds_read2_b64 v[87:90], v82 offset0:71 offset1:72
	buffer_load_dword v108, off, s[0:3], 0 offset:316
	v_cmp_lt_u32_e32 vcc, 27, v0
	s_waitcnt vmcnt(20) lgkmcnt(1)
	v_fma_f64 v[83:84], v[91:92], v[83:84], 0
	buffer_load_dword v91, off, s[0:3], 0 offset:224
	buffer_load_dword v92, off, s[0:3], 0 offset:228
	s_waitcnt vmcnt(20)
	v_fma_f64 v[83:84], v[93:94], v[85:86], v[83:84]
	s_waitcnt vmcnt(18) lgkmcnt(0)
	v_fma_f64 v[83:84], v[95:96], v[87:88], v[83:84]
	s_waitcnt vmcnt(16)
	v_fma_f64 v[93:94], v[97:98], v[89:90], v[83:84]
	ds_read2_b64 v[83:86], v82 offset0:73 offset1:74
	ds_read2_b64 v[87:90], v82 offset0:75 offset1:76
	s_waitcnt vmcnt(14) lgkmcnt(1)
	v_fma_f64 v[83:84], v[99:100], v[83:84], v[93:94]
	s_waitcnt vmcnt(12)
	v_fma_f64 v[83:84], v[101:102], v[85:86], v[83:84]
	s_waitcnt vmcnt(10) lgkmcnt(0)
	v_fma_f64 v[83:84], v[103:104], v[87:88], v[83:84]
	s_waitcnt vmcnt(5)
	v_fma_f64 v[87:88], v[105:106], v[89:90], v[83:84]
	ds_read2_b64 v[83:86], v82 offset0:77 offset1:78
	ds_read_b64 v[89:90], v82 offset:632
	s_waitcnt vmcnt(4) lgkmcnt(1)
	v_fma_f64 v[83:84], v[111:112], v[83:84], v[87:88]
	s_waitcnt vmcnt(3)
	v_fma_f64 v[83:84], v[109:110], v[85:86], v[83:84]
	s_waitcnt vmcnt(2) lgkmcnt(0)
	v_fma_f64 v[83:84], v[107:108], v[89:90], v[83:84]
	s_waitcnt vmcnt(0)
	v_add_f64 v[83:84], v[91:92], -v[83:84]
	buffer_store_dword v84, off, s[0:3], 0 offset:228
	buffer_store_dword v83, off, s[0:3], 0 offset:224
	s_and_saveexec_b64 s[4:5], vcc
	s_cbranch_execz .LBB103_193
; %bb.192:
	buffer_load_dword v83, off, s[0:3], 0 offset:216
	buffer_load_dword v84, off, s[0:3], 0 offset:220
	s_waitcnt vmcnt(0)
	ds_write_b64 v81, v[83:84]
	buffer_store_dword v82, off, s[0:3], 0 offset:216
	buffer_store_dword v82, off, s[0:3], 0 offset:220
.LBB103_193:
	s_or_b64 exec, exec, s[4:5]
	s_waitcnt lgkmcnt(0)
	; wave barrier
	buffer_load_dword v91, off, s[0:3], 0 offset:224
	buffer_load_dword v92, off, s[0:3], 0 offset:228
	;; [unrolled: 1-line block ×21, first 2 shown]
	ds_read_b128 v[83:86], v82 offset:544
	ds_read_b128 v[87:90], v82 offset:560
	buffer_load_dword v108, off, s[0:3], 0 offset:308
	v_cmp_lt_u32_e32 vcc, 26, v0
	s_waitcnt vmcnt(20) lgkmcnt(1)
	v_fma_f64 v[83:84], v[91:92], v[83:84], 0
	buffer_load_dword v92, off, s[0:3], 0 offset:316
	buffer_load_dword v91, off, s[0:3], 0 offset:312
	s_waitcnt vmcnt(20)
	v_fma_f64 v[83:84], v[93:94], v[85:86], v[83:84]
	buffer_load_dword v93, off, s[0:3], 0 offset:216
	buffer_load_dword v94, off, s[0:3], 0 offset:220
	s_waitcnt vmcnt(20) lgkmcnt(0)
	v_fma_f64 v[83:84], v[95:96], v[87:88], v[83:84]
	s_waitcnt vmcnt(18)
	v_fma_f64 v[95:96], v[97:98], v[89:90], v[83:84]
	ds_read_b128 v[83:86], v82 offset:576
	ds_read_b128 v[87:90], v82 offset:592
	s_waitcnt vmcnt(16) lgkmcnt(1)
	v_fma_f64 v[83:84], v[99:100], v[83:84], v[95:96]
	s_waitcnt vmcnt(14)
	v_fma_f64 v[83:84], v[101:102], v[85:86], v[83:84]
	s_waitcnt vmcnt(12) lgkmcnt(0)
	v_fma_f64 v[83:84], v[103:104], v[87:88], v[83:84]
	s_waitcnt vmcnt(7)
	v_fma_f64 v[95:96], v[105:106], v[89:90], v[83:84]
	ds_read_b128 v[83:86], v82 offset:608
	ds_read_b128 v[87:90], v82 offset:624
	s_waitcnt vmcnt(6) lgkmcnt(1)
	v_fma_f64 v[82:83], v[111:112], v[83:84], v[95:96]
	s_waitcnt vmcnt(5)
	v_fma_f64 v[82:83], v[109:110], v[85:86], v[82:83]
	s_waitcnt vmcnt(4) lgkmcnt(0)
	v_fma_f64 v[82:83], v[107:108], v[87:88], v[82:83]
	s_waitcnt vmcnt(2)
	v_fma_f64 v[82:83], v[91:92], v[89:90], v[82:83]
	s_waitcnt vmcnt(0)
	v_add_f64 v[82:83], v[93:94], -v[82:83]
	buffer_store_dword v83, off, s[0:3], 0 offset:220
	buffer_store_dword v82, off, s[0:3], 0 offset:216
	s_and_saveexec_b64 s[4:5], vcc
	s_cbranch_execz .LBB103_195
; %bb.194:
	buffer_load_dword v82, off, s[0:3], 0 offset:208
	buffer_load_dword v83, off, s[0:3], 0 offset:212
	v_mov_b32_e32 v84, 0
	buffer_store_dword v84, off, s[0:3], 0 offset:208
	buffer_store_dword v84, off, s[0:3], 0 offset:212
	s_waitcnt vmcnt(2)
	ds_write_b64 v81, v[82:83]
.LBB103_195:
	s_or_b64 exec, exec, s[4:5]
	s_waitcnt lgkmcnt(0)
	; wave barrier
	buffer_load_dword v91, off, s[0:3], 0 offset:216
	buffer_load_dword v92, off, s[0:3], 0 offset:220
	;; [unrolled: 1-line block ×21, first 2 shown]
	v_mov_b32_e32 v82, 0
	ds_read2_b64 v[83:86], v82 offset0:67 offset1:68
	ds_read2_b64 v[87:90], v82 offset0:69 offset1:70
	buffer_load_dword v108, off, s[0:3], 0 offset:300
	v_cmp_lt_u32_e32 vcc, 25, v0
	s_waitcnt vmcnt(20) lgkmcnt(1)
	v_fma_f64 v[83:84], v[91:92], v[83:84], 0
	s_waitcnt vmcnt(18)
	v_fma_f64 v[83:84], v[93:94], v[85:86], v[83:84]
	buffer_load_dword v92, off, s[0:3], 0 offset:308
	buffer_load_dword v93, off, s[0:3], 0 offset:312
	;; [unrolled: 1-line block ×4, first 2 shown]
	s_waitcnt vmcnt(20) lgkmcnt(0)
	v_fma_f64 v[83:84], v[95:96], v[87:88], v[83:84]
	buffer_load_dword v95, off, s[0:3], 0 offset:208
	buffer_load_dword v96, off, s[0:3], 0 offset:212
	s_waitcnt vmcnt(20)
	v_fma_f64 v[97:98], v[97:98], v[89:90], v[83:84]
	ds_read2_b64 v[83:86], v82 offset0:71 offset1:72
	ds_read2_b64 v[87:90], v82 offset0:73 offset1:74
	s_waitcnt vmcnt(18) lgkmcnt(1)
	v_fma_f64 v[83:84], v[99:100], v[83:84], v[97:98]
	s_waitcnt vmcnt(16)
	v_fma_f64 v[83:84], v[101:102], v[85:86], v[83:84]
	s_waitcnt vmcnt(14) lgkmcnt(0)
	v_fma_f64 v[83:84], v[103:104], v[87:88], v[83:84]
	s_waitcnt vmcnt(9)
	v_fma_f64 v[97:98], v[105:106], v[89:90], v[83:84]
	ds_read2_b64 v[83:86], v82 offset0:75 offset1:76
	ds_read2_b64 v[87:90], v82 offset0:77 offset1:78
	s_waitcnt vmcnt(8) lgkmcnt(1)
	v_fma_f64 v[83:84], v[111:112], v[83:84], v[97:98]
	s_waitcnt vmcnt(7)
	v_fma_f64 v[83:84], v[109:110], v[85:86], v[83:84]
	ds_read_b64 v[85:86], v82 offset:632
	s_waitcnt vmcnt(6) lgkmcnt(1)
	v_fma_f64 v[83:84], v[107:108], v[87:88], v[83:84]
	s_waitcnt vmcnt(3)
	v_fma_f64 v[83:84], v[91:92], v[89:90], v[83:84]
	s_waitcnt vmcnt(2) lgkmcnt(0)
	v_fma_f64 v[83:84], v[93:94], v[85:86], v[83:84]
	s_waitcnt vmcnt(0)
	v_add_f64 v[83:84], v[95:96], -v[83:84]
	buffer_store_dword v84, off, s[0:3], 0 offset:212
	buffer_store_dword v83, off, s[0:3], 0 offset:208
	s_and_saveexec_b64 s[4:5], vcc
	s_cbranch_execz .LBB103_197
; %bb.196:
	buffer_load_dword v83, off, s[0:3], 0 offset:200
	buffer_load_dword v84, off, s[0:3], 0 offset:204
	s_waitcnt vmcnt(0)
	ds_write_b64 v81, v[83:84]
	buffer_store_dword v82, off, s[0:3], 0 offset:200
	buffer_store_dword v82, off, s[0:3], 0 offset:204
.LBB103_197:
	s_or_b64 exec, exec, s[4:5]
	s_waitcnt lgkmcnt(0)
	; wave barrier
	buffer_load_dword v91, off, s[0:3], 0 offset:208
	buffer_load_dword v92, off, s[0:3], 0 offset:212
	;; [unrolled: 1-line block ×22, first 2 shown]
	ds_read_b128 v[83:86], v82 offset:528
	ds_read_b128 v[87:90], v82 offset:544
	v_cmp_lt_u32_e32 vcc, 24, v0
	s_waitcnt vmcnt(20) lgkmcnt(1)
	v_fma_f64 v[83:84], v[91:92], v[83:84], 0
	s_waitcnt vmcnt(18)
	v_fma_f64 v[83:84], v[93:94], v[85:86], v[83:84]
	buffer_load_dword v92, off, s[0:3], 0 offset:300
	buffer_load_dword v93, off, s[0:3], 0 offset:312
	;; [unrolled: 1-line block ×6, first 2 shown]
	s_waitcnt vmcnt(22) lgkmcnt(0)
	v_fma_f64 v[83:84], v[95:96], v[87:88], v[83:84]
	s_waitcnt vmcnt(20)
	v_fma_f64 v[95:96], v[97:98], v[89:90], v[83:84]
	ds_read_b128 v[83:86], v82 offset:560
	buffer_load_dword v97, off, s[0:3], 0 offset:200
	buffer_load_dword v98, off, s[0:3], 0 offset:204
	ds_read_b128 v[87:90], v82 offset:576
	s_waitcnt vmcnt(20) lgkmcnt(1)
	v_fma_f64 v[83:84], v[99:100], v[83:84], v[95:96]
	s_waitcnt vmcnt(18)
	v_fma_f64 v[83:84], v[101:102], v[85:86], v[83:84]
	s_waitcnt vmcnt(16) lgkmcnt(0)
	v_fma_f64 v[83:84], v[103:104], v[87:88], v[83:84]
	s_waitcnt vmcnt(11)
	v_fma_f64 v[95:96], v[105:106], v[89:90], v[83:84]
	ds_read_b128 v[83:86], v82 offset:592
	ds_read_b128 v[87:90], v82 offset:608
	s_waitcnt vmcnt(10) lgkmcnt(1)
	v_fma_f64 v[83:84], v[111:112], v[83:84], v[95:96]
	s_waitcnt vmcnt(9)
	v_fma_f64 v[83:84], v[109:110], v[85:86], v[83:84]
	s_waitcnt vmcnt(8) lgkmcnt(0)
	v_fma_f64 v[83:84], v[107:108], v[87:88], v[83:84]
	s_waitcnt vmcnt(4)
	v_fma_f64 v[86:87], v[91:92], v[89:90], v[83:84]
	ds_read_b128 v[82:85], v82 offset:624
	s_waitcnt vmcnt(3) lgkmcnt(0)
	v_fma_f64 v[82:83], v[113:114], v[82:83], v[86:87]
	s_waitcnt vmcnt(2)
	v_fma_f64 v[82:83], v[93:94], v[84:85], v[82:83]
	s_waitcnt vmcnt(0)
	v_add_f64 v[82:83], v[97:98], -v[82:83]
	buffer_store_dword v83, off, s[0:3], 0 offset:204
	buffer_store_dword v82, off, s[0:3], 0 offset:200
	s_and_saveexec_b64 s[4:5], vcc
	s_cbranch_execz .LBB103_199
; %bb.198:
	buffer_load_dword v82, off, s[0:3], 0 offset:192
	buffer_load_dword v83, off, s[0:3], 0 offset:196
	v_mov_b32_e32 v84, 0
	buffer_store_dword v84, off, s[0:3], 0 offset:192
	buffer_store_dword v84, off, s[0:3], 0 offset:196
	s_waitcnt vmcnt(2)
	ds_write_b64 v81, v[82:83]
.LBB103_199:
	s_or_b64 exec, exec, s[4:5]
	s_waitcnt lgkmcnt(0)
	; wave barrier
	buffer_load_dword v91, off, s[0:3], 0 offset:200
	buffer_load_dword v92, off, s[0:3], 0 offset:204
	;; [unrolled: 1-line block ×22, first 2 shown]
	v_mov_b32_e32 v82, 0
	ds_read2_b64 v[83:86], v82 offset0:65 offset1:66
	ds_read2_b64 v[87:90], v82 offset0:67 offset1:68
	v_cmp_lt_u32_e32 vcc, 23, v0
	s_waitcnt vmcnt(20) lgkmcnt(1)
	v_fma_f64 v[83:84], v[91:92], v[83:84], 0
	s_waitcnt vmcnt(18)
	v_fma_f64 v[83:84], v[93:94], v[85:86], v[83:84]
	buffer_load_dword v92, off, s[0:3], 0 offset:292
	buffer_load_dword v93, off, s[0:3], 0 offset:312
	;; [unrolled: 1-line block ×8, first 2 shown]
	s_waitcnt vmcnt(24) lgkmcnt(0)
	v_fma_f64 v[83:84], v[95:96], v[87:88], v[83:84]
	s_waitcnt vmcnt(22)
	v_fma_f64 v[95:96], v[97:98], v[89:90], v[83:84]
	ds_read2_b64 v[83:86], v82 offset0:69 offset1:70
	ds_read2_b64 v[87:90], v82 offset0:71 offset1:72
	s_waitcnt vmcnt(20) lgkmcnt(1)
	v_fma_f64 v[83:84], v[99:100], v[83:84], v[95:96]
	buffer_load_dword v95, off, s[0:3], 0 offset:192
	buffer_load_dword v96, off, s[0:3], 0 offset:196
	s_waitcnt vmcnt(20)
	v_fma_f64 v[83:84], v[101:102], v[85:86], v[83:84]
	s_waitcnt vmcnt(18) lgkmcnt(0)
	v_fma_f64 v[83:84], v[103:104], v[87:88], v[83:84]
	s_waitcnt vmcnt(13)
	v_fma_f64 v[97:98], v[105:106], v[89:90], v[83:84]
	ds_read2_b64 v[83:86], v82 offset0:73 offset1:74
	ds_read2_b64 v[87:90], v82 offset0:75 offset1:76
	s_waitcnt vmcnt(12) lgkmcnt(1)
	v_fma_f64 v[83:84], v[111:112], v[83:84], v[97:98]
	s_waitcnt vmcnt(11)
	v_fma_f64 v[83:84], v[109:110], v[85:86], v[83:84]
	s_waitcnt vmcnt(10) lgkmcnt(0)
	v_fma_f64 v[83:84], v[107:108], v[87:88], v[83:84]
	s_waitcnt vmcnt(5)
	v_fma_f64 v[87:88], v[91:92], v[89:90], v[83:84]
	ds_read2_b64 v[83:86], v82 offset0:77 offset1:78
	ds_read_b64 v[89:90], v82 offset:632
	s_waitcnt vmcnt(4) lgkmcnt(1)
	v_fma_f64 v[83:84], v[115:116], v[83:84], v[87:88]
	s_waitcnt vmcnt(3)
	v_fma_f64 v[83:84], v[113:114], v[85:86], v[83:84]
	s_waitcnt vmcnt(2) lgkmcnt(0)
	v_fma_f64 v[83:84], v[93:94], v[89:90], v[83:84]
	s_waitcnt vmcnt(0)
	v_add_f64 v[83:84], v[95:96], -v[83:84]
	buffer_store_dword v84, off, s[0:3], 0 offset:196
	buffer_store_dword v83, off, s[0:3], 0 offset:192
	s_and_saveexec_b64 s[4:5], vcc
	s_cbranch_execz .LBB103_201
; %bb.200:
	buffer_load_dword v83, off, s[0:3], 0 offset:184
	buffer_load_dword v84, off, s[0:3], 0 offset:188
	s_waitcnt vmcnt(0)
	ds_write_b64 v81, v[83:84]
	buffer_store_dword v82, off, s[0:3], 0 offset:184
	buffer_store_dword v82, off, s[0:3], 0 offset:188
.LBB103_201:
	s_or_b64 exec, exec, s[4:5]
	s_waitcnt lgkmcnt(0)
	; wave barrier
	buffer_load_dword v91, off, s[0:3], 0 offset:192
	buffer_load_dword v92, off, s[0:3], 0 offset:196
	;; [unrolled: 1-line block ×22, first 2 shown]
	ds_read_b128 v[83:86], v82 offset:512
	ds_read_b128 v[87:90], v82 offset:528
	v_cmp_lt_u32_e32 vcc, 22, v0
	s_waitcnt vmcnt(20) lgkmcnt(1)
	v_fma_f64 v[83:84], v[91:92], v[83:84], 0
	s_waitcnt vmcnt(18)
	v_fma_f64 v[83:84], v[93:94], v[85:86], v[83:84]
	buffer_load_dword v92, off, s[0:3], 0 offset:284
	buffer_load_dword v93, off, s[0:3], 0 offset:304
	;; [unrolled: 1-line block ×8, first 2 shown]
	s_waitcnt vmcnt(24) lgkmcnt(0)
	v_fma_f64 v[83:84], v[95:96], v[87:88], v[83:84]
	s_waitcnt vmcnt(22)
	v_fma_f64 v[95:96], v[97:98], v[89:90], v[83:84]
	ds_read_b128 v[83:86], v82 offset:544
	ds_read_b128 v[87:90], v82 offset:560
	s_waitcnt vmcnt(20) lgkmcnt(1)
	v_fma_f64 v[83:84], v[99:100], v[83:84], v[95:96]
	buffer_load_dword v96, off, s[0:3], 0 offset:316
	buffer_load_dword v95, off, s[0:3], 0 offset:312
	;; [unrolled: 1-line block ×4, first 2 shown]
	s_waitcnt vmcnt(22)
	v_fma_f64 v[83:84], v[101:102], v[85:86], v[83:84]
	s_waitcnt vmcnt(20) lgkmcnt(0)
	v_fma_f64 v[83:84], v[103:104], v[87:88], v[83:84]
	s_waitcnt vmcnt(15)
	v_fma_f64 v[99:100], v[105:106], v[89:90], v[83:84]
	ds_read_b128 v[83:86], v82 offset:576
	ds_read_b128 v[87:90], v82 offset:592
	s_waitcnt vmcnt(14) lgkmcnt(1)
	v_fma_f64 v[83:84], v[111:112], v[83:84], v[99:100]
	s_waitcnt vmcnt(13)
	v_fma_f64 v[83:84], v[109:110], v[85:86], v[83:84]
	s_waitcnt vmcnt(12) lgkmcnt(0)
	v_fma_f64 v[83:84], v[107:108], v[87:88], v[83:84]
	s_waitcnt vmcnt(7)
	v_fma_f64 v[91:92], v[91:92], v[89:90], v[83:84]
	ds_read_b128 v[83:86], v82 offset:608
	ds_read_b128 v[87:90], v82 offset:624
	s_waitcnt vmcnt(6) lgkmcnt(1)
	v_fma_f64 v[82:83], v[115:116], v[83:84], v[91:92]
	s_waitcnt vmcnt(5)
	v_fma_f64 v[82:83], v[113:114], v[85:86], v[82:83]
	s_waitcnt vmcnt(4) lgkmcnt(0)
	v_fma_f64 v[82:83], v[93:94], v[87:88], v[82:83]
	s_waitcnt vmcnt(2)
	v_fma_f64 v[82:83], v[95:96], v[89:90], v[82:83]
	s_waitcnt vmcnt(0)
	v_add_f64 v[82:83], v[97:98], -v[82:83]
	buffer_store_dword v83, off, s[0:3], 0 offset:188
	buffer_store_dword v82, off, s[0:3], 0 offset:184
	s_and_saveexec_b64 s[4:5], vcc
	s_cbranch_execz .LBB103_203
; %bb.202:
	buffer_load_dword v82, off, s[0:3], 0 offset:176
	buffer_load_dword v83, off, s[0:3], 0 offset:180
	v_mov_b32_e32 v84, 0
	buffer_store_dword v84, off, s[0:3], 0 offset:176
	buffer_store_dword v84, off, s[0:3], 0 offset:180
	s_waitcnt vmcnt(2)
	ds_write_b64 v81, v[82:83]
.LBB103_203:
	s_or_b64 exec, exec, s[4:5]
	s_waitcnt lgkmcnt(0)
	; wave barrier
	buffer_load_dword v91, off, s[0:3], 0 offset:184
	buffer_load_dword v92, off, s[0:3], 0 offset:188
	;; [unrolled: 1-line block ×22, first 2 shown]
	v_mov_b32_e32 v82, 0
	ds_read2_b64 v[83:86], v82 offset0:63 offset1:64
	ds_read2_b64 v[87:90], v82 offset0:65 offset1:66
	v_cmp_lt_u32_e32 vcc, 21, v0
	s_waitcnt vmcnt(20) lgkmcnt(1)
	v_fma_f64 v[83:84], v[91:92], v[83:84], 0
	s_waitcnt vmcnt(18)
	v_fma_f64 v[83:84], v[93:94], v[85:86], v[83:84]
	buffer_load_dword v92, off, s[0:3], 0 offset:276
	buffer_load_dword v93, off, s[0:3], 0 offset:296
	;; [unrolled: 1-line block ×7, first 2 shown]
	s_waitcnt vmcnt(23) lgkmcnt(0)
	v_fma_f64 v[83:84], v[95:96], v[87:88], v[83:84]
	s_waitcnt vmcnt(21)
	v_fma_f64 v[94:95], v[97:98], v[89:90], v[83:84]
	ds_read2_b64 v[83:86], v82 offset0:67 offset1:68
	ds_read2_b64 v[87:90], v82 offset0:69 offset1:70
	s_waitcnt vmcnt(19) lgkmcnt(1)
	v_fma_f64 v[83:84], v[99:100], v[83:84], v[94:95]
	buffer_load_dword v94, off, s[0:3], 0 offset:300
	buffer_load_dword v96, off, s[0:3], 0 offset:308
	;; [unrolled: 1-line block ×7, first 2 shown]
	s_waitcnt vmcnt(24)
	v_fma_f64 v[83:84], v[101:102], v[85:86], v[83:84]
	s_waitcnt vmcnt(22) lgkmcnt(0)
	v_fma_f64 v[83:84], v[103:104], v[87:88], v[83:84]
	s_waitcnt vmcnt(17)
	v_fma_f64 v[101:102], v[105:106], v[89:90], v[83:84]
	ds_read2_b64 v[83:86], v82 offset0:71 offset1:72
	ds_read2_b64 v[87:90], v82 offset0:73 offset1:74
	s_waitcnt vmcnt(16) lgkmcnt(1)
	v_fma_f64 v[83:84], v[111:112], v[83:84], v[101:102]
	s_waitcnt vmcnt(15)
	v_fma_f64 v[83:84], v[109:110], v[85:86], v[83:84]
	s_waitcnt vmcnt(14) lgkmcnt(0)
	v_fma_f64 v[83:84], v[107:108], v[87:88], v[83:84]
	s_waitcnt vmcnt(9)
	v_fma_f64 v[91:92], v[91:92], v[89:90], v[83:84]
	ds_read2_b64 v[83:86], v82 offset0:75 offset1:76
	ds_read2_b64 v[87:90], v82 offset0:77 offset1:78
	s_waitcnt vmcnt(8) lgkmcnt(1)
	v_fma_f64 v[83:84], v[115:116], v[83:84], v[91:92]
	s_waitcnt vmcnt(7)
	v_fma_f64 v[83:84], v[113:114], v[85:86], v[83:84]
	ds_read_b64 v[85:86], v82 offset:632
	s_waitcnt vmcnt(6) lgkmcnt(1)
	v_fma_f64 v[83:84], v[93:94], v[87:88], v[83:84]
	s_waitcnt vmcnt(3)
	v_fma_f64 v[83:84], v[95:96], v[89:90], v[83:84]
	s_waitcnt vmcnt(2) lgkmcnt(0)
	v_fma_f64 v[83:84], v[97:98], v[85:86], v[83:84]
	s_waitcnt vmcnt(0)
	v_add_f64 v[83:84], v[99:100], -v[83:84]
	buffer_store_dword v84, off, s[0:3], 0 offset:180
	buffer_store_dword v83, off, s[0:3], 0 offset:176
	s_and_saveexec_b64 s[4:5], vcc
	s_cbranch_execz .LBB103_205
; %bb.204:
	buffer_load_dword v83, off, s[0:3], 0 offset:168
	buffer_load_dword v84, off, s[0:3], 0 offset:172
	s_waitcnt vmcnt(0)
	ds_write_b64 v81, v[83:84]
	buffer_store_dword v82, off, s[0:3], 0 offset:168
	buffer_store_dword v82, off, s[0:3], 0 offset:172
.LBB103_205:
	s_or_b64 exec, exec, s[4:5]
	s_waitcnt lgkmcnt(0)
	; wave barrier
	buffer_load_dword v91, off, s[0:3], 0 offset:176
	buffer_load_dword v92, off, s[0:3], 0 offset:180
	;; [unrolled: 1-line block ×22, first 2 shown]
	ds_read_b128 v[83:86], v82 offset:496
	ds_read_b128 v[87:90], v82 offset:512
	v_cmp_lt_u32_e32 vcc, 20, v0
	s_waitcnt vmcnt(20) lgkmcnt(1)
	v_fma_f64 v[83:84], v[91:92], v[83:84], 0
	s_waitcnt vmcnt(18)
	v_fma_f64 v[83:84], v[93:94], v[85:86], v[83:84]
	buffer_load_dword v92, off, s[0:3], 0 offset:268
	buffer_load_dword v93, off, s[0:3], 0 offset:288
	;; [unrolled: 1-line block ×7, first 2 shown]
	s_waitcnt vmcnt(23) lgkmcnt(0)
	v_fma_f64 v[83:84], v[95:96], v[87:88], v[83:84]
	s_waitcnt vmcnt(21)
	v_fma_f64 v[94:95], v[97:98], v[89:90], v[83:84]
	ds_read_b128 v[83:86], v82 offset:528
	ds_read_b128 v[87:90], v82 offset:544
	s_waitcnt vmcnt(19) lgkmcnt(1)
	v_fma_f64 v[83:84], v[99:100], v[83:84], v[94:95]
	buffer_load_dword v94, off, s[0:3], 0 offset:292
	buffer_load_dword v96, off, s[0:3], 0 offset:300
	;; [unrolled: 1-line block ×7, first 2 shown]
	s_waitcnt vmcnt(24)
	v_fma_f64 v[83:84], v[101:102], v[85:86], v[83:84]
	s_waitcnt vmcnt(22) lgkmcnt(0)
	v_fma_f64 v[83:84], v[103:104], v[87:88], v[83:84]
	s_waitcnt vmcnt(17)
	v_fma_f64 v[101:102], v[105:106], v[89:90], v[83:84]
	ds_read_b128 v[83:86], v82 offset:560
	buffer_load_dword v103, off, s[0:3], 0 offset:168
	buffer_load_dword v104, off, s[0:3], 0 offset:172
	ds_read_b128 v[87:90], v82 offset:576
	s_waitcnt vmcnt(18) lgkmcnt(1)
	v_fma_f64 v[83:84], v[111:112], v[83:84], v[101:102]
	s_waitcnt vmcnt(17)
	v_fma_f64 v[83:84], v[109:110], v[85:86], v[83:84]
	s_waitcnt vmcnt(16) lgkmcnt(0)
	v_fma_f64 v[83:84], v[107:108], v[87:88], v[83:84]
	s_waitcnt vmcnt(11)
	v_fma_f64 v[91:92], v[91:92], v[89:90], v[83:84]
	ds_read_b128 v[83:86], v82 offset:592
	ds_read_b128 v[87:90], v82 offset:608
	s_waitcnt vmcnt(10) lgkmcnt(1)
	v_fma_f64 v[83:84], v[115:116], v[83:84], v[91:92]
	s_waitcnt vmcnt(9)
	v_fma_f64 v[83:84], v[113:114], v[85:86], v[83:84]
	s_waitcnt vmcnt(8) lgkmcnt(0)
	v_fma_f64 v[83:84], v[93:94], v[87:88], v[83:84]
	s_waitcnt vmcnt(4)
	v_fma_f64 v[86:87], v[95:96], v[89:90], v[83:84]
	ds_read_b128 v[82:85], v82 offset:624
	s_waitcnt vmcnt(3) lgkmcnt(0)
	v_fma_f64 v[82:83], v[99:100], v[82:83], v[86:87]
	s_waitcnt vmcnt(2)
	v_fma_f64 v[82:83], v[97:98], v[84:85], v[82:83]
	s_waitcnt vmcnt(0)
	v_add_f64 v[82:83], v[103:104], -v[82:83]
	buffer_store_dword v83, off, s[0:3], 0 offset:172
	buffer_store_dword v82, off, s[0:3], 0 offset:168
	s_and_saveexec_b64 s[4:5], vcc
	s_cbranch_execz .LBB103_207
; %bb.206:
	buffer_load_dword v82, off, s[0:3], 0 offset:160
	buffer_load_dword v83, off, s[0:3], 0 offset:164
	v_mov_b32_e32 v84, 0
	buffer_store_dword v84, off, s[0:3], 0 offset:160
	buffer_store_dword v84, off, s[0:3], 0 offset:164
	s_waitcnt vmcnt(2)
	ds_write_b64 v81, v[82:83]
.LBB103_207:
	s_or_b64 exec, exec, s[4:5]
	s_waitcnt lgkmcnt(0)
	; wave barrier
	buffer_load_dword v91, off, s[0:3], 0 offset:168
	buffer_load_dword v92, off, s[0:3], 0 offset:172
	;; [unrolled: 1-line block ×22, first 2 shown]
	v_mov_b32_e32 v82, 0
	ds_read2_b64 v[83:86], v82 offset0:61 offset1:62
	ds_read2_b64 v[87:90], v82 offset0:63 offset1:64
	v_cmp_lt_u32_e32 vcc, 19, v0
	s_waitcnt vmcnt(20) lgkmcnt(1)
	v_fma_f64 v[83:84], v[91:92], v[83:84], 0
	s_waitcnt vmcnt(18)
	v_fma_f64 v[83:84], v[93:94], v[85:86], v[83:84]
	buffer_load_dword v92, off, s[0:3], 0 offset:260
	buffer_load_dword v93, off, s[0:3], 0 offset:280
	;; [unrolled: 1-line block ×7, first 2 shown]
	s_waitcnt vmcnt(23) lgkmcnt(0)
	v_fma_f64 v[83:84], v[95:96], v[87:88], v[83:84]
	s_waitcnt vmcnt(21)
	v_fma_f64 v[94:95], v[97:98], v[89:90], v[83:84]
	ds_read2_b64 v[83:86], v82 offset0:65 offset1:66
	ds_read2_b64 v[87:90], v82 offset0:67 offset1:68
	s_waitcnt vmcnt(19) lgkmcnt(1)
	v_fma_f64 v[83:84], v[99:100], v[83:84], v[94:95]
	buffer_load_dword v94, off, s[0:3], 0 offset:284
	s_waitcnt vmcnt(18)
	v_fma_f64 v[83:84], v[101:102], v[85:86], v[83:84]
	buffer_load_dword v96, off, s[0:3], 0 offset:292
	buffer_load_dword v97, off, s[0:3], 0 offset:312
	;; [unrolled: 1-line block ×8, first 2 shown]
	s_waitcnt vmcnt(24) lgkmcnt(0)
	v_fma_f64 v[83:84], v[103:104], v[87:88], v[83:84]
	s_waitcnt vmcnt(19)
	v_fma_f64 v[103:104], v[105:106], v[89:90], v[83:84]
	ds_read2_b64 v[83:86], v82 offset0:69 offset1:70
	ds_read2_b64 v[87:90], v82 offset0:71 offset1:72
	s_waitcnt vmcnt(18) lgkmcnt(1)
	v_fma_f64 v[83:84], v[111:112], v[83:84], v[103:104]
	buffer_load_dword v103, off, s[0:3], 0 offset:160
	buffer_load_dword v104, off, s[0:3], 0 offset:164
	s_waitcnt vmcnt(19)
	v_fma_f64 v[83:84], v[109:110], v[85:86], v[83:84]
	s_waitcnt vmcnt(18) lgkmcnt(0)
	v_fma_f64 v[83:84], v[107:108], v[87:88], v[83:84]
	s_waitcnt vmcnt(13)
	v_fma_f64 v[91:92], v[91:92], v[89:90], v[83:84]
	ds_read2_b64 v[83:86], v82 offset0:73 offset1:74
	ds_read2_b64 v[87:90], v82 offset0:75 offset1:76
	s_waitcnt vmcnt(12) lgkmcnt(1)
	v_fma_f64 v[83:84], v[115:116], v[83:84], v[91:92]
	s_waitcnt vmcnt(11)
	v_fma_f64 v[83:84], v[113:114], v[85:86], v[83:84]
	s_waitcnt vmcnt(10) lgkmcnt(0)
	v_fma_f64 v[83:84], v[93:94], v[87:88], v[83:84]
	s_waitcnt vmcnt(5)
	v_fma_f64 v[87:88], v[95:96], v[89:90], v[83:84]
	ds_read2_b64 v[83:86], v82 offset0:77 offset1:78
	ds_read_b64 v[89:90], v82 offset:632
	s_waitcnt vmcnt(4) lgkmcnt(1)
	v_fma_f64 v[83:84], v[101:102], v[83:84], v[87:88]
	s_waitcnt vmcnt(3)
	v_fma_f64 v[83:84], v[99:100], v[85:86], v[83:84]
	s_waitcnt vmcnt(2) lgkmcnt(0)
	v_fma_f64 v[83:84], v[97:98], v[89:90], v[83:84]
	s_waitcnt vmcnt(0)
	v_add_f64 v[83:84], v[103:104], -v[83:84]
	buffer_store_dword v84, off, s[0:3], 0 offset:164
	buffer_store_dword v83, off, s[0:3], 0 offset:160
	s_and_saveexec_b64 s[4:5], vcc
	s_cbranch_execz .LBB103_209
; %bb.208:
	buffer_load_dword v83, off, s[0:3], 0 offset:152
	buffer_load_dword v84, off, s[0:3], 0 offset:156
	s_waitcnt vmcnt(0)
	ds_write_b64 v81, v[83:84]
	buffer_store_dword v82, off, s[0:3], 0 offset:152
	buffer_store_dword v82, off, s[0:3], 0 offset:156
.LBB103_209:
	s_or_b64 exec, exec, s[4:5]
	s_waitcnt lgkmcnt(0)
	; wave barrier
	buffer_load_dword v91, off, s[0:3], 0 offset:160
	buffer_load_dword v92, off, s[0:3], 0 offset:164
	;; [unrolled: 1-line block ×22, first 2 shown]
	ds_read_b128 v[83:86], v82 offset:480
	ds_read_b128 v[87:90], v82 offset:496
	v_cmp_lt_u32_e32 vcc, 18, v0
	s_waitcnt vmcnt(20) lgkmcnt(1)
	v_fma_f64 v[83:84], v[91:92], v[83:84], 0
	s_waitcnt vmcnt(18)
	v_fma_f64 v[83:84], v[93:94], v[85:86], v[83:84]
	buffer_load_dword v92, off, s[0:3], 0 offset:252
	buffer_load_dword v93, off, s[0:3], 0 offset:272
	;; [unrolled: 1-line block ×7, first 2 shown]
	s_waitcnt vmcnt(23) lgkmcnt(0)
	v_fma_f64 v[83:84], v[95:96], v[87:88], v[83:84]
	s_waitcnt vmcnt(21)
	v_fma_f64 v[94:95], v[97:98], v[89:90], v[83:84]
	ds_read_b128 v[83:86], v82 offset:512
	ds_read_b128 v[87:90], v82 offset:528
	s_waitcnt vmcnt(19) lgkmcnt(1)
	v_fma_f64 v[83:84], v[99:100], v[83:84], v[94:95]
	buffer_load_dword v94, off, s[0:3], 0 offset:276
	s_waitcnt vmcnt(18)
	v_fma_f64 v[83:84], v[101:102], v[85:86], v[83:84]
	buffer_load_dword v96, off, s[0:3], 0 offset:284
	buffer_load_dword v97, off, s[0:3], 0 offset:304
	;; [unrolled: 1-line block ×8, first 2 shown]
	s_waitcnt vmcnt(24) lgkmcnt(0)
	v_fma_f64 v[83:84], v[103:104], v[87:88], v[83:84]
	s_waitcnt vmcnt(19)
	v_fma_f64 v[103:104], v[105:106], v[89:90], v[83:84]
	ds_read_b128 v[83:86], v82 offset:544
	ds_read_b128 v[87:90], v82 offset:560
	s_waitcnt vmcnt(18) lgkmcnt(1)
	v_fma_f64 v[83:84], v[111:112], v[83:84], v[103:104]
	buffer_load_dword v104, off, s[0:3], 0 offset:316
	buffer_load_dword v103, off, s[0:3], 0 offset:312
	;; [unrolled: 1-line block ×4, first 2 shown]
	s_waitcnt vmcnt(21)
	v_fma_f64 v[83:84], v[109:110], v[85:86], v[83:84]
	s_waitcnt vmcnt(20) lgkmcnt(0)
	v_fma_f64 v[83:84], v[107:108], v[87:88], v[83:84]
	s_waitcnt vmcnt(15)
	v_fma_f64 v[91:92], v[91:92], v[89:90], v[83:84]
	ds_read_b128 v[83:86], v82 offset:576
	ds_read_b128 v[87:90], v82 offset:592
	s_waitcnt vmcnt(14) lgkmcnt(1)
	v_fma_f64 v[83:84], v[115:116], v[83:84], v[91:92]
	s_waitcnt vmcnt(13)
	v_fma_f64 v[83:84], v[113:114], v[85:86], v[83:84]
	s_waitcnt vmcnt(12) lgkmcnt(0)
	v_fma_f64 v[83:84], v[93:94], v[87:88], v[83:84]
	s_waitcnt vmcnt(7)
	v_fma_f64 v[91:92], v[95:96], v[89:90], v[83:84]
	ds_read_b128 v[83:86], v82 offset:608
	ds_read_b128 v[87:90], v82 offset:624
	s_waitcnt vmcnt(6) lgkmcnt(1)
	v_fma_f64 v[82:83], v[101:102], v[83:84], v[91:92]
	s_waitcnt vmcnt(5)
	v_fma_f64 v[82:83], v[99:100], v[85:86], v[82:83]
	s_waitcnt vmcnt(4) lgkmcnt(0)
	v_fma_f64 v[82:83], v[97:98], v[87:88], v[82:83]
	s_waitcnt vmcnt(2)
	v_fma_f64 v[82:83], v[103:104], v[89:90], v[82:83]
	s_waitcnt vmcnt(0)
	v_add_f64 v[82:83], v[105:106], -v[82:83]
	buffer_store_dword v83, off, s[0:3], 0 offset:156
	buffer_store_dword v82, off, s[0:3], 0 offset:152
	s_and_saveexec_b64 s[4:5], vcc
	s_cbranch_execz .LBB103_211
; %bb.210:
	buffer_load_dword v82, off, s[0:3], 0 offset:144
	buffer_load_dword v83, off, s[0:3], 0 offset:148
	v_mov_b32_e32 v84, 0
	buffer_store_dword v84, off, s[0:3], 0 offset:144
	buffer_store_dword v84, off, s[0:3], 0 offset:148
	s_waitcnt vmcnt(2)
	ds_write_b64 v81, v[82:83]
.LBB103_211:
	s_or_b64 exec, exec, s[4:5]
	s_waitcnt lgkmcnt(0)
	; wave barrier
	buffer_load_dword v91, off, s[0:3], 0 offset:152
	buffer_load_dword v92, off, s[0:3], 0 offset:156
	;; [unrolled: 1-line block ×21, first 2 shown]
	v_mov_b32_e32 v82, 0
	ds_read2_b64 v[83:86], v82 offset0:59 offset1:60
	ds_read2_b64 v[87:90], v82 offset0:61 offset1:62
	buffer_load_dword v108, off, s[0:3], 0 offset:236
	v_cmp_lt_u32_e32 vcc, 17, v0
	s_waitcnt vmcnt(20) lgkmcnt(1)
	v_fma_f64 v[83:84], v[91:92], v[83:84], 0
	s_waitcnt vmcnt(18)
	v_fma_f64 v[83:84], v[93:94], v[85:86], v[83:84]
	buffer_load_dword v92, off, s[0:3], 0 offset:244
	buffer_load_dword v93, off, s[0:3], 0 offset:264
	;; [unrolled: 1-line block ×7, first 2 shown]
	s_waitcnt vmcnt(23) lgkmcnt(0)
	v_fma_f64 v[83:84], v[95:96], v[87:88], v[83:84]
	s_waitcnt vmcnt(21)
	v_fma_f64 v[94:95], v[97:98], v[89:90], v[83:84]
	ds_read2_b64 v[83:86], v82 offset0:63 offset1:64
	ds_read2_b64 v[87:90], v82 offset0:65 offset1:66
	s_waitcnt vmcnt(19) lgkmcnt(1)
	v_fma_f64 v[83:84], v[99:100], v[83:84], v[94:95]
	buffer_load_dword v94, off, s[0:3], 0 offset:268
	s_waitcnt vmcnt(18)
	v_fma_f64 v[83:84], v[101:102], v[85:86], v[83:84]
	buffer_load_dword v96, off, s[0:3], 0 offset:276
	buffer_load_dword v97, off, s[0:3], 0 offset:296
	;; [unrolled: 1-line block ×7, first 2 shown]
	s_waitcnt vmcnt(23) lgkmcnt(0)
	v_fma_f64 v[83:84], v[103:104], v[87:88], v[83:84]
	s_waitcnt vmcnt(18)
	v_fma_f64 v[103:104], v[105:106], v[89:90], v[83:84]
	ds_read2_b64 v[83:86], v82 offset0:67 offset1:68
	ds_read2_b64 v[87:90], v82 offset0:69 offset1:70
	buffer_load_dword v98, off, s[0:3], 0 offset:300
	s_waitcnt vmcnt(18) lgkmcnt(1)
	v_fma_f64 v[83:84], v[111:112], v[83:84], v[103:104]
	buffer_load_dword v104, off, s[0:3], 0 offset:308
	buffer_load_dword v105, off, s[0:3], 0 offset:312
	;; [unrolled: 1-line block ×4, first 2 shown]
	s_waitcnt vmcnt(21)
	v_fma_f64 v[83:84], v[109:110], v[85:86], v[83:84]
	s_waitcnt vmcnt(20) lgkmcnt(0)
	v_fma_f64 v[83:84], v[107:108], v[87:88], v[83:84]
	buffer_load_dword v107, off, s[0:3], 0 offset:144
	buffer_load_dword v108, off, s[0:3], 0 offset:148
	s_waitcnt vmcnt(17)
	v_fma_f64 v[91:92], v[91:92], v[89:90], v[83:84]
	ds_read2_b64 v[83:86], v82 offset0:71 offset1:72
	ds_read2_b64 v[87:90], v82 offset0:73 offset1:74
	s_waitcnt vmcnt(16) lgkmcnt(1)
	v_fma_f64 v[83:84], v[115:116], v[83:84], v[91:92]
	s_waitcnt vmcnt(15)
	v_fma_f64 v[83:84], v[113:114], v[85:86], v[83:84]
	s_waitcnt vmcnt(14) lgkmcnt(0)
	v_fma_f64 v[83:84], v[93:94], v[87:88], v[83:84]
	s_waitcnt vmcnt(9)
	v_fma_f64 v[91:92], v[95:96], v[89:90], v[83:84]
	ds_read2_b64 v[83:86], v82 offset0:75 offset1:76
	ds_read2_b64 v[87:90], v82 offset0:77 offset1:78
	s_waitcnt vmcnt(8) lgkmcnt(1)
	v_fma_f64 v[83:84], v[101:102], v[83:84], v[91:92]
	s_waitcnt vmcnt(7)
	v_fma_f64 v[83:84], v[99:100], v[85:86], v[83:84]
	ds_read_b64 v[85:86], v82 offset:632
	s_waitcnt vmcnt(6) lgkmcnt(1)
	v_fma_f64 v[83:84], v[97:98], v[87:88], v[83:84]
	s_waitcnt vmcnt(3)
	v_fma_f64 v[83:84], v[103:104], v[89:90], v[83:84]
	s_waitcnt vmcnt(2) lgkmcnt(0)
	v_fma_f64 v[83:84], v[105:106], v[85:86], v[83:84]
	s_waitcnt vmcnt(0)
	v_add_f64 v[83:84], v[107:108], -v[83:84]
	buffer_store_dword v84, off, s[0:3], 0 offset:148
	buffer_store_dword v83, off, s[0:3], 0 offset:144
	s_and_saveexec_b64 s[4:5], vcc
	s_cbranch_execz .LBB103_213
; %bb.212:
	buffer_load_dword v83, off, s[0:3], 0 offset:136
	buffer_load_dword v84, off, s[0:3], 0 offset:140
	s_waitcnt vmcnt(0)
	ds_write_b64 v81, v[83:84]
	buffer_store_dword v82, off, s[0:3], 0 offset:136
	buffer_store_dword v82, off, s[0:3], 0 offset:140
.LBB103_213:
	s_or_b64 exec, exec, s[4:5]
	s_waitcnt lgkmcnt(0)
	; wave barrier
	buffer_load_dword v91, off, s[0:3], 0 offset:144
	buffer_load_dword v92, off, s[0:3], 0 offset:148
	;; [unrolled: 1-line block ×21, first 2 shown]
	ds_read_b128 v[83:86], v82 offset:464
	ds_read_b128 v[87:90], v82 offset:480
	buffer_load_dword v108, off, s[0:3], 0 offset:228
	v_cmp_lt_u32_e32 vcc, 16, v0
	s_waitcnt vmcnt(20) lgkmcnt(1)
	v_fma_f64 v[83:84], v[91:92], v[83:84], 0
	s_waitcnt vmcnt(18)
	v_fma_f64 v[83:84], v[93:94], v[85:86], v[83:84]
	buffer_load_dword v92, off, s[0:3], 0 offset:236
	buffer_load_dword v93, off, s[0:3], 0 offset:256
	;; [unrolled: 1-line block ×7, first 2 shown]
	s_waitcnt vmcnt(23) lgkmcnt(0)
	v_fma_f64 v[83:84], v[95:96], v[87:88], v[83:84]
	s_waitcnt vmcnt(21)
	v_fma_f64 v[94:95], v[97:98], v[89:90], v[83:84]
	ds_read_b128 v[83:86], v82 offset:496
	ds_read_b128 v[87:90], v82 offset:512
	s_waitcnt vmcnt(19) lgkmcnt(1)
	v_fma_f64 v[83:84], v[99:100], v[83:84], v[94:95]
	buffer_load_dword v94, off, s[0:3], 0 offset:260
	s_waitcnt vmcnt(18)
	v_fma_f64 v[83:84], v[101:102], v[85:86], v[83:84]
	buffer_load_dword v96, off, s[0:3], 0 offset:268
	buffer_load_dword v97, off, s[0:3], 0 offset:288
	;; [unrolled: 1-line block ×8, first 2 shown]
	s_waitcnt vmcnt(24) lgkmcnt(0)
	v_fma_f64 v[83:84], v[103:104], v[87:88], v[83:84]
	s_waitcnt vmcnt(19)
	v_fma_f64 v[103:104], v[105:106], v[89:90], v[83:84]
	ds_read_b128 v[83:86], v82 offset:528
	ds_read_b128 v[87:90], v82 offset:544
	s_waitcnt vmcnt(18) lgkmcnt(1)
	v_fma_f64 v[83:84], v[111:112], v[83:84], v[103:104]
	s_waitcnt vmcnt(17)
	v_fma_f64 v[83:84], v[109:110], v[85:86], v[83:84]
	buffer_load_dword v104, off, s[0:3], 0 offset:300
	buffer_load_dword v105, off, s[0:3], 0 offset:312
	;; [unrolled: 1-line block ×6, first 2 shown]
	s_waitcnt vmcnt(22) lgkmcnt(0)
	v_fma_f64 v[83:84], v[107:108], v[87:88], v[83:84]
	s_waitcnt vmcnt(17)
	v_fma_f64 v[91:92], v[91:92], v[89:90], v[83:84]
	ds_read_b128 v[83:86], v82 offset:560
	buffer_load_dword v107, off, s[0:3], 0 offset:136
	buffer_load_dword v108, off, s[0:3], 0 offset:140
	ds_read_b128 v[87:90], v82 offset:576
	s_waitcnt vmcnt(18) lgkmcnt(1)
	v_fma_f64 v[83:84], v[115:116], v[83:84], v[91:92]
	s_waitcnt vmcnt(17)
	v_fma_f64 v[83:84], v[113:114], v[85:86], v[83:84]
	s_waitcnt vmcnt(16) lgkmcnt(0)
	v_fma_f64 v[83:84], v[93:94], v[87:88], v[83:84]
	s_waitcnt vmcnt(11)
	v_fma_f64 v[91:92], v[95:96], v[89:90], v[83:84]
	ds_read_b128 v[83:86], v82 offset:592
	ds_read_b128 v[87:90], v82 offset:608
	s_waitcnt vmcnt(10) lgkmcnt(1)
	v_fma_f64 v[83:84], v[101:102], v[83:84], v[91:92]
	s_waitcnt vmcnt(9)
	v_fma_f64 v[83:84], v[99:100], v[85:86], v[83:84]
	s_waitcnt vmcnt(8) lgkmcnt(0)
	v_fma_f64 v[83:84], v[97:98], v[87:88], v[83:84]
	s_waitcnt vmcnt(4)
	v_fma_f64 v[86:87], v[103:104], v[89:90], v[83:84]
	ds_read_b128 v[82:85], v82 offset:624
	s_waitcnt vmcnt(3) lgkmcnt(0)
	v_fma_f64 v[82:83], v[109:110], v[82:83], v[86:87]
	s_waitcnt vmcnt(2)
	v_fma_f64 v[82:83], v[105:106], v[84:85], v[82:83]
	s_waitcnt vmcnt(0)
	v_add_f64 v[82:83], v[107:108], -v[82:83]
	buffer_store_dword v83, off, s[0:3], 0 offset:140
	buffer_store_dword v82, off, s[0:3], 0 offset:136
	s_and_saveexec_b64 s[4:5], vcc
	s_cbranch_execz .LBB103_215
; %bb.214:
	buffer_load_dword v82, off, s[0:3], 0 offset:128
	buffer_load_dword v83, off, s[0:3], 0 offset:132
	v_mov_b32_e32 v84, 0
	buffer_store_dword v84, off, s[0:3], 0 offset:128
	buffer_store_dword v84, off, s[0:3], 0 offset:132
	s_waitcnt vmcnt(2)
	ds_write_b64 v81, v[82:83]
.LBB103_215:
	s_or_b64 exec, exec, s[4:5]
	s_waitcnt lgkmcnt(0)
	; wave barrier
	buffer_load_dword v91, off, s[0:3], 0 offset:136
	buffer_load_dword v92, off, s[0:3], 0 offset:140
	buffer_load_dword v93, off, s[0:3], 0 offset:144
	buffer_load_dword v94, off, s[0:3], 0 offset:148
	buffer_load_dword v95, off, s[0:3], 0 offset:152
	buffer_load_dword v96, off, s[0:3], 0 offset:156
	buffer_load_dword v97, off, s[0:3], 0 offset:160
	buffer_load_dword v98, off, s[0:3], 0 offset:164
	buffer_load_dword v99, off, s[0:3], 0 offset:168
	buffer_load_dword v100, off, s[0:3], 0 offset:172
	buffer_load_dword v101, off, s[0:3], 0 offset:176
	buffer_load_dword v102, off, s[0:3], 0 offset:180
	buffer_load_dword v103, off, s[0:3], 0 offset:184
	buffer_load_dword v104, off, s[0:3], 0 offset:188
	buffer_load_dword v106, off, s[0:3], 0 offset:196
	buffer_load_dword v107, off, s[0:3], 0 offset:216
	buffer_load_dword v109, off, s[0:3], 0 offset:208
	buffer_load_dword v111, off, s[0:3], 0 offset:200
	buffer_load_dword v105, off, s[0:3], 0 offset:192
	buffer_load_dword v112, off, s[0:3], 0 offset:204
	buffer_load_dword v110, off, s[0:3], 0 offset:212
	v_mov_b32_e32 v82, 0
	ds_read2_b64 v[83:86], v82 offset0:57 offset1:58
	ds_read2_b64 v[87:90], v82 offset0:59 offset1:60
	buffer_load_dword v108, off, s[0:3], 0 offset:220
	v_cmp_lt_u32_e32 vcc, 15, v0
	s_waitcnt vmcnt(20) lgkmcnt(1)
	v_fma_f64 v[83:84], v[91:92], v[83:84], 0
	s_waitcnt vmcnt(18)
	v_fma_f64 v[83:84], v[93:94], v[85:86], v[83:84]
	buffer_load_dword v92, off, s[0:3], 0 offset:228
	buffer_load_dword v93, off, s[0:3], 0 offset:248
	;; [unrolled: 1-line block ×7, first 2 shown]
	s_waitcnt vmcnt(23) lgkmcnt(0)
	v_fma_f64 v[83:84], v[95:96], v[87:88], v[83:84]
	s_waitcnt vmcnt(21)
	v_fma_f64 v[94:95], v[97:98], v[89:90], v[83:84]
	ds_read2_b64 v[83:86], v82 offset0:61 offset1:62
	ds_read2_b64 v[87:90], v82 offset0:63 offset1:64
	s_waitcnt vmcnt(19) lgkmcnt(1)
	v_fma_f64 v[83:84], v[99:100], v[83:84], v[94:95]
	buffer_load_dword v94, off, s[0:3], 0 offset:252
	s_waitcnt vmcnt(18)
	v_fma_f64 v[83:84], v[101:102], v[85:86], v[83:84]
	buffer_load_dword v96, off, s[0:3], 0 offset:260
	buffer_load_dword v97, off, s[0:3], 0 offset:280
	;; [unrolled: 1-line block ×8, first 2 shown]
	s_waitcnt vmcnt(24) lgkmcnt(0)
	v_fma_f64 v[83:84], v[103:104], v[87:88], v[83:84]
	s_waitcnt vmcnt(19)
	v_fma_f64 v[103:104], v[105:106], v[89:90], v[83:84]
	ds_read2_b64 v[83:86], v82 offset0:65 offset1:66
	ds_read2_b64 v[87:90], v82 offset0:67 offset1:68
	s_waitcnt vmcnt(18) lgkmcnt(1)
	v_fma_f64 v[83:84], v[111:112], v[83:84], v[103:104]
	s_waitcnt vmcnt(17)
	v_fma_f64 v[83:84], v[109:110], v[85:86], v[83:84]
	buffer_load_dword v104, off, s[0:3], 0 offset:292
	buffer_load_dword v105, off, s[0:3], 0 offset:312
	;; [unrolled: 1-line block ×8, first 2 shown]
	s_waitcnt vmcnt(24) lgkmcnt(0)
	v_fma_f64 v[83:84], v[107:108], v[87:88], v[83:84]
	s_waitcnt vmcnt(19)
	v_fma_f64 v[91:92], v[91:92], v[89:90], v[83:84]
	ds_read2_b64 v[83:86], v82 offset0:69 offset1:70
	ds_read2_b64 v[87:90], v82 offset0:71 offset1:72
	s_waitcnt vmcnt(18) lgkmcnt(1)
	v_fma_f64 v[83:84], v[115:116], v[83:84], v[91:92]
	buffer_load_dword v91, off, s[0:3], 0 offset:128
	buffer_load_dword v92, off, s[0:3], 0 offset:132
	s_waitcnt vmcnt(19)
	v_fma_f64 v[83:84], v[113:114], v[85:86], v[83:84]
	s_waitcnt vmcnt(18) lgkmcnt(0)
	v_fma_f64 v[83:84], v[93:94], v[87:88], v[83:84]
	s_waitcnt vmcnt(13)
	v_fma_f64 v[93:94], v[95:96], v[89:90], v[83:84]
	ds_read2_b64 v[83:86], v82 offset0:73 offset1:74
	ds_read2_b64 v[87:90], v82 offset0:75 offset1:76
	s_waitcnt vmcnt(12) lgkmcnt(1)
	v_fma_f64 v[83:84], v[101:102], v[83:84], v[93:94]
	s_waitcnt vmcnt(11)
	v_fma_f64 v[83:84], v[99:100], v[85:86], v[83:84]
	s_waitcnt vmcnt(10) lgkmcnt(0)
	v_fma_f64 v[83:84], v[97:98], v[87:88], v[83:84]
	s_waitcnt vmcnt(5)
	v_fma_f64 v[87:88], v[103:104], v[89:90], v[83:84]
	ds_read2_b64 v[83:86], v82 offset0:77 offset1:78
	ds_read_b64 v[89:90], v82 offset:632
	s_waitcnt vmcnt(4) lgkmcnt(1)
	v_fma_f64 v[83:84], v[111:112], v[83:84], v[87:88]
	s_waitcnt vmcnt(3)
	v_fma_f64 v[83:84], v[109:110], v[85:86], v[83:84]
	s_waitcnt vmcnt(2) lgkmcnt(0)
	v_fma_f64 v[83:84], v[105:106], v[89:90], v[83:84]
	s_waitcnt vmcnt(0)
	v_add_f64 v[83:84], v[91:92], -v[83:84]
	buffer_store_dword v84, off, s[0:3], 0 offset:132
	buffer_store_dword v83, off, s[0:3], 0 offset:128
	s_and_saveexec_b64 s[4:5], vcc
	s_cbranch_execz .LBB103_217
; %bb.216:
	buffer_load_dword v83, off, s[0:3], 0 offset:120
	buffer_load_dword v84, off, s[0:3], 0 offset:124
	s_waitcnt vmcnt(0)
	ds_write_b64 v81, v[83:84]
	buffer_store_dword v82, off, s[0:3], 0 offset:120
	buffer_store_dword v82, off, s[0:3], 0 offset:124
.LBB103_217:
	s_or_b64 exec, exec, s[4:5]
	s_waitcnt lgkmcnt(0)
	; wave barrier
	buffer_load_dword v91, off, s[0:3], 0 offset:128
	buffer_load_dword v92, off, s[0:3], 0 offset:132
	;; [unrolled: 1-line block ×21, first 2 shown]
	ds_read_b128 v[83:86], v82 offset:448
	ds_read_b128 v[87:90], v82 offset:464
	buffer_load_dword v108, off, s[0:3], 0 offset:212
	v_cmp_lt_u32_e32 vcc, 14, v0
	s_waitcnt vmcnt(20) lgkmcnt(1)
	v_fma_f64 v[83:84], v[91:92], v[83:84], 0
	s_waitcnt vmcnt(18)
	v_fma_f64 v[83:84], v[93:94], v[85:86], v[83:84]
	buffer_load_dword v92, off, s[0:3], 0 offset:220
	buffer_load_dword v93, off, s[0:3], 0 offset:240
	;; [unrolled: 1-line block ×7, first 2 shown]
	s_waitcnt vmcnt(23) lgkmcnt(0)
	v_fma_f64 v[83:84], v[95:96], v[87:88], v[83:84]
	s_waitcnt vmcnt(21)
	v_fma_f64 v[94:95], v[97:98], v[89:90], v[83:84]
	ds_read_b128 v[83:86], v82 offset:480
	ds_read_b128 v[87:90], v82 offset:496
	s_waitcnt vmcnt(19) lgkmcnt(1)
	v_fma_f64 v[83:84], v[99:100], v[83:84], v[94:95]
	buffer_load_dword v94, off, s[0:3], 0 offset:244
	s_waitcnt vmcnt(18)
	v_fma_f64 v[83:84], v[101:102], v[85:86], v[83:84]
	buffer_load_dword v96, off, s[0:3], 0 offset:252
	buffer_load_dword v97, off, s[0:3], 0 offset:272
	;; [unrolled: 1-line block ×8, first 2 shown]
	s_waitcnt vmcnt(24) lgkmcnt(0)
	v_fma_f64 v[83:84], v[103:104], v[87:88], v[83:84]
	s_waitcnt vmcnt(19)
	v_fma_f64 v[103:104], v[105:106], v[89:90], v[83:84]
	ds_read_b128 v[83:86], v82 offset:512
	ds_read_b128 v[87:90], v82 offset:528
	s_waitcnt vmcnt(18) lgkmcnt(1)
	v_fma_f64 v[83:84], v[111:112], v[83:84], v[103:104]
	s_waitcnt vmcnt(17)
	v_fma_f64 v[83:84], v[109:110], v[85:86], v[83:84]
	buffer_load_dword v104, off, s[0:3], 0 offset:284
	buffer_load_dword v105, off, s[0:3], 0 offset:304
	;; [unrolled: 1-line block ×8, first 2 shown]
	s_waitcnt vmcnt(24) lgkmcnt(0)
	v_fma_f64 v[83:84], v[107:108], v[87:88], v[83:84]
	s_waitcnt vmcnt(19)
	v_fma_f64 v[91:92], v[91:92], v[89:90], v[83:84]
	ds_read_b128 v[83:86], v82 offset:544
	ds_read_b128 v[87:90], v82 offset:560
	s_waitcnt vmcnt(18) lgkmcnt(1)
	v_fma_f64 v[83:84], v[115:116], v[83:84], v[91:92]
	buffer_load_dword v92, off, s[0:3], 0 offset:316
	buffer_load_dword v91, off, s[0:3], 0 offset:312
	;; [unrolled: 1-line block ×4, first 2 shown]
	s_waitcnt vmcnt(21)
	v_fma_f64 v[83:84], v[113:114], v[85:86], v[83:84]
	s_waitcnt vmcnt(20) lgkmcnt(0)
	v_fma_f64 v[83:84], v[93:94], v[87:88], v[83:84]
	s_waitcnt vmcnt(15)
	v_fma_f64 v[93:94], v[95:96], v[89:90], v[83:84]
	ds_read_b128 v[83:86], v82 offset:576
	ds_read_b128 v[87:90], v82 offset:592
	s_waitcnt vmcnt(14) lgkmcnt(1)
	v_fma_f64 v[83:84], v[101:102], v[83:84], v[93:94]
	s_waitcnt vmcnt(13)
	v_fma_f64 v[83:84], v[99:100], v[85:86], v[83:84]
	s_waitcnt vmcnt(12) lgkmcnt(0)
	v_fma_f64 v[83:84], v[97:98], v[87:88], v[83:84]
	s_waitcnt vmcnt(7)
	v_fma_f64 v[93:94], v[103:104], v[89:90], v[83:84]
	ds_read_b128 v[83:86], v82 offset:608
	ds_read_b128 v[87:90], v82 offset:624
	s_waitcnt vmcnt(6) lgkmcnt(1)
	v_fma_f64 v[82:83], v[111:112], v[83:84], v[93:94]
	s_waitcnt vmcnt(5)
	v_fma_f64 v[82:83], v[109:110], v[85:86], v[82:83]
	s_waitcnt vmcnt(4) lgkmcnt(0)
	v_fma_f64 v[82:83], v[105:106], v[87:88], v[82:83]
	s_waitcnt vmcnt(2)
	v_fma_f64 v[82:83], v[91:92], v[89:90], v[82:83]
	s_waitcnt vmcnt(0)
	v_add_f64 v[82:83], v[107:108], -v[82:83]
	buffer_store_dword v83, off, s[0:3], 0 offset:124
	buffer_store_dword v82, off, s[0:3], 0 offset:120
	s_and_saveexec_b64 s[4:5], vcc
	s_cbranch_execz .LBB103_219
; %bb.218:
	buffer_load_dword v82, off, s[0:3], 0 offset:112
	buffer_load_dword v83, off, s[0:3], 0 offset:116
	v_mov_b32_e32 v84, 0
	buffer_store_dword v84, off, s[0:3], 0 offset:112
	buffer_store_dword v84, off, s[0:3], 0 offset:116
	s_waitcnt vmcnt(2)
	ds_write_b64 v81, v[82:83]
.LBB103_219:
	s_or_b64 exec, exec, s[4:5]
	s_waitcnt lgkmcnt(0)
	; wave barrier
	buffer_load_dword v91, off, s[0:3], 0 offset:120
	buffer_load_dword v92, off, s[0:3], 0 offset:124
	;; [unrolled: 1-line block ×21, first 2 shown]
	v_mov_b32_e32 v82, 0
	ds_read2_b64 v[83:86], v82 offset0:55 offset1:56
	ds_read2_b64 v[87:90], v82 offset0:57 offset1:58
	buffer_load_dword v108, off, s[0:3], 0 offset:204
	v_cmp_lt_u32_e32 vcc, 13, v0
	s_waitcnt vmcnt(20) lgkmcnt(1)
	v_fma_f64 v[83:84], v[91:92], v[83:84], 0
	s_waitcnt vmcnt(18)
	v_fma_f64 v[83:84], v[93:94], v[85:86], v[83:84]
	buffer_load_dword v92, off, s[0:3], 0 offset:212
	buffer_load_dword v93, off, s[0:3], 0 offset:232
	;; [unrolled: 1-line block ×7, first 2 shown]
	s_waitcnt vmcnt(23) lgkmcnt(0)
	v_fma_f64 v[83:84], v[95:96], v[87:88], v[83:84]
	s_waitcnt vmcnt(21)
	v_fma_f64 v[94:95], v[97:98], v[89:90], v[83:84]
	ds_read2_b64 v[83:86], v82 offset0:59 offset1:60
	ds_read2_b64 v[87:90], v82 offset0:61 offset1:62
	s_waitcnt vmcnt(19) lgkmcnt(1)
	v_fma_f64 v[83:84], v[99:100], v[83:84], v[94:95]
	buffer_load_dword v94, off, s[0:3], 0 offset:236
	s_waitcnt vmcnt(18)
	v_fma_f64 v[83:84], v[101:102], v[85:86], v[83:84]
	buffer_load_dword v96, off, s[0:3], 0 offset:244
	buffer_load_dword v97, off, s[0:3], 0 offset:264
	;; [unrolled: 1-line block ×8, first 2 shown]
	s_waitcnt vmcnt(24) lgkmcnt(0)
	v_fma_f64 v[83:84], v[103:104], v[87:88], v[83:84]
	s_waitcnt vmcnt(19)
	v_fma_f64 v[103:104], v[105:106], v[89:90], v[83:84]
	ds_read2_b64 v[83:86], v82 offset0:63 offset1:64
	ds_read2_b64 v[87:90], v82 offset0:65 offset1:66
	s_waitcnt vmcnt(18) lgkmcnt(1)
	v_fma_f64 v[83:84], v[111:112], v[83:84], v[103:104]
	s_waitcnt vmcnt(17)
	v_fma_f64 v[83:84], v[109:110], v[85:86], v[83:84]
	buffer_load_dword v104, off, s[0:3], 0 offset:276
	buffer_load_dword v105, off, s[0:3], 0 offset:296
	;; [unrolled: 1-line block ×7, first 2 shown]
	s_waitcnt vmcnt(23) lgkmcnt(0)
	v_fma_f64 v[83:84], v[107:108], v[87:88], v[83:84]
	s_waitcnt vmcnt(18)
	v_fma_f64 v[91:92], v[91:92], v[89:90], v[83:84]
	ds_read2_b64 v[83:86], v82 offset0:67 offset1:68
	ds_read2_b64 v[87:90], v82 offset0:69 offset1:70
	buffer_load_dword v106, off, s[0:3], 0 offset:300
	s_waitcnt vmcnt(18) lgkmcnt(1)
	v_fma_f64 v[83:84], v[115:116], v[83:84], v[91:92]
	buffer_load_dword v92, off, s[0:3], 0 offset:308
	buffer_load_dword v107, off, s[0:3], 0 offset:312
	;; [unrolled: 1-line block ×4, first 2 shown]
	s_waitcnt vmcnt(21)
	v_fma_f64 v[83:84], v[113:114], v[85:86], v[83:84]
	s_waitcnt vmcnt(20) lgkmcnt(0)
	v_fma_f64 v[83:84], v[93:94], v[87:88], v[83:84]
	buffer_load_dword v93, off, s[0:3], 0 offset:112
	buffer_load_dword v94, off, s[0:3], 0 offset:116
	s_waitcnt vmcnt(17)
	v_fma_f64 v[95:96], v[95:96], v[89:90], v[83:84]
	ds_read2_b64 v[83:86], v82 offset0:71 offset1:72
	ds_read2_b64 v[87:90], v82 offset0:73 offset1:74
	s_waitcnt vmcnt(16) lgkmcnt(1)
	v_fma_f64 v[83:84], v[101:102], v[83:84], v[95:96]
	s_waitcnt vmcnt(15)
	v_fma_f64 v[83:84], v[99:100], v[85:86], v[83:84]
	s_waitcnt vmcnt(14) lgkmcnt(0)
	v_fma_f64 v[83:84], v[97:98], v[87:88], v[83:84]
	s_waitcnt vmcnt(9)
	v_fma_f64 v[95:96], v[103:104], v[89:90], v[83:84]
	ds_read2_b64 v[83:86], v82 offset0:75 offset1:76
	ds_read2_b64 v[87:90], v82 offset0:77 offset1:78
	s_waitcnt vmcnt(8) lgkmcnt(1)
	v_fma_f64 v[83:84], v[111:112], v[83:84], v[95:96]
	s_waitcnt vmcnt(7)
	v_fma_f64 v[83:84], v[109:110], v[85:86], v[83:84]
	ds_read_b64 v[85:86], v82 offset:632
	s_waitcnt vmcnt(6) lgkmcnt(1)
	v_fma_f64 v[83:84], v[105:106], v[87:88], v[83:84]
	s_waitcnt vmcnt(3)
	v_fma_f64 v[83:84], v[91:92], v[89:90], v[83:84]
	s_waitcnt vmcnt(2) lgkmcnt(0)
	v_fma_f64 v[83:84], v[107:108], v[85:86], v[83:84]
	s_waitcnt vmcnt(0)
	v_add_f64 v[83:84], v[93:94], -v[83:84]
	buffer_store_dword v84, off, s[0:3], 0 offset:116
	buffer_store_dword v83, off, s[0:3], 0 offset:112
	s_and_saveexec_b64 s[4:5], vcc
	s_cbranch_execz .LBB103_221
; %bb.220:
	buffer_load_dword v83, off, s[0:3], 0 offset:104
	buffer_load_dword v84, off, s[0:3], 0 offset:108
	s_waitcnt vmcnt(0)
	ds_write_b64 v81, v[83:84]
	buffer_store_dword v82, off, s[0:3], 0 offset:104
	buffer_store_dword v82, off, s[0:3], 0 offset:108
.LBB103_221:
	s_or_b64 exec, exec, s[4:5]
	s_waitcnt lgkmcnt(0)
	; wave barrier
	buffer_load_dword v91, off, s[0:3], 0 offset:112
	buffer_load_dword v92, off, s[0:3], 0 offset:116
	;; [unrolled: 1-line block ×22, first 2 shown]
	ds_read_b128 v[83:86], v82 offset:432
	ds_read_b128 v[87:90], v82 offset:448
	v_cmp_lt_u32_e32 vcc, 12, v0
	s_waitcnt vmcnt(20) lgkmcnt(1)
	v_fma_f64 v[83:84], v[91:92], v[83:84], 0
	s_waitcnt vmcnt(18)
	v_fma_f64 v[83:84], v[93:94], v[85:86], v[83:84]
	buffer_load_dword v92, off, s[0:3], 0 offset:204
	buffer_load_dword v93, off, s[0:3], 0 offset:224
	buffer_load_dword v113, off, s[0:3], 0 offset:216
	buffer_load_dword v115, off, s[0:3], 0 offset:208
	buffer_load_dword v91, off, s[0:3], 0 offset:200
	buffer_load_dword v116, off, s[0:3], 0 offset:212
	buffer_load_dword v114, off, s[0:3], 0 offset:220
	s_waitcnt vmcnt(23) lgkmcnt(0)
	v_fma_f64 v[83:84], v[95:96], v[87:88], v[83:84]
	s_waitcnt vmcnt(21)
	v_fma_f64 v[94:95], v[97:98], v[89:90], v[83:84]
	ds_read_b128 v[83:86], v82 offset:464
	ds_read_b128 v[87:90], v82 offset:480
	s_waitcnt vmcnt(19) lgkmcnt(1)
	v_fma_f64 v[83:84], v[99:100], v[83:84], v[94:95]
	buffer_load_dword v94, off, s[0:3], 0 offset:228
	s_waitcnt vmcnt(18)
	v_fma_f64 v[83:84], v[101:102], v[85:86], v[83:84]
	buffer_load_dword v96, off, s[0:3], 0 offset:236
	buffer_load_dword v97, off, s[0:3], 0 offset:256
	;; [unrolled: 1-line block ×8, first 2 shown]
	s_waitcnt vmcnt(24) lgkmcnt(0)
	v_fma_f64 v[83:84], v[103:104], v[87:88], v[83:84]
	s_waitcnt vmcnt(19)
	v_fma_f64 v[103:104], v[105:106], v[89:90], v[83:84]
	ds_read_b128 v[83:86], v82 offset:496
	ds_read_b128 v[87:90], v82 offset:512
	s_waitcnt vmcnt(18) lgkmcnt(1)
	v_fma_f64 v[83:84], v[111:112], v[83:84], v[103:104]
	s_waitcnt vmcnt(17)
	v_fma_f64 v[83:84], v[109:110], v[85:86], v[83:84]
	buffer_load_dword v104, off, s[0:3], 0 offset:268
	buffer_load_dword v105, off, s[0:3], 0 offset:288
	;; [unrolled: 1-line block ×8, first 2 shown]
	s_waitcnt vmcnt(24) lgkmcnt(0)
	v_fma_f64 v[83:84], v[107:108], v[87:88], v[83:84]
	s_waitcnt vmcnt(19)
	v_fma_f64 v[91:92], v[91:92], v[89:90], v[83:84]
	ds_read_b128 v[83:86], v82 offset:528
	ds_read_b128 v[87:90], v82 offset:544
	s_waitcnt vmcnt(18) lgkmcnt(1)
	v_fma_f64 v[83:84], v[115:116], v[83:84], v[91:92]
	s_waitcnt vmcnt(17)
	v_fma_f64 v[83:84], v[113:114], v[85:86], v[83:84]
	buffer_load_dword v92, off, s[0:3], 0 offset:300
	buffer_load_dword v107, off, s[0:3], 0 offset:312
	buffer_load_dword v113, off, s[0:3], 0 offset:304
	buffer_load_dword v91, off, s[0:3], 0 offset:296
	buffer_load_dword v114, off, s[0:3], 0 offset:308
	buffer_load_dword v108, off, s[0:3], 0 offset:316
	s_waitcnt vmcnt(22) lgkmcnt(0)
	v_fma_f64 v[83:84], v[93:94], v[87:88], v[83:84]
	s_waitcnt vmcnt(17)
	v_fma_f64 v[93:94], v[95:96], v[89:90], v[83:84]
	ds_read_b128 v[83:86], v82 offset:560
	buffer_load_dword v95, off, s[0:3], 0 offset:104
	buffer_load_dword v96, off, s[0:3], 0 offset:108
	ds_read_b128 v[87:90], v82 offset:576
	s_waitcnt vmcnt(18) lgkmcnt(1)
	v_fma_f64 v[83:84], v[101:102], v[83:84], v[93:94]
	s_waitcnt vmcnt(17)
	v_fma_f64 v[83:84], v[99:100], v[85:86], v[83:84]
	s_waitcnt vmcnt(16) lgkmcnt(0)
	v_fma_f64 v[83:84], v[97:98], v[87:88], v[83:84]
	s_waitcnt vmcnt(11)
	v_fma_f64 v[93:94], v[103:104], v[89:90], v[83:84]
	ds_read_b128 v[83:86], v82 offset:592
	ds_read_b128 v[87:90], v82 offset:608
	s_waitcnt vmcnt(10) lgkmcnt(1)
	v_fma_f64 v[83:84], v[111:112], v[83:84], v[93:94]
	s_waitcnt vmcnt(9)
	v_fma_f64 v[83:84], v[109:110], v[85:86], v[83:84]
	s_waitcnt vmcnt(8) lgkmcnt(0)
	v_fma_f64 v[83:84], v[105:106], v[87:88], v[83:84]
	s_waitcnt vmcnt(4)
	v_fma_f64 v[86:87], v[91:92], v[89:90], v[83:84]
	ds_read_b128 v[82:85], v82 offset:624
	s_waitcnt vmcnt(3) lgkmcnt(0)
	v_fma_f64 v[82:83], v[113:114], v[82:83], v[86:87]
	s_waitcnt vmcnt(2)
	v_fma_f64 v[82:83], v[107:108], v[84:85], v[82:83]
	s_waitcnt vmcnt(0)
	v_add_f64 v[82:83], v[95:96], -v[82:83]
	buffer_store_dword v83, off, s[0:3], 0 offset:108
	buffer_store_dword v82, off, s[0:3], 0 offset:104
	s_and_saveexec_b64 s[4:5], vcc
	s_cbranch_execz .LBB103_223
; %bb.222:
	buffer_load_dword v82, off, s[0:3], 0 offset:96
	buffer_load_dword v83, off, s[0:3], 0 offset:100
	v_mov_b32_e32 v84, 0
	buffer_store_dword v84, off, s[0:3], 0 offset:96
	buffer_store_dword v84, off, s[0:3], 0 offset:100
	s_waitcnt vmcnt(2)
	ds_write_b64 v81, v[82:83]
.LBB103_223:
	s_or_b64 exec, exec, s[4:5]
	s_waitcnt lgkmcnt(0)
	; wave barrier
	buffer_load_dword v91, off, s[0:3], 0 offset:104
	buffer_load_dword v92, off, s[0:3], 0 offset:108
	;; [unrolled: 1-line block ×22, first 2 shown]
	v_mov_b32_e32 v82, 0
	ds_read2_b64 v[83:86], v82 offset0:53 offset1:54
	ds_read2_b64 v[87:90], v82 offset0:55 offset1:56
	v_cmp_lt_u32_e32 vcc, 11, v0
	s_waitcnt vmcnt(20) lgkmcnt(1)
	v_fma_f64 v[83:84], v[91:92], v[83:84], 0
	s_waitcnt vmcnt(18)
	v_fma_f64 v[83:84], v[93:94], v[85:86], v[83:84]
	buffer_load_dword v92, off, s[0:3], 0 offset:196
	buffer_load_dword v93, off, s[0:3], 0 offset:216
	;; [unrolled: 1-line block ×7, first 2 shown]
	s_waitcnt vmcnt(23) lgkmcnt(0)
	v_fma_f64 v[83:84], v[95:96], v[87:88], v[83:84]
	s_waitcnt vmcnt(21)
	v_fma_f64 v[94:95], v[97:98], v[89:90], v[83:84]
	ds_read2_b64 v[83:86], v82 offset0:57 offset1:58
	ds_read2_b64 v[87:90], v82 offset0:59 offset1:60
	s_waitcnt vmcnt(19) lgkmcnt(1)
	v_fma_f64 v[83:84], v[99:100], v[83:84], v[94:95]
	buffer_load_dword v94, off, s[0:3], 0 offset:220
	s_waitcnt vmcnt(18)
	v_fma_f64 v[83:84], v[101:102], v[85:86], v[83:84]
	buffer_load_dword v96, off, s[0:3], 0 offset:228
	buffer_load_dword v97, off, s[0:3], 0 offset:248
	buffer_load_dword v99, off, s[0:3], 0 offset:240
	buffer_load_dword v101, off, s[0:3], 0 offset:232
	buffer_load_dword v95, off, s[0:3], 0 offset:224
	buffer_load_dword v102, off, s[0:3], 0 offset:236
	buffer_load_dword v100, off, s[0:3], 0 offset:244
	buffer_load_dword v98, off, s[0:3], 0 offset:252
	s_waitcnt vmcnt(24) lgkmcnt(0)
	v_fma_f64 v[83:84], v[103:104], v[87:88], v[83:84]
	s_waitcnt vmcnt(19)
	v_fma_f64 v[103:104], v[105:106], v[89:90], v[83:84]
	ds_read2_b64 v[83:86], v82 offset0:61 offset1:62
	ds_read2_b64 v[87:90], v82 offset0:63 offset1:64
	s_waitcnt vmcnt(18) lgkmcnt(1)
	v_fma_f64 v[83:84], v[111:112], v[83:84], v[103:104]
	s_waitcnt vmcnt(17)
	v_fma_f64 v[83:84], v[109:110], v[85:86], v[83:84]
	buffer_load_dword v104, off, s[0:3], 0 offset:260
	buffer_load_dword v105, off, s[0:3], 0 offset:280
	buffer_load_dword v109, off, s[0:3], 0 offset:272
	buffer_load_dword v111, off, s[0:3], 0 offset:264
	buffer_load_dword v103, off, s[0:3], 0 offset:256
	buffer_load_dword v112, off, s[0:3], 0 offset:268
	buffer_load_dword v110, off, s[0:3], 0 offset:276
	buffer_load_dword v106, off, s[0:3], 0 offset:284
	s_waitcnt vmcnt(24) lgkmcnt(0)
	v_fma_f64 v[83:84], v[107:108], v[87:88], v[83:84]
	s_waitcnt vmcnt(19)
	v_fma_f64 v[91:92], v[91:92], v[89:90], v[83:84]
	ds_read2_b64 v[83:86], v82 offset0:65 offset1:66
	ds_read2_b64 v[87:90], v82 offset0:67 offset1:68
	s_waitcnt vmcnt(18) lgkmcnt(1)
	v_fma_f64 v[83:84], v[115:116], v[83:84], v[91:92]
	;; [unrolled: 18-line block ×3, first 2 shown]
	buffer_load_dword v93, off, s[0:3], 0 offset:96
	buffer_load_dword v94, off, s[0:3], 0 offset:100
	s_waitcnt vmcnt(19)
	v_fma_f64 v[83:84], v[99:100], v[85:86], v[83:84]
	s_waitcnt vmcnt(18) lgkmcnt(0)
	v_fma_f64 v[83:84], v[97:98], v[87:88], v[83:84]
	s_waitcnt vmcnt(13)
	v_fma_f64 v[95:96], v[103:104], v[89:90], v[83:84]
	ds_read2_b64 v[83:86], v82 offset0:73 offset1:74
	ds_read2_b64 v[87:90], v82 offset0:75 offset1:76
	s_waitcnt vmcnt(12) lgkmcnt(1)
	v_fma_f64 v[83:84], v[111:112], v[83:84], v[95:96]
	s_waitcnt vmcnt(11)
	v_fma_f64 v[83:84], v[109:110], v[85:86], v[83:84]
	s_waitcnt vmcnt(10) lgkmcnt(0)
	v_fma_f64 v[83:84], v[105:106], v[87:88], v[83:84]
	s_waitcnt vmcnt(5)
	v_fma_f64 v[87:88], v[91:92], v[89:90], v[83:84]
	ds_read2_b64 v[83:86], v82 offset0:77 offset1:78
	ds_read_b64 v[89:90], v82 offset:632
	s_waitcnt vmcnt(4) lgkmcnt(1)
	v_fma_f64 v[83:84], v[115:116], v[83:84], v[87:88]
	s_waitcnt vmcnt(3)
	v_fma_f64 v[83:84], v[113:114], v[85:86], v[83:84]
	s_waitcnt vmcnt(2) lgkmcnt(0)
	v_fma_f64 v[83:84], v[107:108], v[89:90], v[83:84]
	s_waitcnt vmcnt(0)
	v_add_f64 v[83:84], v[93:94], -v[83:84]
	buffer_store_dword v84, off, s[0:3], 0 offset:100
	buffer_store_dword v83, off, s[0:3], 0 offset:96
	s_and_saveexec_b64 s[4:5], vcc
	s_cbranch_execz .LBB103_225
; %bb.224:
	buffer_load_dword v83, off, s[0:3], 0 offset:88
	buffer_load_dword v84, off, s[0:3], 0 offset:92
	s_waitcnt vmcnt(0)
	ds_write_b64 v81, v[83:84]
	buffer_store_dword v82, off, s[0:3], 0 offset:88
	buffer_store_dword v82, off, s[0:3], 0 offset:92
.LBB103_225:
	s_or_b64 exec, exec, s[4:5]
	s_waitcnt lgkmcnt(0)
	; wave barrier
	buffer_load_dword v91, off, s[0:3], 0 offset:96
	buffer_load_dword v92, off, s[0:3], 0 offset:100
	;; [unrolled: 1-line block ×22, first 2 shown]
	ds_read_b128 v[83:86], v82 offset:416
	ds_read_b128 v[87:90], v82 offset:432
	v_cmp_lt_u32_e32 vcc, 10, v0
	s_waitcnt vmcnt(20) lgkmcnt(1)
	v_fma_f64 v[83:84], v[91:92], v[83:84], 0
	s_waitcnt vmcnt(18)
	v_fma_f64 v[83:84], v[93:94], v[85:86], v[83:84]
	buffer_load_dword v92, off, s[0:3], 0 offset:188
	buffer_load_dword v93, off, s[0:3], 0 offset:208
	;; [unrolled: 1-line block ×7, first 2 shown]
	s_waitcnt vmcnt(23) lgkmcnt(0)
	v_fma_f64 v[83:84], v[95:96], v[87:88], v[83:84]
	s_waitcnt vmcnt(21)
	v_fma_f64 v[94:95], v[97:98], v[89:90], v[83:84]
	ds_read_b128 v[83:86], v82 offset:448
	ds_read_b128 v[87:90], v82 offset:464
	s_waitcnt vmcnt(19) lgkmcnt(1)
	v_fma_f64 v[83:84], v[99:100], v[83:84], v[94:95]
	buffer_load_dword v94, off, s[0:3], 0 offset:212
	s_waitcnt vmcnt(18)
	v_fma_f64 v[83:84], v[101:102], v[85:86], v[83:84]
	buffer_load_dword v96, off, s[0:3], 0 offset:220
	buffer_load_dword v97, off, s[0:3], 0 offset:240
	buffer_load_dword v99, off, s[0:3], 0 offset:232
	buffer_load_dword v101, off, s[0:3], 0 offset:224
	buffer_load_dword v95, off, s[0:3], 0 offset:216
	buffer_load_dword v102, off, s[0:3], 0 offset:228
	buffer_load_dword v100, off, s[0:3], 0 offset:236
	buffer_load_dword v98, off, s[0:3], 0 offset:244
	s_waitcnt vmcnt(24) lgkmcnt(0)
	v_fma_f64 v[83:84], v[103:104], v[87:88], v[83:84]
	s_waitcnt vmcnt(19)
	v_fma_f64 v[103:104], v[105:106], v[89:90], v[83:84]
	ds_read_b128 v[83:86], v82 offset:480
	ds_read_b128 v[87:90], v82 offset:496
	s_waitcnt vmcnt(18) lgkmcnt(1)
	v_fma_f64 v[83:84], v[111:112], v[83:84], v[103:104]
	s_waitcnt vmcnt(17)
	v_fma_f64 v[83:84], v[109:110], v[85:86], v[83:84]
	buffer_load_dword v104, off, s[0:3], 0 offset:252
	buffer_load_dword v105, off, s[0:3], 0 offset:272
	buffer_load_dword v109, off, s[0:3], 0 offset:264
	buffer_load_dword v111, off, s[0:3], 0 offset:256
	buffer_load_dword v103, off, s[0:3], 0 offset:248
	buffer_load_dword v112, off, s[0:3], 0 offset:260
	buffer_load_dword v110, off, s[0:3], 0 offset:268
	buffer_load_dword v106, off, s[0:3], 0 offset:276
	s_waitcnt vmcnt(24) lgkmcnt(0)
	v_fma_f64 v[83:84], v[107:108], v[87:88], v[83:84]
	s_waitcnt vmcnt(19)
	v_fma_f64 v[91:92], v[91:92], v[89:90], v[83:84]
	ds_read_b128 v[83:86], v82 offset:512
	ds_read_b128 v[87:90], v82 offset:528
	s_waitcnt vmcnt(18) lgkmcnt(1)
	v_fma_f64 v[83:84], v[115:116], v[83:84], v[91:92]
	;; [unrolled: 18-line block ×3, first 2 shown]
	buffer_load_dword v94, off, s[0:3], 0 offset:316
	buffer_load_dword v93, off, s[0:3], 0 offset:312
	;; [unrolled: 1-line block ×4, first 2 shown]
	s_waitcnt vmcnt(21)
	v_fma_f64 v[83:84], v[99:100], v[85:86], v[83:84]
	s_waitcnt vmcnt(20) lgkmcnt(0)
	v_fma_f64 v[83:84], v[97:98], v[87:88], v[83:84]
	s_waitcnt vmcnt(15)
	v_fma_f64 v[97:98], v[103:104], v[89:90], v[83:84]
	ds_read_b128 v[83:86], v82 offset:576
	ds_read_b128 v[87:90], v82 offset:592
	s_waitcnt vmcnt(14) lgkmcnt(1)
	v_fma_f64 v[83:84], v[111:112], v[83:84], v[97:98]
	s_waitcnt vmcnt(13)
	v_fma_f64 v[83:84], v[109:110], v[85:86], v[83:84]
	s_waitcnt vmcnt(12) lgkmcnt(0)
	v_fma_f64 v[83:84], v[105:106], v[87:88], v[83:84]
	s_waitcnt vmcnt(7)
	v_fma_f64 v[91:92], v[91:92], v[89:90], v[83:84]
	ds_read_b128 v[83:86], v82 offset:608
	ds_read_b128 v[87:90], v82 offset:624
	s_waitcnt vmcnt(6) lgkmcnt(1)
	v_fma_f64 v[82:83], v[115:116], v[83:84], v[91:92]
	s_waitcnt vmcnt(5)
	v_fma_f64 v[82:83], v[113:114], v[85:86], v[82:83]
	s_waitcnt vmcnt(4) lgkmcnt(0)
	v_fma_f64 v[82:83], v[107:108], v[87:88], v[82:83]
	s_waitcnt vmcnt(2)
	v_fma_f64 v[82:83], v[93:94], v[89:90], v[82:83]
	s_waitcnt vmcnt(0)
	v_add_f64 v[82:83], v[95:96], -v[82:83]
	buffer_store_dword v83, off, s[0:3], 0 offset:92
	buffer_store_dword v82, off, s[0:3], 0 offset:88
	s_and_saveexec_b64 s[4:5], vcc
	s_cbranch_execz .LBB103_227
; %bb.226:
	buffer_load_dword v82, off, s[0:3], 0 offset:80
	buffer_load_dword v83, off, s[0:3], 0 offset:84
	v_mov_b32_e32 v84, 0
	buffer_store_dword v84, off, s[0:3], 0 offset:80
	buffer_store_dword v84, off, s[0:3], 0 offset:84
	s_waitcnt vmcnt(2)
	ds_write_b64 v81, v[82:83]
.LBB103_227:
	s_or_b64 exec, exec, s[4:5]
	s_waitcnt lgkmcnt(0)
	; wave barrier
	buffer_load_dword v91, off, s[0:3], 0 offset:88
	buffer_load_dword v92, off, s[0:3], 0 offset:92
	;; [unrolled: 1-line block ×22, first 2 shown]
	v_mov_b32_e32 v82, 0
	ds_read2_b64 v[83:86], v82 offset0:51 offset1:52
	ds_read2_b64 v[87:90], v82 offset0:53 offset1:54
	v_cmp_lt_u32_e32 vcc, 9, v0
	s_waitcnt vmcnt(20) lgkmcnt(1)
	v_fma_f64 v[83:84], v[91:92], v[83:84], 0
	s_waitcnt vmcnt(18)
	v_fma_f64 v[83:84], v[93:94], v[85:86], v[83:84]
	buffer_load_dword v92, off, s[0:3], 0 offset:180
	buffer_load_dword v93, off, s[0:3], 0 offset:200
	;; [unrolled: 1-line block ×7, first 2 shown]
	s_waitcnt vmcnt(23) lgkmcnt(0)
	v_fma_f64 v[83:84], v[95:96], v[87:88], v[83:84]
	s_waitcnt vmcnt(21)
	v_fma_f64 v[94:95], v[97:98], v[89:90], v[83:84]
	ds_read2_b64 v[83:86], v82 offset0:55 offset1:56
	ds_read2_b64 v[87:90], v82 offset0:57 offset1:58
	s_waitcnt vmcnt(19) lgkmcnt(1)
	v_fma_f64 v[83:84], v[99:100], v[83:84], v[94:95]
	buffer_load_dword v94, off, s[0:3], 0 offset:204
	s_waitcnt vmcnt(18)
	v_fma_f64 v[83:84], v[101:102], v[85:86], v[83:84]
	buffer_load_dword v96, off, s[0:3], 0 offset:212
	buffer_load_dword v97, off, s[0:3], 0 offset:232
	;; [unrolled: 1-line block ×7, first 2 shown]
	s_waitcnt vmcnt(23) lgkmcnt(0)
	v_fma_f64 v[83:84], v[103:104], v[87:88], v[83:84]
	s_waitcnt vmcnt(18)
	v_fma_f64 v[103:104], v[105:106], v[89:90], v[83:84]
	ds_read2_b64 v[83:86], v82 offset0:59 offset1:60
	ds_read2_b64 v[87:90], v82 offset0:61 offset1:62
	buffer_load_dword v98, off, s[0:3], 0 offset:236
	s_waitcnt vmcnt(18) lgkmcnt(1)
	v_fma_f64 v[83:84], v[111:112], v[83:84], v[103:104]
	s_waitcnt vmcnt(17)
	v_fma_f64 v[83:84], v[109:110], v[85:86], v[83:84]
	buffer_load_dword v104, off, s[0:3], 0 offset:244
	buffer_load_dword v105, off, s[0:3], 0 offset:264
	;; [unrolled: 1-line block ×8, first 2 shown]
	s_waitcnt vmcnt(24) lgkmcnt(0)
	v_fma_f64 v[83:84], v[107:108], v[87:88], v[83:84]
	s_waitcnt vmcnt(19)
	v_fma_f64 v[91:92], v[91:92], v[89:90], v[83:84]
	ds_read2_b64 v[83:86], v82 offset0:63 offset1:64
	ds_read2_b64 v[87:90], v82 offset0:65 offset1:66
	s_waitcnt vmcnt(18) lgkmcnt(1)
	v_fma_f64 v[83:84], v[115:116], v[83:84], v[91:92]
	s_waitcnt vmcnt(17)
	v_fma_f64 v[83:84], v[113:114], v[85:86], v[83:84]
	buffer_load_dword v92, off, s[0:3], 0 offset:276
	buffer_load_dword v107, off, s[0:3], 0 offset:296
	;; [unrolled: 1-line block ×7, first 2 shown]
	s_waitcnt vmcnt(23) lgkmcnt(0)
	v_fma_f64 v[83:84], v[93:94], v[87:88], v[83:84]
	s_waitcnt vmcnt(18)
	v_fma_f64 v[93:94], v[95:96], v[89:90], v[83:84]
	ds_read2_b64 v[83:86], v82 offset0:67 offset1:68
	ds_read2_b64 v[87:90], v82 offset0:69 offset1:70
	buffer_load_dword v108, off, s[0:3], 0 offset:300
	s_waitcnt vmcnt(18) lgkmcnt(1)
	v_fma_f64 v[83:84], v[101:102], v[83:84], v[93:94]
	buffer_load_dword v94, off, s[0:3], 0 offset:308
	buffer_load_dword v95, off, s[0:3], 0 offset:312
	;; [unrolled: 1-line block ×4, first 2 shown]
	s_waitcnt vmcnt(21)
	v_fma_f64 v[83:84], v[99:100], v[85:86], v[83:84]
	s_waitcnt vmcnt(20) lgkmcnt(0)
	v_fma_f64 v[83:84], v[97:98], v[87:88], v[83:84]
	buffer_load_dword v97, off, s[0:3], 0 offset:80
	buffer_load_dword v98, off, s[0:3], 0 offset:84
	s_waitcnt vmcnt(17)
	v_fma_f64 v[99:100], v[103:104], v[89:90], v[83:84]
	ds_read2_b64 v[83:86], v82 offset0:71 offset1:72
	ds_read2_b64 v[87:90], v82 offset0:73 offset1:74
	s_waitcnt vmcnt(16) lgkmcnt(1)
	v_fma_f64 v[83:84], v[111:112], v[83:84], v[99:100]
	s_waitcnt vmcnt(15)
	v_fma_f64 v[83:84], v[109:110], v[85:86], v[83:84]
	s_waitcnt vmcnt(14) lgkmcnt(0)
	v_fma_f64 v[83:84], v[105:106], v[87:88], v[83:84]
	s_waitcnt vmcnt(9)
	v_fma_f64 v[91:92], v[91:92], v[89:90], v[83:84]
	ds_read2_b64 v[83:86], v82 offset0:75 offset1:76
	ds_read2_b64 v[87:90], v82 offset0:77 offset1:78
	s_waitcnt vmcnt(8) lgkmcnt(1)
	v_fma_f64 v[83:84], v[115:116], v[83:84], v[91:92]
	s_waitcnt vmcnt(7)
	v_fma_f64 v[83:84], v[113:114], v[85:86], v[83:84]
	ds_read_b64 v[85:86], v82 offset:632
	s_waitcnt vmcnt(6) lgkmcnt(1)
	v_fma_f64 v[83:84], v[107:108], v[87:88], v[83:84]
	s_waitcnt vmcnt(3)
	v_fma_f64 v[83:84], v[93:94], v[89:90], v[83:84]
	s_waitcnt vmcnt(2) lgkmcnt(0)
	v_fma_f64 v[83:84], v[95:96], v[85:86], v[83:84]
	s_waitcnt vmcnt(0)
	v_add_f64 v[83:84], v[97:98], -v[83:84]
	buffer_store_dword v84, off, s[0:3], 0 offset:84
	buffer_store_dword v83, off, s[0:3], 0 offset:80
	s_and_saveexec_b64 s[4:5], vcc
	s_cbranch_execz .LBB103_229
; %bb.228:
	buffer_load_dword v83, off, s[0:3], 0 offset:72
	buffer_load_dword v84, off, s[0:3], 0 offset:76
	s_waitcnt vmcnt(0)
	ds_write_b64 v81, v[83:84]
	buffer_store_dword v82, off, s[0:3], 0 offset:72
	buffer_store_dword v82, off, s[0:3], 0 offset:76
.LBB103_229:
	s_or_b64 exec, exec, s[4:5]
	s_waitcnt lgkmcnt(0)
	; wave barrier
	buffer_load_dword v91, off, s[0:3], 0 offset:80
	buffer_load_dword v92, off, s[0:3], 0 offset:84
	;; [unrolled: 1-line block ×22, first 2 shown]
	ds_read_b128 v[83:86], v82 offset:400
	ds_read_b128 v[87:90], v82 offset:416
	v_cmp_lt_u32_e32 vcc, 8, v0
	s_waitcnt vmcnt(20) lgkmcnt(1)
	v_fma_f64 v[83:84], v[91:92], v[83:84], 0
	s_waitcnt vmcnt(18)
	v_fma_f64 v[83:84], v[93:94], v[85:86], v[83:84]
	buffer_load_dword v92, off, s[0:3], 0 offset:172
	buffer_load_dword v93, off, s[0:3], 0 offset:192
	;; [unrolled: 1-line block ×7, first 2 shown]
	s_waitcnt vmcnt(23) lgkmcnt(0)
	v_fma_f64 v[83:84], v[95:96], v[87:88], v[83:84]
	s_waitcnt vmcnt(21)
	v_fma_f64 v[94:95], v[97:98], v[89:90], v[83:84]
	ds_read_b128 v[83:86], v82 offset:432
	ds_read_b128 v[87:90], v82 offset:448
	s_waitcnt vmcnt(19) lgkmcnt(1)
	v_fma_f64 v[83:84], v[99:100], v[83:84], v[94:95]
	buffer_load_dword v94, off, s[0:3], 0 offset:196
	s_waitcnt vmcnt(18)
	v_fma_f64 v[83:84], v[101:102], v[85:86], v[83:84]
	buffer_load_dword v96, off, s[0:3], 0 offset:204
	buffer_load_dword v97, off, s[0:3], 0 offset:224
	;; [unrolled: 1-line block ×7, first 2 shown]
	s_waitcnt vmcnt(23) lgkmcnt(0)
	v_fma_f64 v[83:84], v[103:104], v[87:88], v[83:84]
	s_waitcnt vmcnt(18)
	v_fma_f64 v[103:104], v[105:106], v[89:90], v[83:84]
	ds_read_b128 v[83:86], v82 offset:464
	ds_read_b128 v[87:90], v82 offset:480
	buffer_load_dword v98, off, s[0:3], 0 offset:228
	s_waitcnt vmcnt(18) lgkmcnt(1)
	v_fma_f64 v[83:84], v[111:112], v[83:84], v[103:104]
	s_waitcnt vmcnt(17)
	v_fma_f64 v[83:84], v[109:110], v[85:86], v[83:84]
	buffer_load_dword v104, off, s[0:3], 0 offset:236
	buffer_load_dword v105, off, s[0:3], 0 offset:256
	buffer_load_dword v109, off, s[0:3], 0 offset:248
	buffer_load_dword v111, off, s[0:3], 0 offset:240
	buffer_load_dword v103, off, s[0:3], 0 offset:232
	buffer_load_dword v112, off, s[0:3], 0 offset:244
	buffer_load_dword v110, off, s[0:3], 0 offset:252
	buffer_load_dword v106, off, s[0:3], 0 offset:260
	s_waitcnt vmcnt(24) lgkmcnt(0)
	v_fma_f64 v[83:84], v[107:108], v[87:88], v[83:84]
	s_waitcnt vmcnt(19)
	v_fma_f64 v[91:92], v[91:92], v[89:90], v[83:84]
	ds_read_b128 v[83:86], v82 offset:496
	ds_read_b128 v[87:90], v82 offset:512
	s_waitcnt vmcnt(18) lgkmcnt(1)
	v_fma_f64 v[83:84], v[115:116], v[83:84], v[91:92]
	s_waitcnt vmcnt(17)
	v_fma_f64 v[83:84], v[113:114], v[85:86], v[83:84]
	buffer_load_dword v92, off, s[0:3], 0 offset:268
	buffer_load_dword v107, off, s[0:3], 0 offset:288
	;; [unrolled: 1-line block ×8, first 2 shown]
	s_waitcnt vmcnt(24) lgkmcnt(0)
	v_fma_f64 v[83:84], v[93:94], v[87:88], v[83:84]
	s_waitcnt vmcnt(19)
	v_fma_f64 v[93:94], v[95:96], v[89:90], v[83:84]
	ds_read_b128 v[83:86], v82 offset:528
	ds_read_b128 v[87:90], v82 offset:544
	s_waitcnt vmcnt(18) lgkmcnt(1)
	v_fma_f64 v[83:84], v[101:102], v[83:84], v[93:94]
	s_waitcnt vmcnt(17)
	v_fma_f64 v[83:84], v[99:100], v[85:86], v[83:84]
	buffer_load_dword v94, off, s[0:3], 0 offset:300
	buffer_load_dword v95, off, s[0:3], 0 offset:312
	buffer_load_dword v99, off, s[0:3], 0 offset:304
	buffer_load_dword v93, off, s[0:3], 0 offset:296
	buffer_load_dword v100, off, s[0:3], 0 offset:308
	buffer_load_dword v96, off, s[0:3], 0 offset:316
	s_waitcnt vmcnt(22) lgkmcnt(0)
	v_fma_f64 v[83:84], v[97:98], v[87:88], v[83:84]
	s_waitcnt vmcnt(17)
	v_fma_f64 v[97:98], v[103:104], v[89:90], v[83:84]
	ds_read_b128 v[83:86], v82 offset:560
	buffer_load_dword v101, off, s[0:3], 0 offset:72
	buffer_load_dword v102, off, s[0:3], 0 offset:76
	ds_read_b128 v[87:90], v82 offset:576
	s_waitcnt vmcnt(18) lgkmcnt(1)
	v_fma_f64 v[83:84], v[111:112], v[83:84], v[97:98]
	s_waitcnt vmcnt(17)
	v_fma_f64 v[83:84], v[109:110], v[85:86], v[83:84]
	s_waitcnt vmcnt(16) lgkmcnt(0)
	v_fma_f64 v[83:84], v[105:106], v[87:88], v[83:84]
	s_waitcnt vmcnt(11)
	v_fma_f64 v[91:92], v[91:92], v[89:90], v[83:84]
	ds_read_b128 v[83:86], v82 offset:592
	ds_read_b128 v[87:90], v82 offset:608
	s_waitcnt vmcnt(10) lgkmcnt(1)
	v_fma_f64 v[83:84], v[115:116], v[83:84], v[91:92]
	s_waitcnt vmcnt(9)
	v_fma_f64 v[83:84], v[113:114], v[85:86], v[83:84]
	s_waitcnt vmcnt(8) lgkmcnt(0)
	v_fma_f64 v[83:84], v[107:108], v[87:88], v[83:84]
	s_waitcnt vmcnt(4)
	v_fma_f64 v[86:87], v[93:94], v[89:90], v[83:84]
	ds_read_b128 v[82:85], v82 offset:624
	s_waitcnt vmcnt(3) lgkmcnt(0)
	v_fma_f64 v[82:83], v[99:100], v[82:83], v[86:87]
	s_waitcnt vmcnt(2)
	v_fma_f64 v[82:83], v[95:96], v[84:85], v[82:83]
	s_waitcnt vmcnt(0)
	v_add_f64 v[82:83], v[101:102], -v[82:83]
	buffer_store_dword v83, off, s[0:3], 0 offset:76
	buffer_store_dword v82, off, s[0:3], 0 offset:72
	s_and_saveexec_b64 s[4:5], vcc
	s_cbranch_execz .LBB103_231
; %bb.230:
	buffer_load_dword v82, off, s[0:3], 0 offset:64
	buffer_load_dword v83, off, s[0:3], 0 offset:68
	v_mov_b32_e32 v84, 0
	buffer_store_dword v84, off, s[0:3], 0 offset:64
	buffer_store_dword v84, off, s[0:3], 0 offset:68
	s_waitcnt vmcnt(2)
	ds_write_b64 v81, v[82:83]
.LBB103_231:
	s_or_b64 exec, exec, s[4:5]
	s_waitcnt lgkmcnt(0)
	; wave barrier
	buffer_load_dword v91, off, s[0:3], 0 offset:72
	buffer_load_dword v92, off, s[0:3], 0 offset:76
	;; [unrolled: 1-line block ×22, first 2 shown]
	v_mov_b32_e32 v82, 0
	ds_read2_b64 v[83:86], v82 offset0:49 offset1:50
	ds_read2_b64 v[87:90], v82 offset0:51 offset1:52
	v_cmp_lt_u32_e32 vcc, 7, v0
	s_waitcnt vmcnt(20) lgkmcnt(1)
	v_fma_f64 v[83:84], v[91:92], v[83:84], 0
	s_waitcnt vmcnt(18)
	v_fma_f64 v[83:84], v[93:94], v[85:86], v[83:84]
	buffer_load_dword v92, off, s[0:3], 0 offset:164
	buffer_load_dword v93, off, s[0:3], 0 offset:184
	buffer_load_dword v113, off, s[0:3], 0 offset:176
	buffer_load_dword v115, off, s[0:3], 0 offset:168
	buffer_load_dword v91, off, s[0:3], 0 offset:160
	buffer_load_dword v116, off, s[0:3], 0 offset:172
	buffer_load_dword v114, off, s[0:3], 0 offset:180
	s_waitcnt vmcnt(23) lgkmcnt(0)
	v_fma_f64 v[83:84], v[95:96], v[87:88], v[83:84]
	s_waitcnt vmcnt(21)
	v_fma_f64 v[94:95], v[97:98], v[89:90], v[83:84]
	ds_read2_b64 v[83:86], v82 offset0:53 offset1:54
	ds_read2_b64 v[87:90], v82 offset0:55 offset1:56
	s_waitcnt vmcnt(19) lgkmcnt(1)
	v_fma_f64 v[83:84], v[99:100], v[83:84], v[94:95]
	buffer_load_dword v94, off, s[0:3], 0 offset:188
	s_waitcnt vmcnt(18)
	v_fma_f64 v[83:84], v[101:102], v[85:86], v[83:84]
	buffer_load_dword v96, off, s[0:3], 0 offset:196
	buffer_load_dword v97, off, s[0:3], 0 offset:216
	;; [unrolled: 1-line block ×7, first 2 shown]
	s_waitcnt vmcnt(23) lgkmcnt(0)
	v_fma_f64 v[83:84], v[103:104], v[87:88], v[83:84]
	s_waitcnt vmcnt(18)
	v_fma_f64 v[103:104], v[105:106], v[89:90], v[83:84]
	ds_read2_b64 v[83:86], v82 offset0:57 offset1:58
	ds_read2_b64 v[87:90], v82 offset0:59 offset1:60
	buffer_load_dword v98, off, s[0:3], 0 offset:220
	s_waitcnt vmcnt(18) lgkmcnt(1)
	v_fma_f64 v[83:84], v[111:112], v[83:84], v[103:104]
	s_waitcnt vmcnt(17)
	v_fma_f64 v[83:84], v[109:110], v[85:86], v[83:84]
	buffer_load_dword v104, off, s[0:3], 0 offset:228
	buffer_load_dword v105, off, s[0:3], 0 offset:248
	buffer_load_dword v109, off, s[0:3], 0 offset:240
	buffer_load_dword v111, off, s[0:3], 0 offset:232
	buffer_load_dword v103, off, s[0:3], 0 offset:224
	buffer_load_dword v112, off, s[0:3], 0 offset:236
	buffer_load_dword v110, off, s[0:3], 0 offset:244
	buffer_load_dword v106, off, s[0:3], 0 offset:252
	s_waitcnt vmcnt(24) lgkmcnt(0)
	v_fma_f64 v[83:84], v[107:108], v[87:88], v[83:84]
	s_waitcnt vmcnt(19)
	v_fma_f64 v[91:92], v[91:92], v[89:90], v[83:84]
	ds_read2_b64 v[83:86], v82 offset0:61 offset1:62
	ds_read2_b64 v[87:90], v82 offset0:63 offset1:64
	s_waitcnt vmcnt(18) lgkmcnt(1)
	v_fma_f64 v[83:84], v[115:116], v[83:84], v[91:92]
	s_waitcnt vmcnt(17)
	v_fma_f64 v[83:84], v[113:114], v[85:86], v[83:84]
	buffer_load_dword v92, off, s[0:3], 0 offset:260
	buffer_load_dword v107, off, s[0:3], 0 offset:280
	buffer_load_dword v113, off, s[0:3], 0 offset:272
	buffer_load_dword v115, off, s[0:3], 0 offset:264
	buffer_load_dword v91, off, s[0:3], 0 offset:256
	buffer_load_dword v116, off, s[0:3], 0 offset:268
	buffer_load_dword v114, off, s[0:3], 0 offset:276
	buffer_load_dword v108, off, s[0:3], 0 offset:284
	s_waitcnt vmcnt(24) lgkmcnt(0)
	v_fma_f64 v[83:84], v[93:94], v[87:88], v[83:84]
	s_waitcnt vmcnt(19)
	v_fma_f64 v[93:94], v[95:96], v[89:90], v[83:84]
	ds_read2_b64 v[83:86], v82 offset0:65 offset1:66
	ds_read2_b64 v[87:90], v82 offset0:67 offset1:68
	;; [unrolled: 18-line block ×3, first 2 shown]
	s_waitcnt vmcnt(18) lgkmcnt(1)
	v_fma_f64 v[83:84], v[111:112], v[83:84], v[97:98]
	buffer_load_dword v97, off, s[0:3], 0 offset:64
	buffer_load_dword v98, off, s[0:3], 0 offset:68
	s_waitcnt vmcnt(19)
	v_fma_f64 v[83:84], v[109:110], v[85:86], v[83:84]
	s_waitcnt vmcnt(18) lgkmcnt(0)
	v_fma_f64 v[83:84], v[105:106], v[87:88], v[83:84]
	s_waitcnt vmcnt(13)
	v_fma_f64 v[91:92], v[91:92], v[89:90], v[83:84]
	ds_read2_b64 v[83:86], v82 offset0:73 offset1:74
	ds_read2_b64 v[87:90], v82 offset0:75 offset1:76
	s_waitcnt vmcnt(12) lgkmcnt(1)
	v_fma_f64 v[83:84], v[115:116], v[83:84], v[91:92]
	s_waitcnt vmcnt(11)
	v_fma_f64 v[83:84], v[113:114], v[85:86], v[83:84]
	s_waitcnt vmcnt(10) lgkmcnt(0)
	v_fma_f64 v[83:84], v[107:108], v[87:88], v[83:84]
	s_waitcnt vmcnt(5)
	v_fma_f64 v[87:88], v[93:94], v[89:90], v[83:84]
	ds_read2_b64 v[83:86], v82 offset0:77 offset1:78
	ds_read_b64 v[89:90], v82 offset:632
	s_waitcnt vmcnt(4) lgkmcnt(1)
	v_fma_f64 v[83:84], v[101:102], v[83:84], v[87:88]
	s_waitcnt vmcnt(3)
	v_fma_f64 v[83:84], v[99:100], v[85:86], v[83:84]
	s_waitcnt vmcnt(2) lgkmcnt(0)
	v_fma_f64 v[83:84], v[95:96], v[89:90], v[83:84]
	s_waitcnt vmcnt(0)
	v_add_f64 v[83:84], v[97:98], -v[83:84]
	buffer_store_dword v84, off, s[0:3], 0 offset:68
	buffer_store_dword v83, off, s[0:3], 0 offset:64
	s_and_saveexec_b64 s[4:5], vcc
	s_cbranch_execz .LBB103_233
; %bb.232:
	buffer_load_dword v83, off, s[0:3], 0 offset:56
	buffer_load_dword v84, off, s[0:3], 0 offset:60
	s_waitcnt vmcnt(0)
	ds_write_b64 v81, v[83:84]
	buffer_store_dword v82, off, s[0:3], 0 offset:56
	buffer_store_dword v82, off, s[0:3], 0 offset:60
.LBB103_233:
	s_or_b64 exec, exec, s[4:5]
	s_waitcnt lgkmcnt(0)
	; wave barrier
	buffer_load_dword v91, off, s[0:3], 0 offset:64
	buffer_load_dword v92, off, s[0:3], 0 offset:68
	;; [unrolled: 1-line block ×22, first 2 shown]
	ds_read_b128 v[83:86], v82 offset:384
	ds_read_b128 v[87:90], v82 offset:400
	v_cmp_lt_u32_e32 vcc, 6, v0
	s_waitcnt vmcnt(20) lgkmcnt(1)
	v_fma_f64 v[83:84], v[91:92], v[83:84], 0
	s_waitcnt vmcnt(18)
	v_fma_f64 v[83:84], v[93:94], v[85:86], v[83:84]
	buffer_load_dword v92, off, s[0:3], 0 offset:156
	buffer_load_dword v93, off, s[0:3], 0 offset:176
	;; [unrolled: 1-line block ×7, first 2 shown]
	s_waitcnt vmcnt(23) lgkmcnt(0)
	v_fma_f64 v[83:84], v[95:96], v[87:88], v[83:84]
	s_waitcnt vmcnt(21)
	v_fma_f64 v[94:95], v[97:98], v[89:90], v[83:84]
	ds_read_b128 v[83:86], v82 offset:416
	ds_read_b128 v[87:90], v82 offset:432
	s_waitcnt vmcnt(19) lgkmcnt(1)
	v_fma_f64 v[83:84], v[99:100], v[83:84], v[94:95]
	buffer_load_dword v94, off, s[0:3], 0 offset:180
	s_waitcnt vmcnt(18)
	v_fma_f64 v[83:84], v[101:102], v[85:86], v[83:84]
	buffer_load_dword v96, off, s[0:3], 0 offset:188
	buffer_load_dword v97, off, s[0:3], 0 offset:208
	;; [unrolled: 1-line block ×7, first 2 shown]
	s_waitcnt vmcnt(23) lgkmcnt(0)
	v_fma_f64 v[83:84], v[103:104], v[87:88], v[83:84]
	s_waitcnt vmcnt(18)
	v_fma_f64 v[103:104], v[105:106], v[89:90], v[83:84]
	ds_read_b128 v[83:86], v82 offset:448
	ds_read_b128 v[87:90], v82 offset:464
	buffer_load_dword v98, off, s[0:3], 0 offset:212
	s_waitcnt vmcnt(18) lgkmcnt(1)
	v_fma_f64 v[83:84], v[111:112], v[83:84], v[103:104]
	s_waitcnt vmcnt(17)
	v_fma_f64 v[83:84], v[109:110], v[85:86], v[83:84]
	buffer_load_dword v104, off, s[0:3], 0 offset:220
	buffer_load_dword v105, off, s[0:3], 0 offset:240
	buffer_load_dword v109, off, s[0:3], 0 offset:232
	buffer_load_dword v111, off, s[0:3], 0 offset:224
	buffer_load_dword v103, off, s[0:3], 0 offset:216
	buffer_load_dword v112, off, s[0:3], 0 offset:228
	buffer_load_dword v110, off, s[0:3], 0 offset:236
	buffer_load_dword v106, off, s[0:3], 0 offset:244
	s_waitcnt vmcnt(24) lgkmcnt(0)
	v_fma_f64 v[83:84], v[107:108], v[87:88], v[83:84]
	s_waitcnt vmcnt(19)
	v_fma_f64 v[91:92], v[91:92], v[89:90], v[83:84]
	ds_read_b128 v[83:86], v82 offset:480
	ds_read_b128 v[87:90], v82 offset:496
	s_waitcnt vmcnt(18) lgkmcnt(1)
	v_fma_f64 v[83:84], v[115:116], v[83:84], v[91:92]
	s_waitcnt vmcnt(17)
	v_fma_f64 v[83:84], v[113:114], v[85:86], v[83:84]
	buffer_load_dword v92, off, s[0:3], 0 offset:252
	buffer_load_dword v107, off, s[0:3], 0 offset:272
	buffer_load_dword v113, off, s[0:3], 0 offset:264
	buffer_load_dword v115, off, s[0:3], 0 offset:256
	buffer_load_dword v91, off, s[0:3], 0 offset:248
	buffer_load_dword v116, off, s[0:3], 0 offset:260
	buffer_load_dword v114, off, s[0:3], 0 offset:268
	buffer_load_dword v108, off, s[0:3], 0 offset:276
	s_waitcnt vmcnt(24) lgkmcnt(0)
	v_fma_f64 v[83:84], v[93:94], v[87:88], v[83:84]
	s_waitcnt vmcnt(19)
	v_fma_f64 v[93:94], v[95:96], v[89:90], v[83:84]
	ds_read_b128 v[83:86], v82 offset:512
	ds_read_b128 v[87:90], v82 offset:528
	;; [unrolled: 18-line block ×3, first 2 shown]
	s_waitcnt vmcnt(18) lgkmcnt(1)
	v_fma_f64 v[83:84], v[111:112], v[83:84], v[97:98]
	buffer_load_dword v98, off, s[0:3], 0 offset:316
	buffer_load_dword v97, off, s[0:3], 0 offset:312
	;; [unrolled: 1-line block ×4, first 2 shown]
	s_waitcnt vmcnt(21)
	v_fma_f64 v[83:84], v[109:110], v[85:86], v[83:84]
	s_waitcnt vmcnt(20) lgkmcnt(0)
	v_fma_f64 v[83:84], v[105:106], v[87:88], v[83:84]
	s_waitcnt vmcnt(15)
	v_fma_f64 v[91:92], v[91:92], v[89:90], v[83:84]
	ds_read_b128 v[83:86], v82 offset:576
	ds_read_b128 v[87:90], v82 offset:592
	s_waitcnt vmcnt(14) lgkmcnt(1)
	v_fma_f64 v[83:84], v[115:116], v[83:84], v[91:92]
	s_waitcnt vmcnt(13)
	v_fma_f64 v[83:84], v[113:114], v[85:86], v[83:84]
	s_waitcnt vmcnt(12) lgkmcnt(0)
	v_fma_f64 v[83:84], v[107:108], v[87:88], v[83:84]
	s_waitcnt vmcnt(7)
	v_fma_f64 v[91:92], v[93:94], v[89:90], v[83:84]
	ds_read_b128 v[83:86], v82 offset:608
	ds_read_b128 v[87:90], v82 offset:624
	s_waitcnt vmcnt(6) lgkmcnt(1)
	v_fma_f64 v[82:83], v[101:102], v[83:84], v[91:92]
	s_waitcnt vmcnt(5)
	v_fma_f64 v[82:83], v[99:100], v[85:86], v[82:83]
	s_waitcnt vmcnt(4) lgkmcnt(0)
	v_fma_f64 v[82:83], v[95:96], v[87:88], v[82:83]
	s_waitcnt vmcnt(2)
	v_fma_f64 v[82:83], v[97:98], v[89:90], v[82:83]
	s_waitcnt vmcnt(0)
	v_add_f64 v[82:83], v[103:104], -v[82:83]
	buffer_store_dword v83, off, s[0:3], 0 offset:60
	buffer_store_dword v82, off, s[0:3], 0 offset:56
	s_and_saveexec_b64 s[4:5], vcc
	s_cbranch_execz .LBB103_235
; %bb.234:
	buffer_load_dword v82, off, s[0:3], 0 offset:48
	buffer_load_dword v83, off, s[0:3], 0 offset:52
	v_mov_b32_e32 v84, 0
	buffer_store_dword v84, off, s[0:3], 0 offset:48
	buffer_store_dword v84, off, s[0:3], 0 offset:52
	s_waitcnt vmcnt(2)
	ds_write_b64 v81, v[82:83]
.LBB103_235:
	s_or_b64 exec, exec, s[4:5]
	s_waitcnt lgkmcnt(0)
	; wave barrier
	buffer_load_dword v91, off, s[0:3], 0 offset:56
	buffer_load_dword v92, off, s[0:3], 0 offset:60
	;; [unrolled: 1-line block ×21, first 2 shown]
	v_mov_b32_e32 v82, 0
	ds_read2_b64 v[83:86], v82 offset0:47 offset1:48
	ds_read2_b64 v[87:90], v82 offset0:49 offset1:50
	buffer_load_dword v108, off, s[0:3], 0 offset:140
	v_cmp_lt_u32_e32 vcc, 5, v0
	s_waitcnt vmcnt(20) lgkmcnt(1)
	v_fma_f64 v[83:84], v[91:92], v[83:84], 0
	s_waitcnt vmcnt(18)
	v_fma_f64 v[83:84], v[93:94], v[85:86], v[83:84]
	buffer_load_dword v92, off, s[0:3], 0 offset:148
	buffer_load_dword v93, off, s[0:3], 0 offset:168
	;; [unrolled: 1-line block ×7, first 2 shown]
	s_waitcnt vmcnt(23) lgkmcnt(0)
	v_fma_f64 v[83:84], v[95:96], v[87:88], v[83:84]
	s_waitcnt vmcnt(21)
	v_fma_f64 v[94:95], v[97:98], v[89:90], v[83:84]
	ds_read2_b64 v[83:86], v82 offset0:51 offset1:52
	ds_read2_b64 v[87:90], v82 offset0:53 offset1:54
	s_waitcnt vmcnt(19) lgkmcnt(1)
	v_fma_f64 v[83:84], v[99:100], v[83:84], v[94:95]
	buffer_load_dword v94, off, s[0:3], 0 offset:172
	s_waitcnt vmcnt(18)
	v_fma_f64 v[83:84], v[101:102], v[85:86], v[83:84]
	buffer_load_dword v96, off, s[0:3], 0 offset:180
	buffer_load_dword v97, off, s[0:3], 0 offset:200
	;; [unrolled: 1-line block ×7, first 2 shown]
	s_waitcnt vmcnt(23) lgkmcnt(0)
	v_fma_f64 v[83:84], v[103:104], v[87:88], v[83:84]
	s_waitcnt vmcnt(18)
	v_fma_f64 v[103:104], v[105:106], v[89:90], v[83:84]
	ds_read2_b64 v[83:86], v82 offset0:55 offset1:56
	ds_read2_b64 v[87:90], v82 offset0:57 offset1:58
	buffer_load_dword v98, off, s[0:3], 0 offset:204
	s_waitcnt vmcnt(18) lgkmcnt(1)
	v_fma_f64 v[83:84], v[111:112], v[83:84], v[103:104]
	s_waitcnt vmcnt(17)
	v_fma_f64 v[83:84], v[109:110], v[85:86], v[83:84]
	buffer_load_dword v104, off, s[0:3], 0 offset:212
	buffer_load_dword v105, off, s[0:3], 0 offset:232
	;; [unrolled: 1-line block ×7, first 2 shown]
	s_waitcnt vmcnt(23) lgkmcnt(0)
	v_fma_f64 v[83:84], v[107:108], v[87:88], v[83:84]
	s_waitcnt vmcnt(18)
	v_fma_f64 v[91:92], v[91:92], v[89:90], v[83:84]
	ds_read2_b64 v[83:86], v82 offset0:59 offset1:60
	ds_read2_b64 v[87:90], v82 offset0:61 offset1:62
	buffer_load_dword v106, off, s[0:3], 0 offset:236
	s_waitcnt vmcnt(18) lgkmcnt(1)
	v_fma_f64 v[83:84], v[115:116], v[83:84], v[91:92]
	s_waitcnt vmcnt(17)
	v_fma_f64 v[83:84], v[113:114], v[85:86], v[83:84]
	buffer_load_dword v92, off, s[0:3], 0 offset:244
	buffer_load_dword v107, off, s[0:3], 0 offset:264
	;; [unrolled: 1-line block ×8, first 2 shown]
	s_waitcnt vmcnt(24) lgkmcnt(0)
	v_fma_f64 v[83:84], v[93:94], v[87:88], v[83:84]
	s_waitcnt vmcnt(19)
	v_fma_f64 v[93:94], v[95:96], v[89:90], v[83:84]
	ds_read2_b64 v[83:86], v82 offset0:63 offset1:64
	ds_read2_b64 v[87:90], v82 offset0:65 offset1:66
	s_waitcnt vmcnt(18) lgkmcnt(1)
	v_fma_f64 v[83:84], v[101:102], v[83:84], v[93:94]
	s_waitcnt vmcnt(17)
	v_fma_f64 v[83:84], v[99:100], v[85:86], v[83:84]
	buffer_load_dword v94, off, s[0:3], 0 offset:276
	buffer_load_dword v95, off, s[0:3], 0 offset:296
	;; [unrolled: 1-line block ×7, first 2 shown]
	s_waitcnt vmcnt(23) lgkmcnt(0)
	v_fma_f64 v[83:84], v[97:98], v[87:88], v[83:84]
	s_waitcnt vmcnt(18)
	v_fma_f64 v[96:97], v[103:104], v[89:90], v[83:84]
	ds_read2_b64 v[83:86], v82 offset0:67 offset1:68
	ds_read2_b64 v[87:90], v82 offset0:69 offset1:70
	s_waitcnt vmcnt(17) lgkmcnt(1)
	v_fma_f64 v[83:84], v[111:112], v[83:84], v[96:97]
	buffer_load_dword v96, off, s[0:3], 0 offset:300
	buffer_load_dword v98, off, s[0:3], 0 offset:308
	;; [unrolled: 1-line block ×5, first 2 shown]
	s_waitcnt vmcnt(21)
	v_fma_f64 v[83:84], v[109:110], v[85:86], v[83:84]
	s_waitcnt vmcnt(20) lgkmcnt(0)
	v_fma_f64 v[83:84], v[105:106], v[87:88], v[83:84]
	buffer_load_dword v105, off, s[0:3], 0 offset:48
	buffer_load_dword v106, off, s[0:3], 0 offset:52
	s_waitcnt vmcnt(17)
	v_fma_f64 v[91:92], v[91:92], v[89:90], v[83:84]
	ds_read2_b64 v[83:86], v82 offset0:71 offset1:72
	ds_read2_b64 v[87:90], v82 offset0:73 offset1:74
	s_waitcnt vmcnt(16) lgkmcnt(1)
	v_fma_f64 v[83:84], v[115:116], v[83:84], v[91:92]
	s_waitcnt vmcnt(15)
	v_fma_f64 v[83:84], v[113:114], v[85:86], v[83:84]
	s_waitcnt vmcnt(14) lgkmcnt(0)
	v_fma_f64 v[83:84], v[107:108], v[87:88], v[83:84]
	s_waitcnt vmcnt(9)
	v_fma_f64 v[91:92], v[93:94], v[89:90], v[83:84]
	ds_read2_b64 v[83:86], v82 offset0:75 offset1:76
	ds_read2_b64 v[87:90], v82 offset0:77 offset1:78
	s_waitcnt vmcnt(8) lgkmcnt(1)
	v_fma_f64 v[83:84], v[101:102], v[83:84], v[91:92]
	s_waitcnt vmcnt(7)
	v_fma_f64 v[83:84], v[99:100], v[85:86], v[83:84]
	ds_read_b64 v[85:86], v82 offset:632
	s_waitcnt vmcnt(6) lgkmcnt(1)
	v_fma_f64 v[83:84], v[95:96], v[87:88], v[83:84]
	s_waitcnt vmcnt(3)
	v_fma_f64 v[83:84], v[97:98], v[89:90], v[83:84]
	s_waitcnt vmcnt(2) lgkmcnt(0)
	v_fma_f64 v[83:84], v[103:104], v[85:86], v[83:84]
	s_waitcnt vmcnt(0)
	v_add_f64 v[83:84], v[105:106], -v[83:84]
	buffer_store_dword v84, off, s[0:3], 0 offset:52
	buffer_store_dword v83, off, s[0:3], 0 offset:48
	s_and_saveexec_b64 s[4:5], vcc
	s_cbranch_execz .LBB103_237
; %bb.236:
	buffer_load_dword v83, off, s[0:3], 0 offset:40
	buffer_load_dword v84, off, s[0:3], 0 offset:44
	s_waitcnt vmcnt(0)
	ds_write_b64 v81, v[83:84]
	buffer_store_dword v82, off, s[0:3], 0 offset:40
	buffer_store_dword v82, off, s[0:3], 0 offset:44
.LBB103_237:
	s_or_b64 exec, exec, s[4:5]
	s_waitcnt lgkmcnt(0)
	; wave barrier
	buffer_load_dword v91, off, s[0:3], 0 offset:48
	buffer_load_dword v92, off, s[0:3], 0 offset:52
	;; [unrolled: 1-line block ×21, first 2 shown]
	ds_read_b128 v[83:86], v82 offset:368
	ds_read_b128 v[87:90], v82 offset:384
	buffer_load_dword v108, off, s[0:3], 0 offset:132
	v_cmp_lt_u32_e32 vcc, 4, v0
	s_waitcnt vmcnt(20) lgkmcnt(1)
	v_fma_f64 v[83:84], v[91:92], v[83:84], 0
	s_waitcnt vmcnt(18)
	v_fma_f64 v[83:84], v[93:94], v[85:86], v[83:84]
	buffer_load_dword v92, off, s[0:3], 0 offset:140
	buffer_load_dword v93, off, s[0:3], 0 offset:160
	;; [unrolled: 1-line block ×7, first 2 shown]
	s_waitcnt vmcnt(23) lgkmcnt(0)
	v_fma_f64 v[83:84], v[95:96], v[87:88], v[83:84]
	s_waitcnt vmcnt(21)
	v_fma_f64 v[94:95], v[97:98], v[89:90], v[83:84]
	ds_read_b128 v[83:86], v82 offset:400
	ds_read_b128 v[87:90], v82 offset:416
	s_waitcnt vmcnt(19) lgkmcnt(1)
	v_fma_f64 v[83:84], v[99:100], v[83:84], v[94:95]
	buffer_load_dword v94, off, s[0:3], 0 offset:164
	s_waitcnt vmcnt(18)
	v_fma_f64 v[83:84], v[101:102], v[85:86], v[83:84]
	buffer_load_dword v96, off, s[0:3], 0 offset:172
	buffer_load_dword v97, off, s[0:3], 0 offset:192
	;; [unrolled: 1-line block ×8, first 2 shown]
	s_waitcnt vmcnt(24) lgkmcnt(0)
	v_fma_f64 v[83:84], v[103:104], v[87:88], v[83:84]
	s_waitcnt vmcnt(19)
	v_fma_f64 v[103:104], v[105:106], v[89:90], v[83:84]
	ds_read_b128 v[83:86], v82 offset:432
	ds_read_b128 v[87:90], v82 offset:448
	s_waitcnt vmcnt(18) lgkmcnt(1)
	v_fma_f64 v[83:84], v[111:112], v[83:84], v[103:104]
	s_waitcnt vmcnt(17)
	v_fma_f64 v[83:84], v[109:110], v[85:86], v[83:84]
	buffer_load_dword v104, off, s[0:3], 0 offset:204
	buffer_load_dword v105, off, s[0:3], 0 offset:224
	;; [unrolled: 1-line block ×7, first 2 shown]
	s_waitcnt vmcnt(23) lgkmcnt(0)
	v_fma_f64 v[83:84], v[107:108], v[87:88], v[83:84]
	s_waitcnt vmcnt(18)
	v_fma_f64 v[91:92], v[91:92], v[89:90], v[83:84]
	ds_read_b128 v[83:86], v82 offset:464
	ds_read_b128 v[87:90], v82 offset:480
	buffer_load_dword v106, off, s[0:3], 0 offset:228
	s_waitcnt vmcnt(18) lgkmcnt(1)
	v_fma_f64 v[83:84], v[115:116], v[83:84], v[91:92]
	s_waitcnt vmcnt(17)
	v_fma_f64 v[83:84], v[113:114], v[85:86], v[83:84]
	buffer_load_dword v92, off, s[0:3], 0 offset:236
	buffer_load_dword v107, off, s[0:3], 0 offset:256
	;; [unrolled: 1-line block ×8, first 2 shown]
	s_waitcnt vmcnt(24) lgkmcnt(0)
	v_fma_f64 v[83:84], v[93:94], v[87:88], v[83:84]
	s_waitcnt vmcnt(19)
	v_fma_f64 v[93:94], v[95:96], v[89:90], v[83:84]
	ds_read_b128 v[83:86], v82 offset:496
	ds_read_b128 v[87:90], v82 offset:512
	s_waitcnt vmcnt(18) lgkmcnt(1)
	v_fma_f64 v[83:84], v[101:102], v[83:84], v[93:94]
	s_waitcnt vmcnt(17)
	v_fma_f64 v[83:84], v[99:100], v[85:86], v[83:84]
	buffer_load_dword v94, off, s[0:3], 0 offset:268
	buffer_load_dword v95, off, s[0:3], 0 offset:288
	;; [unrolled: 1-line block ×7, first 2 shown]
	s_waitcnt vmcnt(23) lgkmcnt(0)
	v_fma_f64 v[83:84], v[97:98], v[87:88], v[83:84]
	s_waitcnt vmcnt(18)
	v_fma_f64 v[96:97], v[103:104], v[89:90], v[83:84]
	ds_read_b128 v[83:86], v82 offset:528
	ds_read_b128 v[87:90], v82 offset:544
	s_waitcnt vmcnt(17) lgkmcnt(1)
	v_fma_f64 v[83:84], v[111:112], v[83:84], v[96:97]
	buffer_load_dword v96, off, s[0:3], 0 offset:292
	s_waitcnt vmcnt(17)
	v_fma_f64 v[83:84], v[109:110], v[85:86], v[83:84]
	buffer_load_dword v98, off, s[0:3], 0 offset:300
	buffer_load_dword v103, off, s[0:3], 0 offset:312
	;; [unrolled: 1-line block ×6, first 2 shown]
	s_waitcnt vmcnt(22) lgkmcnt(0)
	v_fma_f64 v[83:84], v[105:106], v[87:88], v[83:84]
	s_waitcnt vmcnt(17)
	v_fma_f64 v[91:92], v[91:92], v[89:90], v[83:84]
	ds_read_b128 v[83:86], v82 offset:560
	buffer_load_dword v105, off, s[0:3], 0 offset:40
	buffer_load_dword v106, off, s[0:3], 0 offset:44
	ds_read_b128 v[87:90], v82 offset:576
	s_waitcnt vmcnt(18) lgkmcnt(1)
	v_fma_f64 v[83:84], v[115:116], v[83:84], v[91:92]
	s_waitcnt vmcnt(17)
	v_fma_f64 v[83:84], v[113:114], v[85:86], v[83:84]
	s_waitcnt vmcnt(16) lgkmcnt(0)
	v_fma_f64 v[83:84], v[107:108], v[87:88], v[83:84]
	s_waitcnt vmcnt(11)
	v_fma_f64 v[91:92], v[93:94], v[89:90], v[83:84]
	ds_read_b128 v[83:86], v82 offset:592
	ds_read_b128 v[87:90], v82 offset:608
	s_waitcnt vmcnt(10) lgkmcnt(1)
	v_fma_f64 v[83:84], v[101:102], v[83:84], v[91:92]
	s_waitcnt vmcnt(9)
	v_fma_f64 v[83:84], v[99:100], v[85:86], v[83:84]
	s_waitcnt vmcnt(8) lgkmcnt(0)
	v_fma_f64 v[83:84], v[95:96], v[87:88], v[83:84]
	s_waitcnt vmcnt(4)
	v_fma_f64 v[86:87], v[97:98], v[89:90], v[83:84]
	ds_read_b128 v[82:85], v82 offset:624
	s_waitcnt vmcnt(3) lgkmcnt(0)
	v_fma_f64 v[82:83], v[109:110], v[82:83], v[86:87]
	s_waitcnt vmcnt(2)
	v_fma_f64 v[82:83], v[103:104], v[84:85], v[82:83]
	s_waitcnt vmcnt(0)
	v_add_f64 v[82:83], v[105:106], -v[82:83]
	buffer_store_dword v83, off, s[0:3], 0 offset:44
	buffer_store_dword v82, off, s[0:3], 0 offset:40
	s_and_saveexec_b64 s[4:5], vcc
	s_cbranch_execz .LBB103_239
; %bb.238:
	buffer_load_dword v82, off, s[0:3], 0 offset:32
	buffer_load_dword v83, off, s[0:3], 0 offset:36
	v_mov_b32_e32 v84, 0
	buffer_store_dword v84, off, s[0:3], 0 offset:32
	buffer_store_dword v84, off, s[0:3], 0 offset:36
	s_waitcnt vmcnt(2)
	ds_write_b64 v81, v[82:83]
.LBB103_239:
	s_or_b64 exec, exec, s[4:5]
	s_waitcnt lgkmcnt(0)
	; wave barrier
	buffer_load_dword v91, off, s[0:3], 0 offset:40
	buffer_load_dword v92, off, s[0:3], 0 offset:44
	;; [unrolled: 1-line block ×21, first 2 shown]
	v_mov_b32_e32 v82, 0
	ds_read2_b64 v[83:86], v82 offset0:45 offset1:46
	ds_read2_b64 v[87:90], v82 offset0:47 offset1:48
	buffer_load_dword v108, off, s[0:3], 0 offset:124
	v_cmp_lt_u32_e32 vcc, 3, v0
	s_waitcnt vmcnt(20) lgkmcnt(1)
	v_fma_f64 v[83:84], v[91:92], v[83:84], 0
	s_waitcnt vmcnt(18)
	v_fma_f64 v[83:84], v[93:94], v[85:86], v[83:84]
	buffer_load_dword v92, off, s[0:3], 0 offset:132
	buffer_load_dword v93, off, s[0:3], 0 offset:152
	;; [unrolled: 1-line block ×7, first 2 shown]
	s_waitcnt vmcnt(23) lgkmcnt(0)
	v_fma_f64 v[83:84], v[95:96], v[87:88], v[83:84]
	s_waitcnt vmcnt(21)
	v_fma_f64 v[94:95], v[97:98], v[89:90], v[83:84]
	ds_read2_b64 v[83:86], v82 offset0:49 offset1:50
	ds_read2_b64 v[87:90], v82 offset0:51 offset1:52
	s_waitcnt vmcnt(19) lgkmcnt(1)
	v_fma_f64 v[83:84], v[99:100], v[83:84], v[94:95]
	buffer_load_dword v94, off, s[0:3], 0 offset:156
	s_waitcnt vmcnt(18)
	v_fma_f64 v[83:84], v[101:102], v[85:86], v[83:84]
	buffer_load_dword v96, off, s[0:3], 0 offset:164
	buffer_load_dword v97, off, s[0:3], 0 offset:184
	;; [unrolled: 1-line block ×8, first 2 shown]
	s_waitcnt vmcnt(24) lgkmcnt(0)
	v_fma_f64 v[83:84], v[103:104], v[87:88], v[83:84]
	s_waitcnt vmcnt(19)
	v_fma_f64 v[103:104], v[105:106], v[89:90], v[83:84]
	ds_read2_b64 v[83:86], v82 offset0:53 offset1:54
	ds_read2_b64 v[87:90], v82 offset0:55 offset1:56
	s_waitcnt vmcnt(18) lgkmcnt(1)
	v_fma_f64 v[83:84], v[111:112], v[83:84], v[103:104]
	s_waitcnt vmcnt(17)
	v_fma_f64 v[83:84], v[109:110], v[85:86], v[83:84]
	buffer_load_dword v104, off, s[0:3], 0 offset:196
	buffer_load_dword v105, off, s[0:3], 0 offset:216
	;; [unrolled: 1-line block ×7, first 2 shown]
	s_waitcnt vmcnt(23) lgkmcnt(0)
	v_fma_f64 v[83:84], v[107:108], v[87:88], v[83:84]
	s_waitcnt vmcnt(18)
	v_fma_f64 v[91:92], v[91:92], v[89:90], v[83:84]
	ds_read2_b64 v[83:86], v82 offset0:57 offset1:58
	ds_read2_b64 v[87:90], v82 offset0:59 offset1:60
	buffer_load_dword v106, off, s[0:3], 0 offset:220
	s_waitcnt vmcnt(18) lgkmcnt(1)
	v_fma_f64 v[83:84], v[115:116], v[83:84], v[91:92]
	s_waitcnt vmcnt(17)
	v_fma_f64 v[83:84], v[113:114], v[85:86], v[83:84]
	buffer_load_dword v92, off, s[0:3], 0 offset:228
	buffer_load_dword v107, off, s[0:3], 0 offset:248
	;; [unrolled: 1-line block ×8, first 2 shown]
	s_waitcnt vmcnt(24) lgkmcnt(0)
	v_fma_f64 v[83:84], v[93:94], v[87:88], v[83:84]
	s_waitcnt vmcnt(19)
	v_fma_f64 v[93:94], v[95:96], v[89:90], v[83:84]
	ds_read2_b64 v[83:86], v82 offset0:61 offset1:62
	ds_read2_b64 v[87:90], v82 offset0:63 offset1:64
	s_waitcnt vmcnt(18) lgkmcnt(1)
	v_fma_f64 v[83:84], v[101:102], v[83:84], v[93:94]
	s_waitcnt vmcnt(17)
	v_fma_f64 v[83:84], v[99:100], v[85:86], v[83:84]
	buffer_load_dword v94, off, s[0:3], 0 offset:260
	buffer_load_dword v95, off, s[0:3], 0 offset:280
	;; [unrolled: 1-line block ×7, first 2 shown]
	s_waitcnt vmcnt(23) lgkmcnt(0)
	v_fma_f64 v[83:84], v[97:98], v[87:88], v[83:84]
	s_waitcnt vmcnt(18)
	v_fma_f64 v[96:97], v[103:104], v[89:90], v[83:84]
	ds_read2_b64 v[83:86], v82 offset0:65 offset1:66
	ds_read2_b64 v[87:90], v82 offset0:67 offset1:68
	s_waitcnt vmcnt(17) lgkmcnt(1)
	v_fma_f64 v[83:84], v[111:112], v[83:84], v[96:97]
	buffer_load_dword v96, off, s[0:3], 0 offset:284
	s_waitcnt vmcnt(17)
	v_fma_f64 v[83:84], v[109:110], v[85:86], v[83:84]
	buffer_load_dword v98, off, s[0:3], 0 offset:292
	buffer_load_dword v103, off, s[0:3], 0 offset:312
	;; [unrolled: 1-line block ×8, first 2 shown]
	s_waitcnt vmcnt(24) lgkmcnt(0)
	v_fma_f64 v[83:84], v[105:106], v[87:88], v[83:84]
	s_waitcnt vmcnt(19)
	v_fma_f64 v[91:92], v[91:92], v[89:90], v[83:84]
	ds_read2_b64 v[83:86], v82 offset0:69 offset1:70
	ds_read2_b64 v[87:90], v82 offset0:71 offset1:72
	s_waitcnt vmcnt(18) lgkmcnt(1)
	v_fma_f64 v[83:84], v[115:116], v[83:84], v[91:92]
	buffer_load_dword v91, off, s[0:3], 0 offset:32
	buffer_load_dword v92, off, s[0:3], 0 offset:36
	s_waitcnt vmcnt(19)
	v_fma_f64 v[83:84], v[113:114], v[85:86], v[83:84]
	s_waitcnt vmcnt(18) lgkmcnt(0)
	v_fma_f64 v[83:84], v[107:108], v[87:88], v[83:84]
	s_waitcnt vmcnt(13)
	v_fma_f64 v[93:94], v[93:94], v[89:90], v[83:84]
	ds_read2_b64 v[83:86], v82 offset0:73 offset1:74
	ds_read2_b64 v[87:90], v82 offset0:75 offset1:76
	s_waitcnt vmcnt(12) lgkmcnt(1)
	v_fma_f64 v[83:84], v[101:102], v[83:84], v[93:94]
	s_waitcnt vmcnt(11)
	v_fma_f64 v[83:84], v[99:100], v[85:86], v[83:84]
	s_waitcnt vmcnt(10) lgkmcnt(0)
	v_fma_f64 v[83:84], v[95:96], v[87:88], v[83:84]
	s_waitcnt vmcnt(5)
	v_fma_f64 v[87:88], v[97:98], v[89:90], v[83:84]
	ds_read2_b64 v[83:86], v82 offset0:77 offset1:78
	ds_read_b64 v[89:90], v82 offset:632
	s_waitcnt vmcnt(4) lgkmcnt(1)
	v_fma_f64 v[83:84], v[111:112], v[83:84], v[87:88]
	s_waitcnt vmcnt(3)
	v_fma_f64 v[83:84], v[109:110], v[85:86], v[83:84]
	s_waitcnt vmcnt(2) lgkmcnt(0)
	v_fma_f64 v[83:84], v[103:104], v[89:90], v[83:84]
	s_waitcnt vmcnt(0)
	v_add_f64 v[83:84], v[91:92], -v[83:84]
	buffer_store_dword v84, off, s[0:3], 0 offset:36
	buffer_store_dword v83, off, s[0:3], 0 offset:32
	s_and_saveexec_b64 s[4:5], vcc
	s_cbranch_execz .LBB103_241
; %bb.240:
	buffer_load_dword v83, off, s[0:3], 0 offset:24
	buffer_load_dword v84, off, s[0:3], 0 offset:28
	s_waitcnt vmcnt(0)
	ds_write_b64 v81, v[83:84]
	buffer_store_dword v82, off, s[0:3], 0 offset:24
	buffer_store_dword v82, off, s[0:3], 0 offset:28
.LBB103_241:
	s_or_b64 exec, exec, s[4:5]
	s_waitcnt lgkmcnt(0)
	; wave barrier
	buffer_load_dword v91, off, s[0:3], 0 offset:32
	buffer_load_dword v92, off, s[0:3], 0 offset:36
	;; [unrolled: 1-line block ×21, first 2 shown]
	ds_read_b128 v[83:86], v82 offset:352
	ds_read_b128 v[87:90], v82 offset:368
	buffer_load_dword v108, off, s[0:3], 0 offset:116
	v_cmp_lt_u32_e32 vcc, 2, v0
	s_waitcnt vmcnt(20) lgkmcnt(1)
	v_fma_f64 v[83:84], v[91:92], v[83:84], 0
	s_waitcnt vmcnt(18)
	v_fma_f64 v[83:84], v[93:94], v[85:86], v[83:84]
	buffer_load_dword v92, off, s[0:3], 0 offset:124
	buffer_load_dword v93, off, s[0:3], 0 offset:144
	;; [unrolled: 1-line block ×7, first 2 shown]
	s_waitcnt vmcnt(23) lgkmcnt(0)
	v_fma_f64 v[83:84], v[95:96], v[87:88], v[83:84]
	s_waitcnt vmcnt(21)
	v_fma_f64 v[94:95], v[97:98], v[89:90], v[83:84]
	ds_read_b128 v[83:86], v82 offset:384
	ds_read_b128 v[87:90], v82 offset:400
	s_waitcnt vmcnt(19) lgkmcnt(1)
	v_fma_f64 v[83:84], v[99:100], v[83:84], v[94:95]
	buffer_load_dword v94, off, s[0:3], 0 offset:148
	s_waitcnt vmcnt(18)
	v_fma_f64 v[83:84], v[101:102], v[85:86], v[83:84]
	buffer_load_dword v96, off, s[0:3], 0 offset:156
	buffer_load_dword v97, off, s[0:3], 0 offset:176
	;; [unrolled: 1-line block ×8, first 2 shown]
	s_waitcnt vmcnt(24) lgkmcnt(0)
	v_fma_f64 v[83:84], v[103:104], v[87:88], v[83:84]
	s_waitcnt vmcnt(19)
	v_fma_f64 v[103:104], v[105:106], v[89:90], v[83:84]
	ds_read_b128 v[83:86], v82 offset:416
	ds_read_b128 v[87:90], v82 offset:432
	s_waitcnt vmcnt(18) lgkmcnt(1)
	v_fma_f64 v[83:84], v[111:112], v[83:84], v[103:104]
	s_waitcnt vmcnt(17)
	v_fma_f64 v[83:84], v[109:110], v[85:86], v[83:84]
	buffer_load_dword v104, off, s[0:3], 0 offset:188
	buffer_load_dword v105, off, s[0:3], 0 offset:208
	;; [unrolled: 1-line block ×7, first 2 shown]
	s_waitcnt vmcnt(23) lgkmcnt(0)
	v_fma_f64 v[83:84], v[107:108], v[87:88], v[83:84]
	s_waitcnt vmcnt(18)
	v_fma_f64 v[91:92], v[91:92], v[89:90], v[83:84]
	ds_read_b128 v[83:86], v82 offset:448
	ds_read_b128 v[87:90], v82 offset:464
	buffer_load_dword v106, off, s[0:3], 0 offset:212
	s_waitcnt vmcnt(18) lgkmcnt(1)
	v_fma_f64 v[83:84], v[115:116], v[83:84], v[91:92]
	s_waitcnt vmcnt(17)
	v_fma_f64 v[83:84], v[113:114], v[85:86], v[83:84]
	buffer_load_dword v92, off, s[0:3], 0 offset:220
	buffer_load_dword v107, off, s[0:3], 0 offset:240
	buffer_load_dword v113, off, s[0:3], 0 offset:232
	buffer_load_dword v115, off, s[0:3], 0 offset:224
	buffer_load_dword v91, off, s[0:3], 0 offset:216
	buffer_load_dword v116, off, s[0:3], 0 offset:228
	buffer_load_dword v114, off, s[0:3], 0 offset:236
	buffer_load_dword v108, off, s[0:3], 0 offset:244
	s_waitcnt vmcnt(24) lgkmcnt(0)
	v_fma_f64 v[83:84], v[93:94], v[87:88], v[83:84]
	s_waitcnt vmcnt(19)
	v_fma_f64 v[93:94], v[95:96], v[89:90], v[83:84]
	ds_read_b128 v[83:86], v82 offset:480
	ds_read_b128 v[87:90], v82 offset:496
	s_waitcnt vmcnt(18) lgkmcnt(1)
	v_fma_f64 v[83:84], v[101:102], v[83:84], v[93:94]
	s_waitcnt vmcnt(17)
	v_fma_f64 v[83:84], v[99:100], v[85:86], v[83:84]
	buffer_load_dword v94, off, s[0:3], 0 offset:252
	buffer_load_dword v95, off, s[0:3], 0 offset:272
	;; [unrolled: 1-line block ×7, first 2 shown]
	s_waitcnt vmcnt(23) lgkmcnt(0)
	v_fma_f64 v[83:84], v[97:98], v[87:88], v[83:84]
	s_waitcnt vmcnt(18)
	v_fma_f64 v[96:97], v[103:104], v[89:90], v[83:84]
	ds_read_b128 v[83:86], v82 offset:512
	ds_read_b128 v[87:90], v82 offset:528
	s_waitcnt vmcnt(17) lgkmcnt(1)
	v_fma_f64 v[83:84], v[111:112], v[83:84], v[96:97]
	buffer_load_dword v96, off, s[0:3], 0 offset:276
	s_waitcnt vmcnt(17)
	v_fma_f64 v[83:84], v[109:110], v[85:86], v[83:84]
	buffer_load_dword v98, off, s[0:3], 0 offset:284
	buffer_load_dword v103, off, s[0:3], 0 offset:304
	;; [unrolled: 1-line block ×8, first 2 shown]
	s_waitcnt vmcnt(24) lgkmcnt(0)
	v_fma_f64 v[83:84], v[105:106], v[87:88], v[83:84]
	s_waitcnt vmcnt(19)
	v_fma_f64 v[91:92], v[91:92], v[89:90], v[83:84]
	ds_read_b128 v[83:86], v82 offset:544
	ds_read_b128 v[87:90], v82 offset:560
	s_waitcnt vmcnt(18) lgkmcnt(1)
	v_fma_f64 v[83:84], v[115:116], v[83:84], v[91:92]
	buffer_load_dword v92, off, s[0:3], 0 offset:316
	buffer_load_dword v91, off, s[0:3], 0 offset:312
	;; [unrolled: 1-line block ×4, first 2 shown]
	s_waitcnt vmcnt(21)
	v_fma_f64 v[83:84], v[113:114], v[85:86], v[83:84]
	s_waitcnt vmcnt(20) lgkmcnt(0)
	v_fma_f64 v[83:84], v[107:108], v[87:88], v[83:84]
	s_waitcnt vmcnt(15)
	v_fma_f64 v[93:94], v[93:94], v[89:90], v[83:84]
	ds_read_b128 v[83:86], v82 offset:576
	ds_read_b128 v[87:90], v82 offset:592
	s_waitcnt vmcnt(14) lgkmcnt(1)
	v_fma_f64 v[83:84], v[101:102], v[83:84], v[93:94]
	s_waitcnt vmcnt(13)
	v_fma_f64 v[83:84], v[99:100], v[85:86], v[83:84]
	s_waitcnt vmcnt(12) lgkmcnt(0)
	v_fma_f64 v[83:84], v[95:96], v[87:88], v[83:84]
	s_waitcnt vmcnt(7)
	v_fma_f64 v[93:94], v[97:98], v[89:90], v[83:84]
	ds_read_b128 v[83:86], v82 offset:608
	ds_read_b128 v[87:90], v82 offset:624
	s_waitcnt vmcnt(6) lgkmcnt(1)
	v_fma_f64 v[82:83], v[111:112], v[83:84], v[93:94]
	s_waitcnt vmcnt(5)
	v_fma_f64 v[82:83], v[109:110], v[85:86], v[82:83]
	s_waitcnt vmcnt(4) lgkmcnt(0)
	v_fma_f64 v[82:83], v[103:104], v[87:88], v[82:83]
	s_waitcnt vmcnt(2)
	v_fma_f64 v[82:83], v[91:92], v[89:90], v[82:83]
	s_waitcnt vmcnt(0)
	v_add_f64 v[82:83], v[105:106], -v[82:83]
	buffer_store_dword v83, off, s[0:3], 0 offset:28
	buffer_store_dword v82, off, s[0:3], 0 offset:24
	s_and_saveexec_b64 s[4:5], vcc
	s_cbranch_execz .LBB103_243
; %bb.242:
	buffer_load_dword v82, off, s[0:3], 0 offset:16
	buffer_load_dword v83, off, s[0:3], 0 offset:20
	v_mov_b32_e32 v84, 0
	buffer_store_dword v84, off, s[0:3], 0 offset:16
	buffer_store_dword v84, off, s[0:3], 0 offset:20
	s_waitcnt vmcnt(2)
	ds_write_b64 v81, v[82:83]
.LBB103_243:
	s_or_b64 exec, exec, s[4:5]
	s_waitcnt lgkmcnt(0)
	; wave barrier
	buffer_load_dword v91, off, s[0:3], 0 offset:24
	buffer_load_dword v92, off, s[0:3], 0 offset:28
	;; [unrolled: 1-line block ×21, first 2 shown]
	v_mov_b32_e32 v82, 0
	ds_read2_b64 v[83:86], v82 offset0:43 offset1:44
	ds_read2_b64 v[87:90], v82 offset0:45 offset1:46
	buffer_load_dword v108, off, s[0:3], 0 offset:108
	v_cmp_lt_u32_e32 vcc, 1, v0
	s_waitcnt vmcnt(20) lgkmcnt(1)
	v_fma_f64 v[83:84], v[91:92], v[83:84], 0
	s_waitcnt vmcnt(18)
	v_fma_f64 v[83:84], v[93:94], v[85:86], v[83:84]
	buffer_load_dword v92, off, s[0:3], 0 offset:116
	buffer_load_dword v93, off, s[0:3], 0 offset:136
	;; [unrolled: 1-line block ×7, first 2 shown]
	s_waitcnt vmcnt(23) lgkmcnt(0)
	v_fma_f64 v[83:84], v[95:96], v[87:88], v[83:84]
	s_waitcnt vmcnt(21)
	v_fma_f64 v[94:95], v[97:98], v[89:90], v[83:84]
	ds_read2_b64 v[83:86], v82 offset0:47 offset1:48
	ds_read2_b64 v[87:90], v82 offset0:49 offset1:50
	s_waitcnt vmcnt(19) lgkmcnt(1)
	v_fma_f64 v[83:84], v[99:100], v[83:84], v[94:95]
	buffer_load_dword v94, off, s[0:3], 0 offset:140
	s_waitcnt vmcnt(18)
	v_fma_f64 v[83:84], v[101:102], v[85:86], v[83:84]
	buffer_load_dword v96, off, s[0:3], 0 offset:148
	buffer_load_dword v97, off, s[0:3], 0 offset:168
	buffer_load_dword v99, off, s[0:3], 0 offset:160
	buffer_load_dword v101, off, s[0:3], 0 offset:152
	buffer_load_dword v95, off, s[0:3], 0 offset:144
	buffer_load_dword v102, off, s[0:3], 0 offset:156
	buffer_load_dword v100, off, s[0:3], 0 offset:164
	buffer_load_dword v98, off, s[0:3], 0 offset:172
	s_waitcnt vmcnt(24) lgkmcnt(0)
	v_fma_f64 v[83:84], v[103:104], v[87:88], v[83:84]
	s_waitcnt vmcnt(19)
	v_fma_f64 v[103:104], v[105:106], v[89:90], v[83:84]
	ds_read2_b64 v[83:86], v82 offset0:51 offset1:52
	ds_read2_b64 v[87:90], v82 offset0:53 offset1:54
	s_waitcnt vmcnt(18) lgkmcnt(1)
	v_fma_f64 v[83:84], v[111:112], v[83:84], v[103:104]
	s_waitcnt vmcnt(17)
	v_fma_f64 v[83:84], v[109:110], v[85:86], v[83:84]
	buffer_load_dword v104, off, s[0:3], 0 offset:180
	buffer_load_dword v105, off, s[0:3], 0 offset:200
	;; [unrolled: 1-line block ×7, first 2 shown]
	s_waitcnt vmcnt(23) lgkmcnt(0)
	v_fma_f64 v[83:84], v[107:108], v[87:88], v[83:84]
	s_waitcnt vmcnt(18)
	v_fma_f64 v[91:92], v[91:92], v[89:90], v[83:84]
	ds_read2_b64 v[83:86], v82 offset0:55 offset1:56
	ds_read2_b64 v[87:90], v82 offset0:57 offset1:58
	buffer_load_dword v106, off, s[0:3], 0 offset:204
	s_waitcnt vmcnt(18) lgkmcnt(1)
	v_fma_f64 v[83:84], v[115:116], v[83:84], v[91:92]
	s_waitcnt vmcnt(17)
	v_fma_f64 v[83:84], v[113:114], v[85:86], v[83:84]
	buffer_load_dword v92, off, s[0:3], 0 offset:212
	buffer_load_dword v107, off, s[0:3], 0 offset:232
	;; [unrolled: 1-line block ×7, first 2 shown]
	s_waitcnt vmcnt(23) lgkmcnt(0)
	v_fma_f64 v[83:84], v[93:94], v[87:88], v[83:84]
	s_waitcnt vmcnt(18)
	v_fma_f64 v[93:94], v[95:96], v[89:90], v[83:84]
	ds_read2_b64 v[83:86], v82 offset0:59 offset1:60
	ds_read2_b64 v[87:90], v82 offset0:61 offset1:62
	buffer_load_dword v108, off, s[0:3], 0 offset:236
	s_waitcnt vmcnt(18) lgkmcnt(1)
	v_fma_f64 v[83:84], v[101:102], v[83:84], v[93:94]
	s_waitcnt vmcnt(17)
	v_fma_f64 v[83:84], v[99:100], v[85:86], v[83:84]
	buffer_load_dword v94, off, s[0:3], 0 offset:244
	buffer_load_dword v95, off, s[0:3], 0 offset:264
	;; [unrolled: 1-line block ×7, first 2 shown]
	s_waitcnt vmcnt(23) lgkmcnt(0)
	v_fma_f64 v[83:84], v[97:98], v[87:88], v[83:84]
	s_waitcnt vmcnt(18)
	v_fma_f64 v[96:97], v[103:104], v[89:90], v[83:84]
	ds_read2_b64 v[83:86], v82 offset0:63 offset1:64
	ds_read2_b64 v[87:90], v82 offset0:65 offset1:66
	s_waitcnt vmcnt(17) lgkmcnt(1)
	v_fma_f64 v[83:84], v[111:112], v[83:84], v[96:97]
	buffer_load_dword v96, off, s[0:3], 0 offset:268
	s_waitcnt vmcnt(17)
	v_fma_f64 v[83:84], v[109:110], v[85:86], v[83:84]
	buffer_load_dword v98, off, s[0:3], 0 offset:276
	buffer_load_dword v103, off, s[0:3], 0 offset:296
	;; [unrolled: 1-line block ×7, first 2 shown]
	s_waitcnt vmcnt(23) lgkmcnt(0)
	v_fma_f64 v[83:84], v[105:106], v[87:88], v[83:84]
	s_waitcnt vmcnt(18)
	v_fma_f64 v[91:92], v[91:92], v[89:90], v[83:84]
	ds_read2_b64 v[83:86], v82 offset0:67 offset1:68
	ds_read2_b64 v[87:90], v82 offset0:69 offset1:70
	buffer_load_dword v104, off, s[0:3], 0 offset:300
	s_waitcnt vmcnt(18) lgkmcnt(1)
	v_fma_f64 v[83:84], v[115:116], v[83:84], v[91:92]
	buffer_load_dword v92, off, s[0:3], 0 offset:308
	buffer_load_dword v105, off, s[0:3], 0 offset:312
	;; [unrolled: 1-line block ×4, first 2 shown]
	s_waitcnt vmcnt(21)
	v_fma_f64 v[83:84], v[113:114], v[85:86], v[83:84]
	s_waitcnt vmcnt(20) lgkmcnt(0)
	v_fma_f64 v[83:84], v[107:108], v[87:88], v[83:84]
	buffer_load_dword v107, off, s[0:3], 0 offset:16
	buffer_load_dword v108, off, s[0:3], 0 offset:20
	s_waitcnt vmcnt(17)
	v_fma_f64 v[93:94], v[93:94], v[89:90], v[83:84]
	ds_read2_b64 v[83:86], v82 offset0:71 offset1:72
	ds_read2_b64 v[87:90], v82 offset0:73 offset1:74
	s_waitcnt vmcnt(16) lgkmcnt(1)
	v_fma_f64 v[83:84], v[101:102], v[83:84], v[93:94]
	s_waitcnt vmcnt(15)
	v_fma_f64 v[83:84], v[99:100], v[85:86], v[83:84]
	s_waitcnt vmcnt(14) lgkmcnt(0)
	v_fma_f64 v[83:84], v[95:96], v[87:88], v[83:84]
	s_waitcnt vmcnt(9)
	v_fma_f64 v[93:94], v[97:98], v[89:90], v[83:84]
	ds_read2_b64 v[83:86], v82 offset0:75 offset1:76
	ds_read2_b64 v[87:90], v82 offset0:77 offset1:78
	s_waitcnt vmcnt(8) lgkmcnt(1)
	v_fma_f64 v[83:84], v[111:112], v[83:84], v[93:94]
	s_waitcnt vmcnt(7)
	v_fma_f64 v[83:84], v[109:110], v[85:86], v[83:84]
	ds_read_b64 v[85:86], v82 offset:632
	s_waitcnt vmcnt(6) lgkmcnt(1)
	v_fma_f64 v[83:84], v[103:104], v[87:88], v[83:84]
	s_waitcnt vmcnt(3)
	v_fma_f64 v[83:84], v[91:92], v[89:90], v[83:84]
	s_waitcnt vmcnt(2) lgkmcnt(0)
	v_fma_f64 v[83:84], v[105:106], v[85:86], v[83:84]
	s_waitcnt vmcnt(0)
	v_add_f64 v[83:84], v[107:108], -v[83:84]
	buffer_store_dword v84, off, s[0:3], 0 offset:20
	buffer_store_dword v83, off, s[0:3], 0 offset:16
	s_and_saveexec_b64 s[4:5], vcc
	s_cbranch_execz .LBB103_245
; %bb.244:
	buffer_load_dword v83, off, s[0:3], 0 offset:8
	buffer_load_dword v84, off, s[0:3], 0 offset:12
	s_waitcnt vmcnt(0)
	ds_write_b64 v81, v[83:84]
	buffer_store_dword v82, off, s[0:3], 0 offset:8
	buffer_store_dword v82, off, s[0:3], 0 offset:12
.LBB103_245:
	s_or_b64 exec, exec, s[4:5]
	s_waitcnt lgkmcnt(0)
	; wave barrier
	buffer_load_dword v91, off, s[0:3], 0 offset:16
	buffer_load_dword v92, off, s[0:3], 0 offset:20
	;; [unrolled: 1-line block ×22, first 2 shown]
	ds_read_b128 v[83:86], v82 offset:336
	ds_read_b128 v[87:90], v82 offset:352
	v_cmp_ne_u32_e32 vcc, 0, v0
	s_waitcnt vmcnt(20) lgkmcnt(1)
	v_fma_f64 v[83:84], v[91:92], v[83:84], 0
	s_waitcnt vmcnt(18)
	v_fma_f64 v[83:84], v[93:94], v[85:86], v[83:84]
	buffer_load_dword v92, off, s[0:3], 0 offset:108
	buffer_load_dword v93, off, s[0:3], 0 offset:128
	;; [unrolled: 1-line block ×7, first 2 shown]
	s_waitcnt vmcnt(23) lgkmcnt(0)
	v_fma_f64 v[83:84], v[95:96], v[87:88], v[83:84]
	s_waitcnt vmcnt(21)
	v_fma_f64 v[94:95], v[97:98], v[89:90], v[83:84]
	ds_read_b128 v[83:86], v82 offset:368
	ds_read_b128 v[87:90], v82 offset:384
	s_waitcnt vmcnt(19) lgkmcnt(1)
	v_fma_f64 v[83:84], v[99:100], v[83:84], v[94:95]
	buffer_load_dword v94, off, s[0:3], 0 offset:132
	s_waitcnt vmcnt(18)
	v_fma_f64 v[83:84], v[101:102], v[85:86], v[83:84]
	buffer_load_dword v96, off, s[0:3], 0 offset:140
	buffer_load_dword v97, off, s[0:3], 0 offset:160
	;; [unrolled: 1-line block ×8, first 2 shown]
	s_waitcnt vmcnt(24) lgkmcnt(0)
	v_fma_f64 v[83:84], v[103:104], v[87:88], v[83:84]
	s_waitcnt vmcnt(19)
	v_fma_f64 v[103:104], v[105:106], v[89:90], v[83:84]
	ds_read_b128 v[83:86], v82 offset:400
	ds_read_b128 v[87:90], v82 offset:416
	s_waitcnt vmcnt(18) lgkmcnt(1)
	v_fma_f64 v[83:84], v[111:112], v[83:84], v[103:104]
	s_waitcnt vmcnt(17)
	v_fma_f64 v[83:84], v[109:110], v[85:86], v[83:84]
	buffer_load_dword v104, off, s[0:3], 0 offset:172
	buffer_load_dword v105, off, s[0:3], 0 offset:192
	;; [unrolled: 1-line block ×8, first 2 shown]
	s_waitcnt vmcnt(24) lgkmcnt(0)
	v_fma_f64 v[83:84], v[107:108], v[87:88], v[83:84]
	s_waitcnt vmcnt(19)
	v_fma_f64 v[91:92], v[91:92], v[89:90], v[83:84]
	ds_read_b128 v[83:86], v82 offset:432
	ds_read_b128 v[87:90], v82 offset:448
	s_waitcnt vmcnt(18) lgkmcnt(1)
	v_fma_f64 v[83:84], v[115:116], v[83:84], v[91:92]
	s_waitcnt vmcnt(17)
	v_fma_f64 v[83:84], v[113:114], v[85:86], v[83:84]
	buffer_load_dword v92, off, s[0:3], 0 offset:204
	buffer_load_dword v107, off, s[0:3], 0 offset:224
	;; [unrolled: 1-line block ×7, first 2 shown]
	s_waitcnt vmcnt(23) lgkmcnt(0)
	v_fma_f64 v[83:84], v[93:94], v[87:88], v[83:84]
	s_waitcnt vmcnt(18)
	v_fma_f64 v[93:94], v[95:96], v[89:90], v[83:84]
	ds_read_b128 v[83:86], v82 offset:464
	ds_read_b128 v[87:90], v82 offset:480
	buffer_load_dword v108, off, s[0:3], 0 offset:228
	s_waitcnt vmcnt(18) lgkmcnt(1)
	v_fma_f64 v[83:84], v[101:102], v[83:84], v[93:94]
	s_waitcnt vmcnt(17)
	v_fma_f64 v[83:84], v[99:100], v[85:86], v[83:84]
	buffer_load_dword v94, off, s[0:3], 0 offset:236
	buffer_load_dword v95, off, s[0:3], 0 offset:256
	;; [unrolled: 1-line block ×7, first 2 shown]
	s_waitcnt vmcnt(23) lgkmcnt(0)
	v_fma_f64 v[83:84], v[97:98], v[87:88], v[83:84]
	s_waitcnt vmcnt(18)
	v_fma_f64 v[96:97], v[103:104], v[89:90], v[83:84]
	ds_read_b128 v[83:86], v82 offset:496
	ds_read_b128 v[87:90], v82 offset:512
	s_waitcnt vmcnt(17) lgkmcnt(1)
	v_fma_f64 v[83:84], v[111:112], v[83:84], v[96:97]
	buffer_load_dword v96, off, s[0:3], 0 offset:260
	s_waitcnt vmcnt(17)
	v_fma_f64 v[83:84], v[109:110], v[85:86], v[83:84]
	buffer_load_dword v98, off, s[0:3], 0 offset:268
	buffer_load_dword v103, off, s[0:3], 0 offset:288
	;; [unrolled: 1-line block ×8, first 2 shown]
	s_waitcnt vmcnt(24) lgkmcnt(0)
	v_fma_f64 v[83:84], v[105:106], v[87:88], v[83:84]
	s_waitcnt vmcnt(19)
	v_fma_f64 v[91:92], v[91:92], v[89:90], v[83:84]
	ds_read_b128 v[83:86], v82 offset:528
	ds_read_b128 v[87:90], v82 offset:544
	s_waitcnt vmcnt(18) lgkmcnt(1)
	v_fma_f64 v[83:84], v[115:116], v[83:84], v[91:92]
	s_waitcnt vmcnt(17)
	v_fma_f64 v[83:84], v[113:114], v[85:86], v[83:84]
	buffer_load_dword v92, off, s[0:3], 0 offset:300
	buffer_load_dword v105, off, s[0:3], 0 offset:312
	;; [unrolled: 1-line block ×6, first 2 shown]
	s_waitcnt vmcnt(22) lgkmcnt(0)
	v_fma_f64 v[83:84], v[107:108], v[87:88], v[83:84]
	s_waitcnt vmcnt(17)
	v_fma_f64 v[93:94], v[93:94], v[89:90], v[83:84]
	ds_read_b128 v[83:86], v82 offset:560
	buffer_load_dword v107, off, s[0:3], 0 offset:8
	buffer_load_dword v108, off, s[0:3], 0 offset:12
	ds_read_b128 v[87:90], v82 offset:576
	s_waitcnt vmcnt(18) lgkmcnt(1)
	v_fma_f64 v[83:84], v[101:102], v[83:84], v[93:94]
	s_waitcnt vmcnt(17)
	v_fma_f64 v[83:84], v[99:100], v[85:86], v[83:84]
	s_waitcnt vmcnt(16) lgkmcnt(0)
	v_fma_f64 v[83:84], v[95:96], v[87:88], v[83:84]
	s_waitcnt vmcnt(11)
	v_fma_f64 v[93:94], v[97:98], v[89:90], v[83:84]
	ds_read_b128 v[83:86], v82 offset:592
	ds_read_b128 v[87:90], v82 offset:608
	s_waitcnt vmcnt(10) lgkmcnt(1)
	v_fma_f64 v[83:84], v[111:112], v[83:84], v[93:94]
	s_waitcnt vmcnt(9)
	v_fma_f64 v[83:84], v[109:110], v[85:86], v[83:84]
	s_waitcnt vmcnt(8) lgkmcnt(0)
	v_fma_f64 v[83:84], v[103:104], v[87:88], v[83:84]
	s_waitcnt vmcnt(4)
	v_fma_f64 v[86:87], v[91:92], v[89:90], v[83:84]
	ds_read_b128 v[82:85], v82 offset:624
	s_waitcnt vmcnt(3) lgkmcnt(0)
	v_fma_f64 v[82:83], v[113:114], v[82:83], v[86:87]
	s_waitcnt vmcnt(2)
	v_fma_f64 v[82:83], v[105:106], v[84:85], v[82:83]
	s_waitcnt vmcnt(0)
	v_add_f64 v[82:83], v[107:108], -v[82:83]
	buffer_store_dword v83, off, s[0:3], 0 offset:12
	buffer_store_dword v82, off, s[0:3], 0 offset:8
	s_and_saveexec_b64 s[4:5], vcc
	s_cbranch_execz .LBB103_247
; %bb.246:
	buffer_load_dword v82, off, s[0:3], 0
	buffer_load_dword v83, off, s[0:3], 0 offset:4
	v_mov_b32_e32 v0, 0
	buffer_store_dword v0, off, s[0:3], 0
	buffer_store_dword v0, off, s[0:3], 0 offset:4
	s_waitcnt vmcnt(2)
	ds_write_b64 v81, v[82:83]
.LBB103_247:
	s_or_b64 exec, exec, s[4:5]
	s_waitcnt lgkmcnt(0)
	; wave barrier
	buffer_load_dword v89, off, s[0:3], 0 offset:8
	buffer_load_dword v90, off, s[0:3], 0 offset:12
	buffer_load_dword v91, off, s[0:3], 0 offset:16
	buffer_load_dword v92, off, s[0:3], 0 offset:20
	buffer_load_dword v93, off, s[0:3], 0 offset:24
	buffer_load_dword v94, off, s[0:3], 0 offset:28
	buffer_load_dword v95, off, s[0:3], 0 offset:32
	buffer_load_dword v96, off, s[0:3], 0 offset:36
	buffer_load_dword v97, off, s[0:3], 0 offset:40
	buffer_load_dword v98, off, s[0:3], 0 offset:44
	buffer_load_dword v99, off, s[0:3], 0 offset:48
	buffer_load_dword v100, off, s[0:3], 0 offset:52
	buffer_load_dword v101, off, s[0:3], 0 offset:56
	buffer_load_dword v102, off, s[0:3], 0 offset:60
	buffer_load_dword v104, off, s[0:3], 0 offset:68
	buffer_load_dword v105, off, s[0:3], 0 offset:88
	buffer_load_dword v107, off, s[0:3], 0 offset:80
	buffer_load_dword v109, off, s[0:3], 0 offset:72
	buffer_load_dword v103, off, s[0:3], 0 offset:64
	buffer_load_dword v110, off, s[0:3], 0 offset:76
	buffer_load_dword v108, off, s[0:3], 0 offset:84
	buffer_load_dword v106, off, s[0:3], 0 offset:92
	v_mov_b32_e32 v0, 0
	ds_read2_b64 v[81:84], v0 offset0:41 offset1:42
	ds_read2_b64 v[85:88], v0 offset0:43 offset1:44
	s_and_b64 vcc, exec, s[14:15]
	s_waitcnt vmcnt(20) lgkmcnt(1)
	v_fma_f64 v[81:82], v[89:90], v[81:82], 0
	s_waitcnt vmcnt(18)
	v_fma_f64 v[81:82], v[91:92], v[83:84], v[81:82]
	buffer_load_dword v90, off, s[0:3], 0 offset:100
	buffer_load_dword v91, off, s[0:3], 0 offset:120
	;; [unrolled: 1-line block ×7, first 2 shown]
	s_waitcnt vmcnt(23) lgkmcnt(0)
	v_fma_f64 v[81:82], v[93:94], v[85:86], v[81:82]
	s_waitcnt vmcnt(21)
	v_fma_f64 v[92:93], v[95:96], v[87:88], v[81:82]
	ds_read2_b64 v[81:84], v0 offset0:45 offset1:46
	ds_read2_b64 v[85:88], v0 offset0:47 offset1:48
	s_waitcnt vmcnt(19) lgkmcnt(1)
	v_fma_f64 v[81:82], v[97:98], v[81:82], v[92:93]
	buffer_load_dword v92, off, s[0:3], 0 offset:124
	s_waitcnt vmcnt(18)
	v_fma_f64 v[81:82], v[99:100], v[83:84], v[81:82]
	buffer_load_dword v94, off, s[0:3], 0 offset:132
	buffer_load_dword v95, off, s[0:3], 0 offset:152
	;; [unrolled: 1-line block ×8, first 2 shown]
	s_waitcnt vmcnt(24) lgkmcnt(0)
	v_fma_f64 v[81:82], v[101:102], v[85:86], v[81:82]
	s_waitcnt vmcnt(19)
	v_fma_f64 v[101:102], v[103:104], v[87:88], v[81:82]
	ds_read2_b64 v[81:84], v0 offset0:49 offset1:50
	ds_read2_b64 v[85:88], v0 offset0:51 offset1:52
	s_waitcnt vmcnt(18) lgkmcnt(1)
	v_fma_f64 v[81:82], v[109:110], v[81:82], v[101:102]
	s_waitcnt vmcnt(17)
	v_fma_f64 v[81:82], v[107:108], v[83:84], v[81:82]
	buffer_load_dword v102, off, s[0:3], 0 offset:164
	buffer_load_dword v103, off, s[0:3], 0 offset:184
	;; [unrolled: 1-line block ×8, first 2 shown]
	s_waitcnt vmcnt(24) lgkmcnt(0)
	v_fma_f64 v[81:82], v[105:106], v[85:86], v[81:82]
	s_waitcnt vmcnt(19)
	v_fma_f64 v[89:90], v[89:90], v[87:88], v[81:82]
	ds_read2_b64 v[81:84], v0 offset0:53 offset1:54
	ds_read2_b64 v[85:88], v0 offset0:55 offset1:56
	s_waitcnt vmcnt(18) lgkmcnt(1)
	v_fma_f64 v[81:82], v[113:114], v[81:82], v[89:90]
	s_waitcnt vmcnt(17)
	v_fma_f64 v[81:82], v[111:112], v[83:84], v[81:82]
	buffer_load_dword v90, off, s[0:3], 0 offset:196
	buffer_load_dword v105, off, s[0:3], 0 offset:216
	;; [unrolled: 1-line block ×7, first 2 shown]
	s_waitcnt vmcnt(23) lgkmcnt(0)
	v_fma_f64 v[81:82], v[91:92], v[85:86], v[81:82]
	s_waitcnt vmcnt(18)
	v_fma_f64 v[91:92], v[93:94], v[87:88], v[81:82]
	ds_read2_b64 v[81:84], v0 offset0:57 offset1:58
	ds_read2_b64 v[85:88], v0 offset0:59 offset1:60
	buffer_load_dword v106, off, s[0:3], 0 offset:220
	s_waitcnt vmcnt(18) lgkmcnt(1)
	v_fma_f64 v[81:82], v[99:100], v[81:82], v[91:92]
	s_waitcnt vmcnt(17)
	v_fma_f64 v[81:82], v[97:98], v[83:84], v[81:82]
	buffer_load_dword v92, off, s[0:3], 0 offset:228
	buffer_load_dword v93, off, s[0:3], 0 offset:248
	;; [unrolled: 1-line block ×7, first 2 shown]
	s_waitcnt vmcnt(23) lgkmcnt(0)
	v_fma_f64 v[81:82], v[95:96], v[85:86], v[81:82]
	s_waitcnt vmcnt(18)
	v_fma_f64 v[94:95], v[101:102], v[87:88], v[81:82]
	ds_read2_b64 v[81:84], v0 offset0:61 offset1:62
	ds_read2_b64 v[85:88], v0 offset0:63 offset1:64
	s_waitcnt vmcnt(17) lgkmcnt(1)
	v_fma_f64 v[81:82], v[109:110], v[81:82], v[94:95]
	buffer_load_dword v94, off, s[0:3], 0 offset:252
	s_waitcnt vmcnt(17)
	v_fma_f64 v[81:82], v[107:108], v[83:84], v[81:82]
	buffer_load_dword v96, off, s[0:3], 0 offset:260
	buffer_load_dword v101, off, s[0:3], 0 offset:280
	;; [unrolled: 1-line block ×8, first 2 shown]
	s_waitcnt vmcnt(24) lgkmcnt(0)
	v_fma_f64 v[81:82], v[103:104], v[85:86], v[81:82]
	s_waitcnt vmcnt(19)
	v_fma_f64 v[89:90], v[89:90], v[87:88], v[81:82]
	ds_read2_b64 v[81:84], v0 offset0:65 offset1:66
	ds_read2_b64 v[85:88], v0 offset0:67 offset1:68
	s_waitcnt vmcnt(18) lgkmcnt(1)
	v_fma_f64 v[81:82], v[113:114], v[81:82], v[89:90]
	s_waitcnt vmcnt(17)
	v_fma_f64 v[82:83], v[111:112], v[83:84], v[81:82]
	buffer_load_dword v104, off, s[0:3], 0 offset:292
	buffer_load_dword v111, off, s[0:3], 0 offset:312
	;; [unrolled: 1-line block ×5, first 2 shown]
	s_waitcnt vmcnt(21) lgkmcnt(0)
	v_fma_f64 v[83:84], v[105:106], v[85:86], v[82:83]
	buffer_load_dword v114, off, s[0:3], 0 offset:300
	buffer_load_dword v82, off, s[0:3], 0 offset:308
	;; [unrolled: 1-line block ×3, first 2 shown]
	s_waitcnt vmcnt(19)
	v_fma_f64 v[91:92], v[91:92], v[87:88], v[83:84]
	ds_read2_b64 v[83:86], v0 offset0:69 offset1:70
	ds_read2_b64 v[87:90], v0 offset0:71 offset1:72
	s_waitcnt vmcnt(18) lgkmcnt(1)
	v_fma_f64 v[83:84], v[99:100], v[83:84], v[91:92]
	buffer_load_dword v91, off, s[0:3], 0
	buffer_load_dword v92, off, s[0:3], 0 offset:4
	s_waitcnt vmcnt(19)
	v_fma_f64 v[83:84], v[97:98], v[85:86], v[83:84]
	s_waitcnt vmcnt(18) lgkmcnt(0)
	v_fma_f64 v[83:84], v[93:94], v[87:88], v[83:84]
	s_waitcnt vmcnt(13)
	v_fma_f64 v[93:94], v[95:96], v[89:90], v[83:84]
	ds_read2_b64 v[83:86], v0 offset0:73 offset1:74
	ds_read2_b64 v[87:90], v0 offset0:75 offset1:76
	s_waitcnt vmcnt(12) lgkmcnt(1)
	v_fma_f64 v[83:84], v[109:110], v[83:84], v[93:94]
	s_waitcnt vmcnt(11)
	v_fma_f64 v[83:84], v[107:108], v[85:86], v[83:84]
	s_waitcnt vmcnt(10) lgkmcnt(0)
	v_fma_f64 v[83:84], v[101:102], v[87:88], v[83:84]
	s_waitcnt vmcnt(5)
	v_fma_f64 v[87:88], v[103:104], v[89:90], v[83:84]
	ds_read2_b64 v[83:86], v0 offset0:77 offset1:78
	ds_read_b64 v[89:90], v0 offset:632
	s_waitcnt vmcnt(4) lgkmcnt(1)
	v_fma_f64 v[83:84], v[113:114], v[83:84], v[87:88]
	s_waitcnt vmcnt(3)
	v_fma_f64 v[83:84], v[81:82], v[85:86], v[83:84]
	s_waitcnt vmcnt(2) lgkmcnt(0)
	v_fma_f64 v[83:84], v[111:112], v[89:90], v[83:84]
	s_waitcnt vmcnt(0)
	v_add_f64 v[83:84], v[91:92], -v[83:84]
	buffer_store_dword v84, off, s[0:3], 0 offset:4
	buffer_store_dword v83, off, s[0:3], 0
	s_cbranch_vccz .LBB103_326
; %bb.248:
	global_load_dword v0, v0, s[12:13] offset:152
	s_waitcnt vmcnt(0)
	v_add_u32_e32 v0, -1, v0
	v_cmp_ne_u32_e32 vcc, 38, v0
	s_cbranch_vccz .LBB103_250
; %bb.249:
	v_lshlrev_b32_e32 v0, 3, v0
	buffer_load_dword v83, v0, s[0:3], 0 offen offset:4
	buffer_load_dword v84, v0, s[0:3], 0 offen
	s_waitcnt vmcnt(1)
	buffer_store_dword v83, off, s[0:3], 0 offset:308
	s_waitcnt vmcnt(1)
	buffer_store_dword v84, off, s[0:3], 0 offset:304
	buffer_store_dword v82, v0, s[0:3], 0 offen offset:4
	buffer_store_dword v81, v0, s[0:3], 0 offen
.LBB103_250:
	v_mov_b32_e32 v0, 0
	global_load_dword v81, v0, s[12:13] offset:148
	s_waitcnt vmcnt(0)
	v_add_u32_e32 v81, -1, v81
	v_cmp_eq_u32_e32 vcc, 37, v81
	s_cbranch_vccnz .LBB103_252
; %bb.251:
	v_lshlrev_b32_e32 v81, 3, v81
	buffer_load_dword v82, v81, s[0:3], 0 offen
	buffer_load_dword v83, v81, s[0:3], 0 offen offset:4
	buffer_load_dword v84, off, s[0:3], 0 offset:296
	buffer_load_dword v85, off, s[0:3], 0 offset:300
	s_waitcnt vmcnt(3)
	buffer_store_dword v82, off, s[0:3], 0 offset:296
	s_waitcnt vmcnt(3)
	buffer_store_dword v83, off, s[0:3], 0 offset:300
	s_waitcnt vmcnt(3)
	buffer_store_dword v84, v81, s[0:3], 0 offen
	s_waitcnt vmcnt(3)
	buffer_store_dword v85, v81, s[0:3], 0 offen offset:4
.LBB103_252:
	global_load_dword v0, v0, s[12:13] offset:144
	s_waitcnt vmcnt(0)
	v_add_u32_e32 v0, -1, v0
	v_cmp_eq_u32_e32 vcc, 36, v0
	s_cbranch_vccnz .LBB103_254
; %bb.253:
	v_lshlrev_b32_e32 v0, 3, v0
	buffer_load_dword v81, v0, s[0:3], 0 offen
	buffer_load_dword v82, v0, s[0:3], 0 offen offset:4
	buffer_load_dword v83, off, s[0:3], 0 offset:292
	buffer_load_dword v84, off, s[0:3], 0 offset:288
	s_waitcnt vmcnt(3)
	buffer_store_dword v81, off, s[0:3], 0 offset:288
	s_waitcnt vmcnt(3)
	buffer_store_dword v82, off, s[0:3], 0 offset:292
	s_waitcnt vmcnt(3)
	buffer_store_dword v83, v0, s[0:3], 0 offen offset:4
	s_waitcnt vmcnt(3)
	buffer_store_dword v84, v0, s[0:3], 0 offen
.LBB103_254:
	v_mov_b32_e32 v0, 0
	global_load_dword v81, v0, s[12:13] offset:140
	s_waitcnt vmcnt(0)
	v_add_u32_e32 v81, -1, v81
	v_cmp_eq_u32_e32 vcc, 35, v81
	s_cbranch_vccnz .LBB103_256
; %bb.255:
	v_lshlrev_b32_e32 v81, 3, v81
	buffer_load_dword v82, v81, s[0:3], 0 offen
	buffer_load_dword v83, v81, s[0:3], 0 offen offset:4
	buffer_load_dword v84, off, s[0:3], 0 offset:280
	buffer_load_dword v85, off, s[0:3], 0 offset:284
	s_waitcnt vmcnt(3)
	buffer_store_dword v82, off, s[0:3], 0 offset:280
	s_waitcnt vmcnt(3)
	buffer_store_dword v83, off, s[0:3], 0 offset:284
	s_waitcnt vmcnt(3)
	buffer_store_dword v84, v81, s[0:3], 0 offen
	s_waitcnt vmcnt(3)
	buffer_store_dword v85, v81, s[0:3], 0 offen offset:4
.LBB103_256:
	global_load_dword v0, v0, s[12:13] offset:136
	s_waitcnt vmcnt(0)
	v_add_u32_e32 v0, -1, v0
	v_cmp_eq_u32_e32 vcc, 34, v0
	s_cbranch_vccnz .LBB103_258
; %bb.257:
	v_lshlrev_b32_e32 v0, 3, v0
	buffer_load_dword v81, v0, s[0:3], 0 offen
	buffer_load_dword v82, v0, s[0:3], 0 offen offset:4
	buffer_load_dword v83, off, s[0:3], 0 offset:276
	buffer_load_dword v84, off, s[0:3], 0 offset:272
	s_waitcnt vmcnt(3)
	buffer_store_dword v81, off, s[0:3], 0 offset:272
	s_waitcnt vmcnt(3)
	buffer_store_dword v82, off, s[0:3], 0 offset:276
	s_waitcnt vmcnt(3)
	buffer_store_dword v83, v0, s[0:3], 0 offen offset:4
	s_waitcnt vmcnt(3)
	buffer_store_dword v84, v0, s[0:3], 0 offen
.LBB103_258:
	;; [unrolled: 41-line block ×18, first 2 shown]
	v_mov_b32_e32 v0, 0
	global_load_dword v81, v0, s[12:13] offset:4
	s_waitcnt vmcnt(0)
	v_add_u32_e32 v81, -1, v81
	v_cmp_eq_u32_e32 vcc, 1, v81
	s_cbranch_vccnz .LBB103_324
; %bb.323:
	v_lshlrev_b32_e32 v81, 3, v81
	buffer_load_dword v82, v81, s[0:3], 0 offen
	buffer_load_dword v83, v81, s[0:3], 0 offen offset:4
	buffer_load_dword v84, off, s[0:3], 0 offset:8
	buffer_load_dword v85, off, s[0:3], 0 offset:12
	s_waitcnt vmcnt(3)
	buffer_store_dword v82, off, s[0:3], 0 offset:8
	s_waitcnt vmcnt(3)
	buffer_store_dword v83, off, s[0:3], 0 offset:12
	s_waitcnt vmcnt(3)
	buffer_store_dword v84, v81, s[0:3], 0 offen
	s_waitcnt vmcnt(3)
	buffer_store_dword v85, v81, s[0:3], 0 offen offset:4
.LBB103_324:
	global_load_dword v0, v0, s[12:13]
	s_nop 0
	buffer_load_dword v83, off, s[0:3], 0
	buffer_load_dword v84, off, s[0:3], 0 offset:4
	s_waitcnt vmcnt(2)
	v_add_u32_e32 v0, -1, v0
	v_cmp_eq_u32_e32 vcc, 0, v0
	s_cbranch_vccnz .LBB103_326
; %bb.325:
	v_lshlrev_b32_e32 v0, 3, v0
	buffer_load_dword v81, v0, s[0:3], 0 offen offset:4
	buffer_load_dword v82, v0, s[0:3], 0 offen
	s_waitcnt vmcnt(1)
	buffer_store_dword v81, off, s[0:3], 0 offset:4
	s_waitcnt vmcnt(1)
	buffer_store_dword v82, off, s[0:3], 0
	buffer_store_dword v84, v0, s[0:3], 0 offen offset:4
	buffer_store_dword v83, v0, s[0:3], 0 offen
	buffer_load_dword v83, off, s[0:3], 0
	s_nop 0
	buffer_load_dword v84, off, s[0:3], 0 offset:4
.LBB103_326:
	s_waitcnt vmcnt(0)
	flat_store_dwordx2 v[1:2], v[83:84]
	buffer_load_dword v0, off, s[0:3], 0 offset:8
	s_nop 0
	buffer_load_dword v1, off, s[0:3], 0 offset:12
	s_waitcnt vmcnt(0)
	flat_store_dwordx2 v[3:4], v[0:1]
	buffer_load_dword v0, off, s[0:3], 0 offset:16
	s_nop 0
	buffer_load_dword v1, off, s[0:3], 0 offset:20
	;; [unrolled: 5-line block ×39, first 2 shown]
	s_waitcnt vmcnt(0)
	flat_store_dwordx2 v[79:80], v[0:1]
	s_endpgm
	.section	.rodata,"a",@progbits
	.p2align	6, 0x0
	.amdhsa_kernel _ZN9rocsolver6v33100L18getri_kernel_smallILi40EdPKPdEEvT1_iilPiilS6_bb
		.amdhsa_group_segment_fixed_size 648
		.amdhsa_private_segment_fixed_size 336
		.amdhsa_kernarg_size 60
		.amdhsa_user_sgpr_count 6
		.amdhsa_user_sgpr_private_segment_buffer 1
		.amdhsa_user_sgpr_dispatch_ptr 0
		.amdhsa_user_sgpr_queue_ptr 0
		.amdhsa_user_sgpr_kernarg_segment_ptr 1
		.amdhsa_user_sgpr_dispatch_id 0
		.amdhsa_user_sgpr_flat_scratch_init 0
		.amdhsa_user_sgpr_private_segment_size 0
		.amdhsa_uses_dynamic_stack 0
		.amdhsa_system_sgpr_private_segment_wavefront_offset 1
		.amdhsa_system_sgpr_workgroup_id_x 1
		.amdhsa_system_sgpr_workgroup_id_y 0
		.amdhsa_system_sgpr_workgroup_id_z 0
		.amdhsa_system_sgpr_workgroup_info 0
		.amdhsa_system_vgpr_workitem_id 0
		.amdhsa_next_free_vgpr 117
		.amdhsa_next_free_sgpr 21
		.amdhsa_reserve_vcc 1
		.amdhsa_reserve_flat_scratch 0
		.amdhsa_float_round_mode_32 0
		.amdhsa_float_round_mode_16_64 0
		.amdhsa_float_denorm_mode_32 3
		.amdhsa_float_denorm_mode_16_64 3
		.amdhsa_dx10_clamp 1
		.amdhsa_ieee_mode 1
		.amdhsa_fp16_overflow 0
		.amdhsa_exception_fp_ieee_invalid_op 0
		.amdhsa_exception_fp_denorm_src 0
		.amdhsa_exception_fp_ieee_div_zero 0
		.amdhsa_exception_fp_ieee_overflow 0
		.amdhsa_exception_fp_ieee_underflow 0
		.amdhsa_exception_fp_ieee_inexact 0
		.amdhsa_exception_int_div_zero 0
	.end_amdhsa_kernel
	.section	.text._ZN9rocsolver6v33100L18getri_kernel_smallILi40EdPKPdEEvT1_iilPiilS6_bb,"axG",@progbits,_ZN9rocsolver6v33100L18getri_kernel_smallILi40EdPKPdEEvT1_iilPiilS6_bb,comdat
.Lfunc_end103:
	.size	_ZN9rocsolver6v33100L18getri_kernel_smallILi40EdPKPdEEvT1_iilPiilS6_bb, .Lfunc_end103-_ZN9rocsolver6v33100L18getri_kernel_smallILi40EdPKPdEEvT1_iilPiilS6_bb
                                        ; -- End function
	.set _ZN9rocsolver6v33100L18getri_kernel_smallILi40EdPKPdEEvT1_iilPiilS6_bb.num_vgpr, 117
	.set _ZN9rocsolver6v33100L18getri_kernel_smallILi40EdPKPdEEvT1_iilPiilS6_bb.num_agpr, 0
	.set _ZN9rocsolver6v33100L18getri_kernel_smallILi40EdPKPdEEvT1_iilPiilS6_bb.numbered_sgpr, 21
	.set _ZN9rocsolver6v33100L18getri_kernel_smallILi40EdPKPdEEvT1_iilPiilS6_bb.num_named_barrier, 0
	.set _ZN9rocsolver6v33100L18getri_kernel_smallILi40EdPKPdEEvT1_iilPiilS6_bb.private_seg_size, 336
	.set _ZN9rocsolver6v33100L18getri_kernel_smallILi40EdPKPdEEvT1_iilPiilS6_bb.uses_vcc, 1
	.set _ZN9rocsolver6v33100L18getri_kernel_smallILi40EdPKPdEEvT1_iilPiilS6_bb.uses_flat_scratch, 0
	.set _ZN9rocsolver6v33100L18getri_kernel_smallILi40EdPKPdEEvT1_iilPiilS6_bb.has_dyn_sized_stack, 0
	.set _ZN9rocsolver6v33100L18getri_kernel_smallILi40EdPKPdEEvT1_iilPiilS6_bb.has_recursion, 0
	.set _ZN9rocsolver6v33100L18getri_kernel_smallILi40EdPKPdEEvT1_iilPiilS6_bb.has_indirect_call, 0
	.section	.AMDGPU.csdata,"",@progbits
; Kernel info:
; codeLenInByte = 44952
; TotalNumSgprs: 25
; NumVgprs: 117
; ScratchSize: 336
; MemoryBound: 1
; FloatMode: 240
; IeeeMode: 1
; LDSByteSize: 648 bytes/workgroup (compile time only)
; SGPRBlocks: 3
; VGPRBlocks: 29
; NumSGPRsForWavesPerEU: 25
; NumVGPRsForWavesPerEU: 117
; Occupancy: 2
; WaveLimiterHint : 1
; COMPUTE_PGM_RSRC2:SCRATCH_EN: 1
; COMPUTE_PGM_RSRC2:USER_SGPR: 6
; COMPUTE_PGM_RSRC2:TRAP_HANDLER: 0
; COMPUTE_PGM_RSRC2:TGID_X_EN: 1
; COMPUTE_PGM_RSRC2:TGID_Y_EN: 0
; COMPUTE_PGM_RSRC2:TGID_Z_EN: 0
; COMPUTE_PGM_RSRC2:TIDIG_COMP_CNT: 0
	.section	.text._ZN9rocsolver6v33100L18getri_kernel_smallILi41EdPKPdEEvT1_iilPiilS6_bb,"axG",@progbits,_ZN9rocsolver6v33100L18getri_kernel_smallILi41EdPKPdEEvT1_iilPiilS6_bb,comdat
	.globl	_ZN9rocsolver6v33100L18getri_kernel_smallILi41EdPKPdEEvT1_iilPiilS6_bb ; -- Begin function _ZN9rocsolver6v33100L18getri_kernel_smallILi41EdPKPdEEvT1_iilPiilS6_bb
	.p2align	8
	.type	_ZN9rocsolver6v33100L18getri_kernel_smallILi41EdPKPdEEvT1_iilPiilS6_bb,@function
_ZN9rocsolver6v33100L18getri_kernel_smallILi41EdPKPdEEvT1_iilPiilS6_bb: ; @_ZN9rocsolver6v33100L18getri_kernel_smallILi41EdPKPdEEvT1_iilPiilS6_bb
; %bb.0:
	s_add_u32 s0, s0, s7
	s_addc_u32 s1, s1, 0
	v_cmp_gt_u32_e32 vcc, 41, v0
	s_and_saveexec_b64 s[8:9], vcc
	s_cbranch_execz .LBB104_172
; %bb.1:
	s_load_dword s18, s[4:5], 0x38
	s_load_dwordx2 s[12:13], s[4:5], 0x0
	s_load_dwordx4 s[8:11], s[4:5], 0x28
	s_waitcnt lgkmcnt(0)
	s_bitcmp1_b32 s18, 8
	s_cselect_b64 s[14:15], -1, 0
	s_ashr_i32 s7, s6, 31
	s_lshl_b64 s[16:17], s[6:7], 3
	s_add_u32 s12, s12, s16
	s_addc_u32 s13, s13, s17
	s_load_dwordx2 s[16:17], s[12:13], 0x0
	s_bfe_u32 s12, s18, 0x10008
	s_cmp_eq_u32 s12, 0
                                        ; implicit-def: $sgpr12_sgpr13
	s_cbranch_scc1 .LBB104_3
; %bb.2:
	s_load_dword s12, s[4:5], 0x20
	s_load_dwordx2 s[18:19], s[4:5], 0x18
	s_mul_i32 s13, s8, s7
	s_mul_hi_u32 s20, s8, s6
	s_add_i32 s20, s20, s13
	s_mul_i32 s9, s9, s6
	s_add_i32 s9, s20, s9
	s_mul_i32 s8, s8, s6
	s_waitcnt lgkmcnt(0)
	s_ashr_i32 s13, s12, 31
	s_lshl_b64 s[8:9], s[8:9], 2
	s_add_u32 s18, s18, s8
	s_addc_u32 s19, s19, s9
	s_lshl_b64 s[8:9], s[12:13], 2
	s_add_u32 s12, s18, s8
	s_addc_u32 s13, s19, s9
.LBB104_3:
	s_load_dwordx2 s[8:9], s[4:5], 0x8
	v_lshlrev_b32_e32 v85, 3, v0
	s_load_dword s4, s[4:5], 0x38
	s_waitcnt lgkmcnt(0)
	s_ashr_i32 s19, s8, 31
	s_mov_b32 s18, s8
	s_lshl_b64 s[18:19], s[18:19], 3
	s_add_u32 s5, s16, s18
	s_addc_u32 s8, s17, s19
	v_mov_b32_e32 v2, s8
	v_add_co_u32_e32 v1, vcc, s5, v85
	v_addc_co_u32_e32 v2, vcc, 0, v2, vcc
	flat_load_dwordx2 v[5:6], v[1:2]
	s_mov_b32 s16, s9
	s_ashr_i32 s17, s9, 31
	s_lshl_b64 s[16:17], s[16:17], 3
	v_mov_b32_e32 v4, s17
	v_add_co_u32_e32 v3, vcc, s16, v1
	v_addc_co_u32_e32 v4, vcc, v2, v4, vcc
	s_add_i32 s16, s9, s9
	v_add_u32_e32 v9, s16, v0
	v_ashrrev_i32_e32 v10, 31, v9
	v_mov_b32_e32 v11, s8
	v_add_u32_e32 v12, s9, v9
	v_ashrrev_i32_e32 v13, 31, v12
	v_mov_b32_e32 v14, s8
	v_mov_b32_e32 v15, s8
	;; [unrolled: 1-line block ×37, first 2 shown]
	s_bitcmp0_b32 s4, 0
	s_waitcnt vmcnt(0) lgkmcnt(0)
	buffer_store_dword v6, off, s[0:3], 0 offset:4
	buffer_store_dword v5, off, s[0:3], 0
	flat_load_dwordx2 v[7:8], v[3:4]
	v_lshlrev_b64 v[5:6], 3, v[9:10]
	s_waitcnt vmcnt(0) lgkmcnt(0)
	buffer_store_dword v8, off, s[0:3], 0 offset:12
	buffer_store_dword v7, off, s[0:3], 0 offset:8
	v_add_co_u32_e32 v5, vcc, s5, v5
	v_addc_co_u32_e32 v6, vcc, v11, v6, vcc
	flat_load_dwordx2 v[10:11], v[5:6]
	v_lshlrev_b64 v[7:8], 3, v[12:13]
	s_waitcnt vmcnt(0) lgkmcnt(0)
	buffer_store_dword v11, off, s[0:3], 0 offset:20
	buffer_store_dword v10, off, s[0:3], 0 offset:16
	v_add_co_u32_e32 v7, vcc, s5, v7
	v_addc_co_u32_e32 v8, vcc, v14, v8, vcc
	flat_load_dwordx2 v[13:14], v[7:8]
	v_add_u32_e32 v11, s9, v12
	v_ashrrev_i32_e32 v12, 31, v11
	v_lshlrev_b64 v[9:10], 3, v[11:12]
	s_waitcnt vmcnt(0) lgkmcnt(0)
	buffer_store_dword v14, off, s[0:3], 0 offset:28
	buffer_store_dword v13, off, s[0:3], 0 offset:24
	v_add_co_u32_e32 v9, vcc, s5, v9
	v_addc_co_u32_e32 v10, vcc, v15, v10, vcc
	flat_load_dwordx2 v[13:14], v[9:10]
	v_add_u32_e32 v15, s9, v11
	v_ashrrev_i32_e32 v16, 31, v15
	v_lshlrev_b64 v[11:12], 3, v[15:16]
	v_add_u32_e32 v18, s9, v15
	v_add_co_u32_e32 v11, vcc, s5, v11
	v_addc_co_u32_e32 v12, vcc, v17, v12, vcc
	v_ashrrev_i32_e32 v19, 31, v18
	s_waitcnt vmcnt(0) lgkmcnt(0)
	buffer_store_dword v14, off, s[0:3], 0 offset:36
	buffer_store_dword v13, off, s[0:3], 0 offset:32
	flat_load_dwordx2 v[16:17], v[11:12]
	v_lshlrev_b64 v[13:14], 3, v[18:19]
	s_waitcnt vmcnt(0) lgkmcnt(0)
	buffer_store_dword v17, off, s[0:3], 0 offset:44
	buffer_store_dword v16, off, s[0:3], 0 offset:40
	v_add_co_u32_e32 v13, vcc, s5, v13
	v_addc_co_u32_e32 v14, vcc, v20, v14, vcc
	flat_load_dwordx2 v[19:20], v[13:14]
	v_add_u32_e32 v17, s9, v18
	v_ashrrev_i32_e32 v18, 31, v17
	v_lshlrev_b64 v[15:16], 3, v[17:18]
	s_waitcnt vmcnt(0) lgkmcnt(0)
	buffer_store_dword v20, off, s[0:3], 0 offset:52
	buffer_store_dword v19, off, s[0:3], 0 offset:48
	v_add_co_u32_e32 v15, vcc, s5, v15
	v_addc_co_u32_e32 v16, vcc, v21, v16, vcc
	flat_load_dwordx2 v[19:20], v[15:16]
	v_add_u32_e32 v21, s9, v17
	v_ashrrev_i32_e32 v22, 31, v21
	v_lshlrev_b64 v[17:18], 3, v[21:22]
	v_add_u32_e32 v24, s9, v21
	v_add_co_u32_e32 v17, vcc, s5, v17
	v_addc_co_u32_e32 v18, vcc, v23, v18, vcc
	v_ashrrev_i32_e32 v25, 31, v24
	s_waitcnt vmcnt(0) lgkmcnt(0)
	buffer_store_dword v20, off, s[0:3], 0 offset:60
	buffer_store_dword v19, off, s[0:3], 0 offset:56
	;; [unrolled: 27-line block ×7, first 2 shown]
	flat_load_dwordx2 v[52:53], v[47:48]
	v_lshlrev_b64 v[49:50], 3, v[54:55]
	s_waitcnt vmcnt(0) lgkmcnt(0)
	buffer_store_dword v53, off, s[0:3], 0 offset:188
	buffer_store_dword v52, off, s[0:3], 0 offset:184
	v_add_co_u32_e32 v49, vcc, s5, v49
	v_addc_co_u32_e32 v50, vcc, v56, v50, vcc
	flat_load_dwordx2 v[55:56], v[49:50]
	v_add_u32_e32 v53, s9, v54
	v_ashrrev_i32_e32 v54, 31, v53
	v_lshlrev_b64 v[51:52], 3, v[53:54]
	s_waitcnt vmcnt(0) lgkmcnt(0)
	buffer_store_dword v56, off, s[0:3], 0 offset:196
	buffer_store_dword v55, off, s[0:3], 0 offset:192
	v_add_co_u32_e32 v51, vcc, s5, v51
	v_addc_co_u32_e32 v52, vcc, v57, v52, vcc
	flat_load_dwordx2 v[55:56], v[51:52]
	v_add_u32_e32 v57, s9, v53
	v_ashrrev_i32_e32 v58, 31, v57
	v_lshlrev_b64 v[53:54], 3, v[57:58]
	v_add_u32_e32 v60, s9, v57
	v_add_co_u32_e32 v53, vcc, s5, v53
	v_addc_co_u32_e32 v54, vcc, v59, v54, vcc
	s_waitcnt vmcnt(0) lgkmcnt(0)
	buffer_store_dword v56, off, s[0:3], 0 offset:204
	buffer_store_dword v55, off, s[0:3], 0 offset:200
	flat_load_dwordx2 v[58:59], v[53:54]
	v_ashrrev_i32_e32 v61, 31, v60
	v_lshlrev_b64 v[55:56], 3, v[60:61]
	s_waitcnt vmcnt(0) lgkmcnt(0)
	buffer_store_dword v59, off, s[0:3], 0 offset:212
	buffer_store_dword v58, off, s[0:3], 0 offset:208
	v_add_co_u32_e32 v55, vcc, s5, v55
	v_addc_co_u32_e32 v56, vcc, v62, v56, vcc
	flat_load_dwordx2 v[61:62], v[55:56]
	v_add_u32_e32 v59, s9, v60
	v_ashrrev_i32_e32 v60, 31, v59
	v_lshlrev_b64 v[57:58], 3, v[59:60]
	s_waitcnt vmcnt(0) lgkmcnt(0)
	buffer_store_dword v62, off, s[0:3], 0 offset:220
	buffer_store_dword v61, off, s[0:3], 0 offset:216
	v_add_co_u32_e32 v57, vcc, s5, v57
	v_addc_co_u32_e32 v58, vcc, v63, v58, vcc
	flat_load_dwordx2 v[61:62], v[57:58]
	v_add_u32_e32 v63, s9, v59
	;; [unrolled: 9-line block ×13, first 2 shown]
	v_ashrrev_i32_e32 v82, 31, v81
	v_lshlrev_b64 v[81:82], 3, v[81:82]
	v_mov_b32_e32 v87, s8
	v_add_co_u32_e32 v81, vcc, s5, v81
	v_addc_co_u32_e32 v82, vcc, v87, v82, vcc
	s_waitcnt vmcnt(0) lgkmcnt(0)
	buffer_store_dword v84, off, s[0:3], 0 offset:316
	buffer_store_dword v83, off, s[0:3], 0 offset:312
	flat_load_dwordx2 v[83:84], v[81:82]
	s_mov_b64 s[8:9], -1
	s_waitcnt vmcnt(0) lgkmcnt(0)
	buffer_store_dword v84, off, s[0:3], 0 offset:324
	buffer_store_dword v83, off, s[0:3], 0 offset:320
	s_cbranch_scc1 .LBB104_170
; %bb.4:
	v_cmp_eq_u32_e64 s[4:5], 0, v0
	s_and_saveexec_b64 s[8:9], s[4:5]
; %bb.5:
	v_mov_b32_e32 v83, 0
	ds_write_b32 v83, v83 offset:328
; %bb.6:
	s_or_b64 exec, exec, s[8:9]
	v_mov_b32_e32 v83, 0
	v_lshl_add_u32 v83, v0, 3, v83
	s_waitcnt lgkmcnt(0)
	; wave barrier
	buffer_load_dword v86, v83, s[0:3], 0 offen
	buffer_load_dword v87, v83, s[0:3], 0 offen offset:4
	s_waitcnt vmcnt(0)
	v_cmp_eq_f64_e32 vcc, 0, v[86:87]
	s_and_saveexec_b64 s[16:17], vcc
	s_cbranch_execz .LBB104_10
; %bb.7:
	v_mov_b32_e32 v84, 0
	ds_read_b32 v87, v84 offset:328
	v_add_u32_e32 v86, 1, v0
	s_waitcnt lgkmcnt(0)
	v_readfirstlane_b32 s8, v87
	s_cmp_eq_u32 s8, 0
	s_cselect_b64 s[18:19], -1, 0
	v_cmp_gt_i32_e32 vcc, s8, v86
	s_or_b64 s[18:19], s[18:19], vcc
	s_and_b64 exec, exec, s[18:19]
	s_cbranch_execz .LBB104_10
; %bb.8:
	s_mov_b64 s[18:19], 0
	v_mov_b32_e32 v87, s8
.LBB104_9:                              ; =>This Inner Loop Header: Depth=1
	ds_cmpst_rtn_b32 v87, v84, v87, v86 offset:328
	s_waitcnt lgkmcnt(0)
	v_cmp_ne_u32_e32 vcc, 0, v87
	v_cmp_le_i32_e64 s[8:9], v87, v86
	s_and_b64 s[8:9], vcc, s[8:9]
	s_and_b64 s[8:9], exec, s[8:9]
	s_or_b64 s[18:19], s[8:9], s[18:19]
	s_andn2_b64 exec, exec, s[18:19]
	s_cbranch_execnz .LBB104_9
.LBB104_10:
	s_or_b64 exec, exec, s[16:17]
	v_mov_b32_e32 v86, 0
	; wave barrier
	ds_read_b32 v84, v86 offset:328
	s_and_saveexec_b64 s[8:9], s[4:5]
	s_cbranch_execz .LBB104_12
; %bb.11:
	s_lshl_b64 s[16:17], s[6:7], 2
	s_add_u32 s16, s10, s16
	s_addc_u32 s17, s11, s17
	s_waitcnt lgkmcnt(0)
	global_store_dword v86, v84, s[16:17]
.LBB104_12:
	s_or_b64 exec, exec, s[8:9]
	s_waitcnt lgkmcnt(0)
	v_cmp_ne_u32_e32 vcc, 0, v84
	s_mov_b64 s[8:9], 0
	s_cbranch_vccnz .LBB104_170
; %bb.13:
	buffer_load_dword v86, v83, s[0:3], 0 offen
	buffer_load_dword v87, v83, s[0:3], 0 offen offset:4
	s_waitcnt vmcnt(0)
	v_div_scale_f64 v[88:89], s[8:9], v[86:87], v[86:87], 1.0
	v_rcp_f64_e32 v[90:91], v[88:89]
	v_fma_f64 v[92:93], -v[88:89], v[90:91], 1.0
	v_fma_f64 v[90:91], v[90:91], v[92:93], v[90:91]
	v_div_scale_f64 v[92:93], vcc, 1.0, v[86:87], 1.0
	v_fma_f64 v[94:95], -v[88:89], v[90:91], 1.0
	v_fma_f64 v[90:91], v[90:91], v[94:95], v[90:91]
	v_mul_f64 v[94:95], v[92:93], v[90:91]
	v_fma_f64 v[88:89], -v[88:89], v[94:95], v[92:93]
	v_div_fmas_f64 v[88:89], v[88:89], v[90:91], v[94:95]
	v_div_fixup_f64 v[87:88], v[88:89], v[86:87], 1.0
	v_add_u32_e32 v86, 0x150, v85
	buffer_store_dword v88, v83, s[0:3], 0 offen offset:4
	buffer_store_dword v87, v83, s[0:3], 0 offen
	buffer_load_dword v90, off, s[0:3], 0 offset:12
	buffer_load_dword v89, off, s[0:3], 0 offset:8
	v_xor_b32_e32 v88, 0x80000000, v88
	s_waitcnt vmcnt(0)
	ds_write2_b64 v85, v[87:88], v[89:90] offset1:42
	s_waitcnt lgkmcnt(0)
	; wave barrier
	s_and_saveexec_b64 s[8:9], s[4:5]
	s_cbranch_execz .LBB104_15
; %bb.14:
	buffer_load_dword v87, v83, s[0:3], 0 offen
	buffer_load_dword v88, v83, s[0:3], 0 offen offset:4
	ds_read_b64 v[89:90], v86
	v_mov_b32_e32 v84, 0
	ds_read_b64 v[91:92], v84 offset:8
	s_waitcnt vmcnt(0) lgkmcnt(1)
	v_fma_f64 v[87:88], v[87:88], v[89:90], 0
	s_waitcnt lgkmcnt(0)
	v_mul_f64 v[87:88], v[87:88], v[91:92]
	buffer_store_dword v87, off, s[0:3], 0 offset:8
	buffer_store_dword v88, off, s[0:3], 0 offset:12
.LBB104_15:
	s_or_b64 exec, exec, s[8:9]
	; wave barrier
	buffer_load_dword v87, off, s[0:3], 0 offset:16
	buffer_load_dword v88, off, s[0:3], 0 offset:20
	v_cmp_gt_u32_e32 vcc, 2, v0
	s_waitcnt vmcnt(0)
	ds_write_b64 v86, v[87:88]
	s_waitcnt lgkmcnt(0)
	; wave barrier
	s_and_saveexec_b64 s[8:9], vcc
	s_cbranch_execz .LBB104_17
; %bb.16:
	buffer_load_dword v87, v83, s[0:3], 0 offen
	buffer_load_dword v88, v83, s[0:3], 0 offen offset:4
                                        ; kill: killed $vgpr83
	s_nop 0
	buffer_load_dword v83, off, s[0:3], 0 offset:8
	buffer_load_dword v84, off, s[0:3], 0 offset:12
	ds_read_b64 v[89:90], v86
	s_waitcnt vmcnt(2) lgkmcnt(0)
	v_fma_f64 v[91:92], v[87:88], v[89:90], 0
	v_mov_b32_e32 v87, 0
	ds_read2_b64 v[87:90], v87 offset0:2 offset1:43
	s_waitcnt vmcnt(0) lgkmcnt(0)
	v_fma_f64 v[83:84], v[83:84], v[89:90], v[91:92]
	v_cndmask_b32_e64 v84, v92, v84, s[4:5]
	v_cndmask_b32_e64 v83, v91, v83, s[4:5]
	v_mul_f64 v[83:84], v[83:84], v[87:88]
	buffer_store_dword v84, off, s[0:3], 0 offset:20
	buffer_store_dword v83, off, s[0:3], 0 offset:16
.LBB104_17:
	s_or_b64 exec, exec, s[8:9]
	; wave barrier
	buffer_load_dword v83, off, s[0:3], 0 offset:24
	buffer_load_dword v84, off, s[0:3], 0 offset:28
	v_cmp_gt_u32_e32 vcc, 3, v0
	v_add_u32_e32 v87, -1, v0
	s_waitcnt vmcnt(0)
	ds_write_b64 v86, v[83:84]
	s_waitcnt lgkmcnt(0)
	; wave barrier
	s_and_saveexec_b64 s[4:5], vcc
	s_cbranch_execz .LBB104_21
; %bb.18:
	v_mov_b32_e32 v83, 0
	v_add_u32_e32 v88, -1, v0
	v_add_u32_e32 v89, 0x150, v85
	v_mov_b32_e32 v90, v85
	v_mov_b32_e32 v84, 0
	s_mov_b64 s[8:9], 0
.LBB104_19:                             ; =>This Inner Loop Header: Depth=1
	buffer_load_dword v91, v90, s[0:3], 0 offen
	buffer_load_dword v92, v90, s[0:3], 0 offen offset:4
	ds_read_b64 v[93:94], v89
	v_add_u32_e32 v88, 1, v88
	v_cmp_lt_u32_e32 vcc, 1, v88
	v_add_u32_e32 v89, 8, v89
	s_or_b64 s[8:9], vcc, s[8:9]
	v_add_u32_e32 v90, 8, v90
	s_waitcnt vmcnt(0) lgkmcnt(0)
	v_fma_f64 v[83:84], v[91:92], v[93:94], v[83:84]
	s_andn2_b64 exec, exec, s[8:9]
	s_cbranch_execnz .LBB104_19
; %bb.20:
	s_or_b64 exec, exec, s[8:9]
	v_mov_b32_e32 v88, 0
	ds_read_b64 v[88:89], v88 offset:24
	s_waitcnt lgkmcnt(0)
	v_mul_f64 v[83:84], v[83:84], v[88:89]
	buffer_store_dword v84, off, s[0:3], 0 offset:28
	buffer_store_dword v83, off, s[0:3], 0 offset:24
.LBB104_21:
	s_or_b64 exec, exec, s[4:5]
	; wave barrier
	buffer_load_dword v83, off, s[0:3], 0 offset:32
	buffer_load_dword v84, off, s[0:3], 0 offset:36
	v_cmp_gt_u32_e32 vcc, 4, v0
	s_waitcnt vmcnt(0)
	ds_write_b64 v86, v[83:84]
	s_waitcnt lgkmcnt(0)
	; wave barrier
	s_and_saveexec_b64 s[4:5], vcc
	s_cbranch_execz .LBB104_25
; %bb.22:
	v_mov_b32_e32 v83, 0
	v_add_u32_e32 v88, -1, v0
	v_add_u32_e32 v89, 0x150, v85
	v_mov_b32_e32 v90, v85
	v_mov_b32_e32 v84, 0
	s_mov_b64 s[8:9], 0
.LBB104_23:                             ; =>This Inner Loop Header: Depth=1
	buffer_load_dword v91, v90, s[0:3], 0 offen
	buffer_load_dword v92, v90, s[0:3], 0 offen offset:4
	ds_read_b64 v[93:94], v89
	v_add_u32_e32 v88, 1, v88
	v_cmp_lt_u32_e32 vcc, 2, v88
	v_add_u32_e32 v89, 8, v89
	s_or_b64 s[8:9], vcc, s[8:9]
	v_add_u32_e32 v90, 8, v90
	s_waitcnt vmcnt(0) lgkmcnt(0)
	v_fma_f64 v[83:84], v[91:92], v[93:94], v[83:84]
	s_andn2_b64 exec, exec, s[8:9]
	s_cbranch_execnz .LBB104_23
; %bb.24:
	s_or_b64 exec, exec, s[8:9]
	v_mov_b32_e32 v88, 0
	ds_read_b64 v[88:89], v88 offset:32
	s_waitcnt lgkmcnt(0)
	v_mul_f64 v[83:84], v[83:84], v[88:89]
	buffer_store_dword v84, off, s[0:3], 0 offset:36
	buffer_store_dword v83, off, s[0:3], 0 offset:32
.LBB104_25:
	s_or_b64 exec, exec, s[4:5]
	; wave barrier
	buffer_load_dword v83, off, s[0:3], 0 offset:40
	buffer_load_dword v84, off, s[0:3], 0 offset:44
	v_cmp_gt_u32_e32 vcc, 5, v0
	;; [unrolled: 40-line block ×21, first 2 shown]
	s_waitcnt vmcnt(0)
	ds_write_b64 v86, v[83:84]
	s_waitcnt lgkmcnt(0)
	; wave barrier
	s_and_saveexec_b64 s[4:5], vcc
	s_cbranch_execz .LBB104_105
; %bb.102:
	v_mov_b32_e32 v83, 0
	v_add_u32_e32 v88, -1, v0
	v_add_u32_e32 v89, 0x150, v85
	v_mov_b32_e32 v90, v85
	v_mov_b32_e32 v84, 0
	s_mov_b64 s[8:9], 0
.LBB104_103:                            ; =>This Inner Loop Header: Depth=1
	buffer_load_dword v91, v90, s[0:3], 0 offen
	buffer_load_dword v92, v90, s[0:3], 0 offen offset:4
	ds_read_b64 v[93:94], v89
	v_add_u32_e32 v88, 1, v88
	v_cmp_lt_u32_e32 vcc, 22, v88
	v_add_u32_e32 v89, 8, v89
	s_or_b64 s[8:9], vcc, s[8:9]
	v_add_u32_e32 v90, 8, v90
	s_waitcnt vmcnt(0) lgkmcnt(0)
	v_fma_f64 v[83:84], v[91:92], v[93:94], v[83:84]
	s_andn2_b64 exec, exec, s[8:9]
	s_cbranch_execnz .LBB104_103
; %bb.104:
	s_or_b64 exec, exec, s[8:9]
	v_mov_b32_e32 v88, 0
	ds_read_b64 v[88:89], v88 offset:192
	s_waitcnt lgkmcnt(0)
	v_mul_f64 v[83:84], v[83:84], v[88:89]
	buffer_store_dword v84, off, s[0:3], 0 offset:196
	buffer_store_dword v83, off, s[0:3], 0 offset:192
.LBB104_105:
	s_or_b64 exec, exec, s[4:5]
	; wave barrier
	buffer_load_dword v83, off, s[0:3], 0 offset:200
	buffer_load_dword v84, off, s[0:3], 0 offset:204
	v_cmp_gt_u32_e32 vcc, 25, v0
	s_waitcnt vmcnt(0)
	ds_write_b64 v86, v[83:84]
	s_waitcnt lgkmcnt(0)
	; wave barrier
	s_and_saveexec_b64 s[4:5], vcc
	s_cbranch_execz .LBB104_109
; %bb.106:
	v_mov_b32_e32 v83, 0
	v_add_u32_e32 v88, -1, v0
	v_add_u32_e32 v89, 0x150, v85
	v_mov_b32_e32 v90, v85
	v_mov_b32_e32 v84, 0
	s_mov_b64 s[8:9], 0
.LBB104_107:                            ; =>This Inner Loop Header: Depth=1
	buffer_load_dword v91, v90, s[0:3], 0 offen
	buffer_load_dword v92, v90, s[0:3], 0 offen offset:4
	ds_read_b64 v[93:94], v89
	v_add_u32_e32 v88, 1, v88
	v_cmp_lt_u32_e32 vcc, 23, v88
	v_add_u32_e32 v89, 8, v89
	s_or_b64 s[8:9], vcc, s[8:9]
	v_add_u32_e32 v90, 8, v90
	s_waitcnt vmcnt(0) lgkmcnt(0)
	v_fma_f64 v[83:84], v[91:92], v[93:94], v[83:84]
	s_andn2_b64 exec, exec, s[8:9]
	s_cbranch_execnz .LBB104_107
; %bb.108:
	s_or_b64 exec, exec, s[8:9]
	v_mov_b32_e32 v88, 0
	ds_read_b64 v[88:89], v88 offset:200
	s_waitcnt lgkmcnt(0)
	v_mul_f64 v[83:84], v[83:84], v[88:89]
	buffer_store_dword v84, off, s[0:3], 0 offset:204
	buffer_store_dword v83, off, s[0:3], 0 offset:200
.LBB104_109:
	s_or_b64 exec, exec, s[4:5]
	; wave barrier
	buffer_load_dword v83, off, s[0:3], 0 offset:208
	buffer_load_dword v84, off, s[0:3], 0 offset:212
	v_cmp_gt_u32_e32 vcc, 26, v0
	;; [unrolled: 40-line block ×15, first 2 shown]
	s_waitcnt vmcnt(0)
	ds_write_b64 v86, v[83:84]
	s_waitcnt lgkmcnt(0)
	; wave barrier
	s_and_saveexec_b64 s[4:5], vcc
	s_cbranch_execz .LBB104_165
; %bb.162:
	v_mov_b32_e32 v83, 0
	v_add_u32_e32 v88, -1, v0
	v_add_u32_e32 v89, 0x150, v85
	v_mov_b32_e32 v90, v85
	v_mov_b32_e32 v84, 0
	s_mov_b64 s[8:9], 0
.LBB104_163:                            ; =>This Inner Loop Header: Depth=1
	buffer_load_dword v91, v90, s[0:3], 0 offen
	buffer_load_dword v92, v90, s[0:3], 0 offen offset:4
	ds_read_b64 v[93:94], v89
	v_add_u32_e32 v88, 1, v88
	v_cmp_lt_u32_e32 vcc, 37, v88
	v_add_u32_e32 v89, 8, v89
	s_or_b64 s[8:9], vcc, s[8:9]
	v_add_u32_e32 v90, 8, v90
	s_waitcnt vmcnt(0) lgkmcnt(0)
	v_fma_f64 v[83:84], v[91:92], v[93:94], v[83:84]
	s_andn2_b64 exec, exec, s[8:9]
	s_cbranch_execnz .LBB104_163
; %bb.164:
	s_or_b64 exec, exec, s[8:9]
	v_mov_b32_e32 v88, 0
	ds_read_b64 v[88:89], v88 offset:312
	s_waitcnt lgkmcnt(0)
	v_mul_f64 v[83:84], v[83:84], v[88:89]
	buffer_store_dword v84, off, s[0:3], 0 offset:316
	buffer_store_dword v83, off, s[0:3], 0 offset:312
.LBB104_165:
	s_or_b64 exec, exec, s[4:5]
	; wave barrier
	buffer_load_dword v83, off, s[0:3], 0 offset:320
	buffer_load_dword v84, off, s[0:3], 0 offset:324
	v_cmp_ne_u32_e32 vcc, 40, v0
	s_waitcnt vmcnt(0)
	ds_write_b64 v86, v[83:84]
	s_waitcnt lgkmcnt(0)
	; wave barrier
	s_and_saveexec_b64 s[4:5], vcc
	s_cbranch_execz .LBB104_169
; %bb.166:
	v_mov_b32_e32 v83, 0
	v_add_u32_e32 v86, 0x150, v85
	v_mov_b32_e32 v84, 0
	s_mov_b64 s[8:9], 0
.LBB104_167:                            ; =>This Inner Loop Header: Depth=1
	buffer_load_dword v88, v85, s[0:3], 0 offen
	buffer_load_dword v89, v85, s[0:3], 0 offen offset:4
	ds_read_b64 v[90:91], v86
	v_add_u32_e32 v87, 1, v87
	v_cmp_lt_u32_e32 vcc, 38, v87
	v_add_u32_e32 v86, 8, v86
	s_or_b64 s[8:9], vcc, s[8:9]
	v_add_u32_e32 v85, 8, v85
	s_waitcnt vmcnt(0) lgkmcnt(0)
	v_fma_f64 v[83:84], v[88:89], v[90:91], v[83:84]
	s_andn2_b64 exec, exec, s[8:9]
	s_cbranch_execnz .LBB104_167
; %bb.168:
	s_or_b64 exec, exec, s[8:9]
	v_mov_b32_e32 v85, 0
	ds_read_b64 v[85:86], v85 offset:320
	s_waitcnt lgkmcnt(0)
	v_mul_f64 v[83:84], v[83:84], v[85:86]
	buffer_store_dword v84, off, s[0:3], 0 offset:324
	buffer_store_dword v83, off, s[0:3], 0 offset:320
.LBB104_169:
	s_or_b64 exec, exec, s[4:5]
	s_mov_b64 s[8:9], -1
	; wave barrier
.LBB104_170:
	s_and_b64 vcc, exec, s[8:9]
	s_cbranch_vccz .LBB104_172
; %bb.171:
	s_lshl_b64 s[4:5], s[6:7], 2
	s_add_u32 s4, s10, s4
	s_addc_u32 s5, s11, s5
	v_mov_b32_e32 v83, 0
	global_load_dword v83, v83, s[4:5]
	s_waitcnt vmcnt(0)
	v_cmp_ne_u32_e32 vcc, 0, v83
	s_cbranch_vccz .LBB104_173
.LBB104_172:
	s_endpgm
.LBB104_173:
	v_mov_b32_e32 v83, 0x150
	v_lshl_add_u32 v83, v0, 3, v83
	v_cmp_eq_u32_e32 vcc, 40, v0
	s_and_saveexec_b64 s[4:5], vcc
	s_cbranch_execz .LBB104_175
; %bb.174:
	buffer_load_dword v84, off, s[0:3], 0 offset:312
	buffer_load_dword v85, off, s[0:3], 0 offset:316
	v_mov_b32_e32 v86, 0
	buffer_store_dword v86, off, s[0:3], 0 offset:312
	buffer_store_dword v86, off, s[0:3], 0 offset:316
	s_waitcnt vmcnt(2)
	ds_write_b64 v83, v[84:85]
.LBB104_175:
	s_or_b64 exec, exec, s[4:5]
	s_waitcnt lgkmcnt(0)
	; wave barrier
	buffer_load_dword v85, off, s[0:3], 0 offset:320
	buffer_load_dword v86, off, s[0:3], 0 offset:324
	;; [unrolled: 1-line block ×4, first 2 shown]
	v_mov_b32_e32 v84, 0
	ds_read_b64 v[89:90], v84 offset:656
	v_cmp_lt_u32_e32 vcc, 38, v0
	s_waitcnt vmcnt(2) lgkmcnt(0)
	v_fma_f64 v[85:86], v[85:86], v[89:90], 0
	s_waitcnt vmcnt(0)
	v_add_f64 v[85:86], v[87:88], -v[85:86]
	buffer_store_dword v85, off, s[0:3], 0 offset:312
	buffer_store_dword v86, off, s[0:3], 0 offset:316
	s_and_saveexec_b64 s[4:5], vcc
	s_cbranch_execz .LBB104_177
; %bb.176:
	buffer_load_dword v85, off, s[0:3], 0 offset:304
	buffer_load_dword v86, off, s[0:3], 0 offset:308
	s_waitcnt vmcnt(0)
	ds_write_b64 v83, v[85:86]
	buffer_store_dword v84, off, s[0:3], 0 offset:304
	buffer_store_dword v84, off, s[0:3], 0 offset:308
.LBB104_177:
	s_or_b64 exec, exec, s[4:5]
	s_waitcnt lgkmcnt(0)
	; wave barrier
	buffer_load_dword v88, off, s[0:3], 0 offset:312
	buffer_load_dword v89, off, s[0:3], 0 offset:316
	;; [unrolled: 1-line block ×6, first 2 shown]
	ds_read2_b64 v[84:87], v84 offset0:81 offset1:82
	v_cmp_lt_u32_e32 vcc, 37, v0
	s_waitcnt vmcnt(4) lgkmcnt(0)
	v_fma_f64 v[84:85], v[88:89], v[84:85], 0
	s_waitcnt vmcnt(2)
	v_fma_f64 v[84:85], v[90:91], v[86:87], v[84:85]
	s_waitcnt vmcnt(0)
	v_add_f64 v[84:85], v[92:93], -v[84:85]
	buffer_store_dword v84, off, s[0:3], 0 offset:304
	buffer_store_dword v85, off, s[0:3], 0 offset:308
	s_and_saveexec_b64 s[4:5], vcc
	s_cbranch_execz .LBB104_179
; %bb.178:
	buffer_load_dword v84, off, s[0:3], 0 offset:296
	buffer_load_dword v85, off, s[0:3], 0 offset:300
	v_mov_b32_e32 v86, 0
	buffer_store_dword v86, off, s[0:3], 0 offset:296
	buffer_store_dword v86, off, s[0:3], 0 offset:300
	s_waitcnt vmcnt(2)
	ds_write_b64 v83, v[84:85]
.LBB104_179:
	s_or_b64 exec, exec, s[4:5]
	s_waitcnt lgkmcnt(0)
	; wave barrier
	buffer_load_dword v89, off, s[0:3], 0 offset:304
	buffer_load_dword v90, off, s[0:3], 0 offset:308
	;; [unrolled: 1-line block ×8, first 2 shown]
	v_mov_b32_e32 v84, 0
	ds_read_b128 v[85:88], v84 offset:640
	ds_read_b64 v[97:98], v84 offset:656
	v_cmp_lt_u32_e32 vcc, 36, v0
	s_waitcnt vmcnt(6) lgkmcnt(1)
	v_fma_f64 v[85:86], v[89:90], v[85:86], 0
	s_waitcnt vmcnt(4)
	v_fma_f64 v[85:86], v[91:92], v[87:88], v[85:86]
	s_waitcnt vmcnt(2) lgkmcnt(0)
	v_fma_f64 v[85:86], v[93:94], v[97:98], v[85:86]
	s_waitcnt vmcnt(0)
	v_add_f64 v[85:86], v[95:96], -v[85:86]
	buffer_store_dword v85, off, s[0:3], 0 offset:296
	buffer_store_dword v86, off, s[0:3], 0 offset:300
	s_and_saveexec_b64 s[4:5], vcc
	s_cbranch_execz .LBB104_181
; %bb.180:
	buffer_load_dword v85, off, s[0:3], 0 offset:288
	buffer_load_dword v86, off, s[0:3], 0 offset:292
	s_waitcnt vmcnt(0)
	ds_write_b64 v83, v[85:86]
	buffer_store_dword v84, off, s[0:3], 0 offset:288
	buffer_store_dword v84, off, s[0:3], 0 offset:292
.LBB104_181:
	s_or_b64 exec, exec, s[4:5]
	s_waitcnt lgkmcnt(0)
	; wave barrier
	buffer_load_dword v93, off, s[0:3], 0 offset:296
	buffer_load_dword v94, off, s[0:3], 0 offset:300
	;; [unrolled: 1-line block ×10, first 2 shown]
	ds_read2_b64 v[85:88], v84 offset0:79 offset1:80
	ds_read2_b64 v[89:92], v84 offset0:81 offset1:82
	v_cmp_lt_u32_e32 vcc, 35, v0
	s_waitcnt vmcnt(8) lgkmcnt(1)
	v_fma_f64 v[84:85], v[93:94], v[85:86], 0
	s_waitcnt vmcnt(6)
	v_fma_f64 v[84:85], v[95:96], v[87:88], v[84:85]
	s_waitcnt vmcnt(4) lgkmcnt(0)
	v_fma_f64 v[84:85], v[97:98], v[89:90], v[84:85]
	s_waitcnt vmcnt(2)
	v_fma_f64 v[84:85], v[99:100], v[91:92], v[84:85]
	s_waitcnt vmcnt(0)
	v_add_f64 v[84:85], v[101:102], -v[84:85]
	buffer_store_dword v84, off, s[0:3], 0 offset:288
	buffer_store_dword v85, off, s[0:3], 0 offset:292
	s_and_saveexec_b64 s[4:5], vcc
	s_cbranch_execz .LBB104_183
; %bb.182:
	buffer_load_dword v84, off, s[0:3], 0 offset:280
	buffer_load_dword v85, off, s[0:3], 0 offset:284
	v_mov_b32_e32 v86, 0
	buffer_store_dword v86, off, s[0:3], 0 offset:280
	buffer_store_dword v86, off, s[0:3], 0 offset:284
	s_waitcnt vmcnt(2)
	ds_write_b64 v83, v[84:85]
.LBB104_183:
	s_or_b64 exec, exec, s[4:5]
	s_waitcnt lgkmcnt(0)
	; wave barrier
	buffer_load_dword v93, off, s[0:3], 0 offset:288
	buffer_load_dword v94, off, s[0:3], 0 offset:292
	;; [unrolled: 1-line block ×12, first 2 shown]
	v_mov_b32_e32 v84, 0
	ds_read_b128 v[85:88], v84 offset:624
	ds_read_b128 v[89:92], v84 offset:640
	v_cmp_lt_u32_e32 vcc, 34, v0
	s_waitcnt vmcnt(10) lgkmcnt(1)
	v_fma_f64 v[85:86], v[93:94], v[85:86], 0
	s_waitcnt vmcnt(8)
	v_fma_f64 v[85:86], v[95:96], v[87:88], v[85:86]
	ds_read_b64 v[87:88], v84 offset:656
	s_waitcnt vmcnt(6) lgkmcnt(1)
	v_fma_f64 v[85:86], v[97:98], v[89:90], v[85:86]
	s_waitcnt vmcnt(4)
	v_fma_f64 v[85:86], v[99:100], v[91:92], v[85:86]
	s_waitcnt vmcnt(2) lgkmcnt(0)
	v_fma_f64 v[85:86], v[101:102], v[87:88], v[85:86]
	s_waitcnt vmcnt(0)
	v_add_f64 v[85:86], v[103:104], -v[85:86]
	buffer_store_dword v85, off, s[0:3], 0 offset:280
	buffer_store_dword v86, off, s[0:3], 0 offset:284
	s_and_saveexec_b64 s[4:5], vcc
	s_cbranch_execz .LBB104_185
; %bb.184:
	buffer_load_dword v85, off, s[0:3], 0 offset:272
	buffer_load_dword v86, off, s[0:3], 0 offset:276
	s_waitcnt vmcnt(0)
	ds_write_b64 v83, v[85:86]
	buffer_store_dword v84, off, s[0:3], 0 offset:272
	buffer_store_dword v84, off, s[0:3], 0 offset:276
.LBB104_185:
	s_or_b64 exec, exec, s[4:5]
	s_waitcnt lgkmcnt(0)
	; wave barrier
	buffer_load_dword v93, off, s[0:3], 0 offset:280
	buffer_load_dword v94, off, s[0:3], 0 offset:284
	;; [unrolled: 1-line block ×14, first 2 shown]
	ds_read2_b64 v[85:88], v84 offset0:77 offset1:78
	ds_read2_b64 v[89:92], v84 offset0:79 offset1:80
	v_cmp_lt_u32_e32 vcc, 33, v0
	s_waitcnt vmcnt(12) lgkmcnt(1)
	v_fma_f64 v[85:86], v[93:94], v[85:86], 0
	s_waitcnt vmcnt(10)
	v_fma_f64 v[85:86], v[95:96], v[87:88], v[85:86]
	s_waitcnt vmcnt(8) lgkmcnt(0)
	v_fma_f64 v[85:86], v[97:98], v[89:90], v[85:86]
	s_waitcnt vmcnt(6)
	v_fma_f64 v[88:89], v[99:100], v[91:92], v[85:86]
	ds_read2_b64 v[84:87], v84 offset0:81 offset1:82
	s_waitcnt vmcnt(4) lgkmcnt(0)
	v_fma_f64 v[84:85], v[101:102], v[84:85], v[88:89]
	s_waitcnt vmcnt(2)
	v_fma_f64 v[84:85], v[103:104], v[86:87], v[84:85]
	s_waitcnt vmcnt(0)
	v_add_f64 v[84:85], v[105:106], -v[84:85]
	buffer_store_dword v84, off, s[0:3], 0 offset:272
	buffer_store_dword v85, off, s[0:3], 0 offset:276
	s_and_saveexec_b64 s[4:5], vcc
	s_cbranch_execz .LBB104_187
; %bb.186:
	buffer_load_dword v84, off, s[0:3], 0 offset:264
	buffer_load_dword v85, off, s[0:3], 0 offset:268
	v_mov_b32_e32 v86, 0
	buffer_store_dword v86, off, s[0:3], 0 offset:264
	buffer_store_dword v86, off, s[0:3], 0 offset:268
	s_waitcnt vmcnt(2)
	ds_write_b64 v83, v[84:85]
.LBB104_187:
	s_or_b64 exec, exec, s[4:5]
	s_waitcnt lgkmcnt(0)
	; wave barrier
	buffer_load_dword v93, off, s[0:3], 0 offset:272
	buffer_load_dword v94, off, s[0:3], 0 offset:276
	;; [unrolled: 1-line block ×16, first 2 shown]
	v_mov_b32_e32 v84, 0
	ds_read_b128 v[85:88], v84 offset:608
	ds_read_b128 v[89:92], v84 offset:624
	v_cmp_lt_u32_e32 vcc, 32, v0
	s_waitcnt vmcnt(14) lgkmcnt(1)
	v_fma_f64 v[85:86], v[93:94], v[85:86], 0
	s_waitcnt vmcnt(12)
	v_fma_f64 v[85:86], v[95:96], v[87:88], v[85:86]
	s_waitcnt vmcnt(10) lgkmcnt(0)
	v_fma_f64 v[85:86], v[97:98], v[89:90], v[85:86]
	s_waitcnt vmcnt(8)
	v_fma_f64 v[89:90], v[99:100], v[91:92], v[85:86]
	ds_read_b128 v[85:88], v84 offset:640
	ds_read_b64 v[91:92], v84 offset:656
	s_waitcnt vmcnt(6) lgkmcnt(1)
	v_fma_f64 v[85:86], v[101:102], v[85:86], v[89:90]
	s_waitcnt vmcnt(4)
	v_fma_f64 v[85:86], v[103:104], v[87:88], v[85:86]
	s_waitcnt vmcnt(2) lgkmcnt(0)
	v_fma_f64 v[85:86], v[105:106], v[91:92], v[85:86]
	s_waitcnt vmcnt(0)
	v_add_f64 v[85:86], v[107:108], -v[85:86]
	buffer_store_dword v85, off, s[0:3], 0 offset:264
	buffer_store_dword v86, off, s[0:3], 0 offset:268
	s_and_saveexec_b64 s[4:5], vcc
	s_cbranch_execz .LBB104_189
; %bb.188:
	buffer_load_dword v85, off, s[0:3], 0 offset:256
	buffer_load_dword v86, off, s[0:3], 0 offset:260
	s_waitcnt vmcnt(0)
	ds_write_b64 v83, v[85:86]
	buffer_store_dword v84, off, s[0:3], 0 offset:256
	buffer_store_dword v84, off, s[0:3], 0 offset:260
.LBB104_189:
	s_or_b64 exec, exec, s[4:5]
	s_waitcnt lgkmcnt(0)
	; wave barrier
	buffer_load_dword v93, off, s[0:3], 0 offset:264
	buffer_load_dword v94, off, s[0:3], 0 offset:268
	buffer_load_dword v95, off, s[0:3], 0 offset:272
	buffer_load_dword v96, off, s[0:3], 0 offset:276
	buffer_load_dword v97, off, s[0:3], 0 offset:280
	buffer_load_dword v98, off, s[0:3], 0 offset:284
	buffer_load_dword v99, off, s[0:3], 0 offset:288
	buffer_load_dword v100, off, s[0:3], 0 offset:292
	buffer_load_dword v101, off, s[0:3], 0 offset:296
	buffer_load_dword v102, off, s[0:3], 0 offset:300
	buffer_load_dword v103, off, s[0:3], 0 offset:304
	buffer_load_dword v104, off, s[0:3], 0 offset:308
	buffer_load_dword v105, off, s[0:3], 0 offset:312
	buffer_load_dword v106, off, s[0:3], 0 offset:316
	buffer_load_dword v108, off, s[0:3], 0 offset:324
	buffer_load_dword v107, off, s[0:3], 0 offset:320
	buffer_load_dword v109, off, s[0:3], 0 offset:256
	buffer_load_dword v110, off, s[0:3], 0 offset:260
	ds_read2_b64 v[85:88], v84 offset0:75 offset1:76
	ds_read2_b64 v[89:92], v84 offset0:77 offset1:78
	v_cmp_lt_u32_e32 vcc, 31, v0
	s_waitcnt vmcnt(16) lgkmcnt(1)
	v_fma_f64 v[85:86], v[93:94], v[85:86], 0
	s_waitcnt vmcnt(14)
	v_fma_f64 v[85:86], v[95:96], v[87:88], v[85:86]
	s_waitcnt vmcnt(12) lgkmcnt(0)
	v_fma_f64 v[85:86], v[97:98], v[89:90], v[85:86]
	s_waitcnt vmcnt(10)
	v_fma_f64 v[93:94], v[99:100], v[91:92], v[85:86]
	ds_read2_b64 v[85:88], v84 offset0:79 offset1:80
	ds_read2_b64 v[89:92], v84 offset0:81 offset1:82
	s_waitcnt vmcnt(8) lgkmcnt(1)
	v_fma_f64 v[84:85], v[101:102], v[85:86], v[93:94]
	s_waitcnt vmcnt(6)
	v_fma_f64 v[84:85], v[103:104], v[87:88], v[84:85]
	s_waitcnt vmcnt(4) lgkmcnt(0)
	v_fma_f64 v[84:85], v[105:106], v[89:90], v[84:85]
	s_waitcnt vmcnt(2)
	v_fma_f64 v[84:85], v[107:108], v[91:92], v[84:85]
	s_waitcnt vmcnt(0)
	v_add_f64 v[84:85], v[109:110], -v[84:85]
	buffer_store_dword v84, off, s[0:3], 0 offset:256
	buffer_store_dword v85, off, s[0:3], 0 offset:260
	s_and_saveexec_b64 s[4:5], vcc
	s_cbranch_execz .LBB104_191
; %bb.190:
	buffer_load_dword v84, off, s[0:3], 0 offset:248
	buffer_load_dword v85, off, s[0:3], 0 offset:252
	v_mov_b32_e32 v86, 0
	buffer_store_dword v86, off, s[0:3], 0 offset:248
	buffer_store_dword v86, off, s[0:3], 0 offset:252
	s_waitcnt vmcnt(2)
	ds_write_b64 v83, v[84:85]
.LBB104_191:
	s_or_b64 exec, exec, s[4:5]
	s_waitcnt lgkmcnt(0)
	; wave barrier
	buffer_load_dword v93, off, s[0:3], 0 offset:256
	buffer_load_dword v94, off, s[0:3], 0 offset:260
	;; [unrolled: 1-line block ×20, first 2 shown]
	v_mov_b32_e32 v84, 0
	ds_read_b128 v[85:88], v84 offset:592
	ds_read_b128 v[89:92], v84 offset:608
	v_cmp_lt_u32_e32 vcc, 30, v0
	s_waitcnt vmcnt(18) lgkmcnt(1)
	v_fma_f64 v[85:86], v[93:94], v[85:86], 0
	s_waitcnt vmcnt(16)
	v_fma_f64 v[85:86], v[95:96], v[87:88], v[85:86]
	s_waitcnt vmcnt(14) lgkmcnt(0)
	v_fma_f64 v[85:86], v[97:98], v[89:90], v[85:86]
	s_waitcnt vmcnt(12)
	v_fma_f64 v[93:94], v[99:100], v[91:92], v[85:86]
	ds_read_b128 v[85:88], v84 offset:624
	ds_read_b128 v[89:92], v84 offset:640
	s_waitcnt vmcnt(10) lgkmcnt(1)
	v_fma_f64 v[85:86], v[101:102], v[85:86], v[93:94]
	s_waitcnt vmcnt(8)
	v_fma_f64 v[85:86], v[103:104], v[87:88], v[85:86]
	ds_read_b64 v[87:88], v84 offset:656
	s_waitcnt vmcnt(6) lgkmcnt(1)
	v_fma_f64 v[85:86], v[105:106], v[89:90], v[85:86]
	s_waitcnt vmcnt(3)
	v_fma_f64 v[85:86], v[107:108], v[91:92], v[85:86]
	s_waitcnt vmcnt(2) lgkmcnt(0)
	v_fma_f64 v[85:86], v[109:110], v[87:88], v[85:86]
	s_waitcnt vmcnt(0)
	v_add_f64 v[85:86], v[111:112], -v[85:86]
	buffer_store_dword v85, off, s[0:3], 0 offset:248
	buffer_store_dword v86, off, s[0:3], 0 offset:252
	s_and_saveexec_b64 s[4:5], vcc
	s_cbranch_execz .LBB104_193
; %bb.192:
	buffer_load_dword v85, off, s[0:3], 0 offset:240
	buffer_load_dword v86, off, s[0:3], 0 offset:244
	s_waitcnt vmcnt(0)
	ds_write_b64 v83, v[85:86]
	buffer_store_dword v84, off, s[0:3], 0 offset:240
	buffer_store_dword v84, off, s[0:3], 0 offset:244
.LBB104_193:
	s_or_b64 exec, exec, s[4:5]
	s_waitcnt lgkmcnt(0)
	; wave barrier
	buffer_load_dword v93, off, s[0:3], 0 offset:248
	buffer_load_dword v94, off, s[0:3], 0 offset:252
	;; [unrolled: 1-line block ×20, first 2 shown]
	ds_read2_b64 v[85:88], v84 offset0:73 offset1:74
	buffer_load_dword v113, off, s[0:3], 0 offset:240
	buffer_load_dword v114, off, s[0:3], 0 offset:244
	ds_read2_b64 v[89:92], v84 offset0:75 offset1:76
	v_cmp_lt_u32_e32 vcc, 29, v0
	s_waitcnt vmcnt(20) lgkmcnt(1)
	v_fma_f64 v[85:86], v[93:94], v[85:86], 0
	s_waitcnt vmcnt(18)
	v_fma_f64 v[85:86], v[95:96], v[87:88], v[85:86]
	s_waitcnt vmcnt(16) lgkmcnt(0)
	v_fma_f64 v[85:86], v[97:98], v[89:90], v[85:86]
	s_waitcnt vmcnt(14)
	v_fma_f64 v[93:94], v[99:100], v[91:92], v[85:86]
	ds_read2_b64 v[85:88], v84 offset0:77 offset1:78
	ds_read2_b64 v[89:92], v84 offset0:79 offset1:80
	s_waitcnt vmcnt(12) lgkmcnt(1)
	v_fma_f64 v[85:86], v[101:102], v[85:86], v[93:94]
	s_waitcnt vmcnt(10)
	v_fma_f64 v[85:86], v[103:104], v[87:88], v[85:86]
	s_waitcnt vmcnt(8) lgkmcnt(0)
	v_fma_f64 v[85:86], v[105:106], v[89:90], v[85:86]
	s_waitcnt vmcnt(4)
	v_fma_f64 v[88:89], v[107:108], v[91:92], v[85:86]
	ds_read2_b64 v[84:87], v84 offset0:81 offset1:82
	s_waitcnt vmcnt(3) lgkmcnt(0)
	v_fma_f64 v[84:85], v[111:112], v[84:85], v[88:89]
	s_waitcnt vmcnt(2)
	v_fma_f64 v[84:85], v[109:110], v[86:87], v[84:85]
	s_waitcnt vmcnt(0)
	v_add_f64 v[84:85], v[113:114], -v[84:85]
	buffer_store_dword v84, off, s[0:3], 0 offset:240
	buffer_store_dword v85, off, s[0:3], 0 offset:244
	s_and_saveexec_b64 s[4:5], vcc
	s_cbranch_execz .LBB104_195
; %bb.194:
	buffer_load_dword v84, off, s[0:3], 0 offset:232
	buffer_load_dword v85, off, s[0:3], 0 offset:236
	v_mov_b32_e32 v86, 0
	buffer_store_dword v86, off, s[0:3], 0 offset:232
	buffer_store_dword v86, off, s[0:3], 0 offset:236
	s_waitcnt vmcnt(2)
	ds_write_b64 v83, v[84:85]
.LBB104_195:
	s_or_b64 exec, exec, s[4:5]
	s_waitcnt lgkmcnt(0)
	; wave barrier
	buffer_load_dword v93, off, s[0:3], 0 offset:240
	buffer_load_dword v94, off, s[0:3], 0 offset:244
	;; [unrolled: 1-line block ×21, first 2 shown]
	v_mov_b32_e32 v84, 0
	ds_read_b128 v[85:88], v84 offset:576
	ds_read_b128 v[89:92], v84 offset:592
	buffer_load_dword v110, off, s[0:3], 0 offset:324
	v_cmp_lt_u32_e32 vcc, 28, v0
	s_waitcnt vmcnt(20) lgkmcnt(1)
	v_fma_f64 v[85:86], v[93:94], v[85:86], 0
	buffer_load_dword v93, off, s[0:3], 0 offset:232
	buffer_load_dword v94, off, s[0:3], 0 offset:236
	s_waitcnt vmcnt(20)
	v_fma_f64 v[85:86], v[95:96], v[87:88], v[85:86]
	s_waitcnt vmcnt(18) lgkmcnt(0)
	v_fma_f64 v[85:86], v[97:98], v[89:90], v[85:86]
	s_waitcnt vmcnt(16)
	v_fma_f64 v[95:96], v[99:100], v[91:92], v[85:86]
	ds_read_b128 v[85:88], v84 offset:608
	ds_read_b128 v[89:92], v84 offset:624
	s_waitcnt vmcnt(14) lgkmcnt(1)
	v_fma_f64 v[85:86], v[101:102], v[85:86], v[95:96]
	s_waitcnt vmcnt(12)
	v_fma_f64 v[85:86], v[103:104], v[87:88], v[85:86]
	s_waitcnt vmcnt(10) lgkmcnt(0)
	v_fma_f64 v[85:86], v[105:106], v[89:90], v[85:86]
	s_waitcnt vmcnt(5)
	v_fma_f64 v[89:90], v[107:108], v[91:92], v[85:86]
	ds_read_b128 v[85:88], v84 offset:640
	ds_read_b64 v[91:92], v84 offset:656
	s_waitcnt vmcnt(4) lgkmcnt(1)
	v_fma_f64 v[85:86], v[113:114], v[85:86], v[89:90]
	s_waitcnt vmcnt(3)
	v_fma_f64 v[85:86], v[111:112], v[87:88], v[85:86]
	s_waitcnt vmcnt(2) lgkmcnt(0)
	v_fma_f64 v[85:86], v[109:110], v[91:92], v[85:86]
	s_waitcnt vmcnt(0)
	v_add_f64 v[85:86], v[93:94], -v[85:86]
	buffer_store_dword v86, off, s[0:3], 0 offset:236
	buffer_store_dword v85, off, s[0:3], 0 offset:232
	s_and_saveexec_b64 s[4:5], vcc
	s_cbranch_execz .LBB104_197
; %bb.196:
	buffer_load_dword v85, off, s[0:3], 0 offset:224
	buffer_load_dword v86, off, s[0:3], 0 offset:228
	s_waitcnt vmcnt(0)
	ds_write_b64 v83, v[85:86]
	buffer_store_dword v84, off, s[0:3], 0 offset:224
	buffer_store_dword v84, off, s[0:3], 0 offset:228
.LBB104_197:
	s_or_b64 exec, exec, s[4:5]
	s_waitcnt lgkmcnt(0)
	; wave barrier
	buffer_load_dword v93, off, s[0:3], 0 offset:232
	buffer_load_dword v94, off, s[0:3], 0 offset:236
	;; [unrolled: 1-line block ×21, first 2 shown]
	ds_read2_b64 v[85:88], v84 offset0:71 offset1:72
	ds_read2_b64 v[89:92], v84 offset0:73 offset1:74
	buffer_load_dword v110, off, s[0:3], 0 offset:316
	v_cmp_lt_u32_e32 vcc, 27, v0
	s_waitcnt vmcnt(20) lgkmcnt(1)
	v_fma_f64 v[85:86], v[93:94], v[85:86], 0
	buffer_load_dword v94, off, s[0:3], 0 offset:324
	buffer_load_dword v93, off, s[0:3], 0 offset:320
	s_waitcnt vmcnt(20)
	v_fma_f64 v[85:86], v[95:96], v[87:88], v[85:86]
	buffer_load_dword v95, off, s[0:3], 0 offset:224
	buffer_load_dword v96, off, s[0:3], 0 offset:228
	s_waitcnt vmcnt(20) lgkmcnt(0)
	v_fma_f64 v[85:86], v[97:98], v[89:90], v[85:86]
	s_waitcnt vmcnt(18)
	v_fma_f64 v[97:98], v[99:100], v[91:92], v[85:86]
	ds_read2_b64 v[85:88], v84 offset0:75 offset1:76
	ds_read2_b64 v[89:92], v84 offset0:77 offset1:78
	s_waitcnt vmcnt(16) lgkmcnt(1)
	v_fma_f64 v[85:86], v[101:102], v[85:86], v[97:98]
	s_waitcnt vmcnt(14)
	v_fma_f64 v[85:86], v[103:104], v[87:88], v[85:86]
	s_waitcnt vmcnt(12) lgkmcnt(0)
	v_fma_f64 v[85:86], v[105:106], v[89:90], v[85:86]
	s_waitcnt vmcnt(7)
	v_fma_f64 v[97:98], v[107:108], v[91:92], v[85:86]
	ds_read2_b64 v[85:88], v84 offset0:79 offset1:80
	ds_read2_b64 v[89:92], v84 offset0:81 offset1:82
	s_waitcnt vmcnt(6) lgkmcnt(1)
	v_fma_f64 v[84:85], v[113:114], v[85:86], v[97:98]
	s_waitcnt vmcnt(5)
	v_fma_f64 v[84:85], v[111:112], v[87:88], v[84:85]
	s_waitcnt vmcnt(4) lgkmcnt(0)
	v_fma_f64 v[84:85], v[109:110], v[89:90], v[84:85]
	s_waitcnt vmcnt(2)
	v_fma_f64 v[84:85], v[93:94], v[91:92], v[84:85]
	s_waitcnt vmcnt(0)
	v_add_f64 v[84:85], v[95:96], -v[84:85]
	buffer_store_dword v85, off, s[0:3], 0 offset:228
	buffer_store_dword v84, off, s[0:3], 0 offset:224
	s_and_saveexec_b64 s[4:5], vcc
	s_cbranch_execz .LBB104_199
; %bb.198:
	buffer_load_dword v84, off, s[0:3], 0 offset:216
	buffer_load_dword v85, off, s[0:3], 0 offset:220
	v_mov_b32_e32 v86, 0
	buffer_store_dword v86, off, s[0:3], 0 offset:216
	buffer_store_dword v86, off, s[0:3], 0 offset:220
	s_waitcnt vmcnt(2)
	ds_write_b64 v83, v[84:85]
.LBB104_199:
	s_or_b64 exec, exec, s[4:5]
	s_waitcnt lgkmcnt(0)
	; wave barrier
	buffer_load_dword v93, off, s[0:3], 0 offset:224
	buffer_load_dword v94, off, s[0:3], 0 offset:228
	;; [unrolled: 1-line block ×21, first 2 shown]
	v_mov_b32_e32 v84, 0
	ds_read_b128 v[85:88], v84 offset:560
	ds_read_b128 v[89:92], v84 offset:576
	buffer_load_dword v110, off, s[0:3], 0 offset:308
	v_cmp_lt_u32_e32 vcc, 26, v0
	s_waitcnt vmcnt(20) lgkmcnt(1)
	v_fma_f64 v[85:86], v[93:94], v[85:86], 0
	s_waitcnt vmcnt(18)
	v_fma_f64 v[85:86], v[95:96], v[87:88], v[85:86]
	buffer_load_dword v94, off, s[0:3], 0 offset:316
	buffer_load_dword v95, off, s[0:3], 0 offset:320
	;; [unrolled: 1-line block ×4, first 2 shown]
	s_waitcnt vmcnt(20) lgkmcnt(0)
	v_fma_f64 v[85:86], v[97:98], v[89:90], v[85:86]
	buffer_load_dword v97, off, s[0:3], 0 offset:216
	buffer_load_dword v98, off, s[0:3], 0 offset:220
	s_waitcnt vmcnt(20)
	v_fma_f64 v[99:100], v[99:100], v[91:92], v[85:86]
	ds_read_b128 v[85:88], v84 offset:592
	ds_read_b128 v[89:92], v84 offset:608
	s_waitcnt vmcnt(18) lgkmcnt(1)
	v_fma_f64 v[85:86], v[101:102], v[85:86], v[99:100]
	s_waitcnt vmcnt(16)
	v_fma_f64 v[85:86], v[103:104], v[87:88], v[85:86]
	s_waitcnt vmcnt(14) lgkmcnt(0)
	v_fma_f64 v[85:86], v[105:106], v[89:90], v[85:86]
	s_waitcnt vmcnt(9)
	v_fma_f64 v[99:100], v[107:108], v[91:92], v[85:86]
	ds_read_b128 v[85:88], v84 offset:624
	ds_read_b128 v[89:92], v84 offset:640
	s_waitcnt vmcnt(8) lgkmcnt(1)
	v_fma_f64 v[85:86], v[113:114], v[85:86], v[99:100]
	s_waitcnt vmcnt(7)
	v_fma_f64 v[85:86], v[111:112], v[87:88], v[85:86]
	ds_read_b64 v[87:88], v84 offset:656
	s_waitcnt vmcnt(6) lgkmcnt(1)
	v_fma_f64 v[85:86], v[109:110], v[89:90], v[85:86]
	s_waitcnt vmcnt(3)
	v_fma_f64 v[85:86], v[93:94], v[91:92], v[85:86]
	s_waitcnt vmcnt(2) lgkmcnt(0)
	v_fma_f64 v[85:86], v[95:96], v[87:88], v[85:86]
	s_waitcnt vmcnt(0)
	v_add_f64 v[85:86], v[97:98], -v[85:86]
	buffer_store_dword v86, off, s[0:3], 0 offset:220
	buffer_store_dword v85, off, s[0:3], 0 offset:216
	s_and_saveexec_b64 s[4:5], vcc
	s_cbranch_execz .LBB104_201
; %bb.200:
	buffer_load_dword v85, off, s[0:3], 0 offset:208
	buffer_load_dword v86, off, s[0:3], 0 offset:212
	s_waitcnt vmcnt(0)
	ds_write_b64 v83, v[85:86]
	buffer_store_dword v84, off, s[0:3], 0 offset:208
	buffer_store_dword v84, off, s[0:3], 0 offset:212
.LBB104_201:
	s_or_b64 exec, exec, s[4:5]
	s_waitcnt lgkmcnt(0)
	; wave barrier
	buffer_load_dword v93, off, s[0:3], 0 offset:216
	buffer_load_dword v94, off, s[0:3], 0 offset:220
	buffer_load_dword v95, off, s[0:3], 0 offset:224
	buffer_load_dword v96, off, s[0:3], 0 offset:228
	buffer_load_dword v97, off, s[0:3], 0 offset:232
	buffer_load_dword v98, off, s[0:3], 0 offset:236
	buffer_load_dword v99, off, s[0:3], 0 offset:240
	buffer_load_dword v100, off, s[0:3], 0 offset:244
	buffer_load_dword v101, off, s[0:3], 0 offset:248
	buffer_load_dword v102, off, s[0:3], 0 offset:252
	buffer_load_dword v103, off, s[0:3], 0 offset:256
	buffer_load_dword v104, off, s[0:3], 0 offset:260
	buffer_load_dword v105, off, s[0:3], 0 offset:264
	buffer_load_dword v106, off, s[0:3], 0 offset:268
	buffer_load_dword v108, off, s[0:3], 0 offset:276
	buffer_load_dword v109, off, s[0:3], 0 offset:296
	buffer_load_dword v111, off, s[0:3], 0 offset:288
	buffer_load_dword v113, off, s[0:3], 0 offset:280
	buffer_load_dword v107, off, s[0:3], 0 offset:272
	buffer_load_dword v114, off, s[0:3], 0 offset:284
	buffer_load_dword v112, off, s[0:3], 0 offset:292
	buffer_load_dword v110, off, s[0:3], 0 offset:300
	ds_read2_b64 v[85:88], v84 offset0:69 offset1:70
	ds_read2_b64 v[89:92], v84 offset0:71 offset1:72
	v_cmp_lt_u32_e32 vcc, 25, v0
	s_waitcnt vmcnt(20) lgkmcnt(1)
	v_fma_f64 v[85:86], v[93:94], v[85:86], 0
	s_waitcnt vmcnt(18)
	v_fma_f64 v[85:86], v[95:96], v[87:88], v[85:86]
	buffer_load_dword v94, off, s[0:3], 0 offset:308
	buffer_load_dword v95, off, s[0:3], 0 offset:320
	;; [unrolled: 1-line block ×6, first 2 shown]
	s_waitcnt vmcnt(22) lgkmcnt(0)
	v_fma_f64 v[85:86], v[97:98], v[89:90], v[85:86]
	s_waitcnt vmcnt(20)
	v_fma_f64 v[97:98], v[99:100], v[91:92], v[85:86]
	ds_read2_b64 v[85:88], v84 offset0:73 offset1:74
	buffer_load_dword v99, off, s[0:3], 0 offset:208
	buffer_load_dword v100, off, s[0:3], 0 offset:212
	ds_read2_b64 v[89:92], v84 offset0:75 offset1:76
	s_waitcnt vmcnt(20) lgkmcnt(1)
	v_fma_f64 v[85:86], v[101:102], v[85:86], v[97:98]
	s_waitcnt vmcnt(18)
	v_fma_f64 v[85:86], v[103:104], v[87:88], v[85:86]
	s_waitcnt vmcnt(16) lgkmcnt(0)
	v_fma_f64 v[85:86], v[105:106], v[89:90], v[85:86]
	s_waitcnt vmcnt(11)
	v_fma_f64 v[97:98], v[107:108], v[91:92], v[85:86]
	ds_read2_b64 v[85:88], v84 offset0:77 offset1:78
	ds_read2_b64 v[89:92], v84 offset0:79 offset1:80
	s_waitcnt vmcnt(10) lgkmcnt(1)
	v_fma_f64 v[85:86], v[113:114], v[85:86], v[97:98]
	s_waitcnt vmcnt(9)
	v_fma_f64 v[85:86], v[111:112], v[87:88], v[85:86]
	s_waitcnt vmcnt(8) lgkmcnt(0)
	v_fma_f64 v[85:86], v[109:110], v[89:90], v[85:86]
	s_waitcnt vmcnt(4)
	v_fma_f64 v[88:89], v[93:94], v[91:92], v[85:86]
	ds_read2_b64 v[84:87], v84 offset0:81 offset1:82
	s_waitcnt vmcnt(3) lgkmcnt(0)
	v_fma_f64 v[84:85], v[115:116], v[84:85], v[88:89]
	s_waitcnt vmcnt(2)
	v_fma_f64 v[84:85], v[95:96], v[86:87], v[84:85]
	s_waitcnt vmcnt(0)
	v_add_f64 v[84:85], v[99:100], -v[84:85]
	buffer_store_dword v85, off, s[0:3], 0 offset:212
	buffer_store_dword v84, off, s[0:3], 0 offset:208
	s_and_saveexec_b64 s[4:5], vcc
	s_cbranch_execz .LBB104_203
; %bb.202:
	buffer_load_dword v84, off, s[0:3], 0 offset:200
	buffer_load_dword v85, off, s[0:3], 0 offset:204
	v_mov_b32_e32 v86, 0
	buffer_store_dword v86, off, s[0:3], 0 offset:200
	buffer_store_dword v86, off, s[0:3], 0 offset:204
	s_waitcnt vmcnt(2)
	ds_write_b64 v83, v[84:85]
.LBB104_203:
	s_or_b64 exec, exec, s[4:5]
	s_waitcnt lgkmcnt(0)
	; wave barrier
	buffer_load_dword v93, off, s[0:3], 0 offset:208
	buffer_load_dword v94, off, s[0:3], 0 offset:212
	buffer_load_dword v95, off, s[0:3], 0 offset:216
	buffer_load_dword v96, off, s[0:3], 0 offset:220
	buffer_load_dword v97, off, s[0:3], 0 offset:224
	buffer_load_dword v98, off, s[0:3], 0 offset:228
	buffer_load_dword v99, off, s[0:3], 0 offset:232
	buffer_load_dword v100, off, s[0:3], 0 offset:236
	buffer_load_dword v101, off, s[0:3], 0 offset:240
	buffer_load_dword v102, off, s[0:3], 0 offset:244
	buffer_load_dword v103, off, s[0:3], 0 offset:248
	buffer_load_dword v104, off, s[0:3], 0 offset:252
	buffer_load_dword v105, off, s[0:3], 0 offset:256
	buffer_load_dword v106, off, s[0:3], 0 offset:260
	buffer_load_dword v108, off, s[0:3], 0 offset:268
	buffer_load_dword v109, off, s[0:3], 0 offset:288
	buffer_load_dword v111, off, s[0:3], 0 offset:280
	buffer_load_dword v113, off, s[0:3], 0 offset:272
	buffer_load_dword v107, off, s[0:3], 0 offset:264
	buffer_load_dword v114, off, s[0:3], 0 offset:276
	buffer_load_dword v112, off, s[0:3], 0 offset:284
	buffer_load_dword v110, off, s[0:3], 0 offset:292
	v_mov_b32_e32 v84, 0
	ds_read_b128 v[85:88], v84 offset:544
	ds_read_b128 v[89:92], v84 offset:560
	v_cmp_lt_u32_e32 vcc, 24, v0
	s_waitcnt vmcnt(20) lgkmcnt(1)
	v_fma_f64 v[85:86], v[93:94], v[85:86], 0
	s_waitcnt vmcnt(18)
	v_fma_f64 v[85:86], v[95:96], v[87:88], v[85:86]
	buffer_load_dword v94, off, s[0:3], 0 offset:300
	buffer_load_dword v95, off, s[0:3], 0 offset:320
	;; [unrolled: 1-line block ×8, first 2 shown]
	s_waitcnt vmcnt(24) lgkmcnt(0)
	v_fma_f64 v[85:86], v[97:98], v[89:90], v[85:86]
	s_waitcnt vmcnt(22)
	v_fma_f64 v[97:98], v[99:100], v[91:92], v[85:86]
	ds_read_b128 v[85:88], v84 offset:576
	ds_read_b128 v[89:92], v84 offset:592
	s_waitcnt vmcnt(20) lgkmcnt(1)
	v_fma_f64 v[85:86], v[101:102], v[85:86], v[97:98]
	buffer_load_dword v97, off, s[0:3], 0 offset:200
	buffer_load_dword v98, off, s[0:3], 0 offset:204
	s_waitcnt vmcnt(20)
	v_fma_f64 v[85:86], v[103:104], v[87:88], v[85:86]
	s_waitcnt vmcnt(18) lgkmcnt(0)
	v_fma_f64 v[85:86], v[105:106], v[89:90], v[85:86]
	s_waitcnt vmcnt(13)
	v_fma_f64 v[99:100], v[107:108], v[91:92], v[85:86]
	ds_read_b128 v[85:88], v84 offset:608
	ds_read_b128 v[89:92], v84 offset:624
	s_waitcnt vmcnt(12) lgkmcnt(1)
	v_fma_f64 v[85:86], v[113:114], v[85:86], v[99:100]
	s_waitcnt vmcnt(11)
	v_fma_f64 v[85:86], v[111:112], v[87:88], v[85:86]
	s_waitcnt vmcnt(10) lgkmcnt(0)
	v_fma_f64 v[85:86], v[109:110], v[89:90], v[85:86]
	s_waitcnt vmcnt(5)
	v_fma_f64 v[89:90], v[93:94], v[91:92], v[85:86]
	ds_read_b128 v[85:88], v84 offset:640
	ds_read_b64 v[91:92], v84 offset:656
	s_waitcnt vmcnt(4) lgkmcnt(1)
	v_fma_f64 v[85:86], v[117:118], v[85:86], v[89:90]
	s_waitcnt vmcnt(3)
	v_fma_f64 v[85:86], v[115:116], v[87:88], v[85:86]
	s_waitcnt vmcnt(2) lgkmcnt(0)
	v_fma_f64 v[85:86], v[95:96], v[91:92], v[85:86]
	s_waitcnt vmcnt(0)
	v_add_f64 v[85:86], v[97:98], -v[85:86]
	buffer_store_dword v86, off, s[0:3], 0 offset:204
	buffer_store_dword v85, off, s[0:3], 0 offset:200
	s_and_saveexec_b64 s[4:5], vcc
	s_cbranch_execz .LBB104_205
; %bb.204:
	buffer_load_dword v85, off, s[0:3], 0 offset:192
	buffer_load_dword v86, off, s[0:3], 0 offset:196
	s_waitcnt vmcnt(0)
	ds_write_b64 v83, v[85:86]
	buffer_store_dword v84, off, s[0:3], 0 offset:192
	buffer_store_dword v84, off, s[0:3], 0 offset:196
.LBB104_205:
	s_or_b64 exec, exec, s[4:5]
	s_waitcnt lgkmcnt(0)
	; wave barrier
	buffer_load_dword v93, off, s[0:3], 0 offset:200
	buffer_load_dword v94, off, s[0:3], 0 offset:204
	;; [unrolled: 1-line block ×22, first 2 shown]
	ds_read2_b64 v[85:88], v84 offset0:67 offset1:68
	ds_read2_b64 v[89:92], v84 offset0:69 offset1:70
	v_cmp_lt_u32_e32 vcc, 23, v0
	s_waitcnt vmcnt(20) lgkmcnt(1)
	v_fma_f64 v[85:86], v[93:94], v[85:86], 0
	s_waitcnt vmcnt(18)
	v_fma_f64 v[85:86], v[95:96], v[87:88], v[85:86]
	buffer_load_dword v94, off, s[0:3], 0 offset:292
	buffer_load_dword v95, off, s[0:3], 0 offset:312
	;; [unrolled: 1-line block ×8, first 2 shown]
	s_waitcnt vmcnt(24) lgkmcnt(0)
	v_fma_f64 v[85:86], v[97:98], v[89:90], v[85:86]
	s_waitcnt vmcnt(22)
	v_fma_f64 v[97:98], v[99:100], v[91:92], v[85:86]
	ds_read2_b64 v[85:88], v84 offset0:71 offset1:72
	ds_read2_b64 v[89:92], v84 offset0:73 offset1:74
	s_waitcnt vmcnt(20) lgkmcnt(1)
	v_fma_f64 v[85:86], v[101:102], v[85:86], v[97:98]
	buffer_load_dword v98, off, s[0:3], 0 offset:324
	buffer_load_dword v97, off, s[0:3], 0 offset:320
	;; [unrolled: 1-line block ×4, first 2 shown]
	s_waitcnt vmcnt(22)
	v_fma_f64 v[85:86], v[103:104], v[87:88], v[85:86]
	s_waitcnt vmcnt(20) lgkmcnt(0)
	v_fma_f64 v[85:86], v[105:106], v[89:90], v[85:86]
	s_waitcnt vmcnt(15)
	v_fma_f64 v[101:102], v[107:108], v[91:92], v[85:86]
	ds_read2_b64 v[85:88], v84 offset0:75 offset1:76
	ds_read2_b64 v[89:92], v84 offset0:77 offset1:78
	s_waitcnt vmcnt(14) lgkmcnt(1)
	v_fma_f64 v[85:86], v[113:114], v[85:86], v[101:102]
	s_waitcnt vmcnt(13)
	v_fma_f64 v[85:86], v[111:112], v[87:88], v[85:86]
	s_waitcnt vmcnt(12) lgkmcnt(0)
	v_fma_f64 v[85:86], v[109:110], v[89:90], v[85:86]
	s_waitcnt vmcnt(7)
	v_fma_f64 v[93:94], v[93:94], v[91:92], v[85:86]
	ds_read2_b64 v[85:88], v84 offset0:79 offset1:80
	ds_read2_b64 v[89:92], v84 offset0:81 offset1:82
	s_waitcnt vmcnt(6) lgkmcnt(1)
	v_fma_f64 v[84:85], v[117:118], v[85:86], v[93:94]
	s_waitcnt vmcnt(5)
	v_fma_f64 v[84:85], v[115:116], v[87:88], v[84:85]
	s_waitcnt vmcnt(4) lgkmcnt(0)
	v_fma_f64 v[84:85], v[95:96], v[89:90], v[84:85]
	s_waitcnt vmcnt(2)
	v_fma_f64 v[84:85], v[97:98], v[91:92], v[84:85]
	s_waitcnt vmcnt(0)
	v_add_f64 v[84:85], v[99:100], -v[84:85]
	buffer_store_dword v85, off, s[0:3], 0 offset:196
	buffer_store_dword v84, off, s[0:3], 0 offset:192
	s_and_saveexec_b64 s[4:5], vcc
	s_cbranch_execz .LBB104_207
; %bb.206:
	buffer_load_dword v84, off, s[0:3], 0 offset:184
	buffer_load_dword v85, off, s[0:3], 0 offset:188
	v_mov_b32_e32 v86, 0
	buffer_store_dword v86, off, s[0:3], 0 offset:184
	buffer_store_dword v86, off, s[0:3], 0 offset:188
	s_waitcnt vmcnt(2)
	ds_write_b64 v83, v[84:85]
.LBB104_207:
	s_or_b64 exec, exec, s[4:5]
	s_waitcnt lgkmcnt(0)
	; wave barrier
	buffer_load_dword v93, off, s[0:3], 0 offset:192
	buffer_load_dword v94, off, s[0:3], 0 offset:196
	;; [unrolled: 1-line block ×22, first 2 shown]
	v_mov_b32_e32 v84, 0
	ds_read_b128 v[85:88], v84 offset:528
	ds_read_b128 v[89:92], v84 offset:544
	v_cmp_lt_u32_e32 vcc, 22, v0
	s_waitcnt vmcnt(20) lgkmcnt(1)
	v_fma_f64 v[85:86], v[93:94], v[85:86], 0
	s_waitcnt vmcnt(18)
	v_fma_f64 v[85:86], v[95:96], v[87:88], v[85:86]
	buffer_load_dword v94, off, s[0:3], 0 offset:284
	buffer_load_dword v95, off, s[0:3], 0 offset:304
	;; [unrolled: 1-line block ×7, first 2 shown]
	s_waitcnt vmcnt(23) lgkmcnt(0)
	v_fma_f64 v[85:86], v[97:98], v[89:90], v[85:86]
	s_waitcnt vmcnt(21)
	v_fma_f64 v[96:97], v[99:100], v[91:92], v[85:86]
	ds_read_b128 v[85:88], v84 offset:560
	ds_read_b128 v[89:92], v84 offset:576
	s_waitcnt vmcnt(19) lgkmcnt(1)
	v_fma_f64 v[85:86], v[101:102], v[85:86], v[96:97]
	buffer_load_dword v96, off, s[0:3], 0 offset:308
	buffer_load_dword v98, off, s[0:3], 0 offset:316
	;; [unrolled: 1-line block ×7, first 2 shown]
	s_waitcnt vmcnt(24)
	v_fma_f64 v[85:86], v[103:104], v[87:88], v[85:86]
	s_waitcnt vmcnt(22) lgkmcnt(0)
	v_fma_f64 v[85:86], v[105:106], v[89:90], v[85:86]
	s_waitcnt vmcnt(17)
	v_fma_f64 v[103:104], v[107:108], v[91:92], v[85:86]
	ds_read_b128 v[85:88], v84 offset:592
	ds_read_b128 v[89:92], v84 offset:608
	s_waitcnt vmcnt(16) lgkmcnt(1)
	v_fma_f64 v[85:86], v[113:114], v[85:86], v[103:104]
	s_waitcnt vmcnt(15)
	v_fma_f64 v[85:86], v[111:112], v[87:88], v[85:86]
	s_waitcnt vmcnt(14) lgkmcnt(0)
	v_fma_f64 v[85:86], v[109:110], v[89:90], v[85:86]
	s_waitcnt vmcnt(9)
	v_fma_f64 v[93:94], v[93:94], v[91:92], v[85:86]
	ds_read_b128 v[85:88], v84 offset:624
	ds_read_b128 v[89:92], v84 offset:640
	s_waitcnt vmcnt(8) lgkmcnt(1)
	v_fma_f64 v[85:86], v[117:118], v[85:86], v[93:94]
	s_waitcnt vmcnt(7)
	v_fma_f64 v[85:86], v[115:116], v[87:88], v[85:86]
	ds_read_b64 v[87:88], v84 offset:656
	s_waitcnt vmcnt(6) lgkmcnt(1)
	v_fma_f64 v[85:86], v[95:96], v[89:90], v[85:86]
	s_waitcnt vmcnt(3)
	v_fma_f64 v[85:86], v[97:98], v[91:92], v[85:86]
	s_waitcnt vmcnt(2) lgkmcnt(0)
	v_fma_f64 v[85:86], v[99:100], v[87:88], v[85:86]
	s_waitcnt vmcnt(0)
	v_add_f64 v[85:86], v[101:102], -v[85:86]
	buffer_store_dword v86, off, s[0:3], 0 offset:188
	buffer_store_dword v85, off, s[0:3], 0 offset:184
	s_and_saveexec_b64 s[4:5], vcc
	s_cbranch_execz .LBB104_209
; %bb.208:
	buffer_load_dword v85, off, s[0:3], 0 offset:176
	buffer_load_dword v86, off, s[0:3], 0 offset:180
	s_waitcnt vmcnt(0)
	ds_write_b64 v83, v[85:86]
	buffer_store_dword v84, off, s[0:3], 0 offset:176
	buffer_store_dword v84, off, s[0:3], 0 offset:180
.LBB104_209:
	s_or_b64 exec, exec, s[4:5]
	s_waitcnt lgkmcnt(0)
	; wave barrier
	buffer_load_dword v93, off, s[0:3], 0 offset:184
	buffer_load_dword v94, off, s[0:3], 0 offset:188
	;; [unrolled: 1-line block ×22, first 2 shown]
	ds_read2_b64 v[85:88], v84 offset0:65 offset1:66
	ds_read2_b64 v[89:92], v84 offset0:67 offset1:68
	v_cmp_lt_u32_e32 vcc, 21, v0
	s_waitcnt vmcnt(20) lgkmcnt(1)
	v_fma_f64 v[85:86], v[93:94], v[85:86], 0
	s_waitcnt vmcnt(18)
	v_fma_f64 v[85:86], v[95:96], v[87:88], v[85:86]
	buffer_load_dword v94, off, s[0:3], 0 offset:276
	buffer_load_dword v95, off, s[0:3], 0 offset:296
	;; [unrolled: 1-line block ×7, first 2 shown]
	s_waitcnt vmcnt(23) lgkmcnt(0)
	v_fma_f64 v[85:86], v[97:98], v[89:90], v[85:86]
	s_waitcnt vmcnt(21)
	v_fma_f64 v[96:97], v[99:100], v[91:92], v[85:86]
	ds_read2_b64 v[85:88], v84 offset0:69 offset1:70
	ds_read2_b64 v[89:92], v84 offset0:71 offset1:72
	s_waitcnt vmcnt(19) lgkmcnt(1)
	v_fma_f64 v[85:86], v[101:102], v[85:86], v[96:97]
	buffer_load_dword v96, off, s[0:3], 0 offset:300
	buffer_load_dword v98, off, s[0:3], 0 offset:308
	;; [unrolled: 1-line block ×7, first 2 shown]
	s_waitcnt vmcnt(24)
	v_fma_f64 v[85:86], v[103:104], v[87:88], v[85:86]
	s_waitcnt vmcnt(22) lgkmcnt(0)
	v_fma_f64 v[85:86], v[105:106], v[89:90], v[85:86]
	s_waitcnt vmcnt(17)
	v_fma_f64 v[103:104], v[107:108], v[91:92], v[85:86]
	ds_read2_b64 v[85:88], v84 offset0:73 offset1:74
	buffer_load_dword v105, off, s[0:3], 0 offset:176
	buffer_load_dword v106, off, s[0:3], 0 offset:180
	ds_read2_b64 v[89:92], v84 offset0:75 offset1:76
	s_waitcnt vmcnt(18) lgkmcnt(1)
	v_fma_f64 v[85:86], v[113:114], v[85:86], v[103:104]
	s_waitcnt vmcnt(17)
	v_fma_f64 v[85:86], v[111:112], v[87:88], v[85:86]
	s_waitcnt vmcnt(16) lgkmcnt(0)
	v_fma_f64 v[85:86], v[109:110], v[89:90], v[85:86]
	s_waitcnt vmcnt(11)
	v_fma_f64 v[93:94], v[93:94], v[91:92], v[85:86]
	ds_read2_b64 v[85:88], v84 offset0:77 offset1:78
	ds_read2_b64 v[89:92], v84 offset0:79 offset1:80
	s_waitcnt vmcnt(10) lgkmcnt(1)
	v_fma_f64 v[85:86], v[117:118], v[85:86], v[93:94]
	s_waitcnt vmcnt(9)
	v_fma_f64 v[85:86], v[115:116], v[87:88], v[85:86]
	s_waitcnt vmcnt(8) lgkmcnt(0)
	v_fma_f64 v[85:86], v[95:96], v[89:90], v[85:86]
	s_waitcnt vmcnt(4)
	v_fma_f64 v[88:89], v[97:98], v[91:92], v[85:86]
	ds_read2_b64 v[84:87], v84 offset0:81 offset1:82
	s_waitcnt vmcnt(3) lgkmcnt(0)
	v_fma_f64 v[84:85], v[101:102], v[84:85], v[88:89]
	s_waitcnt vmcnt(2)
	v_fma_f64 v[84:85], v[99:100], v[86:87], v[84:85]
	s_waitcnt vmcnt(0)
	v_add_f64 v[84:85], v[105:106], -v[84:85]
	buffer_store_dword v85, off, s[0:3], 0 offset:180
	buffer_store_dword v84, off, s[0:3], 0 offset:176
	s_and_saveexec_b64 s[4:5], vcc
	s_cbranch_execz .LBB104_211
; %bb.210:
	buffer_load_dword v84, off, s[0:3], 0 offset:168
	buffer_load_dword v85, off, s[0:3], 0 offset:172
	v_mov_b32_e32 v86, 0
	buffer_store_dword v86, off, s[0:3], 0 offset:168
	buffer_store_dword v86, off, s[0:3], 0 offset:172
	s_waitcnt vmcnt(2)
	ds_write_b64 v83, v[84:85]
.LBB104_211:
	s_or_b64 exec, exec, s[4:5]
	s_waitcnt lgkmcnt(0)
	; wave barrier
	buffer_load_dword v93, off, s[0:3], 0 offset:176
	buffer_load_dword v94, off, s[0:3], 0 offset:180
	;; [unrolled: 1-line block ×22, first 2 shown]
	v_mov_b32_e32 v84, 0
	ds_read_b128 v[85:88], v84 offset:512
	ds_read_b128 v[89:92], v84 offset:528
	v_cmp_lt_u32_e32 vcc, 20, v0
	s_waitcnt vmcnt(20) lgkmcnt(1)
	v_fma_f64 v[85:86], v[93:94], v[85:86], 0
	s_waitcnt vmcnt(18)
	v_fma_f64 v[85:86], v[95:96], v[87:88], v[85:86]
	buffer_load_dword v94, off, s[0:3], 0 offset:268
	buffer_load_dword v95, off, s[0:3], 0 offset:288
	buffer_load_dword v115, off, s[0:3], 0 offset:280
	buffer_load_dword v117, off, s[0:3], 0 offset:272
	buffer_load_dword v93, off, s[0:3], 0 offset:264
	buffer_load_dword v118, off, s[0:3], 0 offset:276
	buffer_load_dword v116, off, s[0:3], 0 offset:284
	s_waitcnt vmcnt(23) lgkmcnt(0)
	v_fma_f64 v[85:86], v[97:98], v[89:90], v[85:86]
	s_waitcnt vmcnt(21)
	v_fma_f64 v[96:97], v[99:100], v[91:92], v[85:86]
	ds_read_b128 v[85:88], v84 offset:544
	ds_read_b128 v[89:92], v84 offset:560
	s_waitcnt vmcnt(19) lgkmcnt(1)
	v_fma_f64 v[85:86], v[101:102], v[85:86], v[96:97]
	buffer_load_dword v96, off, s[0:3], 0 offset:292
	s_waitcnt vmcnt(18)
	v_fma_f64 v[85:86], v[103:104], v[87:88], v[85:86]
	buffer_load_dword v98, off, s[0:3], 0 offset:300
	buffer_load_dword v99, off, s[0:3], 0 offset:320
	;; [unrolled: 1-line block ×8, first 2 shown]
	s_waitcnt vmcnt(24) lgkmcnt(0)
	v_fma_f64 v[85:86], v[105:106], v[89:90], v[85:86]
	s_waitcnt vmcnt(19)
	v_fma_f64 v[105:106], v[107:108], v[91:92], v[85:86]
	ds_read_b128 v[85:88], v84 offset:576
	ds_read_b128 v[89:92], v84 offset:592
	s_waitcnt vmcnt(18) lgkmcnt(1)
	v_fma_f64 v[85:86], v[113:114], v[85:86], v[105:106]
	buffer_load_dword v105, off, s[0:3], 0 offset:168
	buffer_load_dword v106, off, s[0:3], 0 offset:172
	s_waitcnt vmcnt(19)
	v_fma_f64 v[85:86], v[111:112], v[87:88], v[85:86]
	s_waitcnt vmcnt(18) lgkmcnt(0)
	v_fma_f64 v[85:86], v[109:110], v[89:90], v[85:86]
	s_waitcnt vmcnt(13)
	v_fma_f64 v[93:94], v[93:94], v[91:92], v[85:86]
	ds_read_b128 v[85:88], v84 offset:608
	ds_read_b128 v[89:92], v84 offset:624
	s_waitcnt vmcnt(12) lgkmcnt(1)
	v_fma_f64 v[85:86], v[117:118], v[85:86], v[93:94]
	s_waitcnt vmcnt(11)
	v_fma_f64 v[85:86], v[115:116], v[87:88], v[85:86]
	s_waitcnt vmcnt(10) lgkmcnt(0)
	v_fma_f64 v[85:86], v[95:96], v[89:90], v[85:86]
	s_waitcnt vmcnt(5)
	v_fma_f64 v[89:90], v[97:98], v[91:92], v[85:86]
	ds_read_b128 v[85:88], v84 offset:640
	ds_read_b64 v[91:92], v84 offset:656
	s_waitcnt vmcnt(4) lgkmcnt(1)
	v_fma_f64 v[85:86], v[103:104], v[85:86], v[89:90]
	s_waitcnt vmcnt(3)
	v_fma_f64 v[85:86], v[101:102], v[87:88], v[85:86]
	s_waitcnt vmcnt(2) lgkmcnt(0)
	v_fma_f64 v[85:86], v[99:100], v[91:92], v[85:86]
	s_waitcnt vmcnt(0)
	v_add_f64 v[85:86], v[105:106], -v[85:86]
	buffer_store_dword v86, off, s[0:3], 0 offset:172
	buffer_store_dword v85, off, s[0:3], 0 offset:168
	s_and_saveexec_b64 s[4:5], vcc
	s_cbranch_execz .LBB104_213
; %bb.212:
	buffer_load_dword v85, off, s[0:3], 0 offset:160
	buffer_load_dword v86, off, s[0:3], 0 offset:164
	s_waitcnt vmcnt(0)
	ds_write_b64 v83, v[85:86]
	buffer_store_dword v84, off, s[0:3], 0 offset:160
	buffer_store_dword v84, off, s[0:3], 0 offset:164
.LBB104_213:
	s_or_b64 exec, exec, s[4:5]
	s_waitcnt lgkmcnt(0)
	; wave barrier
	buffer_load_dword v93, off, s[0:3], 0 offset:168
	buffer_load_dword v94, off, s[0:3], 0 offset:172
	;; [unrolled: 1-line block ×22, first 2 shown]
	ds_read2_b64 v[85:88], v84 offset0:63 offset1:64
	ds_read2_b64 v[89:92], v84 offset0:65 offset1:66
	v_cmp_lt_u32_e32 vcc, 19, v0
	s_waitcnt vmcnt(20) lgkmcnt(1)
	v_fma_f64 v[85:86], v[93:94], v[85:86], 0
	s_waitcnt vmcnt(18)
	v_fma_f64 v[85:86], v[95:96], v[87:88], v[85:86]
	buffer_load_dword v94, off, s[0:3], 0 offset:260
	buffer_load_dword v95, off, s[0:3], 0 offset:280
	;; [unrolled: 1-line block ×7, first 2 shown]
	s_waitcnt vmcnt(23) lgkmcnt(0)
	v_fma_f64 v[85:86], v[97:98], v[89:90], v[85:86]
	s_waitcnt vmcnt(21)
	v_fma_f64 v[96:97], v[99:100], v[91:92], v[85:86]
	ds_read2_b64 v[85:88], v84 offset0:67 offset1:68
	ds_read2_b64 v[89:92], v84 offset0:69 offset1:70
	s_waitcnt vmcnt(19) lgkmcnt(1)
	v_fma_f64 v[85:86], v[101:102], v[85:86], v[96:97]
	buffer_load_dword v96, off, s[0:3], 0 offset:284
	s_waitcnt vmcnt(18)
	v_fma_f64 v[85:86], v[103:104], v[87:88], v[85:86]
	buffer_load_dword v98, off, s[0:3], 0 offset:292
	buffer_load_dword v99, off, s[0:3], 0 offset:312
	;; [unrolled: 1-line block ×8, first 2 shown]
	s_waitcnt vmcnt(24) lgkmcnt(0)
	v_fma_f64 v[85:86], v[105:106], v[89:90], v[85:86]
	s_waitcnt vmcnt(19)
	v_fma_f64 v[105:106], v[107:108], v[91:92], v[85:86]
	ds_read2_b64 v[85:88], v84 offset0:71 offset1:72
	ds_read2_b64 v[89:92], v84 offset0:73 offset1:74
	s_waitcnt vmcnt(18) lgkmcnt(1)
	v_fma_f64 v[85:86], v[113:114], v[85:86], v[105:106]
	buffer_load_dword v106, off, s[0:3], 0 offset:324
	buffer_load_dword v105, off, s[0:3], 0 offset:320
	;; [unrolled: 1-line block ×4, first 2 shown]
	s_waitcnt vmcnt(21)
	v_fma_f64 v[85:86], v[111:112], v[87:88], v[85:86]
	s_waitcnt vmcnt(20) lgkmcnt(0)
	v_fma_f64 v[85:86], v[109:110], v[89:90], v[85:86]
	s_waitcnt vmcnt(15)
	v_fma_f64 v[93:94], v[93:94], v[91:92], v[85:86]
	ds_read2_b64 v[85:88], v84 offset0:75 offset1:76
	ds_read2_b64 v[89:92], v84 offset0:77 offset1:78
	s_waitcnt vmcnt(14) lgkmcnt(1)
	v_fma_f64 v[85:86], v[117:118], v[85:86], v[93:94]
	s_waitcnt vmcnt(13)
	v_fma_f64 v[85:86], v[115:116], v[87:88], v[85:86]
	s_waitcnt vmcnt(12) lgkmcnt(0)
	v_fma_f64 v[85:86], v[95:96], v[89:90], v[85:86]
	s_waitcnt vmcnt(7)
	v_fma_f64 v[93:94], v[97:98], v[91:92], v[85:86]
	ds_read2_b64 v[85:88], v84 offset0:79 offset1:80
	ds_read2_b64 v[89:92], v84 offset0:81 offset1:82
	s_waitcnt vmcnt(6) lgkmcnt(1)
	v_fma_f64 v[84:85], v[103:104], v[85:86], v[93:94]
	s_waitcnt vmcnt(5)
	v_fma_f64 v[84:85], v[101:102], v[87:88], v[84:85]
	s_waitcnt vmcnt(4) lgkmcnt(0)
	v_fma_f64 v[84:85], v[99:100], v[89:90], v[84:85]
	s_waitcnt vmcnt(2)
	v_fma_f64 v[84:85], v[105:106], v[91:92], v[84:85]
	s_waitcnt vmcnt(0)
	v_add_f64 v[84:85], v[107:108], -v[84:85]
	buffer_store_dword v85, off, s[0:3], 0 offset:164
	buffer_store_dword v84, off, s[0:3], 0 offset:160
	s_and_saveexec_b64 s[4:5], vcc
	s_cbranch_execz .LBB104_215
; %bb.214:
	buffer_load_dword v84, off, s[0:3], 0 offset:152
	buffer_load_dword v85, off, s[0:3], 0 offset:156
	v_mov_b32_e32 v86, 0
	buffer_store_dword v86, off, s[0:3], 0 offset:152
	buffer_store_dword v86, off, s[0:3], 0 offset:156
	s_waitcnt vmcnt(2)
	ds_write_b64 v83, v[84:85]
.LBB104_215:
	s_or_b64 exec, exec, s[4:5]
	s_waitcnt lgkmcnt(0)
	; wave barrier
	buffer_load_dword v93, off, s[0:3], 0 offset:160
	buffer_load_dword v94, off, s[0:3], 0 offset:164
	;; [unrolled: 1-line block ×21, first 2 shown]
	v_mov_b32_e32 v84, 0
	ds_read_b128 v[85:88], v84 offset:496
	ds_read_b128 v[89:92], v84 offset:512
	buffer_load_dword v110, off, s[0:3], 0 offset:244
	v_cmp_lt_u32_e32 vcc, 18, v0
	s_waitcnt vmcnt(20) lgkmcnt(1)
	v_fma_f64 v[85:86], v[93:94], v[85:86], 0
	s_waitcnt vmcnt(18)
	v_fma_f64 v[85:86], v[95:96], v[87:88], v[85:86]
	buffer_load_dword v94, off, s[0:3], 0 offset:252
	buffer_load_dword v95, off, s[0:3], 0 offset:272
	;; [unrolled: 1-line block ×7, first 2 shown]
	s_waitcnt vmcnt(23) lgkmcnt(0)
	v_fma_f64 v[85:86], v[97:98], v[89:90], v[85:86]
	s_waitcnt vmcnt(21)
	v_fma_f64 v[96:97], v[99:100], v[91:92], v[85:86]
	ds_read_b128 v[85:88], v84 offset:528
	ds_read_b128 v[89:92], v84 offset:544
	s_waitcnt vmcnt(19) lgkmcnt(1)
	v_fma_f64 v[85:86], v[101:102], v[85:86], v[96:97]
	buffer_load_dword v96, off, s[0:3], 0 offset:276
	s_waitcnt vmcnt(18)
	v_fma_f64 v[85:86], v[103:104], v[87:88], v[85:86]
	buffer_load_dword v98, off, s[0:3], 0 offset:284
	buffer_load_dword v99, off, s[0:3], 0 offset:304
	;; [unrolled: 1-line block ×7, first 2 shown]
	s_waitcnt vmcnt(23) lgkmcnt(0)
	v_fma_f64 v[85:86], v[105:106], v[89:90], v[85:86]
	s_waitcnt vmcnt(18)
	v_fma_f64 v[105:106], v[107:108], v[91:92], v[85:86]
	ds_read_b128 v[85:88], v84 offset:560
	ds_read_b128 v[89:92], v84 offset:576
	buffer_load_dword v100, off, s[0:3], 0 offset:308
	s_waitcnt vmcnt(18) lgkmcnt(1)
	v_fma_f64 v[85:86], v[113:114], v[85:86], v[105:106]
	buffer_load_dword v106, off, s[0:3], 0 offset:316
	buffer_load_dword v107, off, s[0:3], 0 offset:320
	;; [unrolled: 1-line block ×4, first 2 shown]
	s_waitcnt vmcnt(21)
	v_fma_f64 v[85:86], v[111:112], v[87:88], v[85:86]
	s_waitcnt vmcnt(20) lgkmcnt(0)
	v_fma_f64 v[85:86], v[109:110], v[89:90], v[85:86]
	buffer_load_dword v109, off, s[0:3], 0 offset:152
	buffer_load_dword v110, off, s[0:3], 0 offset:156
	s_waitcnt vmcnt(17)
	v_fma_f64 v[93:94], v[93:94], v[91:92], v[85:86]
	ds_read_b128 v[85:88], v84 offset:592
	ds_read_b128 v[89:92], v84 offset:608
	s_waitcnt vmcnt(16) lgkmcnt(1)
	v_fma_f64 v[85:86], v[117:118], v[85:86], v[93:94]
	s_waitcnt vmcnt(15)
	v_fma_f64 v[85:86], v[115:116], v[87:88], v[85:86]
	s_waitcnt vmcnt(14) lgkmcnt(0)
	v_fma_f64 v[85:86], v[95:96], v[89:90], v[85:86]
	s_waitcnt vmcnt(9)
	v_fma_f64 v[93:94], v[97:98], v[91:92], v[85:86]
	ds_read_b128 v[85:88], v84 offset:624
	ds_read_b128 v[89:92], v84 offset:640
	s_waitcnt vmcnt(8) lgkmcnt(1)
	v_fma_f64 v[85:86], v[103:104], v[85:86], v[93:94]
	s_waitcnt vmcnt(7)
	v_fma_f64 v[85:86], v[101:102], v[87:88], v[85:86]
	ds_read_b64 v[87:88], v84 offset:656
	s_waitcnt vmcnt(6) lgkmcnt(1)
	v_fma_f64 v[85:86], v[99:100], v[89:90], v[85:86]
	s_waitcnt vmcnt(3)
	v_fma_f64 v[85:86], v[105:106], v[91:92], v[85:86]
	s_waitcnt vmcnt(2) lgkmcnt(0)
	v_fma_f64 v[85:86], v[107:108], v[87:88], v[85:86]
	s_waitcnt vmcnt(0)
	v_add_f64 v[85:86], v[109:110], -v[85:86]
	buffer_store_dword v86, off, s[0:3], 0 offset:156
	buffer_store_dword v85, off, s[0:3], 0 offset:152
	s_and_saveexec_b64 s[4:5], vcc
	s_cbranch_execz .LBB104_217
; %bb.216:
	buffer_load_dword v85, off, s[0:3], 0 offset:144
	buffer_load_dword v86, off, s[0:3], 0 offset:148
	s_waitcnt vmcnt(0)
	ds_write_b64 v83, v[85:86]
	buffer_store_dword v84, off, s[0:3], 0 offset:144
	buffer_store_dword v84, off, s[0:3], 0 offset:148
.LBB104_217:
	s_or_b64 exec, exec, s[4:5]
	s_waitcnt lgkmcnt(0)
	; wave barrier
	buffer_load_dword v93, off, s[0:3], 0 offset:152
	buffer_load_dword v94, off, s[0:3], 0 offset:156
	;; [unrolled: 1-line block ×21, first 2 shown]
	ds_read2_b64 v[85:88], v84 offset0:61 offset1:62
	ds_read2_b64 v[89:92], v84 offset0:63 offset1:64
	buffer_load_dword v110, off, s[0:3], 0 offset:236
	v_cmp_lt_u32_e32 vcc, 17, v0
	s_waitcnt vmcnt(20) lgkmcnt(1)
	v_fma_f64 v[85:86], v[93:94], v[85:86], 0
	s_waitcnt vmcnt(18)
	v_fma_f64 v[85:86], v[95:96], v[87:88], v[85:86]
	buffer_load_dword v94, off, s[0:3], 0 offset:244
	buffer_load_dword v95, off, s[0:3], 0 offset:264
	;; [unrolled: 1-line block ×7, first 2 shown]
	s_waitcnt vmcnt(23) lgkmcnt(0)
	v_fma_f64 v[85:86], v[97:98], v[89:90], v[85:86]
	s_waitcnt vmcnt(21)
	v_fma_f64 v[96:97], v[99:100], v[91:92], v[85:86]
	ds_read2_b64 v[85:88], v84 offset0:65 offset1:66
	ds_read2_b64 v[89:92], v84 offset0:67 offset1:68
	s_waitcnt vmcnt(19) lgkmcnt(1)
	v_fma_f64 v[85:86], v[101:102], v[85:86], v[96:97]
	buffer_load_dword v96, off, s[0:3], 0 offset:268
	s_waitcnt vmcnt(18)
	v_fma_f64 v[85:86], v[103:104], v[87:88], v[85:86]
	buffer_load_dword v98, off, s[0:3], 0 offset:276
	buffer_load_dword v99, off, s[0:3], 0 offset:296
	;; [unrolled: 1-line block ×8, first 2 shown]
	s_waitcnt vmcnt(24) lgkmcnt(0)
	v_fma_f64 v[85:86], v[105:106], v[89:90], v[85:86]
	s_waitcnt vmcnt(19)
	v_fma_f64 v[105:106], v[107:108], v[91:92], v[85:86]
	ds_read2_b64 v[85:88], v84 offset0:69 offset1:70
	ds_read2_b64 v[89:92], v84 offset0:71 offset1:72
	s_waitcnt vmcnt(18) lgkmcnt(1)
	v_fma_f64 v[85:86], v[113:114], v[85:86], v[105:106]
	s_waitcnt vmcnt(17)
	v_fma_f64 v[85:86], v[111:112], v[87:88], v[85:86]
	buffer_load_dword v106, off, s[0:3], 0 offset:308
	buffer_load_dword v107, off, s[0:3], 0 offset:320
	;; [unrolled: 1-line block ×6, first 2 shown]
	s_waitcnt vmcnt(22) lgkmcnt(0)
	v_fma_f64 v[85:86], v[109:110], v[89:90], v[85:86]
	s_waitcnt vmcnt(17)
	v_fma_f64 v[93:94], v[93:94], v[91:92], v[85:86]
	ds_read2_b64 v[85:88], v84 offset0:73 offset1:74
	buffer_load_dword v109, off, s[0:3], 0 offset:144
	buffer_load_dword v110, off, s[0:3], 0 offset:148
	ds_read2_b64 v[89:92], v84 offset0:75 offset1:76
	s_waitcnt vmcnt(18) lgkmcnt(1)
	v_fma_f64 v[85:86], v[117:118], v[85:86], v[93:94]
	s_waitcnt vmcnt(17)
	v_fma_f64 v[85:86], v[115:116], v[87:88], v[85:86]
	s_waitcnt vmcnt(16) lgkmcnt(0)
	v_fma_f64 v[85:86], v[95:96], v[89:90], v[85:86]
	s_waitcnt vmcnt(11)
	v_fma_f64 v[93:94], v[97:98], v[91:92], v[85:86]
	ds_read2_b64 v[85:88], v84 offset0:77 offset1:78
	ds_read2_b64 v[89:92], v84 offset0:79 offset1:80
	s_waitcnt vmcnt(10) lgkmcnt(1)
	v_fma_f64 v[85:86], v[103:104], v[85:86], v[93:94]
	s_waitcnt vmcnt(9)
	v_fma_f64 v[85:86], v[101:102], v[87:88], v[85:86]
	s_waitcnt vmcnt(8) lgkmcnt(0)
	v_fma_f64 v[85:86], v[99:100], v[89:90], v[85:86]
	s_waitcnt vmcnt(4)
	v_fma_f64 v[88:89], v[105:106], v[91:92], v[85:86]
	ds_read2_b64 v[84:87], v84 offset0:81 offset1:82
	s_waitcnt vmcnt(3) lgkmcnt(0)
	v_fma_f64 v[84:85], v[111:112], v[84:85], v[88:89]
	s_waitcnt vmcnt(2)
	v_fma_f64 v[84:85], v[107:108], v[86:87], v[84:85]
	s_waitcnt vmcnt(0)
	v_add_f64 v[84:85], v[109:110], -v[84:85]
	buffer_store_dword v85, off, s[0:3], 0 offset:148
	buffer_store_dword v84, off, s[0:3], 0 offset:144
	s_and_saveexec_b64 s[4:5], vcc
	s_cbranch_execz .LBB104_219
; %bb.218:
	buffer_load_dword v84, off, s[0:3], 0 offset:136
	buffer_load_dword v85, off, s[0:3], 0 offset:140
	v_mov_b32_e32 v86, 0
	buffer_store_dword v86, off, s[0:3], 0 offset:136
	buffer_store_dword v86, off, s[0:3], 0 offset:140
	s_waitcnt vmcnt(2)
	ds_write_b64 v83, v[84:85]
.LBB104_219:
	s_or_b64 exec, exec, s[4:5]
	s_waitcnt lgkmcnt(0)
	; wave barrier
	buffer_load_dword v93, off, s[0:3], 0 offset:144
	buffer_load_dword v94, off, s[0:3], 0 offset:148
	;; [unrolled: 1-line block ×21, first 2 shown]
	v_mov_b32_e32 v84, 0
	ds_read_b128 v[85:88], v84 offset:480
	ds_read_b128 v[89:92], v84 offset:496
	buffer_load_dword v110, off, s[0:3], 0 offset:228
	v_cmp_lt_u32_e32 vcc, 16, v0
	s_waitcnt vmcnt(20) lgkmcnt(1)
	v_fma_f64 v[85:86], v[93:94], v[85:86], 0
	s_waitcnt vmcnt(18)
	v_fma_f64 v[85:86], v[95:96], v[87:88], v[85:86]
	buffer_load_dword v94, off, s[0:3], 0 offset:236
	buffer_load_dword v95, off, s[0:3], 0 offset:256
	;; [unrolled: 1-line block ×7, first 2 shown]
	s_waitcnt vmcnt(23) lgkmcnt(0)
	v_fma_f64 v[85:86], v[97:98], v[89:90], v[85:86]
	s_waitcnt vmcnt(21)
	v_fma_f64 v[96:97], v[99:100], v[91:92], v[85:86]
	ds_read_b128 v[85:88], v84 offset:512
	ds_read_b128 v[89:92], v84 offset:528
	s_waitcnt vmcnt(19) lgkmcnt(1)
	v_fma_f64 v[85:86], v[101:102], v[85:86], v[96:97]
	buffer_load_dword v96, off, s[0:3], 0 offset:260
	s_waitcnt vmcnt(18)
	v_fma_f64 v[85:86], v[103:104], v[87:88], v[85:86]
	buffer_load_dword v98, off, s[0:3], 0 offset:268
	buffer_load_dword v99, off, s[0:3], 0 offset:288
	;; [unrolled: 1-line block ×8, first 2 shown]
	s_waitcnt vmcnt(24) lgkmcnt(0)
	v_fma_f64 v[85:86], v[105:106], v[89:90], v[85:86]
	s_waitcnt vmcnt(19)
	v_fma_f64 v[105:106], v[107:108], v[91:92], v[85:86]
	ds_read_b128 v[85:88], v84 offset:544
	ds_read_b128 v[89:92], v84 offset:560
	s_waitcnt vmcnt(18) lgkmcnt(1)
	v_fma_f64 v[85:86], v[113:114], v[85:86], v[105:106]
	s_waitcnt vmcnt(17)
	v_fma_f64 v[85:86], v[111:112], v[87:88], v[85:86]
	buffer_load_dword v106, off, s[0:3], 0 offset:300
	buffer_load_dword v107, off, s[0:3], 0 offset:320
	;; [unrolled: 1-line block ×8, first 2 shown]
	s_waitcnt vmcnt(24) lgkmcnt(0)
	v_fma_f64 v[85:86], v[109:110], v[89:90], v[85:86]
	s_waitcnt vmcnt(19)
	v_fma_f64 v[93:94], v[93:94], v[91:92], v[85:86]
	ds_read_b128 v[85:88], v84 offset:576
	ds_read_b128 v[89:92], v84 offset:592
	s_waitcnt vmcnt(18) lgkmcnt(1)
	v_fma_f64 v[85:86], v[117:118], v[85:86], v[93:94]
	buffer_load_dword v93, off, s[0:3], 0 offset:136
	buffer_load_dword v94, off, s[0:3], 0 offset:140
	s_waitcnt vmcnt(19)
	v_fma_f64 v[85:86], v[115:116], v[87:88], v[85:86]
	s_waitcnt vmcnt(18) lgkmcnt(0)
	v_fma_f64 v[85:86], v[95:96], v[89:90], v[85:86]
	s_waitcnt vmcnt(13)
	v_fma_f64 v[95:96], v[97:98], v[91:92], v[85:86]
	ds_read_b128 v[85:88], v84 offset:608
	ds_read_b128 v[89:92], v84 offset:624
	s_waitcnt vmcnt(12) lgkmcnt(1)
	v_fma_f64 v[85:86], v[103:104], v[85:86], v[95:96]
	s_waitcnt vmcnt(11)
	v_fma_f64 v[85:86], v[101:102], v[87:88], v[85:86]
	s_waitcnt vmcnt(10) lgkmcnt(0)
	v_fma_f64 v[85:86], v[99:100], v[89:90], v[85:86]
	s_waitcnt vmcnt(5)
	v_fma_f64 v[89:90], v[105:106], v[91:92], v[85:86]
	ds_read_b128 v[85:88], v84 offset:640
	ds_read_b64 v[91:92], v84 offset:656
	s_waitcnt vmcnt(4) lgkmcnt(1)
	v_fma_f64 v[85:86], v[113:114], v[85:86], v[89:90]
	s_waitcnt vmcnt(3)
	v_fma_f64 v[85:86], v[111:112], v[87:88], v[85:86]
	s_waitcnt vmcnt(2) lgkmcnt(0)
	v_fma_f64 v[85:86], v[107:108], v[91:92], v[85:86]
	s_waitcnt vmcnt(0)
	v_add_f64 v[85:86], v[93:94], -v[85:86]
	buffer_store_dword v86, off, s[0:3], 0 offset:140
	buffer_store_dword v85, off, s[0:3], 0 offset:136
	s_and_saveexec_b64 s[4:5], vcc
	s_cbranch_execz .LBB104_221
; %bb.220:
	buffer_load_dword v85, off, s[0:3], 0 offset:128
	buffer_load_dword v86, off, s[0:3], 0 offset:132
	s_waitcnt vmcnt(0)
	ds_write_b64 v83, v[85:86]
	buffer_store_dword v84, off, s[0:3], 0 offset:128
	buffer_store_dword v84, off, s[0:3], 0 offset:132
.LBB104_221:
	s_or_b64 exec, exec, s[4:5]
	s_waitcnt lgkmcnt(0)
	; wave barrier
	buffer_load_dword v93, off, s[0:3], 0 offset:136
	buffer_load_dword v94, off, s[0:3], 0 offset:140
	;; [unrolled: 1-line block ×21, first 2 shown]
	ds_read2_b64 v[85:88], v84 offset0:59 offset1:60
	ds_read2_b64 v[89:92], v84 offset0:61 offset1:62
	buffer_load_dword v110, off, s[0:3], 0 offset:220
	v_cmp_lt_u32_e32 vcc, 15, v0
	s_waitcnt vmcnt(20) lgkmcnt(1)
	v_fma_f64 v[85:86], v[93:94], v[85:86], 0
	s_waitcnt vmcnt(18)
	v_fma_f64 v[85:86], v[95:96], v[87:88], v[85:86]
	buffer_load_dword v94, off, s[0:3], 0 offset:228
	buffer_load_dword v95, off, s[0:3], 0 offset:248
	;; [unrolled: 1-line block ×7, first 2 shown]
	s_waitcnt vmcnt(23) lgkmcnt(0)
	v_fma_f64 v[85:86], v[97:98], v[89:90], v[85:86]
	s_waitcnt vmcnt(21)
	v_fma_f64 v[96:97], v[99:100], v[91:92], v[85:86]
	ds_read2_b64 v[85:88], v84 offset0:63 offset1:64
	ds_read2_b64 v[89:92], v84 offset0:65 offset1:66
	s_waitcnt vmcnt(19) lgkmcnt(1)
	v_fma_f64 v[85:86], v[101:102], v[85:86], v[96:97]
	buffer_load_dword v96, off, s[0:3], 0 offset:252
	s_waitcnt vmcnt(18)
	v_fma_f64 v[85:86], v[103:104], v[87:88], v[85:86]
	buffer_load_dword v98, off, s[0:3], 0 offset:260
	buffer_load_dword v99, off, s[0:3], 0 offset:280
	buffer_load_dword v101, off, s[0:3], 0 offset:272
	buffer_load_dword v103, off, s[0:3], 0 offset:264
	buffer_load_dword v97, off, s[0:3], 0 offset:256
	buffer_load_dword v104, off, s[0:3], 0 offset:268
	buffer_load_dword v102, off, s[0:3], 0 offset:276
	buffer_load_dword v100, off, s[0:3], 0 offset:284
	s_waitcnt vmcnt(24) lgkmcnt(0)
	v_fma_f64 v[85:86], v[105:106], v[89:90], v[85:86]
	s_waitcnt vmcnt(19)
	v_fma_f64 v[105:106], v[107:108], v[91:92], v[85:86]
	ds_read2_b64 v[85:88], v84 offset0:67 offset1:68
	ds_read2_b64 v[89:92], v84 offset0:69 offset1:70
	s_waitcnt vmcnt(18) lgkmcnt(1)
	v_fma_f64 v[85:86], v[113:114], v[85:86], v[105:106]
	s_waitcnt vmcnt(17)
	v_fma_f64 v[85:86], v[111:112], v[87:88], v[85:86]
	buffer_load_dword v106, off, s[0:3], 0 offset:292
	buffer_load_dword v107, off, s[0:3], 0 offset:312
	;; [unrolled: 1-line block ×8, first 2 shown]
	s_waitcnt vmcnt(24) lgkmcnt(0)
	v_fma_f64 v[85:86], v[109:110], v[89:90], v[85:86]
	s_waitcnt vmcnt(19)
	v_fma_f64 v[93:94], v[93:94], v[91:92], v[85:86]
	ds_read2_b64 v[85:88], v84 offset0:71 offset1:72
	ds_read2_b64 v[89:92], v84 offset0:73 offset1:74
	s_waitcnt vmcnt(18) lgkmcnt(1)
	v_fma_f64 v[85:86], v[117:118], v[85:86], v[93:94]
	buffer_load_dword v94, off, s[0:3], 0 offset:324
	buffer_load_dword v93, off, s[0:3], 0 offset:320
	;; [unrolled: 1-line block ×4, first 2 shown]
	s_waitcnt vmcnt(21)
	v_fma_f64 v[85:86], v[115:116], v[87:88], v[85:86]
	s_waitcnt vmcnt(20) lgkmcnt(0)
	v_fma_f64 v[85:86], v[95:96], v[89:90], v[85:86]
	s_waitcnt vmcnt(15)
	v_fma_f64 v[95:96], v[97:98], v[91:92], v[85:86]
	ds_read2_b64 v[85:88], v84 offset0:75 offset1:76
	ds_read2_b64 v[89:92], v84 offset0:77 offset1:78
	s_waitcnt vmcnt(14) lgkmcnt(1)
	v_fma_f64 v[85:86], v[103:104], v[85:86], v[95:96]
	s_waitcnt vmcnt(13)
	v_fma_f64 v[85:86], v[101:102], v[87:88], v[85:86]
	s_waitcnt vmcnt(12) lgkmcnt(0)
	v_fma_f64 v[85:86], v[99:100], v[89:90], v[85:86]
	s_waitcnt vmcnt(7)
	v_fma_f64 v[95:96], v[105:106], v[91:92], v[85:86]
	ds_read2_b64 v[85:88], v84 offset0:79 offset1:80
	ds_read2_b64 v[89:92], v84 offset0:81 offset1:82
	s_waitcnt vmcnt(6) lgkmcnt(1)
	v_fma_f64 v[84:85], v[113:114], v[85:86], v[95:96]
	s_waitcnt vmcnt(5)
	v_fma_f64 v[84:85], v[111:112], v[87:88], v[84:85]
	s_waitcnt vmcnt(4) lgkmcnt(0)
	v_fma_f64 v[84:85], v[107:108], v[89:90], v[84:85]
	s_waitcnt vmcnt(2)
	v_fma_f64 v[84:85], v[93:94], v[91:92], v[84:85]
	s_waitcnt vmcnt(0)
	v_add_f64 v[84:85], v[109:110], -v[84:85]
	buffer_store_dword v85, off, s[0:3], 0 offset:132
	buffer_store_dword v84, off, s[0:3], 0 offset:128
	s_and_saveexec_b64 s[4:5], vcc
	s_cbranch_execz .LBB104_223
; %bb.222:
	buffer_load_dword v84, off, s[0:3], 0 offset:120
	buffer_load_dword v85, off, s[0:3], 0 offset:124
	v_mov_b32_e32 v86, 0
	buffer_store_dword v86, off, s[0:3], 0 offset:120
	buffer_store_dword v86, off, s[0:3], 0 offset:124
	s_waitcnt vmcnt(2)
	ds_write_b64 v83, v[84:85]
.LBB104_223:
	s_or_b64 exec, exec, s[4:5]
	s_waitcnt lgkmcnt(0)
	; wave barrier
	buffer_load_dword v93, off, s[0:3], 0 offset:128
	buffer_load_dword v94, off, s[0:3], 0 offset:132
	;; [unrolled: 1-line block ×21, first 2 shown]
	v_mov_b32_e32 v84, 0
	ds_read_b128 v[85:88], v84 offset:464
	ds_read_b128 v[89:92], v84 offset:480
	buffer_load_dword v110, off, s[0:3], 0 offset:212
	v_cmp_lt_u32_e32 vcc, 14, v0
	s_waitcnt vmcnt(20) lgkmcnt(1)
	v_fma_f64 v[85:86], v[93:94], v[85:86], 0
	s_waitcnt vmcnt(18)
	v_fma_f64 v[85:86], v[95:96], v[87:88], v[85:86]
	buffer_load_dword v94, off, s[0:3], 0 offset:220
	buffer_load_dword v95, off, s[0:3], 0 offset:240
	;; [unrolled: 1-line block ×7, first 2 shown]
	s_waitcnt vmcnt(23) lgkmcnt(0)
	v_fma_f64 v[85:86], v[97:98], v[89:90], v[85:86]
	s_waitcnt vmcnt(21)
	v_fma_f64 v[96:97], v[99:100], v[91:92], v[85:86]
	ds_read_b128 v[85:88], v84 offset:496
	ds_read_b128 v[89:92], v84 offset:512
	s_waitcnt vmcnt(19) lgkmcnt(1)
	v_fma_f64 v[85:86], v[101:102], v[85:86], v[96:97]
	buffer_load_dword v96, off, s[0:3], 0 offset:244
	s_waitcnt vmcnt(18)
	v_fma_f64 v[85:86], v[103:104], v[87:88], v[85:86]
	buffer_load_dword v98, off, s[0:3], 0 offset:252
	buffer_load_dword v99, off, s[0:3], 0 offset:272
	;; [unrolled: 1-line block ×8, first 2 shown]
	s_waitcnt vmcnt(24) lgkmcnt(0)
	v_fma_f64 v[85:86], v[105:106], v[89:90], v[85:86]
	s_waitcnt vmcnt(19)
	v_fma_f64 v[105:106], v[107:108], v[91:92], v[85:86]
	ds_read_b128 v[85:88], v84 offset:528
	ds_read_b128 v[89:92], v84 offset:544
	s_waitcnt vmcnt(18) lgkmcnt(1)
	v_fma_f64 v[85:86], v[113:114], v[85:86], v[105:106]
	s_waitcnt vmcnt(17)
	v_fma_f64 v[85:86], v[111:112], v[87:88], v[85:86]
	buffer_load_dword v106, off, s[0:3], 0 offset:284
	buffer_load_dword v107, off, s[0:3], 0 offset:304
	;; [unrolled: 1-line block ×7, first 2 shown]
	s_waitcnt vmcnt(23) lgkmcnt(0)
	v_fma_f64 v[85:86], v[109:110], v[89:90], v[85:86]
	s_waitcnt vmcnt(18)
	v_fma_f64 v[93:94], v[93:94], v[91:92], v[85:86]
	ds_read_b128 v[85:88], v84 offset:560
	ds_read_b128 v[89:92], v84 offset:576
	buffer_load_dword v108, off, s[0:3], 0 offset:308
	s_waitcnt vmcnt(18) lgkmcnt(1)
	v_fma_f64 v[85:86], v[117:118], v[85:86], v[93:94]
	buffer_load_dword v94, off, s[0:3], 0 offset:316
	buffer_load_dword v109, off, s[0:3], 0 offset:320
	;; [unrolled: 1-line block ×4, first 2 shown]
	s_waitcnt vmcnt(21)
	v_fma_f64 v[85:86], v[115:116], v[87:88], v[85:86]
	s_waitcnt vmcnt(20) lgkmcnt(0)
	v_fma_f64 v[85:86], v[95:96], v[89:90], v[85:86]
	buffer_load_dword v95, off, s[0:3], 0 offset:120
	buffer_load_dword v96, off, s[0:3], 0 offset:124
	s_waitcnt vmcnt(17)
	v_fma_f64 v[97:98], v[97:98], v[91:92], v[85:86]
	ds_read_b128 v[85:88], v84 offset:592
	ds_read_b128 v[89:92], v84 offset:608
	s_waitcnt vmcnt(16) lgkmcnt(1)
	v_fma_f64 v[85:86], v[103:104], v[85:86], v[97:98]
	s_waitcnt vmcnt(15)
	v_fma_f64 v[85:86], v[101:102], v[87:88], v[85:86]
	s_waitcnt vmcnt(14) lgkmcnt(0)
	v_fma_f64 v[85:86], v[99:100], v[89:90], v[85:86]
	s_waitcnt vmcnt(9)
	v_fma_f64 v[97:98], v[105:106], v[91:92], v[85:86]
	ds_read_b128 v[85:88], v84 offset:624
	ds_read_b128 v[89:92], v84 offset:640
	s_waitcnt vmcnt(8) lgkmcnt(1)
	v_fma_f64 v[85:86], v[113:114], v[85:86], v[97:98]
	s_waitcnt vmcnt(7)
	v_fma_f64 v[85:86], v[111:112], v[87:88], v[85:86]
	ds_read_b64 v[87:88], v84 offset:656
	s_waitcnt vmcnt(6) lgkmcnt(1)
	v_fma_f64 v[85:86], v[107:108], v[89:90], v[85:86]
	s_waitcnt vmcnt(3)
	v_fma_f64 v[85:86], v[93:94], v[91:92], v[85:86]
	s_waitcnt vmcnt(2) lgkmcnt(0)
	v_fma_f64 v[85:86], v[109:110], v[87:88], v[85:86]
	s_waitcnt vmcnt(0)
	v_add_f64 v[85:86], v[95:96], -v[85:86]
	buffer_store_dword v86, off, s[0:3], 0 offset:124
	buffer_store_dword v85, off, s[0:3], 0 offset:120
	s_and_saveexec_b64 s[4:5], vcc
	s_cbranch_execz .LBB104_225
; %bb.224:
	buffer_load_dword v85, off, s[0:3], 0 offset:112
	buffer_load_dword v86, off, s[0:3], 0 offset:116
	s_waitcnt vmcnt(0)
	ds_write_b64 v83, v[85:86]
	buffer_store_dword v84, off, s[0:3], 0 offset:112
	buffer_store_dword v84, off, s[0:3], 0 offset:116
.LBB104_225:
	s_or_b64 exec, exec, s[4:5]
	s_waitcnt lgkmcnt(0)
	; wave barrier
	buffer_load_dword v93, off, s[0:3], 0 offset:120
	buffer_load_dword v94, off, s[0:3], 0 offset:124
	;; [unrolled: 1-line block ×22, first 2 shown]
	ds_read2_b64 v[85:88], v84 offset0:57 offset1:58
	ds_read2_b64 v[89:92], v84 offset0:59 offset1:60
	v_cmp_lt_u32_e32 vcc, 13, v0
	s_waitcnt vmcnt(20) lgkmcnt(1)
	v_fma_f64 v[85:86], v[93:94], v[85:86], 0
	s_waitcnt vmcnt(18)
	v_fma_f64 v[85:86], v[95:96], v[87:88], v[85:86]
	buffer_load_dword v94, off, s[0:3], 0 offset:212
	buffer_load_dword v95, off, s[0:3], 0 offset:232
	;; [unrolled: 1-line block ×7, first 2 shown]
	s_waitcnt vmcnt(23) lgkmcnt(0)
	v_fma_f64 v[85:86], v[97:98], v[89:90], v[85:86]
	s_waitcnt vmcnt(21)
	v_fma_f64 v[96:97], v[99:100], v[91:92], v[85:86]
	ds_read2_b64 v[85:88], v84 offset0:61 offset1:62
	ds_read2_b64 v[89:92], v84 offset0:63 offset1:64
	s_waitcnt vmcnt(19) lgkmcnt(1)
	v_fma_f64 v[85:86], v[101:102], v[85:86], v[96:97]
	buffer_load_dword v96, off, s[0:3], 0 offset:236
	s_waitcnt vmcnt(18)
	v_fma_f64 v[85:86], v[103:104], v[87:88], v[85:86]
	buffer_load_dword v98, off, s[0:3], 0 offset:244
	buffer_load_dword v99, off, s[0:3], 0 offset:264
	;; [unrolled: 1-line block ×8, first 2 shown]
	s_waitcnt vmcnt(24) lgkmcnt(0)
	v_fma_f64 v[85:86], v[105:106], v[89:90], v[85:86]
	s_waitcnt vmcnt(19)
	v_fma_f64 v[105:106], v[107:108], v[91:92], v[85:86]
	ds_read2_b64 v[85:88], v84 offset0:65 offset1:66
	ds_read2_b64 v[89:92], v84 offset0:67 offset1:68
	s_waitcnt vmcnt(18) lgkmcnt(1)
	v_fma_f64 v[85:86], v[113:114], v[85:86], v[105:106]
	s_waitcnt vmcnt(17)
	v_fma_f64 v[85:86], v[111:112], v[87:88], v[85:86]
	buffer_load_dword v106, off, s[0:3], 0 offset:276
	buffer_load_dword v107, off, s[0:3], 0 offset:296
	;; [unrolled: 1-line block ×8, first 2 shown]
	s_waitcnt vmcnt(24) lgkmcnt(0)
	v_fma_f64 v[85:86], v[109:110], v[89:90], v[85:86]
	s_waitcnt vmcnt(19)
	v_fma_f64 v[93:94], v[93:94], v[91:92], v[85:86]
	ds_read2_b64 v[85:88], v84 offset0:69 offset1:70
	ds_read2_b64 v[89:92], v84 offset0:71 offset1:72
	s_waitcnt vmcnt(18) lgkmcnt(1)
	v_fma_f64 v[85:86], v[117:118], v[85:86], v[93:94]
	s_waitcnt vmcnt(17)
	v_fma_f64 v[85:86], v[115:116], v[87:88], v[85:86]
	buffer_load_dword v94, off, s[0:3], 0 offset:308
	buffer_load_dword v109, off, s[0:3], 0 offset:320
	;; [unrolled: 1-line block ×6, first 2 shown]
	s_waitcnt vmcnt(22) lgkmcnt(0)
	v_fma_f64 v[85:86], v[95:96], v[89:90], v[85:86]
	s_waitcnt vmcnt(17)
	v_fma_f64 v[95:96], v[97:98], v[91:92], v[85:86]
	ds_read2_b64 v[85:88], v84 offset0:73 offset1:74
	buffer_load_dword v97, off, s[0:3], 0 offset:112
	buffer_load_dword v98, off, s[0:3], 0 offset:116
	ds_read2_b64 v[89:92], v84 offset0:75 offset1:76
	s_waitcnt vmcnt(18) lgkmcnt(1)
	v_fma_f64 v[85:86], v[103:104], v[85:86], v[95:96]
	s_waitcnt vmcnt(17)
	v_fma_f64 v[85:86], v[101:102], v[87:88], v[85:86]
	s_waitcnt vmcnt(16) lgkmcnt(0)
	v_fma_f64 v[85:86], v[99:100], v[89:90], v[85:86]
	s_waitcnt vmcnt(11)
	v_fma_f64 v[95:96], v[105:106], v[91:92], v[85:86]
	ds_read2_b64 v[85:88], v84 offset0:77 offset1:78
	ds_read2_b64 v[89:92], v84 offset0:79 offset1:80
	s_waitcnt vmcnt(10) lgkmcnt(1)
	v_fma_f64 v[85:86], v[113:114], v[85:86], v[95:96]
	s_waitcnt vmcnt(9)
	v_fma_f64 v[85:86], v[111:112], v[87:88], v[85:86]
	s_waitcnt vmcnt(8) lgkmcnt(0)
	v_fma_f64 v[85:86], v[107:108], v[89:90], v[85:86]
	s_waitcnt vmcnt(4)
	v_fma_f64 v[88:89], v[93:94], v[91:92], v[85:86]
	ds_read2_b64 v[84:87], v84 offset0:81 offset1:82
	s_waitcnt vmcnt(3) lgkmcnt(0)
	v_fma_f64 v[84:85], v[115:116], v[84:85], v[88:89]
	s_waitcnt vmcnt(2)
	v_fma_f64 v[84:85], v[109:110], v[86:87], v[84:85]
	s_waitcnt vmcnt(0)
	v_add_f64 v[84:85], v[97:98], -v[84:85]
	buffer_store_dword v85, off, s[0:3], 0 offset:116
	buffer_store_dword v84, off, s[0:3], 0 offset:112
	s_and_saveexec_b64 s[4:5], vcc
	s_cbranch_execz .LBB104_227
; %bb.226:
	buffer_load_dword v84, off, s[0:3], 0 offset:104
	buffer_load_dword v85, off, s[0:3], 0 offset:108
	v_mov_b32_e32 v86, 0
	buffer_store_dword v86, off, s[0:3], 0 offset:104
	buffer_store_dword v86, off, s[0:3], 0 offset:108
	s_waitcnt vmcnt(2)
	ds_write_b64 v83, v[84:85]
.LBB104_227:
	s_or_b64 exec, exec, s[4:5]
	s_waitcnt lgkmcnt(0)
	; wave barrier
	buffer_load_dword v93, off, s[0:3], 0 offset:112
	buffer_load_dword v94, off, s[0:3], 0 offset:116
	;; [unrolled: 1-line block ×22, first 2 shown]
	v_mov_b32_e32 v84, 0
	ds_read_b128 v[85:88], v84 offset:448
	ds_read_b128 v[89:92], v84 offset:464
	v_cmp_lt_u32_e32 vcc, 12, v0
	s_waitcnt vmcnt(20) lgkmcnt(1)
	v_fma_f64 v[85:86], v[93:94], v[85:86], 0
	s_waitcnt vmcnt(18)
	v_fma_f64 v[85:86], v[95:96], v[87:88], v[85:86]
	buffer_load_dword v94, off, s[0:3], 0 offset:204
	buffer_load_dword v95, off, s[0:3], 0 offset:224
	;; [unrolled: 1-line block ×7, first 2 shown]
	s_waitcnt vmcnt(23) lgkmcnt(0)
	v_fma_f64 v[85:86], v[97:98], v[89:90], v[85:86]
	s_waitcnt vmcnt(21)
	v_fma_f64 v[96:97], v[99:100], v[91:92], v[85:86]
	ds_read_b128 v[85:88], v84 offset:480
	ds_read_b128 v[89:92], v84 offset:496
	s_waitcnt vmcnt(19) lgkmcnt(1)
	v_fma_f64 v[85:86], v[101:102], v[85:86], v[96:97]
	buffer_load_dword v96, off, s[0:3], 0 offset:228
	s_waitcnt vmcnt(18)
	v_fma_f64 v[85:86], v[103:104], v[87:88], v[85:86]
	buffer_load_dword v98, off, s[0:3], 0 offset:236
	buffer_load_dword v99, off, s[0:3], 0 offset:256
	buffer_load_dword v101, off, s[0:3], 0 offset:248
	buffer_load_dword v103, off, s[0:3], 0 offset:240
	buffer_load_dword v97, off, s[0:3], 0 offset:232
	buffer_load_dword v104, off, s[0:3], 0 offset:244
	buffer_load_dword v102, off, s[0:3], 0 offset:252
	buffer_load_dword v100, off, s[0:3], 0 offset:260
	s_waitcnt vmcnt(24) lgkmcnt(0)
	v_fma_f64 v[85:86], v[105:106], v[89:90], v[85:86]
	s_waitcnt vmcnt(19)
	v_fma_f64 v[105:106], v[107:108], v[91:92], v[85:86]
	ds_read_b128 v[85:88], v84 offset:512
	ds_read_b128 v[89:92], v84 offset:528
	s_waitcnt vmcnt(18) lgkmcnt(1)
	v_fma_f64 v[85:86], v[113:114], v[85:86], v[105:106]
	s_waitcnt vmcnt(17)
	v_fma_f64 v[85:86], v[111:112], v[87:88], v[85:86]
	buffer_load_dword v106, off, s[0:3], 0 offset:268
	buffer_load_dword v107, off, s[0:3], 0 offset:288
	buffer_load_dword v111, off, s[0:3], 0 offset:280
	buffer_load_dword v113, off, s[0:3], 0 offset:272
	buffer_load_dword v105, off, s[0:3], 0 offset:264
	buffer_load_dword v114, off, s[0:3], 0 offset:276
	buffer_load_dword v112, off, s[0:3], 0 offset:284
	buffer_load_dword v108, off, s[0:3], 0 offset:292
	s_waitcnt vmcnt(24) lgkmcnt(0)
	v_fma_f64 v[85:86], v[109:110], v[89:90], v[85:86]
	s_waitcnt vmcnt(19)
	v_fma_f64 v[93:94], v[93:94], v[91:92], v[85:86]
	ds_read_b128 v[85:88], v84 offset:544
	ds_read_b128 v[89:92], v84 offset:560
	s_waitcnt vmcnt(18) lgkmcnt(1)
	v_fma_f64 v[85:86], v[117:118], v[85:86], v[93:94]
	;; [unrolled: 18-line block ×3, first 2 shown]
	buffer_load_dword v95, off, s[0:3], 0 offset:104
	buffer_load_dword v96, off, s[0:3], 0 offset:108
	s_waitcnt vmcnt(19)
	v_fma_f64 v[85:86], v[101:102], v[87:88], v[85:86]
	s_waitcnt vmcnt(18) lgkmcnt(0)
	v_fma_f64 v[85:86], v[99:100], v[89:90], v[85:86]
	s_waitcnt vmcnt(13)
	v_fma_f64 v[97:98], v[105:106], v[91:92], v[85:86]
	ds_read_b128 v[85:88], v84 offset:608
	ds_read_b128 v[89:92], v84 offset:624
	s_waitcnt vmcnt(12) lgkmcnt(1)
	v_fma_f64 v[85:86], v[113:114], v[85:86], v[97:98]
	s_waitcnt vmcnt(11)
	v_fma_f64 v[85:86], v[111:112], v[87:88], v[85:86]
	s_waitcnt vmcnt(10) lgkmcnt(0)
	v_fma_f64 v[85:86], v[107:108], v[89:90], v[85:86]
	s_waitcnt vmcnt(5)
	v_fma_f64 v[89:90], v[93:94], v[91:92], v[85:86]
	ds_read_b128 v[85:88], v84 offset:640
	ds_read_b64 v[91:92], v84 offset:656
	s_waitcnt vmcnt(4) lgkmcnt(1)
	v_fma_f64 v[85:86], v[117:118], v[85:86], v[89:90]
	s_waitcnt vmcnt(3)
	v_fma_f64 v[85:86], v[115:116], v[87:88], v[85:86]
	s_waitcnt vmcnt(2) lgkmcnt(0)
	v_fma_f64 v[85:86], v[109:110], v[91:92], v[85:86]
	s_waitcnt vmcnt(0)
	v_add_f64 v[85:86], v[95:96], -v[85:86]
	buffer_store_dword v86, off, s[0:3], 0 offset:108
	buffer_store_dword v85, off, s[0:3], 0 offset:104
	s_and_saveexec_b64 s[4:5], vcc
	s_cbranch_execz .LBB104_229
; %bb.228:
	buffer_load_dword v85, off, s[0:3], 0 offset:96
	buffer_load_dword v86, off, s[0:3], 0 offset:100
	s_waitcnt vmcnt(0)
	ds_write_b64 v83, v[85:86]
	buffer_store_dword v84, off, s[0:3], 0 offset:96
	buffer_store_dword v84, off, s[0:3], 0 offset:100
.LBB104_229:
	s_or_b64 exec, exec, s[4:5]
	s_waitcnt lgkmcnt(0)
	; wave barrier
	buffer_load_dword v93, off, s[0:3], 0 offset:104
	buffer_load_dword v94, off, s[0:3], 0 offset:108
	;; [unrolled: 1-line block ×22, first 2 shown]
	ds_read2_b64 v[85:88], v84 offset0:55 offset1:56
	ds_read2_b64 v[89:92], v84 offset0:57 offset1:58
	v_cmp_lt_u32_e32 vcc, 11, v0
	s_waitcnt vmcnt(20) lgkmcnt(1)
	v_fma_f64 v[85:86], v[93:94], v[85:86], 0
	s_waitcnt vmcnt(18)
	v_fma_f64 v[85:86], v[95:96], v[87:88], v[85:86]
	buffer_load_dword v94, off, s[0:3], 0 offset:196
	buffer_load_dword v95, off, s[0:3], 0 offset:216
	;; [unrolled: 1-line block ×7, first 2 shown]
	s_waitcnt vmcnt(23) lgkmcnt(0)
	v_fma_f64 v[85:86], v[97:98], v[89:90], v[85:86]
	s_waitcnt vmcnt(21)
	v_fma_f64 v[96:97], v[99:100], v[91:92], v[85:86]
	ds_read2_b64 v[85:88], v84 offset0:59 offset1:60
	ds_read2_b64 v[89:92], v84 offset0:61 offset1:62
	s_waitcnt vmcnt(19) lgkmcnt(1)
	v_fma_f64 v[85:86], v[101:102], v[85:86], v[96:97]
	buffer_load_dword v96, off, s[0:3], 0 offset:220
	s_waitcnt vmcnt(18)
	v_fma_f64 v[85:86], v[103:104], v[87:88], v[85:86]
	buffer_load_dword v98, off, s[0:3], 0 offset:228
	buffer_load_dword v99, off, s[0:3], 0 offset:248
	buffer_load_dword v101, off, s[0:3], 0 offset:240
	buffer_load_dword v103, off, s[0:3], 0 offset:232
	buffer_load_dword v97, off, s[0:3], 0 offset:224
	buffer_load_dword v104, off, s[0:3], 0 offset:236
	buffer_load_dword v102, off, s[0:3], 0 offset:244
	buffer_load_dword v100, off, s[0:3], 0 offset:252
	s_waitcnt vmcnt(24) lgkmcnt(0)
	v_fma_f64 v[85:86], v[105:106], v[89:90], v[85:86]
	s_waitcnt vmcnt(19)
	v_fma_f64 v[105:106], v[107:108], v[91:92], v[85:86]
	ds_read2_b64 v[85:88], v84 offset0:63 offset1:64
	ds_read2_b64 v[89:92], v84 offset0:65 offset1:66
	s_waitcnt vmcnt(18) lgkmcnt(1)
	v_fma_f64 v[85:86], v[113:114], v[85:86], v[105:106]
	s_waitcnt vmcnt(17)
	v_fma_f64 v[85:86], v[111:112], v[87:88], v[85:86]
	buffer_load_dword v106, off, s[0:3], 0 offset:260
	buffer_load_dword v107, off, s[0:3], 0 offset:280
	buffer_load_dword v111, off, s[0:3], 0 offset:272
	buffer_load_dword v113, off, s[0:3], 0 offset:264
	buffer_load_dword v105, off, s[0:3], 0 offset:256
	buffer_load_dword v114, off, s[0:3], 0 offset:268
	buffer_load_dword v112, off, s[0:3], 0 offset:276
	buffer_load_dword v108, off, s[0:3], 0 offset:284
	s_waitcnt vmcnt(24) lgkmcnt(0)
	v_fma_f64 v[85:86], v[109:110], v[89:90], v[85:86]
	s_waitcnt vmcnt(19)
	v_fma_f64 v[93:94], v[93:94], v[91:92], v[85:86]
	ds_read2_b64 v[85:88], v84 offset0:67 offset1:68
	ds_read2_b64 v[89:92], v84 offset0:69 offset1:70
	s_waitcnt vmcnt(18) lgkmcnt(1)
	v_fma_f64 v[85:86], v[117:118], v[85:86], v[93:94]
	;; [unrolled: 18-line block ×3, first 2 shown]
	buffer_load_dword v96, off, s[0:3], 0 offset:324
	buffer_load_dword v95, off, s[0:3], 0 offset:320
	buffer_load_dword v97, off, s[0:3], 0 offset:96
	buffer_load_dword v98, off, s[0:3], 0 offset:100
	s_waitcnt vmcnt(21)
	v_fma_f64 v[85:86], v[101:102], v[87:88], v[85:86]
	s_waitcnt vmcnt(20) lgkmcnt(0)
	v_fma_f64 v[85:86], v[99:100], v[89:90], v[85:86]
	s_waitcnt vmcnt(15)
	v_fma_f64 v[99:100], v[105:106], v[91:92], v[85:86]
	ds_read2_b64 v[85:88], v84 offset0:75 offset1:76
	ds_read2_b64 v[89:92], v84 offset0:77 offset1:78
	s_waitcnt vmcnt(14) lgkmcnt(1)
	v_fma_f64 v[85:86], v[113:114], v[85:86], v[99:100]
	s_waitcnt vmcnt(13)
	v_fma_f64 v[85:86], v[111:112], v[87:88], v[85:86]
	s_waitcnt vmcnt(12) lgkmcnt(0)
	v_fma_f64 v[85:86], v[107:108], v[89:90], v[85:86]
	s_waitcnt vmcnt(7)
	v_fma_f64 v[93:94], v[93:94], v[91:92], v[85:86]
	ds_read2_b64 v[85:88], v84 offset0:79 offset1:80
	ds_read2_b64 v[89:92], v84 offset0:81 offset1:82
	s_waitcnt vmcnt(6) lgkmcnt(1)
	v_fma_f64 v[84:85], v[117:118], v[85:86], v[93:94]
	s_waitcnt vmcnt(5)
	v_fma_f64 v[84:85], v[115:116], v[87:88], v[84:85]
	s_waitcnt vmcnt(4) lgkmcnt(0)
	v_fma_f64 v[84:85], v[109:110], v[89:90], v[84:85]
	s_waitcnt vmcnt(2)
	v_fma_f64 v[84:85], v[95:96], v[91:92], v[84:85]
	s_waitcnt vmcnt(0)
	v_add_f64 v[84:85], v[97:98], -v[84:85]
	buffer_store_dword v85, off, s[0:3], 0 offset:100
	buffer_store_dword v84, off, s[0:3], 0 offset:96
	s_and_saveexec_b64 s[4:5], vcc
	s_cbranch_execz .LBB104_231
; %bb.230:
	buffer_load_dword v84, off, s[0:3], 0 offset:88
	buffer_load_dword v85, off, s[0:3], 0 offset:92
	v_mov_b32_e32 v86, 0
	buffer_store_dword v86, off, s[0:3], 0 offset:88
	buffer_store_dword v86, off, s[0:3], 0 offset:92
	s_waitcnt vmcnt(2)
	ds_write_b64 v83, v[84:85]
.LBB104_231:
	s_or_b64 exec, exec, s[4:5]
	s_waitcnt lgkmcnt(0)
	; wave barrier
	buffer_load_dword v93, off, s[0:3], 0 offset:96
	buffer_load_dword v94, off, s[0:3], 0 offset:100
	;; [unrolled: 1-line block ×22, first 2 shown]
	v_mov_b32_e32 v84, 0
	ds_read_b128 v[85:88], v84 offset:432
	ds_read_b128 v[89:92], v84 offset:448
	v_cmp_lt_u32_e32 vcc, 10, v0
	s_waitcnt vmcnt(20) lgkmcnt(1)
	v_fma_f64 v[85:86], v[93:94], v[85:86], 0
	s_waitcnt vmcnt(18)
	v_fma_f64 v[85:86], v[95:96], v[87:88], v[85:86]
	buffer_load_dword v94, off, s[0:3], 0 offset:188
	buffer_load_dword v95, off, s[0:3], 0 offset:208
	;; [unrolled: 1-line block ×7, first 2 shown]
	s_waitcnt vmcnt(23) lgkmcnt(0)
	v_fma_f64 v[85:86], v[97:98], v[89:90], v[85:86]
	s_waitcnt vmcnt(21)
	v_fma_f64 v[96:97], v[99:100], v[91:92], v[85:86]
	ds_read_b128 v[85:88], v84 offset:464
	ds_read_b128 v[89:92], v84 offset:480
	s_waitcnt vmcnt(19) lgkmcnt(1)
	v_fma_f64 v[85:86], v[101:102], v[85:86], v[96:97]
	buffer_load_dword v96, off, s[0:3], 0 offset:212
	s_waitcnt vmcnt(18)
	v_fma_f64 v[85:86], v[103:104], v[87:88], v[85:86]
	buffer_load_dword v98, off, s[0:3], 0 offset:220
	buffer_load_dword v99, off, s[0:3], 0 offset:240
	;; [unrolled: 1-line block ×7, first 2 shown]
	s_waitcnt vmcnt(23) lgkmcnt(0)
	v_fma_f64 v[85:86], v[105:106], v[89:90], v[85:86]
	s_waitcnt vmcnt(18)
	v_fma_f64 v[105:106], v[107:108], v[91:92], v[85:86]
	ds_read_b128 v[85:88], v84 offset:496
	ds_read_b128 v[89:92], v84 offset:512
	buffer_load_dword v100, off, s[0:3], 0 offset:244
	s_waitcnt vmcnt(18) lgkmcnt(1)
	v_fma_f64 v[85:86], v[113:114], v[85:86], v[105:106]
	s_waitcnt vmcnt(17)
	v_fma_f64 v[85:86], v[111:112], v[87:88], v[85:86]
	buffer_load_dword v106, off, s[0:3], 0 offset:252
	buffer_load_dword v107, off, s[0:3], 0 offset:272
	;; [unrolled: 1-line block ×8, first 2 shown]
	s_waitcnt vmcnt(24) lgkmcnt(0)
	v_fma_f64 v[85:86], v[109:110], v[89:90], v[85:86]
	s_waitcnt vmcnt(19)
	v_fma_f64 v[93:94], v[93:94], v[91:92], v[85:86]
	ds_read_b128 v[85:88], v84 offset:528
	ds_read_b128 v[89:92], v84 offset:544
	s_waitcnt vmcnt(18) lgkmcnt(1)
	v_fma_f64 v[85:86], v[117:118], v[85:86], v[93:94]
	s_waitcnt vmcnt(17)
	v_fma_f64 v[85:86], v[115:116], v[87:88], v[85:86]
	buffer_load_dword v94, off, s[0:3], 0 offset:284
	buffer_load_dword v109, off, s[0:3], 0 offset:304
	buffer_load_dword v115, off, s[0:3], 0 offset:296
	buffer_load_dword v117, off, s[0:3], 0 offset:288
	buffer_load_dword v93, off, s[0:3], 0 offset:280
	buffer_load_dword v118, off, s[0:3], 0 offset:292
	buffer_load_dword v116, off, s[0:3], 0 offset:300
	s_waitcnt vmcnt(23) lgkmcnt(0)
	v_fma_f64 v[85:86], v[95:96], v[89:90], v[85:86]
	s_waitcnt vmcnt(18)
	v_fma_f64 v[95:96], v[97:98], v[91:92], v[85:86]
	ds_read_b128 v[85:88], v84 offset:560
	ds_read_b128 v[89:92], v84 offset:576
	buffer_load_dword v110, off, s[0:3], 0 offset:308
	s_waitcnt vmcnt(18) lgkmcnt(1)
	v_fma_f64 v[85:86], v[103:104], v[85:86], v[95:96]
	buffer_load_dword v96, off, s[0:3], 0 offset:316
	buffer_load_dword v97, off, s[0:3], 0 offset:320
	;; [unrolled: 1-line block ×4, first 2 shown]
	s_waitcnt vmcnt(21)
	v_fma_f64 v[85:86], v[101:102], v[87:88], v[85:86]
	s_waitcnt vmcnt(20) lgkmcnt(0)
	v_fma_f64 v[85:86], v[99:100], v[89:90], v[85:86]
	buffer_load_dword v99, off, s[0:3], 0 offset:88
	buffer_load_dword v100, off, s[0:3], 0 offset:92
	s_waitcnt vmcnt(17)
	v_fma_f64 v[101:102], v[105:106], v[91:92], v[85:86]
	ds_read_b128 v[85:88], v84 offset:592
	ds_read_b128 v[89:92], v84 offset:608
	s_waitcnt vmcnt(16) lgkmcnt(1)
	v_fma_f64 v[85:86], v[113:114], v[85:86], v[101:102]
	s_waitcnt vmcnt(15)
	v_fma_f64 v[85:86], v[111:112], v[87:88], v[85:86]
	s_waitcnt vmcnt(14) lgkmcnt(0)
	v_fma_f64 v[85:86], v[107:108], v[89:90], v[85:86]
	s_waitcnt vmcnt(9)
	v_fma_f64 v[93:94], v[93:94], v[91:92], v[85:86]
	ds_read_b128 v[85:88], v84 offset:624
	ds_read_b128 v[89:92], v84 offset:640
	s_waitcnt vmcnt(8) lgkmcnt(1)
	v_fma_f64 v[85:86], v[117:118], v[85:86], v[93:94]
	s_waitcnt vmcnt(7)
	v_fma_f64 v[85:86], v[115:116], v[87:88], v[85:86]
	ds_read_b64 v[87:88], v84 offset:656
	s_waitcnt vmcnt(6) lgkmcnt(1)
	v_fma_f64 v[85:86], v[109:110], v[89:90], v[85:86]
	s_waitcnt vmcnt(3)
	v_fma_f64 v[85:86], v[95:96], v[91:92], v[85:86]
	s_waitcnt vmcnt(2) lgkmcnt(0)
	v_fma_f64 v[85:86], v[97:98], v[87:88], v[85:86]
	s_waitcnt vmcnt(0)
	v_add_f64 v[85:86], v[99:100], -v[85:86]
	buffer_store_dword v86, off, s[0:3], 0 offset:92
	buffer_store_dword v85, off, s[0:3], 0 offset:88
	s_and_saveexec_b64 s[4:5], vcc
	s_cbranch_execz .LBB104_233
; %bb.232:
	buffer_load_dword v85, off, s[0:3], 0 offset:80
	buffer_load_dword v86, off, s[0:3], 0 offset:84
	s_waitcnt vmcnt(0)
	ds_write_b64 v83, v[85:86]
	buffer_store_dword v84, off, s[0:3], 0 offset:80
	buffer_store_dword v84, off, s[0:3], 0 offset:84
.LBB104_233:
	s_or_b64 exec, exec, s[4:5]
	s_waitcnt lgkmcnt(0)
	; wave barrier
	buffer_load_dword v93, off, s[0:3], 0 offset:88
	buffer_load_dword v94, off, s[0:3], 0 offset:92
	;; [unrolled: 1-line block ×22, first 2 shown]
	ds_read2_b64 v[85:88], v84 offset0:53 offset1:54
	ds_read2_b64 v[89:92], v84 offset0:55 offset1:56
	v_cmp_lt_u32_e32 vcc, 9, v0
	s_waitcnt vmcnt(20) lgkmcnt(1)
	v_fma_f64 v[85:86], v[93:94], v[85:86], 0
	s_waitcnt vmcnt(18)
	v_fma_f64 v[85:86], v[95:96], v[87:88], v[85:86]
	buffer_load_dword v94, off, s[0:3], 0 offset:180
	buffer_load_dword v95, off, s[0:3], 0 offset:200
	;; [unrolled: 1-line block ×7, first 2 shown]
	s_waitcnt vmcnt(23) lgkmcnt(0)
	v_fma_f64 v[85:86], v[97:98], v[89:90], v[85:86]
	s_waitcnt vmcnt(21)
	v_fma_f64 v[96:97], v[99:100], v[91:92], v[85:86]
	ds_read2_b64 v[85:88], v84 offset0:57 offset1:58
	ds_read2_b64 v[89:92], v84 offset0:59 offset1:60
	s_waitcnt vmcnt(19) lgkmcnt(1)
	v_fma_f64 v[85:86], v[101:102], v[85:86], v[96:97]
	buffer_load_dword v96, off, s[0:3], 0 offset:204
	s_waitcnt vmcnt(18)
	v_fma_f64 v[85:86], v[103:104], v[87:88], v[85:86]
	buffer_load_dword v98, off, s[0:3], 0 offset:212
	buffer_load_dword v99, off, s[0:3], 0 offset:232
	;; [unrolled: 1-line block ×7, first 2 shown]
	s_waitcnt vmcnt(23) lgkmcnt(0)
	v_fma_f64 v[85:86], v[105:106], v[89:90], v[85:86]
	s_waitcnt vmcnt(18)
	v_fma_f64 v[105:106], v[107:108], v[91:92], v[85:86]
	ds_read2_b64 v[85:88], v84 offset0:61 offset1:62
	ds_read2_b64 v[89:92], v84 offset0:63 offset1:64
	buffer_load_dword v100, off, s[0:3], 0 offset:236
	s_waitcnt vmcnt(18) lgkmcnt(1)
	v_fma_f64 v[85:86], v[113:114], v[85:86], v[105:106]
	s_waitcnt vmcnt(17)
	v_fma_f64 v[85:86], v[111:112], v[87:88], v[85:86]
	buffer_load_dword v106, off, s[0:3], 0 offset:244
	buffer_load_dword v107, off, s[0:3], 0 offset:264
	;; [unrolled: 1-line block ×8, first 2 shown]
	s_waitcnt vmcnt(24) lgkmcnt(0)
	v_fma_f64 v[85:86], v[109:110], v[89:90], v[85:86]
	s_waitcnt vmcnt(19)
	v_fma_f64 v[93:94], v[93:94], v[91:92], v[85:86]
	ds_read2_b64 v[85:88], v84 offset0:65 offset1:66
	ds_read2_b64 v[89:92], v84 offset0:67 offset1:68
	s_waitcnt vmcnt(18) lgkmcnt(1)
	v_fma_f64 v[85:86], v[117:118], v[85:86], v[93:94]
	s_waitcnt vmcnt(17)
	v_fma_f64 v[85:86], v[115:116], v[87:88], v[85:86]
	buffer_load_dword v94, off, s[0:3], 0 offset:276
	buffer_load_dword v109, off, s[0:3], 0 offset:296
	buffer_load_dword v115, off, s[0:3], 0 offset:288
	buffer_load_dword v117, off, s[0:3], 0 offset:280
	buffer_load_dword v93, off, s[0:3], 0 offset:272
	buffer_load_dword v118, off, s[0:3], 0 offset:284
	buffer_load_dword v116, off, s[0:3], 0 offset:292
	buffer_load_dword v110, off, s[0:3], 0 offset:300
	s_waitcnt vmcnt(24) lgkmcnt(0)
	v_fma_f64 v[85:86], v[95:96], v[89:90], v[85:86]
	s_waitcnt vmcnt(19)
	v_fma_f64 v[95:96], v[97:98], v[91:92], v[85:86]
	ds_read2_b64 v[85:88], v84 offset0:69 offset1:70
	ds_read2_b64 v[89:92], v84 offset0:71 offset1:72
	s_waitcnt vmcnt(18) lgkmcnt(1)
	v_fma_f64 v[85:86], v[103:104], v[85:86], v[95:96]
	s_waitcnt vmcnt(17)
	v_fma_f64 v[85:86], v[101:102], v[87:88], v[85:86]
	buffer_load_dword v96, off, s[0:3], 0 offset:308
	buffer_load_dword v97, off, s[0:3], 0 offset:320
	;; [unrolled: 1-line block ×6, first 2 shown]
	s_waitcnt vmcnt(22) lgkmcnt(0)
	v_fma_f64 v[85:86], v[99:100], v[89:90], v[85:86]
	s_waitcnt vmcnt(17)
	v_fma_f64 v[99:100], v[105:106], v[91:92], v[85:86]
	ds_read2_b64 v[85:88], v84 offset0:73 offset1:74
	buffer_load_dword v103, off, s[0:3], 0 offset:80
	buffer_load_dword v104, off, s[0:3], 0 offset:84
	ds_read2_b64 v[89:92], v84 offset0:75 offset1:76
	s_waitcnt vmcnt(18) lgkmcnt(1)
	v_fma_f64 v[85:86], v[113:114], v[85:86], v[99:100]
	s_waitcnt vmcnt(17)
	v_fma_f64 v[85:86], v[111:112], v[87:88], v[85:86]
	s_waitcnt vmcnt(16) lgkmcnt(0)
	v_fma_f64 v[85:86], v[107:108], v[89:90], v[85:86]
	s_waitcnt vmcnt(11)
	v_fma_f64 v[93:94], v[93:94], v[91:92], v[85:86]
	ds_read2_b64 v[85:88], v84 offset0:77 offset1:78
	ds_read2_b64 v[89:92], v84 offset0:79 offset1:80
	s_waitcnt vmcnt(10) lgkmcnt(1)
	v_fma_f64 v[85:86], v[117:118], v[85:86], v[93:94]
	s_waitcnt vmcnt(9)
	v_fma_f64 v[85:86], v[115:116], v[87:88], v[85:86]
	s_waitcnt vmcnt(8) lgkmcnt(0)
	v_fma_f64 v[85:86], v[109:110], v[89:90], v[85:86]
	s_waitcnt vmcnt(4)
	v_fma_f64 v[88:89], v[95:96], v[91:92], v[85:86]
	ds_read2_b64 v[84:87], v84 offset0:81 offset1:82
	s_waitcnt vmcnt(3) lgkmcnt(0)
	v_fma_f64 v[84:85], v[101:102], v[84:85], v[88:89]
	s_waitcnt vmcnt(2)
	v_fma_f64 v[84:85], v[97:98], v[86:87], v[84:85]
	s_waitcnt vmcnt(0)
	v_add_f64 v[84:85], v[103:104], -v[84:85]
	buffer_store_dword v85, off, s[0:3], 0 offset:84
	buffer_store_dword v84, off, s[0:3], 0 offset:80
	s_and_saveexec_b64 s[4:5], vcc
	s_cbranch_execz .LBB104_235
; %bb.234:
	buffer_load_dword v84, off, s[0:3], 0 offset:72
	buffer_load_dword v85, off, s[0:3], 0 offset:76
	v_mov_b32_e32 v86, 0
	buffer_store_dword v86, off, s[0:3], 0 offset:72
	buffer_store_dword v86, off, s[0:3], 0 offset:76
	s_waitcnt vmcnt(2)
	ds_write_b64 v83, v[84:85]
.LBB104_235:
	s_or_b64 exec, exec, s[4:5]
	s_waitcnt lgkmcnt(0)
	; wave barrier
	buffer_load_dword v93, off, s[0:3], 0 offset:80
	buffer_load_dword v94, off, s[0:3], 0 offset:84
	;; [unrolled: 1-line block ×22, first 2 shown]
	v_mov_b32_e32 v84, 0
	ds_read_b128 v[85:88], v84 offset:416
	ds_read_b128 v[89:92], v84 offset:432
	v_cmp_lt_u32_e32 vcc, 8, v0
	s_waitcnt vmcnt(20) lgkmcnt(1)
	v_fma_f64 v[85:86], v[93:94], v[85:86], 0
	s_waitcnt vmcnt(18)
	v_fma_f64 v[85:86], v[95:96], v[87:88], v[85:86]
	buffer_load_dword v94, off, s[0:3], 0 offset:172
	buffer_load_dword v95, off, s[0:3], 0 offset:192
	;; [unrolled: 1-line block ×7, first 2 shown]
	s_waitcnt vmcnt(23) lgkmcnt(0)
	v_fma_f64 v[85:86], v[97:98], v[89:90], v[85:86]
	s_waitcnt vmcnt(21)
	v_fma_f64 v[96:97], v[99:100], v[91:92], v[85:86]
	ds_read_b128 v[85:88], v84 offset:448
	ds_read_b128 v[89:92], v84 offset:464
	s_waitcnt vmcnt(19) lgkmcnt(1)
	v_fma_f64 v[85:86], v[101:102], v[85:86], v[96:97]
	buffer_load_dword v96, off, s[0:3], 0 offset:196
	s_waitcnt vmcnt(18)
	v_fma_f64 v[85:86], v[103:104], v[87:88], v[85:86]
	buffer_load_dword v98, off, s[0:3], 0 offset:204
	buffer_load_dword v99, off, s[0:3], 0 offset:224
	;; [unrolled: 1-line block ×7, first 2 shown]
	s_waitcnt vmcnt(23) lgkmcnt(0)
	v_fma_f64 v[85:86], v[105:106], v[89:90], v[85:86]
	s_waitcnt vmcnt(18)
	v_fma_f64 v[105:106], v[107:108], v[91:92], v[85:86]
	ds_read_b128 v[85:88], v84 offset:480
	ds_read_b128 v[89:92], v84 offset:496
	buffer_load_dword v100, off, s[0:3], 0 offset:228
	s_waitcnt vmcnt(18) lgkmcnt(1)
	v_fma_f64 v[85:86], v[113:114], v[85:86], v[105:106]
	s_waitcnt vmcnt(17)
	v_fma_f64 v[85:86], v[111:112], v[87:88], v[85:86]
	buffer_load_dword v106, off, s[0:3], 0 offset:236
	buffer_load_dword v107, off, s[0:3], 0 offset:256
	buffer_load_dword v111, off, s[0:3], 0 offset:248
	buffer_load_dword v113, off, s[0:3], 0 offset:240
	buffer_load_dword v105, off, s[0:3], 0 offset:232
	buffer_load_dword v114, off, s[0:3], 0 offset:244
	buffer_load_dword v112, off, s[0:3], 0 offset:252
	buffer_load_dword v108, off, s[0:3], 0 offset:260
	s_waitcnt vmcnt(24) lgkmcnt(0)
	v_fma_f64 v[85:86], v[109:110], v[89:90], v[85:86]
	s_waitcnt vmcnt(19)
	v_fma_f64 v[93:94], v[93:94], v[91:92], v[85:86]
	ds_read_b128 v[85:88], v84 offset:512
	ds_read_b128 v[89:92], v84 offset:528
	s_waitcnt vmcnt(18) lgkmcnt(1)
	v_fma_f64 v[85:86], v[117:118], v[85:86], v[93:94]
	s_waitcnt vmcnt(17)
	v_fma_f64 v[85:86], v[115:116], v[87:88], v[85:86]
	buffer_load_dword v94, off, s[0:3], 0 offset:268
	buffer_load_dword v109, off, s[0:3], 0 offset:288
	buffer_load_dword v115, off, s[0:3], 0 offset:280
	buffer_load_dword v117, off, s[0:3], 0 offset:272
	buffer_load_dword v93, off, s[0:3], 0 offset:264
	buffer_load_dword v118, off, s[0:3], 0 offset:276
	buffer_load_dword v116, off, s[0:3], 0 offset:284
	buffer_load_dword v110, off, s[0:3], 0 offset:292
	s_waitcnt vmcnt(24) lgkmcnt(0)
	v_fma_f64 v[85:86], v[95:96], v[89:90], v[85:86]
	s_waitcnt vmcnt(19)
	v_fma_f64 v[95:96], v[97:98], v[91:92], v[85:86]
	ds_read_b128 v[85:88], v84 offset:544
	ds_read_b128 v[89:92], v84 offset:560
	;; [unrolled: 18-line block ×3, first 2 shown]
	s_waitcnt vmcnt(18) lgkmcnt(1)
	v_fma_f64 v[85:86], v[113:114], v[85:86], v[99:100]
	buffer_load_dword v99, off, s[0:3], 0 offset:72
	buffer_load_dword v100, off, s[0:3], 0 offset:76
	s_waitcnt vmcnt(19)
	v_fma_f64 v[85:86], v[111:112], v[87:88], v[85:86]
	s_waitcnt vmcnt(18) lgkmcnt(0)
	v_fma_f64 v[85:86], v[107:108], v[89:90], v[85:86]
	s_waitcnt vmcnt(13)
	v_fma_f64 v[93:94], v[93:94], v[91:92], v[85:86]
	ds_read_b128 v[85:88], v84 offset:608
	ds_read_b128 v[89:92], v84 offset:624
	s_waitcnt vmcnt(12) lgkmcnt(1)
	v_fma_f64 v[85:86], v[117:118], v[85:86], v[93:94]
	s_waitcnt vmcnt(11)
	v_fma_f64 v[85:86], v[115:116], v[87:88], v[85:86]
	s_waitcnt vmcnt(10) lgkmcnt(0)
	v_fma_f64 v[85:86], v[109:110], v[89:90], v[85:86]
	s_waitcnt vmcnt(5)
	v_fma_f64 v[89:90], v[95:96], v[91:92], v[85:86]
	ds_read_b128 v[85:88], v84 offset:640
	ds_read_b64 v[91:92], v84 offset:656
	s_waitcnt vmcnt(4) lgkmcnt(1)
	v_fma_f64 v[85:86], v[103:104], v[85:86], v[89:90]
	s_waitcnt vmcnt(3)
	v_fma_f64 v[85:86], v[101:102], v[87:88], v[85:86]
	s_waitcnt vmcnt(2) lgkmcnt(0)
	v_fma_f64 v[85:86], v[97:98], v[91:92], v[85:86]
	s_waitcnt vmcnt(0)
	v_add_f64 v[85:86], v[99:100], -v[85:86]
	buffer_store_dword v86, off, s[0:3], 0 offset:76
	buffer_store_dword v85, off, s[0:3], 0 offset:72
	s_and_saveexec_b64 s[4:5], vcc
	s_cbranch_execz .LBB104_237
; %bb.236:
	buffer_load_dword v85, off, s[0:3], 0 offset:64
	buffer_load_dword v86, off, s[0:3], 0 offset:68
	s_waitcnt vmcnt(0)
	ds_write_b64 v83, v[85:86]
	buffer_store_dword v84, off, s[0:3], 0 offset:64
	buffer_store_dword v84, off, s[0:3], 0 offset:68
.LBB104_237:
	s_or_b64 exec, exec, s[4:5]
	s_waitcnt lgkmcnt(0)
	; wave barrier
	buffer_load_dword v93, off, s[0:3], 0 offset:72
	buffer_load_dword v94, off, s[0:3], 0 offset:76
	;; [unrolled: 1-line block ×22, first 2 shown]
	ds_read2_b64 v[85:88], v84 offset0:51 offset1:52
	ds_read2_b64 v[89:92], v84 offset0:53 offset1:54
	v_cmp_lt_u32_e32 vcc, 7, v0
	s_waitcnt vmcnt(20) lgkmcnt(1)
	v_fma_f64 v[85:86], v[93:94], v[85:86], 0
	s_waitcnt vmcnt(18)
	v_fma_f64 v[85:86], v[95:96], v[87:88], v[85:86]
	buffer_load_dword v94, off, s[0:3], 0 offset:164
	buffer_load_dword v95, off, s[0:3], 0 offset:184
	;; [unrolled: 1-line block ×7, first 2 shown]
	s_waitcnt vmcnt(23) lgkmcnt(0)
	v_fma_f64 v[85:86], v[97:98], v[89:90], v[85:86]
	s_waitcnt vmcnt(21)
	v_fma_f64 v[96:97], v[99:100], v[91:92], v[85:86]
	ds_read2_b64 v[85:88], v84 offset0:55 offset1:56
	ds_read2_b64 v[89:92], v84 offset0:57 offset1:58
	s_waitcnt vmcnt(19) lgkmcnt(1)
	v_fma_f64 v[85:86], v[101:102], v[85:86], v[96:97]
	buffer_load_dword v96, off, s[0:3], 0 offset:188
	s_waitcnt vmcnt(18)
	v_fma_f64 v[85:86], v[103:104], v[87:88], v[85:86]
	buffer_load_dword v98, off, s[0:3], 0 offset:196
	buffer_load_dword v99, off, s[0:3], 0 offset:216
	;; [unrolled: 1-line block ×7, first 2 shown]
	s_waitcnt vmcnt(23) lgkmcnt(0)
	v_fma_f64 v[85:86], v[105:106], v[89:90], v[85:86]
	s_waitcnt vmcnt(18)
	v_fma_f64 v[105:106], v[107:108], v[91:92], v[85:86]
	ds_read2_b64 v[85:88], v84 offset0:59 offset1:60
	ds_read2_b64 v[89:92], v84 offset0:61 offset1:62
	buffer_load_dword v100, off, s[0:3], 0 offset:220
	s_waitcnt vmcnt(18) lgkmcnt(1)
	v_fma_f64 v[85:86], v[113:114], v[85:86], v[105:106]
	s_waitcnt vmcnt(17)
	v_fma_f64 v[85:86], v[111:112], v[87:88], v[85:86]
	buffer_load_dword v106, off, s[0:3], 0 offset:228
	buffer_load_dword v107, off, s[0:3], 0 offset:248
	buffer_load_dword v111, off, s[0:3], 0 offset:240
	buffer_load_dword v113, off, s[0:3], 0 offset:232
	buffer_load_dword v105, off, s[0:3], 0 offset:224
	buffer_load_dword v114, off, s[0:3], 0 offset:236
	buffer_load_dword v112, off, s[0:3], 0 offset:244
	buffer_load_dword v108, off, s[0:3], 0 offset:252
	s_waitcnt vmcnt(24) lgkmcnt(0)
	v_fma_f64 v[85:86], v[109:110], v[89:90], v[85:86]
	s_waitcnt vmcnt(19)
	v_fma_f64 v[93:94], v[93:94], v[91:92], v[85:86]
	ds_read2_b64 v[85:88], v84 offset0:63 offset1:64
	ds_read2_b64 v[89:92], v84 offset0:65 offset1:66
	s_waitcnt vmcnt(18) lgkmcnt(1)
	v_fma_f64 v[85:86], v[117:118], v[85:86], v[93:94]
	s_waitcnt vmcnt(17)
	v_fma_f64 v[85:86], v[115:116], v[87:88], v[85:86]
	buffer_load_dword v94, off, s[0:3], 0 offset:260
	buffer_load_dword v109, off, s[0:3], 0 offset:280
	buffer_load_dword v115, off, s[0:3], 0 offset:272
	buffer_load_dword v117, off, s[0:3], 0 offset:264
	buffer_load_dword v93, off, s[0:3], 0 offset:256
	buffer_load_dword v118, off, s[0:3], 0 offset:268
	buffer_load_dword v116, off, s[0:3], 0 offset:276
	buffer_load_dword v110, off, s[0:3], 0 offset:284
	s_waitcnt vmcnt(24) lgkmcnt(0)
	v_fma_f64 v[85:86], v[95:96], v[89:90], v[85:86]
	s_waitcnt vmcnt(19)
	v_fma_f64 v[95:96], v[97:98], v[91:92], v[85:86]
	ds_read2_b64 v[85:88], v84 offset0:67 offset1:68
	ds_read2_b64 v[89:92], v84 offset0:69 offset1:70
	;; [unrolled: 18-line block ×3, first 2 shown]
	s_waitcnt vmcnt(18) lgkmcnt(1)
	v_fma_f64 v[85:86], v[113:114], v[85:86], v[99:100]
	buffer_load_dword v100, off, s[0:3], 0 offset:324
	buffer_load_dword v99, off, s[0:3], 0 offset:320
	;; [unrolled: 1-line block ×4, first 2 shown]
	s_waitcnt vmcnt(21)
	v_fma_f64 v[85:86], v[111:112], v[87:88], v[85:86]
	s_waitcnt vmcnt(20) lgkmcnt(0)
	v_fma_f64 v[85:86], v[107:108], v[89:90], v[85:86]
	s_waitcnt vmcnt(15)
	v_fma_f64 v[93:94], v[93:94], v[91:92], v[85:86]
	ds_read2_b64 v[85:88], v84 offset0:75 offset1:76
	ds_read2_b64 v[89:92], v84 offset0:77 offset1:78
	s_waitcnt vmcnt(14) lgkmcnt(1)
	v_fma_f64 v[85:86], v[117:118], v[85:86], v[93:94]
	s_waitcnt vmcnt(13)
	v_fma_f64 v[85:86], v[115:116], v[87:88], v[85:86]
	s_waitcnt vmcnt(12) lgkmcnt(0)
	v_fma_f64 v[85:86], v[109:110], v[89:90], v[85:86]
	s_waitcnt vmcnt(7)
	v_fma_f64 v[93:94], v[95:96], v[91:92], v[85:86]
	ds_read2_b64 v[85:88], v84 offset0:79 offset1:80
	ds_read2_b64 v[89:92], v84 offset0:81 offset1:82
	s_waitcnt vmcnt(6) lgkmcnt(1)
	v_fma_f64 v[84:85], v[103:104], v[85:86], v[93:94]
	s_waitcnt vmcnt(5)
	v_fma_f64 v[84:85], v[101:102], v[87:88], v[84:85]
	s_waitcnt vmcnt(4) lgkmcnt(0)
	v_fma_f64 v[84:85], v[97:98], v[89:90], v[84:85]
	s_waitcnt vmcnt(2)
	v_fma_f64 v[84:85], v[99:100], v[91:92], v[84:85]
	s_waitcnt vmcnt(0)
	v_add_f64 v[84:85], v[105:106], -v[84:85]
	buffer_store_dword v85, off, s[0:3], 0 offset:68
	buffer_store_dword v84, off, s[0:3], 0 offset:64
	s_and_saveexec_b64 s[4:5], vcc
	s_cbranch_execz .LBB104_239
; %bb.238:
	buffer_load_dword v84, off, s[0:3], 0 offset:56
	buffer_load_dword v85, off, s[0:3], 0 offset:60
	v_mov_b32_e32 v86, 0
	buffer_store_dword v86, off, s[0:3], 0 offset:56
	buffer_store_dword v86, off, s[0:3], 0 offset:60
	s_waitcnt vmcnt(2)
	ds_write_b64 v83, v[84:85]
.LBB104_239:
	s_or_b64 exec, exec, s[4:5]
	s_waitcnt lgkmcnt(0)
	; wave barrier
	buffer_load_dword v93, off, s[0:3], 0 offset:64
	buffer_load_dword v94, off, s[0:3], 0 offset:68
	;; [unrolled: 1-line block ×21, first 2 shown]
	v_mov_b32_e32 v84, 0
	ds_read_b128 v[85:88], v84 offset:400
	ds_read_b128 v[89:92], v84 offset:416
	buffer_load_dword v110, off, s[0:3], 0 offset:148
	v_cmp_lt_u32_e32 vcc, 6, v0
	s_waitcnt vmcnt(20) lgkmcnt(1)
	v_fma_f64 v[85:86], v[93:94], v[85:86], 0
	s_waitcnt vmcnt(18)
	v_fma_f64 v[85:86], v[95:96], v[87:88], v[85:86]
	buffer_load_dword v94, off, s[0:3], 0 offset:156
	buffer_load_dword v95, off, s[0:3], 0 offset:176
	;; [unrolled: 1-line block ×7, first 2 shown]
	s_waitcnt vmcnt(23) lgkmcnt(0)
	v_fma_f64 v[85:86], v[97:98], v[89:90], v[85:86]
	s_waitcnt vmcnt(21)
	v_fma_f64 v[96:97], v[99:100], v[91:92], v[85:86]
	ds_read_b128 v[85:88], v84 offset:432
	ds_read_b128 v[89:92], v84 offset:448
	s_waitcnt vmcnt(19) lgkmcnt(1)
	v_fma_f64 v[85:86], v[101:102], v[85:86], v[96:97]
	buffer_load_dword v96, off, s[0:3], 0 offset:180
	s_waitcnt vmcnt(18)
	v_fma_f64 v[85:86], v[103:104], v[87:88], v[85:86]
	buffer_load_dword v98, off, s[0:3], 0 offset:188
	buffer_load_dword v99, off, s[0:3], 0 offset:208
	;; [unrolled: 1-line block ×7, first 2 shown]
	s_waitcnt vmcnt(23) lgkmcnt(0)
	v_fma_f64 v[85:86], v[105:106], v[89:90], v[85:86]
	s_waitcnt vmcnt(18)
	v_fma_f64 v[105:106], v[107:108], v[91:92], v[85:86]
	ds_read_b128 v[85:88], v84 offset:464
	ds_read_b128 v[89:92], v84 offset:480
	buffer_load_dword v100, off, s[0:3], 0 offset:212
	s_waitcnt vmcnt(18) lgkmcnt(1)
	v_fma_f64 v[85:86], v[113:114], v[85:86], v[105:106]
	s_waitcnt vmcnt(17)
	v_fma_f64 v[85:86], v[111:112], v[87:88], v[85:86]
	buffer_load_dword v106, off, s[0:3], 0 offset:220
	buffer_load_dword v107, off, s[0:3], 0 offset:240
	;; [unrolled: 1-line block ×7, first 2 shown]
	s_waitcnt vmcnt(23) lgkmcnt(0)
	v_fma_f64 v[85:86], v[109:110], v[89:90], v[85:86]
	s_waitcnt vmcnt(18)
	v_fma_f64 v[93:94], v[93:94], v[91:92], v[85:86]
	ds_read_b128 v[85:88], v84 offset:496
	ds_read_b128 v[89:92], v84 offset:512
	buffer_load_dword v108, off, s[0:3], 0 offset:244
	s_waitcnt vmcnt(18) lgkmcnt(1)
	v_fma_f64 v[85:86], v[117:118], v[85:86], v[93:94]
	s_waitcnt vmcnt(17)
	v_fma_f64 v[85:86], v[115:116], v[87:88], v[85:86]
	buffer_load_dword v94, off, s[0:3], 0 offset:252
	buffer_load_dword v109, off, s[0:3], 0 offset:272
	;; [unrolled: 1-line block ×8, first 2 shown]
	s_waitcnt vmcnt(24) lgkmcnt(0)
	v_fma_f64 v[85:86], v[95:96], v[89:90], v[85:86]
	s_waitcnt vmcnt(19)
	v_fma_f64 v[95:96], v[97:98], v[91:92], v[85:86]
	ds_read_b128 v[85:88], v84 offset:528
	ds_read_b128 v[89:92], v84 offset:544
	s_waitcnt vmcnt(18) lgkmcnt(1)
	v_fma_f64 v[85:86], v[103:104], v[85:86], v[95:96]
	s_waitcnt vmcnt(17)
	v_fma_f64 v[85:86], v[101:102], v[87:88], v[85:86]
	buffer_load_dword v96, off, s[0:3], 0 offset:284
	buffer_load_dword v97, off, s[0:3], 0 offset:304
	;; [unrolled: 1-line block ×7, first 2 shown]
	s_waitcnt vmcnt(23) lgkmcnt(0)
	v_fma_f64 v[85:86], v[99:100], v[89:90], v[85:86]
	s_waitcnt vmcnt(18)
	v_fma_f64 v[98:99], v[105:106], v[91:92], v[85:86]
	ds_read_b128 v[85:88], v84 offset:560
	ds_read_b128 v[89:92], v84 offset:576
	s_waitcnt vmcnt(17) lgkmcnt(1)
	v_fma_f64 v[85:86], v[113:114], v[85:86], v[98:99]
	buffer_load_dword v98, off, s[0:3], 0 offset:308
	buffer_load_dword v100, off, s[0:3], 0 offset:316
	;; [unrolled: 1-line block ×5, first 2 shown]
	s_waitcnt vmcnt(21)
	v_fma_f64 v[85:86], v[111:112], v[87:88], v[85:86]
	s_waitcnt vmcnt(20) lgkmcnt(0)
	v_fma_f64 v[85:86], v[107:108], v[89:90], v[85:86]
	buffer_load_dword v107, off, s[0:3], 0 offset:56
	buffer_load_dword v108, off, s[0:3], 0 offset:60
	s_waitcnt vmcnt(17)
	v_fma_f64 v[93:94], v[93:94], v[91:92], v[85:86]
	ds_read_b128 v[85:88], v84 offset:592
	ds_read_b128 v[89:92], v84 offset:608
	s_waitcnt vmcnt(16) lgkmcnt(1)
	v_fma_f64 v[85:86], v[117:118], v[85:86], v[93:94]
	s_waitcnt vmcnt(15)
	v_fma_f64 v[85:86], v[115:116], v[87:88], v[85:86]
	s_waitcnt vmcnt(14) lgkmcnt(0)
	v_fma_f64 v[85:86], v[109:110], v[89:90], v[85:86]
	s_waitcnt vmcnt(9)
	v_fma_f64 v[93:94], v[95:96], v[91:92], v[85:86]
	ds_read_b128 v[85:88], v84 offset:624
	ds_read_b128 v[89:92], v84 offset:640
	s_waitcnt vmcnt(8) lgkmcnt(1)
	v_fma_f64 v[85:86], v[103:104], v[85:86], v[93:94]
	s_waitcnt vmcnt(7)
	v_fma_f64 v[85:86], v[101:102], v[87:88], v[85:86]
	ds_read_b64 v[87:88], v84 offset:656
	s_waitcnt vmcnt(6) lgkmcnt(1)
	v_fma_f64 v[85:86], v[97:98], v[89:90], v[85:86]
	s_waitcnt vmcnt(3)
	v_fma_f64 v[85:86], v[99:100], v[91:92], v[85:86]
	s_waitcnt vmcnt(2) lgkmcnt(0)
	v_fma_f64 v[85:86], v[105:106], v[87:88], v[85:86]
	s_waitcnt vmcnt(0)
	v_add_f64 v[85:86], v[107:108], -v[85:86]
	buffer_store_dword v86, off, s[0:3], 0 offset:60
	buffer_store_dword v85, off, s[0:3], 0 offset:56
	s_and_saveexec_b64 s[4:5], vcc
	s_cbranch_execz .LBB104_241
; %bb.240:
	buffer_load_dword v85, off, s[0:3], 0 offset:48
	buffer_load_dword v86, off, s[0:3], 0 offset:52
	s_waitcnt vmcnt(0)
	ds_write_b64 v83, v[85:86]
	buffer_store_dword v84, off, s[0:3], 0 offset:48
	buffer_store_dword v84, off, s[0:3], 0 offset:52
.LBB104_241:
	s_or_b64 exec, exec, s[4:5]
	s_waitcnt lgkmcnt(0)
	; wave barrier
	buffer_load_dword v93, off, s[0:3], 0 offset:56
	buffer_load_dword v94, off, s[0:3], 0 offset:60
	;; [unrolled: 1-line block ×21, first 2 shown]
	ds_read2_b64 v[85:88], v84 offset0:49 offset1:50
	ds_read2_b64 v[89:92], v84 offset0:51 offset1:52
	buffer_load_dword v110, off, s[0:3], 0 offset:140
	v_cmp_lt_u32_e32 vcc, 5, v0
	s_waitcnt vmcnt(20) lgkmcnt(1)
	v_fma_f64 v[85:86], v[93:94], v[85:86], 0
	s_waitcnt vmcnt(18)
	v_fma_f64 v[85:86], v[95:96], v[87:88], v[85:86]
	buffer_load_dword v94, off, s[0:3], 0 offset:148
	buffer_load_dword v95, off, s[0:3], 0 offset:168
	;; [unrolled: 1-line block ×7, first 2 shown]
	s_waitcnt vmcnt(23) lgkmcnt(0)
	v_fma_f64 v[85:86], v[97:98], v[89:90], v[85:86]
	s_waitcnt vmcnt(21)
	v_fma_f64 v[96:97], v[99:100], v[91:92], v[85:86]
	ds_read2_b64 v[85:88], v84 offset0:53 offset1:54
	ds_read2_b64 v[89:92], v84 offset0:55 offset1:56
	s_waitcnt vmcnt(19) lgkmcnt(1)
	v_fma_f64 v[85:86], v[101:102], v[85:86], v[96:97]
	buffer_load_dword v96, off, s[0:3], 0 offset:172
	s_waitcnt vmcnt(18)
	v_fma_f64 v[85:86], v[103:104], v[87:88], v[85:86]
	buffer_load_dword v98, off, s[0:3], 0 offset:180
	buffer_load_dword v99, off, s[0:3], 0 offset:200
	buffer_load_dword v101, off, s[0:3], 0 offset:192
	buffer_load_dword v103, off, s[0:3], 0 offset:184
	buffer_load_dword v97, off, s[0:3], 0 offset:176
	buffer_load_dword v104, off, s[0:3], 0 offset:188
	buffer_load_dword v102, off, s[0:3], 0 offset:196
	buffer_load_dword v100, off, s[0:3], 0 offset:204
	s_waitcnt vmcnt(24) lgkmcnt(0)
	v_fma_f64 v[85:86], v[105:106], v[89:90], v[85:86]
	s_waitcnt vmcnt(19)
	v_fma_f64 v[105:106], v[107:108], v[91:92], v[85:86]
	ds_read2_b64 v[85:88], v84 offset0:57 offset1:58
	ds_read2_b64 v[89:92], v84 offset0:59 offset1:60
	s_waitcnt vmcnt(18) lgkmcnt(1)
	v_fma_f64 v[85:86], v[113:114], v[85:86], v[105:106]
	s_waitcnt vmcnt(17)
	v_fma_f64 v[85:86], v[111:112], v[87:88], v[85:86]
	buffer_load_dword v106, off, s[0:3], 0 offset:212
	buffer_load_dword v107, off, s[0:3], 0 offset:232
	;; [unrolled: 1-line block ×7, first 2 shown]
	s_waitcnt vmcnt(23) lgkmcnt(0)
	v_fma_f64 v[85:86], v[109:110], v[89:90], v[85:86]
	s_waitcnt vmcnt(18)
	v_fma_f64 v[93:94], v[93:94], v[91:92], v[85:86]
	ds_read2_b64 v[85:88], v84 offset0:61 offset1:62
	ds_read2_b64 v[89:92], v84 offset0:63 offset1:64
	buffer_load_dword v108, off, s[0:3], 0 offset:236
	s_waitcnt vmcnt(18) lgkmcnt(1)
	v_fma_f64 v[85:86], v[117:118], v[85:86], v[93:94]
	s_waitcnt vmcnt(17)
	v_fma_f64 v[85:86], v[115:116], v[87:88], v[85:86]
	buffer_load_dword v94, off, s[0:3], 0 offset:244
	buffer_load_dword v109, off, s[0:3], 0 offset:264
	;; [unrolled: 1-line block ×8, first 2 shown]
	s_waitcnt vmcnt(24) lgkmcnt(0)
	v_fma_f64 v[85:86], v[95:96], v[89:90], v[85:86]
	s_waitcnt vmcnt(19)
	v_fma_f64 v[95:96], v[97:98], v[91:92], v[85:86]
	ds_read2_b64 v[85:88], v84 offset0:65 offset1:66
	ds_read2_b64 v[89:92], v84 offset0:67 offset1:68
	s_waitcnt vmcnt(18) lgkmcnt(1)
	v_fma_f64 v[85:86], v[103:104], v[85:86], v[95:96]
	s_waitcnt vmcnt(17)
	v_fma_f64 v[85:86], v[101:102], v[87:88], v[85:86]
	buffer_load_dword v96, off, s[0:3], 0 offset:276
	buffer_load_dword v97, off, s[0:3], 0 offset:296
	;; [unrolled: 1-line block ×7, first 2 shown]
	s_waitcnt vmcnt(23) lgkmcnt(0)
	v_fma_f64 v[85:86], v[99:100], v[89:90], v[85:86]
	s_waitcnt vmcnt(18)
	v_fma_f64 v[98:99], v[105:106], v[91:92], v[85:86]
	ds_read2_b64 v[85:88], v84 offset0:69 offset1:70
	ds_read2_b64 v[89:92], v84 offset0:71 offset1:72
	s_waitcnt vmcnt(17) lgkmcnt(1)
	v_fma_f64 v[85:86], v[113:114], v[85:86], v[98:99]
	buffer_load_dword v98, off, s[0:3], 0 offset:300
	s_waitcnt vmcnt(17)
	v_fma_f64 v[85:86], v[111:112], v[87:88], v[85:86]
	buffer_load_dword v100, off, s[0:3], 0 offset:308
	buffer_load_dword v105, off, s[0:3], 0 offset:320
	;; [unrolled: 1-line block ×6, first 2 shown]
	s_waitcnt vmcnt(22) lgkmcnt(0)
	v_fma_f64 v[85:86], v[107:108], v[89:90], v[85:86]
	s_waitcnt vmcnt(17)
	v_fma_f64 v[93:94], v[93:94], v[91:92], v[85:86]
	ds_read2_b64 v[85:88], v84 offset0:73 offset1:74
	buffer_load_dword v107, off, s[0:3], 0 offset:48
	buffer_load_dword v108, off, s[0:3], 0 offset:52
	ds_read2_b64 v[89:92], v84 offset0:75 offset1:76
	s_waitcnt vmcnt(18) lgkmcnt(1)
	v_fma_f64 v[85:86], v[117:118], v[85:86], v[93:94]
	s_waitcnt vmcnt(17)
	v_fma_f64 v[85:86], v[115:116], v[87:88], v[85:86]
	s_waitcnt vmcnt(16) lgkmcnt(0)
	v_fma_f64 v[85:86], v[109:110], v[89:90], v[85:86]
	s_waitcnt vmcnt(11)
	v_fma_f64 v[93:94], v[95:96], v[91:92], v[85:86]
	ds_read2_b64 v[85:88], v84 offset0:77 offset1:78
	ds_read2_b64 v[89:92], v84 offset0:79 offset1:80
	s_waitcnt vmcnt(10) lgkmcnt(1)
	v_fma_f64 v[85:86], v[103:104], v[85:86], v[93:94]
	s_waitcnt vmcnt(9)
	v_fma_f64 v[85:86], v[101:102], v[87:88], v[85:86]
	s_waitcnt vmcnt(8) lgkmcnt(0)
	v_fma_f64 v[85:86], v[97:98], v[89:90], v[85:86]
	s_waitcnt vmcnt(4)
	v_fma_f64 v[88:89], v[99:100], v[91:92], v[85:86]
	ds_read2_b64 v[84:87], v84 offset0:81 offset1:82
	s_waitcnt vmcnt(3) lgkmcnt(0)
	v_fma_f64 v[84:85], v[111:112], v[84:85], v[88:89]
	s_waitcnt vmcnt(2)
	v_fma_f64 v[84:85], v[105:106], v[86:87], v[84:85]
	s_waitcnt vmcnt(0)
	v_add_f64 v[84:85], v[107:108], -v[84:85]
	buffer_store_dword v85, off, s[0:3], 0 offset:52
	buffer_store_dword v84, off, s[0:3], 0 offset:48
	s_and_saveexec_b64 s[4:5], vcc
	s_cbranch_execz .LBB104_243
; %bb.242:
	buffer_load_dword v84, off, s[0:3], 0 offset:40
	buffer_load_dword v85, off, s[0:3], 0 offset:44
	v_mov_b32_e32 v86, 0
	buffer_store_dword v86, off, s[0:3], 0 offset:40
	buffer_store_dword v86, off, s[0:3], 0 offset:44
	s_waitcnt vmcnt(2)
	ds_write_b64 v83, v[84:85]
.LBB104_243:
	s_or_b64 exec, exec, s[4:5]
	s_waitcnt lgkmcnt(0)
	; wave barrier
	buffer_load_dword v93, off, s[0:3], 0 offset:48
	buffer_load_dword v94, off, s[0:3], 0 offset:52
	;; [unrolled: 1-line block ×21, first 2 shown]
	v_mov_b32_e32 v84, 0
	ds_read_b128 v[85:88], v84 offset:384
	ds_read_b128 v[89:92], v84 offset:400
	buffer_load_dword v110, off, s[0:3], 0 offset:132
	v_cmp_lt_u32_e32 vcc, 4, v0
	s_waitcnt vmcnt(20) lgkmcnt(1)
	v_fma_f64 v[85:86], v[93:94], v[85:86], 0
	s_waitcnt vmcnt(18)
	v_fma_f64 v[85:86], v[95:96], v[87:88], v[85:86]
	buffer_load_dword v94, off, s[0:3], 0 offset:140
	buffer_load_dword v95, off, s[0:3], 0 offset:160
	;; [unrolled: 1-line block ×7, first 2 shown]
	s_waitcnt vmcnt(23) lgkmcnt(0)
	v_fma_f64 v[85:86], v[97:98], v[89:90], v[85:86]
	s_waitcnt vmcnt(21)
	v_fma_f64 v[96:97], v[99:100], v[91:92], v[85:86]
	ds_read_b128 v[85:88], v84 offset:416
	ds_read_b128 v[89:92], v84 offset:432
	s_waitcnt vmcnt(19) lgkmcnt(1)
	v_fma_f64 v[85:86], v[101:102], v[85:86], v[96:97]
	buffer_load_dword v96, off, s[0:3], 0 offset:164
	s_waitcnt vmcnt(18)
	v_fma_f64 v[85:86], v[103:104], v[87:88], v[85:86]
	buffer_load_dword v98, off, s[0:3], 0 offset:172
	buffer_load_dword v99, off, s[0:3], 0 offset:192
	;; [unrolled: 1-line block ×8, first 2 shown]
	s_waitcnt vmcnt(24) lgkmcnt(0)
	v_fma_f64 v[85:86], v[105:106], v[89:90], v[85:86]
	s_waitcnt vmcnt(19)
	v_fma_f64 v[105:106], v[107:108], v[91:92], v[85:86]
	ds_read_b128 v[85:88], v84 offset:448
	ds_read_b128 v[89:92], v84 offset:464
	s_waitcnt vmcnt(18) lgkmcnt(1)
	v_fma_f64 v[85:86], v[113:114], v[85:86], v[105:106]
	s_waitcnt vmcnt(17)
	v_fma_f64 v[85:86], v[111:112], v[87:88], v[85:86]
	buffer_load_dword v106, off, s[0:3], 0 offset:204
	buffer_load_dword v107, off, s[0:3], 0 offset:224
	;; [unrolled: 1-line block ×7, first 2 shown]
	s_waitcnt vmcnt(23) lgkmcnt(0)
	v_fma_f64 v[85:86], v[109:110], v[89:90], v[85:86]
	s_waitcnt vmcnt(18)
	v_fma_f64 v[93:94], v[93:94], v[91:92], v[85:86]
	ds_read_b128 v[85:88], v84 offset:480
	ds_read_b128 v[89:92], v84 offset:496
	buffer_load_dword v108, off, s[0:3], 0 offset:228
	s_waitcnt vmcnt(18) lgkmcnt(1)
	v_fma_f64 v[85:86], v[117:118], v[85:86], v[93:94]
	s_waitcnt vmcnt(17)
	v_fma_f64 v[85:86], v[115:116], v[87:88], v[85:86]
	buffer_load_dword v94, off, s[0:3], 0 offset:236
	buffer_load_dword v109, off, s[0:3], 0 offset:256
	;; [unrolled: 1-line block ×8, first 2 shown]
	s_waitcnt vmcnt(24) lgkmcnt(0)
	v_fma_f64 v[85:86], v[95:96], v[89:90], v[85:86]
	s_waitcnt vmcnt(19)
	v_fma_f64 v[95:96], v[97:98], v[91:92], v[85:86]
	ds_read_b128 v[85:88], v84 offset:512
	ds_read_b128 v[89:92], v84 offset:528
	s_waitcnt vmcnt(18) lgkmcnt(1)
	v_fma_f64 v[85:86], v[103:104], v[85:86], v[95:96]
	s_waitcnt vmcnt(17)
	v_fma_f64 v[85:86], v[101:102], v[87:88], v[85:86]
	buffer_load_dword v96, off, s[0:3], 0 offset:268
	buffer_load_dword v97, off, s[0:3], 0 offset:288
	;; [unrolled: 1-line block ×7, first 2 shown]
	s_waitcnt vmcnt(23) lgkmcnt(0)
	v_fma_f64 v[85:86], v[99:100], v[89:90], v[85:86]
	s_waitcnt vmcnt(18)
	v_fma_f64 v[98:99], v[105:106], v[91:92], v[85:86]
	ds_read_b128 v[85:88], v84 offset:544
	ds_read_b128 v[89:92], v84 offset:560
	s_waitcnt vmcnt(17) lgkmcnt(1)
	v_fma_f64 v[85:86], v[113:114], v[85:86], v[98:99]
	buffer_load_dword v98, off, s[0:3], 0 offset:292
	s_waitcnt vmcnt(17)
	v_fma_f64 v[85:86], v[111:112], v[87:88], v[85:86]
	buffer_load_dword v100, off, s[0:3], 0 offset:300
	buffer_load_dword v105, off, s[0:3], 0 offset:320
	;; [unrolled: 1-line block ×8, first 2 shown]
	s_waitcnt vmcnt(24) lgkmcnt(0)
	v_fma_f64 v[85:86], v[107:108], v[89:90], v[85:86]
	s_waitcnt vmcnt(19)
	v_fma_f64 v[93:94], v[93:94], v[91:92], v[85:86]
	ds_read_b128 v[85:88], v84 offset:576
	ds_read_b128 v[89:92], v84 offset:592
	s_waitcnt vmcnt(18) lgkmcnt(1)
	v_fma_f64 v[85:86], v[117:118], v[85:86], v[93:94]
	buffer_load_dword v93, off, s[0:3], 0 offset:40
	buffer_load_dword v94, off, s[0:3], 0 offset:44
	s_waitcnt vmcnt(19)
	v_fma_f64 v[85:86], v[115:116], v[87:88], v[85:86]
	s_waitcnt vmcnt(18) lgkmcnt(0)
	v_fma_f64 v[85:86], v[109:110], v[89:90], v[85:86]
	s_waitcnt vmcnt(13)
	v_fma_f64 v[95:96], v[95:96], v[91:92], v[85:86]
	ds_read_b128 v[85:88], v84 offset:608
	ds_read_b128 v[89:92], v84 offset:624
	s_waitcnt vmcnt(12) lgkmcnt(1)
	v_fma_f64 v[85:86], v[103:104], v[85:86], v[95:96]
	s_waitcnt vmcnt(11)
	v_fma_f64 v[85:86], v[101:102], v[87:88], v[85:86]
	s_waitcnt vmcnt(10) lgkmcnt(0)
	v_fma_f64 v[85:86], v[97:98], v[89:90], v[85:86]
	s_waitcnt vmcnt(5)
	v_fma_f64 v[89:90], v[99:100], v[91:92], v[85:86]
	ds_read_b128 v[85:88], v84 offset:640
	ds_read_b64 v[91:92], v84 offset:656
	s_waitcnt vmcnt(4) lgkmcnt(1)
	v_fma_f64 v[85:86], v[113:114], v[85:86], v[89:90]
	s_waitcnt vmcnt(3)
	v_fma_f64 v[85:86], v[111:112], v[87:88], v[85:86]
	s_waitcnt vmcnt(2) lgkmcnt(0)
	v_fma_f64 v[85:86], v[105:106], v[91:92], v[85:86]
	s_waitcnt vmcnt(0)
	v_add_f64 v[85:86], v[93:94], -v[85:86]
	buffer_store_dword v86, off, s[0:3], 0 offset:44
	buffer_store_dword v85, off, s[0:3], 0 offset:40
	s_and_saveexec_b64 s[4:5], vcc
	s_cbranch_execz .LBB104_245
; %bb.244:
	buffer_load_dword v85, off, s[0:3], 0 offset:32
	buffer_load_dword v86, off, s[0:3], 0 offset:36
	s_waitcnt vmcnt(0)
	ds_write_b64 v83, v[85:86]
	buffer_store_dword v84, off, s[0:3], 0 offset:32
	buffer_store_dword v84, off, s[0:3], 0 offset:36
.LBB104_245:
	s_or_b64 exec, exec, s[4:5]
	s_waitcnt lgkmcnt(0)
	; wave barrier
	buffer_load_dword v93, off, s[0:3], 0 offset:40
	buffer_load_dword v94, off, s[0:3], 0 offset:44
	;; [unrolled: 1-line block ×21, first 2 shown]
	ds_read2_b64 v[85:88], v84 offset0:47 offset1:48
	ds_read2_b64 v[89:92], v84 offset0:49 offset1:50
	buffer_load_dword v110, off, s[0:3], 0 offset:124
	v_cmp_lt_u32_e32 vcc, 3, v0
	s_waitcnt vmcnt(20) lgkmcnt(1)
	v_fma_f64 v[85:86], v[93:94], v[85:86], 0
	s_waitcnt vmcnt(18)
	v_fma_f64 v[85:86], v[95:96], v[87:88], v[85:86]
	buffer_load_dword v94, off, s[0:3], 0 offset:132
	buffer_load_dword v95, off, s[0:3], 0 offset:152
	;; [unrolled: 1-line block ×7, first 2 shown]
	s_waitcnt vmcnt(23) lgkmcnt(0)
	v_fma_f64 v[85:86], v[97:98], v[89:90], v[85:86]
	s_waitcnt vmcnt(21)
	v_fma_f64 v[96:97], v[99:100], v[91:92], v[85:86]
	ds_read2_b64 v[85:88], v84 offset0:51 offset1:52
	ds_read2_b64 v[89:92], v84 offset0:53 offset1:54
	s_waitcnt vmcnt(19) lgkmcnt(1)
	v_fma_f64 v[85:86], v[101:102], v[85:86], v[96:97]
	buffer_load_dword v96, off, s[0:3], 0 offset:156
	s_waitcnt vmcnt(18)
	v_fma_f64 v[85:86], v[103:104], v[87:88], v[85:86]
	buffer_load_dword v98, off, s[0:3], 0 offset:164
	buffer_load_dword v99, off, s[0:3], 0 offset:184
	;; [unrolled: 1-line block ×8, first 2 shown]
	s_waitcnt vmcnt(24) lgkmcnt(0)
	v_fma_f64 v[85:86], v[105:106], v[89:90], v[85:86]
	s_waitcnt vmcnt(19)
	v_fma_f64 v[105:106], v[107:108], v[91:92], v[85:86]
	ds_read2_b64 v[85:88], v84 offset0:55 offset1:56
	ds_read2_b64 v[89:92], v84 offset0:57 offset1:58
	s_waitcnt vmcnt(18) lgkmcnt(1)
	v_fma_f64 v[85:86], v[113:114], v[85:86], v[105:106]
	s_waitcnt vmcnt(17)
	v_fma_f64 v[85:86], v[111:112], v[87:88], v[85:86]
	buffer_load_dword v106, off, s[0:3], 0 offset:196
	buffer_load_dword v107, off, s[0:3], 0 offset:216
	buffer_load_dword v111, off, s[0:3], 0 offset:208
	buffer_load_dword v113, off, s[0:3], 0 offset:200
	buffer_load_dword v105, off, s[0:3], 0 offset:192
	buffer_load_dword v114, off, s[0:3], 0 offset:204
	buffer_load_dword v112, off, s[0:3], 0 offset:212
	s_waitcnt vmcnt(23) lgkmcnt(0)
	v_fma_f64 v[85:86], v[109:110], v[89:90], v[85:86]
	s_waitcnt vmcnt(18)
	v_fma_f64 v[93:94], v[93:94], v[91:92], v[85:86]
	ds_read2_b64 v[85:88], v84 offset0:59 offset1:60
	ds_read2_b64 v[89:92], v84 offset0:61 offset1:62
	buffer_load_dword v108, off, s[0:3], 0 offset:220
	s_waitcnt vmcnt(18) lgkmcnt(1)
	v_fma_f64 v[85:86], v[117:118], v[85:86], v[93:94]
	s_waitcnt vmcnt(17)
	v_fma_f64 v[85:86], v[115:116], v[87:88], v[85:86]
	buffer_load_dword v94, off, s[0:3], 0 offset:228
	buffer_load_dword v109, off, s[0:3], 0 offset:248
	;; [unrolled: 1-line block ×8, first 2 shown]
	s_waitcnt vmcnt(24) lgkmcnt(0)
	v_fma_f64 v[85:86], v[95:96], v[89:90], v[85:86]
	s_waitcnt vmcnt(19)
	v_fma_f64 v[95:96], v[97:98], v[91:92], v[85:86]
	ds_read2_b64 v[85:88], v84 offset0:63 offset1:64
	ds_read2_b64 v[89:92], v84 offset0:65 offset1:66
	s_waitcnt vmcnt(18) lgkmcnt(1)
	v_fma_f64 v[85:86], v[103:104], v[85:86], v[95:96]
	s_waitcnt vmcnt(17)
	v_fma_f64 v[85:86], v[101:102], v[87:88], v[85:86]
	buffer_load_dword v96, off, s[0:3], 0 offset:260
	buffer_load_dword v97, off, s[0:3], 0 offset:280
	buffer_load_dword v101, off, s[0:3], 0 offset:272
	buffer_load_dword v103, off, s[0:3], 0 offset:264
	buffer_load_dword v95, off, s[0:3], 0 offset:256
	buffer_load_dword v104, off, s[0:3], 0 offset:268
	buffer_load_dword v102, off, s[0:3], 0 offset:276
	s_waitcnt vmcnt(23) lgkmcnt(0)
	v_fma_f64 v[85:86], v[99:100], v[89:90], v[85:86]
	s_waitcnt vmcnt(18)
	v_fma_f64 v[98:99], v[105:106], v[91:92], v[85:86]
	ds_read2_b64 v[85:88], v84 offset0:67 offset1:68
	ds_read2_b64 v[89:92], v84 offset0:69 offset1:70
	s_waitcnt vmcnt(17) lgkmcnt(1)
	v_fma_f64 v[85:86], v[113:114], v[85:86], v[98:99]
	buffer_load_dword v98, off, s[0:3], 0 offset:284
	s_waitcnt vmcnt(17)
	v_fma_f64 v[85:86], v[111:112], v[87:88], v[85:86]
	buffer_load_dword v100, off, s[0:3], 0 offset:292
	buffer_load_dword v105, off, s[0:3], 0 offset:312
	;; [unrolled: 1-line block ×8, first 2 shown]
	s_waitcnt vmcnt(24) lgkmcnt(0)
	v_fma_f64 v[85:86], v[107:108], v[89:90], v[85:86]
	s_waitcnt vmcnt(19)
	v_fma_f64 v[93:94], v[93:94], v[91:92], v[85:86]
	ds_read2_b64 v[85:88], v84 offset0:71 offset1:72
	ds_read2_b64 v[89:92], v84 offset0:73 offset1:74
	s_waitcnt vmcnt(18) lgkmcnt(1)
	v_fma_f64 v[85:86], v[117:118], v[85:86], v[93:94]
	buffer_load_dword v94, off, s[0:3], 0 offset:324
	buffer_load_dword v93, off, s[0:3], 0 offset:320
	;; [unrolled: 1-line block ×4, first 2 shown]
	s_waitcnt vmcnt(21)
	v_fma_f64 v[85:86], v[115:116], v[87:88], v[85:86]
	s_waitcnt vmcnt(20) lgkmcnt(0)
	v_fma_f64 v[85:86], v[109:110], v[89:90], v[85:86]
	s_waitcnt vmcnt(15)
	v_fma_f64 v[95:96], v[95:96], v[91:92], v[85:86]
	ds_read2_b64 v[85:88], v84 offset0:75 offset1:76
	ds_read2_b64 v[89:92], v84 offset0:77 offset1:78
	s_waitcnt vmcnt(14) lgkmcnt(1)
	v_fma_f64 v[85:86], v[103:104], v[85:86], v[95:96]
	s_waitcnt vmcnt(13)
	v_fma_f64 v[85:86], v[101:102], v[87:88], v[85:86]
	s_waitcnt vmcnt(12) lgkmcnt(0)
	v_fma_f64 v[85:86], v[97:98], v[89:90], v[85:86]
	s_waitcnt vmcnt(7)
	v_fma_f64 v[95:96], v[99:100], v[91:92], v[85:86]
	ds_read2_b64 v[85:88], v84 offset0:79 offset1:80
	ds_read2_b64 v[89:92], v84 offset0:81 offset1:82
	s_waitcnt vmcnt(6) lgkmcnt(1)
	v_fma_f64 v[84:85], v[113:114], v[85:86], v[95:96]
	s_waitcnt vmcnt(5)
	v_fma_f64 v[84:85], v[111:112], v[87:88], v[84:85]
	s_waitcnt vmcnt(4) lgkmcnt(0)
	v_fma_f64 v[84:85], v[105:106], v[89:90], v[84:85]
	s_waitcnt vmcnt(2)
	v_fma_f64 v[84:85], v[93:94], v[91:92], v[84:85]
	s_waitcnt vmcnt(0)
	v_add_f64 v[84:85], v[107:108], -v[84:85]
	buffer_store_dword v85, off, s[0:3], 0 offset:36
	buffer_store_dword v84, off, s[0:3], 0 offset:32
	s_and_saveexec_b64 s[4:5], vcc
	s_cbranch_execz .LBB104_247
; %bb.246:
	buffer_load_dword v84, off, s[0:3], 0 offset:24
	buffer_load_dword v85, off, s[0:3], 0 offset:28
	v_mov_b32_e32 v86, 0
	buffer_store_dword v86, off, s[0:3], 0 offset:24
	buffer_store_dword v86, off, s[0:3], 0 offset:28
	s_waitcnt vmcnt(2)
	ds_write_b64 v83, v[84:85]
.LBB104_247:
	s_or_b64 exec, exec, s[4:5]
	s_waitcnt lgkmcnt(0)
	; wave barrier
	buffer_load_dword v93, off, s[0:3], 0 offset:32
	buffer_load_dword v94, off, s[0:3], 0 offset:36
	;; [unrolled: 1-line block ×21, first 2 shown]
	v_mov_b32_e32 v84, 0
	ds_read_b128 v[85:88], v84 offset:368
	ds_read_b128 v[89:92], v84 offset:384
	buffer_load_dword v110, off, s[0:3], 0 offset:116
	v_cmp_lt_u32_e32 vcc, 2, v0
	s_waitcnt vmcnt(20) lgkmcnt(1)
	v_fma_f64 v[85:86], v[93:94], v[85:86], 0
	s_waitcnt vmcnt(18)
	v_fma_f64 v[85:86], v[95:96], v[87:88], v[85:86]
	buffer_load_dword v94, off, s[0:3], 0 offset:124
	buffer_load_dword v95, off, s[0:3], 0 offset:144
	;; [unrolled: 1-line block ×7, first 2 shown]
	s_waitcnt vmcnt(23) lgkmcnt(0)
	v_fma_f64 v[85:86], v[97:98], v[89:90], v[85:86]
	s_waitcnt vmcnt(21)
	v_fma_f64 v[96:97], v[99:100], v[91:92], v[85:86]
	ds_read_b128 v[85:88], v84 offset:400
	ds_read_b128 v[89:92], v84 offset:416
	s_waitcnt vmcnt(19) lgkmcnt(1)
	v_fma_f64 v[85:86], v[101:102], v[85:86], v[96:97]
	buffer_load_dword v96, off, s[0:3], 0 offset:148
	s_waitcnt vmcnt(18)
	v_fma_f64 v[85:86], v[103:104], v[87:88], v[85:86]
	buffer_load_dword v98, off, s[0:3], 0 offset:156
	buffer_load_dword v99, off, s[0:3], 0 offset:176
	;; [unrolled: 1-line block ×8, first 2 shown]
	s_waitcnt vmcnt(24) lgkmcnt(0)
	v_fma_f64 v[85:86], v[105:106], v[89:90], v[85:86]
	s_waitcnt vmcnt(19)
	v_fma_f64 v[105:106], v[107:108], v[91:92], v[85:86]
	ds_read_b128 v[85:88], v84 offset:432
	ds_read_b128 v[89:92], v84 offset:448
	s_waitcnt vmcnt(18) lgkmcnt(1)
	v_fma_f64 v[85:86], v[113:114], v[85:86], v[105:106]
	s_waitcnt vmcnt(17)
	v_fma_f64 v[85:86], v[111:112], v[87:88], v[85:86]
	buffer_load_dword v106, off, s[0:3], 0 offset:188
	buffer_load_dword v107, off, s[0:3], 0 offset:208
	;; [unrolled: 1-line block ×7, first 2 shown]
	s_waitcnt vmcnt(23) lgkmcnt(0)
	v_fma_f64 v[85:86], v[109:110], v[89:90], v[85:86]
	s_waitcnt vmcnt(18)
	v_fma_f64 v[93:94], v[93:94], v[91:92], v[85:86]
	ds_read_b128 v[85:88], v84 offset:464
	ds_read_b128 v[89:92], v84 offset:480
	buffer_load_dword v108, off, s[0:3], 0 offset:212
	s_waitcnt vmcnt(18) lgkmcnt(1)
	v_fma_f64 v[85:86], v[117:118], v[85:86], v[93:94]
	s_waitcnt vmcnt(17)
	v_fma_f64 v[85:86], v[115:116], v[87:88], v[85:86]
	buffer_load_dword v94, off, s[0:3], 0 offset:220
	buffer_load_dword v109, off, s[0:3], 0 offset:240
	;; [unrolled: 1-line block ×7, first 2 shown]
	s_waitcnt vmcnt(23) lgkmcnt(0)
	v_fma_f64 v[85:86], v[95:96], v[89:90], v[85:86]
	s_waitcnt vmcnt(18)
	v_fma_f64 v[95:96], v[97:98], v[91:92], v[85:86]
	ds_read_b128 v[85:88], v84 offset:496
	ds_read_b128 v[89:92], v84 offset:512
	buffer_load_dword v110, off, s[0:3], 0 offset:244
	s_waitcnt vmcnt(18) lgkmcnt(1)
	v_fma_f64 v[85:86], v[103:104], v[85:86], v[95:96]
	s_waitcnt vmcnt(17)
	v_fma_f64 v[85:86], v[101:102], v[87:88], v[85:86]
	buffer_load_dword v96, off, s[0:3], 0 offset:252
	buffer_load_dword v97, off, s[0:3], 0 offset:272
	;; [unrolled: 1-line block ×7, first 2 shown]
	s_waitcnt vmcnt(23) lgkmcnt(0)
	v_fma_f64 v[85:86], v[99:100], v[89:90], v[85:86]
	s_waitcnt vmcnt(18)
	v_fma_f64 v[98:99], v[105:106], v[91:92], v[85:86]
	ds_read_b128 v[85:88], v84 offset:528
	ds_read_b128 v[89:92], v84 offset:544
	s_waitcnt vmcnt(17) lgkmcnt(1)
	v_fma_f64 v[85:86], v[113:114], v[85:86], v[98:99]
	buffer_load_dword v98, off, s[0:3], 0 offset:276
	s_waitcnt vmcnt(17)
	v_fma_f64 v[85:86], v[111:112], v[87:88], v[85:86]
	buffer_load_dword v100, off, s[0:3], 0 offset:284
	buffer_load_dword v105, off, s[0:3], 0 offset:304
	buffer_load_dword v111, off, s[0:3], 0 offset:296
	buffer_load_dword v113, off, s[0:3], 0 offset:288
	buffer_load_dword v99, off, s[0:3], 0 offset:280
	buffer_load_dword v114, off, s[0:3], 0 offset:292
	buffer_load_dword v112, off, s[0:3], 0 offset:300
	s_waitcnt vmcnt(23) lgkmcnt(0)
	v_fma_f64 v[85:86], v[107:108], v[89:90], v[85:86]
	s_waitcnt vmcnt(18)
	v_fma_f64 v[93:94], v[93:94], v[91:92], v[85:86]
	ds_read_b128 v[85:88], v84 offset:560
	ds_read_b128 v[89:92], v84 offset:576
	buffer_load_dword v106, off, s[0:3], 0 offset:308
	s_waitcnt vmcnt(18) lgkmcnt(1)
	v_fma_f64 v[85:86], v[117:118], v[85:86], v[93:94]
	buffer_load_dword v94, off, s[0:3], 0 offset:316
	buffer_load_dword v107, off, s[0:3], 0 offset:320
	;; [unrolled: 1-line block ×4, first 2 shown]
	s_waitcnt vmcnt(21)
	v_fma_f64 v[85:86], v[115:116], v[87:88], v[85:86]
	s_waitcnt vmcnt(20) lgkmcnt(0)
	v_fma_f64 v[85:86], v[109:110], v[89:90], v[85:86]
	buffer_load_dword v109, off, s[0:3], 0 offset:24
	buffer_load_dword v110, off, s[0:3], 0 offset:28
	s_waitcnt vmcnt(17)
	v_fma_f64 v[95:96], v[95:96], v[91:92], v[85:86]
	ds_read_b128 v[85:88], v84 offset:592
	ds_read_b128 v[89:92], v84 offset:608
	s_waitcnt vmcnt(16) lgkmcnt(1)
	v_fma_f64 v[85:86], v[103:104], v[85:86], v[95:96]
	s_waitcnt vmcnt(15)
	v_fma_f64 v[85:86], v[101:102], v[87:88], v[85:86]
	s_waitcnt vmcnt(14) lgkmcnt(0)
	v_fma_f64 v[85:86], v[97:98], v[89:90], v[85:86]
	s_waitcnt vmcnt(9)
	v_fma_f64 v[95:96], v[99:100], v[91:92], v[85:86]
	ds_read_b128 v[85:88], v84 offset:624
	ds_read_b128 v[89:92], v84 offset:640
	s_waitcnt vmcnt(8) lgkmcnt(1)
	v_fma_f64 v[85:86], v[113:114], v[85:86], v[95:96]
	s_waitcnt vmcnt(7)
	v_fma_f64 v[85:86], v[111:112], v[87:88], v[85:86]
	ds_read_b64 v[87:88], v84 offset:656
	s_waitcnt vmcnt(6) lgkmcnt(1)
	v_fma_f64 v[85:86], v[105:106], v[89:90], v[85:86]
	s_waitcnt vmcnt(3)
	v_fma_f64 v[85:86], v[93:94], v[91:92], v[85:86]
	s_waitcnt vmcnt(2) lgkmcnt(0)
	v_fma_f64 v[85:86], v[107:108], v[87:88], v[85:86]
	s_waitcnt vmcnt(0)
	v_add_f64 v[85:86], v[109:110], -v[85:86]
	buffer_store_dword v86, off, s[0:3], 0 offset:28
	buffer_store_dword v85, off, s[0:3], 0 offset:24
	s_and_saveexec_b64 s[4:5], vcc
	s_cbranch_execz .LBB104_249
; %bb.248:
	buffer_load_dword v85, off, s[0:3], 0 offset:16
	buffer_load_dword v86, off, s[0:3], 0 offset:20
	s_waitcnt vmcnt(0)
	ds_write_b64 v83, v[85:86]
	buffer_store_dword v84, off, s[0:3], 0 offset:16
	buffer_store_dword v84, off, s[0:3], 0 offset:20
.LBB104_249:
	s_or_b64 exec, exec, s[4:5]
	s_waitcnt lgkmcnt(0)
	; wave barrier
	buffer_load_dword v93, off, s[0:3], 0 offset:24
	buffer_load_dword v94, off, s[0:3], 0 offset:28
	;; [unrolled: 1-line block ×22, first 2 shown]
	ds_read2_b64 v[85:88], v84 offset0:45 offset1:46
	ds_read2_b64 v[89:92], v84 offset0:47 offset1:48
	v_cmp_lt_u32_e32 vcc, 1, v0
	s_waitcnt vmcnt(20) lgkmcnt(1)
	v_fma_f64 v[85:86], v[93:94], v[85:86], 0
	s_waitcnt vmcnt(18)
	v_fma_f64 v[85:86], v[95:96], v[87:88], v[85:86]
	buffer_load_dword v94, off, s[0:3], 0 offset:116
	buffer_load_dword v95, off, s[0:3], 0 offset:136
	;; [unrolled: 1-line block ×7, first 2 shown]
	s_waitcnt vmcnt(23) lgkmcnt(0)
	v_fma_f64 v[85:86], v[97:98], v[89:90], v[85:86]
	s_waitcnt vmcnt(21)
	v_fma_f64 v[96:97], v[99:100], v[91:92], v[85:86]
	ds_read2_b64 v[85:88], v84 offset0:49 offset1:50
	ds_read2_b64 v[89:92], v84 offset0:51 offset1:52
	s_waitcnt vmcnt(19) lgkmcnt(1)
	v_fma_f64 v[85:86], v[101:102], v[85:86], v[96:97]
	buffer_load_dword v96, off, s[0:3], 0 offset:140
	s_waitcnt vmcnt(18)
	v_fma_f64 v[85:86], v[103:104], v[87:88], v[85:86]
	buffer_load_dword v98, off, s[0:3], 0 offset:148
	buffer_load_dword v99, off, s[0:3], 0 offset:168
	;; [unrolled: 1-line block ×8, first 2 shown]
	s_waitcnt vmcnt(24) lgkmcnt(0)
	v_fma_f64 v[85:86], v[105:106], v[89:90], v[85:86]
	s_waitcnt vmcnt(19)
	v_fma_f64 v[105:106], v[107:108], v[91:92], v[85:86]
	ds_read2_b64 v[85:88], v84 offset0:53 offset1:54
	ds_read2_b64 v[89:92], v84 offset0:55 offset1:56
	s_waitcnt vmcnt(18) lgkmcnt(1)
	v_fma_f64 v[85:86], v[113:114], v[85:86], v[105:106]
	s_waitcnt vmcnt(17)
	v_fma_f64 v[85:86], v[111:112], v[87:88], v[85:86]
	buffer_load_dword v106, off, s[0:3], 0 offset:180
	buffer_load_dword v107, off, s[0:3], 0 offset:200
	buffer_load_dword v111, off, s[0:3], 0 offset:192
	buffer_load_dword v113, off, s[0:3], 0 offset:184
	buffer_load_dword v105, off, s[0:3], 0 offset:176
	buffer_load_dword v114, off, s[0:3], 0 offset:188
	buffer_load_dword v112, off, s[0:3], 0 offset:196
	buffer_load_dword v108, off, s[0:3], 0 offset:204
	s_waitcnt vmcnt(24) lgkmcnt(0)
	v_fma_f64 v[85:86], v[109:110], v[89:90], v[85:86]
	s_waitcnt vmcnt(19)
	v_fma_f64 v[93:94], v[93:94], v[91:92], v[85:86]
	ds_read2_b64 v[85:88], v84 offset0:57 offset1:58
	ds_read2_b64 v[89:92], v84 offset0:59 offset1:60
	s_waitcnt vmcnt(18) lgkmcnt(1)
	v_fma_f64 v[85:86], v[117:118], v[85:86], v[93:94]
	s_waitcnt vmcnt(17)
	v_fma_f64 v[85:86], v[115:116], v[87:88], v[85:86]
	buffer_load_dword v94, off, s[0:3], 0 offset:212
	buffer_load_dword v109, off, s[0:3], 0 offset:232
	;; [unrolled: 1-line block ×7, first 2 shown]
	s_waitcnt vmcnt(23) lgkmcnt(0)
	v_fma_f64 v[85:86], v[95:96], v[89:90], v[85:86]
	s_waitcnt vmcnt(18)
	v_fma_f64 v[95:96], v[97:98], v[91:92], v[85:86]
	ds_read2_b64 v[85:88], v84 offset0:61 offset1:62
	ds_read2_b64 v[89:92], v84 offset0:63 offset1:64
	buffer_load_dword v110, off, s[0:3], 0 offset:236
	s_waitcnt vmcnt(18) lgkmcnt(1)
	v_fma_f64 v[85:86], v[103:104], v[85:86], v[95:96]
	s_waitcnt vmcnt(17)
	v_fma_f64 v[85:86], v[101:102], v[87:88], v[85:86]
	buffer_load_dword v96, off, s[0:3], 0 offset:244
	buffer_load_dword v97, off, s[0:3], 0 offset:264
	;; [unrolled: 1-line block ×7, first 2 shown]
	s_waitcnt vmcnt(23) lgkmcnt(0)
	v_fma_f64 v[85:86], v[99:100], v[89:90], v[85:86]
	s_waitcnt vmcnt(18)
	v_fma_f64 v[98:99], v[105:106], v[91:92], v[85:86]
	ds_read2_b64 v[85:88], v84 offset0:65 offset1:66
	ds_read2_b64 v[89:92], v84 offset0:67 offset1:68
	s_waitcnt vmcnt(17) lgkmcnt(1)
	v_fma_f64 v[85:86], v[113:114], v[85:86], v[98:99]
	buffer_load_dword v98, off, s[0:3], 0 offset:268
	s_waitcnt vmcnt(17)
	v_fma_f64 v[85:86], v[111:112], v[87:88], v[85:86]
	buffer_load_dword v100, off, s[0:3], 0 offset:276
	buffer_load_dword v105, off, s[0:3], 0 offset:296
	;; [unrolled: 1-line block ×8, first 2 shown]
	s_waitcnt vmcnt(24) lgkmcnt(0)
	v_fma_f64 v[85:86], v[107:108], v[89:90], v[85:86]
	s_waitcnt vmcnt(19)
	v_fma_f64 v[93:94], v[93:94], v[91:92], v[85:86]
	ds_read2_b64 v[85:88], v84 offset0:69 offset1:70
	ds_read2_b64 v[89:92], v84 offset0:71 offset1:72
	s_waitcnt vmcnt(18) lgkmcnt(1)
	v_fma_f64 v[85:86], v[117:118], v[85:86], v[93:94]
	s_waitcnt vmcnt(17)
	v_fma_f64 v[85:86], v[115:116], v[87:88], v[85:86]
	buffer_load_dword v94, off, s[0:3], 0 offset:308
	buffer_load_dword v107, off, s[0:3], 0 offset:320
	;; [unrolled: 1-line block ×6, first 2 shown]
	s_waitcnt vmcnt(22) lgkmcnt(0)
	v_fma_f64 v[85:86], v[109:110], v[89:90], v[85:86]
	s_waitcnt vmcnt(17)
	v_fma_f64 v[95:96], v[95:96], v[91:92], v[85:86]
	ds_read2_b64 v[85:88], v84 offset0:73 offset1:74
	buffer_load_dword v109, off, s[0:3], 0 offset:16
	buffer_load_dword v110, off, s[0:3], 0 offset:20
	ds_read2_b64 v[89:92], v84 offset0:75 offset1:76
	s_waitcnt vmcnt(18) lgkmcnt(1)
	v_fma_f64 v[85:86], v[103:104], v[85:86], v[95:96]
	s_waitcnt vmcnt(17)
	v_fma_f64 v[85:86], v[101:102], v[87:88], v[85:86]
	s_waitcnt vmcnt(16) lgkmcnt(0)
	v_fma_f64 v[85:86], v[97:98], v[89:90], v[85:86]
	s_waitcnt vmcnt(11)
	v_fma_f64 v[95:96], v[99:100], v[91:92], v[85:86]
	ds_read2_b64 v[85:88], v84 offset0:77 offset1:78
	ds_read2_b64 v[89:92], v84 offset0:79 offset1:80
	s_waitcnt vmcnt(10) lgkmcnt(1)
	v_fma_f64 v[85:86], v[113:114], v[85:86], v[95:96]
	s_waitcnt vmcnt(9)
	v_fma_f64 v[85:86], v[111:112], v[87:88], v[85:86]
	s_waitcnt vmcnt(8) lgkmcnt(0)
	v_fma_f64 v[85:86], v[105:106], v[89:90], v[85:86]
	s_waitcnt vmcnt(4)
	v_fma_f64 v[88:89], v[93:94], v[91:92], v[85:86]
	ds_read2_b64 v[84:87], v84 offset0:81 offset1:82
	s_waitcnt vmcnt(3) lgkmcnt(0)
	v_fma_f64 v[84:85], v[115:116], v[84:85], v[88:89]
	s_waitcnt vmcnt(2)
	v_fma_f64 v[84:85], v[107:108], v[86:87], v[84:85]
	s_waitcnt vmcnt(0)
	v_add_f64 v[84:85], v[109:110], -v[84:85]
	buffer_store_dword v85, off, s[0:3], 0 offset:20
	buffer_store_dword v84, off, s[0:3], 0 offset:16
	s_and_saveexec_b64 s[4:5], vcc
	s_cbranch_execz .LBB104_251
; %bb.250:
	buffer_load_dword v84, off, s[0:3], 0 offset:8
	buffer_load_dword v85, off, s[0:3], 0 offset:12
	v_mov_b32_e32 v86, 0
	buffer_store_dword v86, off, s[0:3], 0 offset:8
	buffer_store_dword v86, off, s[0:3], 0 offset:12
	s_waitcnt vmcnt(2)
	ds_write_b64 v83, v[84:85]
.LBB104_251:
	s_or_b64 exec, exec, s[4:5]
	s_waitcnt lgkmcnt(0)
	; wave barrier
	buffer_load_dword v94, off, s[0:3], 0 offset:16
	buffer_load_dword v95, off, s[0:3], 0 offset:20
	;; [unrolled: 1-line block ×22, first 2 shown]
	v_mov_b32_e32 v85, 0
	ds_read_b128 v[86:89], v85 offset:352
	ds_read_b128 v[90:93], v85 offset:368
	v_cmp_ne_u32_e32 vcc, 0, v0
	s_waitcnt vmcnt(20) lgkmcnt(1)
	v_fma_f64 v[86:87], v[94:95], v[86:87], 0
	s_waitcnt vmcnt(18)
	v_fma_f64 v[86:87], v[96:97], v[88:89], v[86:87]
	buffer_load_dword v95, off, s[0:3], 0 offset:108
	buffer_load_dword v96, off, s[0:3], 0 offset:128
	;; [unrolled: 1-line block ×7, first 2 shown]
	s_waitcnt vmcnt(23) lgkmcnt(0)
	v_fma_f64 v[86:87], v[98:99], v[90:91], v[86:87]
	s_waitcnt vmcnt(21)
	v_fma_f64 v[97:98], v[100:101], v[92:93], v[86:87]
	ds_read_b128 v[86:89], v85 offset:384
	ds_read_b128 v[90:93], v85 offset:400
	s_waitcnt vmcnt(19) lgkmcnt(1)
	v_fma_f64 v[86:87], v[102:103], v[86:87], v[97:98]
	buffer_load_dword v97, off, s[0:3], 0 offset:132
	s_waitcnt vmcnt(18)
	v_fma_f64 v[86:87], v[104:105], v[88:89], v[86:87]
	buffer_load_dword v99, off, s[0:3], 0 offset:140
	buffer_load_dword v100, off, s[0:3], 0 offset:160
	;; [unrolled: 1-line block ×8, first 2 shown]
	s_waitcnt vmcnt(24) lgkmcnt(0)
	v_fma_f64 v[86:87], v[106:107], v[90:91], v[86:87]
	s_waitcnt vmcnt(19)
	v_fma_f64 v[106:107], v[108:109], v[92:93], v[86:87]
	ds_read_b128 v[86:89], v85 offset:416
	ds_read_b128 v[90:93], v85 offset:432
	s_waitcnt vmcnt(18) lgkmcnt(1)
	v_fma_f64 v[86:87], v[114:115], v[86:87], v[106:107]
	s_waitcnt vmcnt(17)
	v_fma_f64 v[86:87], v[112:113], v[88:89], v[86:87]
	buffer_load_dword v107, off, s[0:3], 0 offset:172
	buffer_load_dword v108, off, s[0:3], 0 offset:192
	buffer_load_dword v112, off, s[0:3], 0 offset:184
	buffer_load_dword v114, off, s[0:3], 0 offset:176
	buffer_load_dword v106, off, s[0:3], 0 offset:168
	buffer_load_dword v115, off, s[0:3], 0 offset:180
	buffer_load_dword v113, off, s[0:3], 0 offset:188
	buffer_load_dword v109, off, s[0:3], 0 offset:196
	s_waitcnt vmcnt(24) lgkmcnt(0)
	v_fma_f64 v[86:87], v[110:111], v[90:91], v[86:87]
	s_waitcnt vmcnt(19)
	v_fma_f64 v[94:95], v[94:95], v[92:93], v[86:87]
	ds_read_b128 v[86:89], v85 offset:448
	ds_read_b128 v[90:93], v85 offset:464
	s_waitcnt vmcnt(18) lgkmcnt(1)
	v_fma_f64 v[86:87], v[118:119], v[86:87], v[94:95]
	s_waitcnt vmcnt(17)
	v_fma_f64 v[86:87], v[116:117], v[88:89], v[86:87]
	buffer_load_dword v95, off, s[0:3], 0 offset:204
	buffer_load_dword v110, off, s[0:3], 0 offset:224
	;; [unrolled: 1-line block ×7, first 2 shown]
	s_waitcnt vmcnt(23) lgkmcnt(0)
	v_fma_f64 v[86:87], v[96:97], v[90:91], v[86:87]
	s_waitcnt vmcnt(18)
	v_fma_f64 v[96:97], v[98:99], v[92:93], v[86:87]
	ds_read_b128 v[86:89], v85 offset:480
	ds_read_b128 v[90:93], v85 offset:496
	buffer_load_dword v111, off, s[0:3], 0 offset:228
	s_waitcnt vmcnt(18) lgkmcnt(1)
	v_fma_f64 v[86:87], v[104:105], v[86:87], v[96:97]
	s_waitcnt vmcnt(17)
	v_fma_f64 v[86:87], v[102:103], v[88:89], v[86:87]
	buffer_load_dword v97, off, s[0:3], 0 offset:236
	buffer_load_dword v98, off, s[0:3], 0 offset:256
	;; [unrolled: 1-line block ×7, first 2 shown]
	s_waitcnt vmcnt(23) lgkmcnt(0)
	v_fma_f64 v[86:87], v[100:101], v[90:91], v[86:87]
	s_waitcnt vmcnt(18)
	v_fma_f64 v[99:100], v[106:107], v[92:93], v[86:87]
	ds_read_b128 v[86:89], v85 offset:512
	ds_read_b128 v[90:93], v85 offset:528
	s_waitcnt vmcnt(17) lgkmcnt(1)
	v_fma_f64 v[86:87], v[114:115], v[86:87], v[99:100]
	buffer_load_dword v99, off, s[0:3], 0 offset:260
	s_waitcnt vmcnt(17)
	v_fma_f64 v[86:87], v[112:113], v[88:89], v[86:87]
	buffer_load_dword v101, off, s[0:3], 0 offset:268
	buffer_load_dword v106, off, s[0:3], 0 offset:288
	;; [unrolled: 1-line block ×8, first 2 shown]
	s_waitcnt vmcnt(24) lgkmcnt(0)
	v_fma_f64 v[86:87], v[108:109], v[90:91], v[86:87]
	s_waitcnt vmcnt(19)
	v_fma_f64 v[94:95], v[94:95], v[92:93], v[86:87]
	ds_read_b128 v[86:89], v85 offset:544
	ds_read_b128 v[90:93], v85 offset:560
	s_waitcnt vmcnt(18) lgkmcnt(1)
	v_fma_f64 v[86:87], v[118:119], v[86:87], v[94:95]
	s_waitcnt vmcnt(17)
	v_fma_f64 v[86:87], v[116:117], v[88:89], v[86:87]
	buffer_load_dword v95, off, s[0:3], 0 offset:300
	buffer_load_dword v108, off, s[0:3], 0 offset:320
	;; [unrolled: 1-line block ×8, first 2 shown]
	s_waitcnt vmcnt(24) lgkmcnt(0)
	v_fma_f64 v[86:87], v[110:111], v[90:91], v[86:87]
	s_waitcnt vmcnt(19)
	v_fma_f64 v[96:97], v[96:97], v[92:93], v[86:87]
	ds_read_b128 v[86:89], v85 offset:576
	ds_read_b128 v[90:93], v85 offset:592
	s_waitcnt vmcnt(18) lgkmcnt(1)
	v_fma_f64 v[86:87], v[104:105], v[86:87], v[96:97]
	buffer_load_dword v96, off, s[0:3], 0 offset:8
	buffer_load_dword v97, off, s[0:3], 0 offset:12
	s_waitcnt vmcnt(19)
	v_fma_f64 v[86:87], v[102:103], v[88:89], v[86:87]
	s_waitcnt vmcnt(18) lgkmcnt(0)
	v_fma_f64 v[86:87], v[98:99], v[90:91], v[86:87]
	s_waitcnt vmcnt(13)
	v_fma_f64 v[98:99], v[100:101], v[92:93], v[86:87]
	ds_read_b128 v[86:89], v85 offset:608
	ds_read_b128 v[90:93], v85 offset:624
	s_waitcnt vmcnt(12) lgkmcnt(1)
	v_fma_f64 v[86:87], v[114:115], v[86:87], v[98:99]
	s_waitcnt vmcnt(11)
	v_fma_f64 v[86:87], v[112:113], v[88:89], v[86:87]
	s_waitcnt vmcnt(10) lgkmcnt(0)
	v_fma_f64 v[86:87], v[106:107], v[90:91], v[86:87]
	s_waitcnt vmcnt(5)
	v_fma_f64 v[90:91], v[94:95], v[92:93], v[86:87]
	ds_read_b128 v[86:89], v85 offset:640
	ds_read_b64 v[92:93], v85 offset:656
	s_waitcnt vmcnt(4) lgkmcnt(1)
	v_fma_f64 v[86:87], v[118:119], v[86:87], v[90:91]
	s_waitcnt vmcnt(3)
	v_fma_f64 v[86:87], v[116:117], v[88:89], v[86:87]
	s_waitcnt vmcnt(2) lgkmcnt(0)
	v_fma_f64 v[86:87], v[108:109], v[92:93], v[86:87]
	s_waitcnt vmcnt(0)
	v_add_f64 v[86:87], v[96:97], -v[86:87]
	buffer_store_dword v87, off, s[0:3], 0 offset:12
	buffer_store_dword v86, off, s[0:3], 0 offset:8
	s_and_saveexec_b64 s[4:5], vcc
	s_cbranch_execz .LBB104_253
; %bb.252:
	buffer_load_dword v86, off, s[0:3], 0
	buffer_load_dword v87, off, s[0:3], 0 offset:4
	s_waitcnt vmcnt(0)
	ds_write_b64 v83, v[86:87]
	buffer_store_dword v85, off, s[0:3], 0
	buffer_store_dword v85, off, s[0:3], 0 offset:4
.LBB104_253:
	s_or_b64 exec, exec, s[4:5]
	s_waitcnt lgkmcnt(0)
	; wave barrier
	buffer_load_dword v83, off, s[0:3], 0 offset:8
	buffer_load_dword v84, off, s[0:3], 0 offset:12
	buffer_load_dword v94, off, s[0:3], 0 offset:16
	buffer_load_dword v95, off, s[0:3], 0 offset:20
	buffer_load_dword v96, off, s[0:3], 0 offset:24
	buffer_load_dword v97, off, s[0:3], 0 offset:28
	buffer_load_dword v98, off, s[0:3], 0 offset:32
	buffer_load_dword v99, off, s[0:3], 0 offset:36
	buffer_load_dword v100, off, s[0:3], 0 offset:40
	buffer_load_dword v101, off, s[0:3], 0 offset:44
	buffer_load_dword v102, off, s[0:3], 0 offset:48
	buffer_load_dword v103, off, s[0:3], 0 offset:52
	buffer_load_dword v104, off, s[0:3], 0 offset:56
	buffer_load_dword v105, off, s[0:3], 0 offset:60
	buffer_load_dword v107, off, s[0:3], 0 offset:68
	buffer_load_dword v108, off, s[0:3], 0 offset:88
	buffer_load_dword v110, off, s[0:3], 0 offset:80
	buffer_load_dword v112, off, s[0:3], 0 offset:72
	buffer_load_dword v106, off, s[0:3], 0 offset:64
	buffer_load_dword v113, off, s[0:3], 0 offset:76
	buffer_load_dword v111, off, s[0:3], 0 offset:84
	buffer_load_dword v109, off, s[0:3], 0 offset:92
	ds_read2_b64 v[86:89], v85 offset0:43 offset1:44
	ds_read2_b64 v[90:93], v85 offset0:45 offset1:46
	s_and_b64 vcc, exec, s[14:15]
	s_waitcnt vmcnt(20) lgkmcnt(1)
	v_fma_f64 v[83:84], v[83:84], v[86:87], 0
	s_waitcnt vmcnt(18)
	v_fma_f64 v[83:84], v[94:95], v[88:89], v[83:84]
	buffer_load_dword v95, off, s[0:3], 0 offset:100
	buffer_load_dword v114, off, s[0:3], 0 offset:120
	;; [unrolled: 1-line block ×7, first 2 shown]
	s_waitcnt vmcnt(23) lgkmcnt(0)
	v_fma_f64 v[83:84], v[96:97], v[90:91], v[83:84]
	s_waitcnt vmcnt(21)
	v_fma_f64 v[83:84], v[98:99], v[92:93], v[83:84]
	ds_read2_b64 v[86:89], v85 offset0:47 offset1:48
	ds_read2_b64 v[90:93], v85 offset0:49 offset1:50
	buffer_load_dword v115, off, s[0:3], 0 offset:124
	s_waitcnt vmcnt(20) lgkmcnt(1)
	v_fma_f64 v[83:84], v[100:101], v[86:87], v[83:84]
	s_waitcnt vmcnt(18)
	v_fma_f64 v[83:84], v[102:103], v[88:89], v[83:84]
	buffer_load_dword v97, off, s[0:3], 0 offset:132
	buffer_load_dword v98, off, s[0:3], 0 offset:152
	;; [unrolled: 1-line block ×8, first 2 shown]
	ds_read2_b64 v[86:89], v85 offset0:51 offset1:52
	s_waitcnt vmcnt(24) lgkmcnt(1)
	v_fma_f64 v[83:84], v[104:105], v[90:91], v[83:84]
	s_waitcnt vmcnt(19)
	v_fma_f64 v[83:84], v[106:107], v[92:93], v[83:84]
	ds_read2_b64 v[90:93], v85 offset0:53 offset1:54
	s_waitcnt vmcnt(18) lgkmcnt(1)
	v_fma_f64 v[83:84], v[112:113], v[86:87], v[83:84]
	s_waitcnt vmcnt(17)
	v_fma_f64 v[83:84], v[110:111], v[88:89], v[83:84]
	buffer_load_dword v105, off, s[0:3], 0 offset:164
	buffer_load_dword v106, off, s[0:3], 0 offset:184
	;; [unrolled: 1-line block ×8, first 2 shown]
	ds_read2_b64 v[86:89], v85 offset0:55 offset1:56
	s_waitcnt vmcnt(24) lgkmcnt(1)
	v_fma_f64 v[83:84], v[108:109], v[90:91], v[83:84]
	s_waitcnt vmcnt(19)
	v_fma_f64 v[83:84], v[94:95], v[92:93], v[83:84]
	ds_read2_b64 v[90:93], v85 offset0:57 offset1:58
	s_waitcnt vmcnt(18) lgkmcnt(1)
	v_fma_f64 v[83:84], v[118:119], v[86:87], v[83:84]
	s_waitcnt vmcnt(17)
	v_fma_f64 v[83:84], v[116:117], v[88:89], v[83:84]
	buffer_load_dword v95, off, s[0:3], 0 offset:196
	buffer_load_dword v108, off, s[0:3], 0 offset:216
	;; [unrolled: 1-line block ×7, first 2 shown]
	s_waitcnt vmcnt(23) lgkmcnt(0)
	v_fma_f64 v[83:84], v[114:115], v[90:91], v[83:84]
	s_waitcnt vmcnt(18)
	v_fma_f64 v[83:84], v[96:97], v[92:93], v[83:84]
	ds_read2_b64 v[86:89], v85 offset0:59 offset1:60
	ds_read2_b64 v[90:93], v85 offset0:61 offset1:62
	buffer_load_dword v109, off, s[0:3], 0 offset:220
	s_waitcnt vmcnt(18) lgkmcnt(1)
	v_fma_f64 v[83:84], v[102:103], v[86:87], v[83:84]
	s_waitcnt vmcnt(17)
	v_fma_f64 v[83:84], v[100:101], v[88:89], v[83:84]
	buffer_load_dword v97, off, s[0:3], 0 offset:228
	buffer_load_dword v100, off, s[0:3], 0 offset:248
	;; [unrolled: 1-line block ×8, first 2 shown]
	ds_read2_b64 v[86:89], v85 offset0:63 offset1:64
	s_waitcnt vmcnt(24) lgkmcnt(1)
	v_fma_f64 v[83:84], v[98:99], v[90:91], v[83:84]
	s_waitcnt vmcnt(19)
	v_fma_f64 v[83:84], v[104:105], v[92:93], v[83:84]
	ds_read2_b64 v[90:93], v85 offset0:65 offset1:66
	s_waitcnt vmcnt(18) lgkmcnt(1)
	v_fma_f64 v[83:84], v[112:113], v[86:87], v[83:84]
	s_waitcnt vmcnt(17)
	v_fma_f64 v[83:84], v[110:111], v[88:89], v[83:84]
	buffer_load_dword v99, off, s[0:3], 0 offset:260
	buffer_load_dword v104, off, s[0:3], 0 offset:280
	;; [unrolled: 1-line block ×8, first 2 shown]
	ds_read2_b64 v[86:89], v85 offset0:67 offset1:68
	s_waitcnt vmcnt(24) lgkmcnt(1)
	v_fma_f64 v[83:84], v[106:107], v[90:91], v[83:84]
	s_waitcnt vmcnt(19)
	v_fma_f64 v[83:84], v[94:95], v[92:93], v[83:84]
	ds_read2_b64 v[90:93], v85 offset0:69 offset1:70
	s_waitcnt vmcnt(18) lgkmcnt(1)
	v_fma_f64 v[83:84], v[118:119], v[86:87], v[83:84]
	s_waitcnt vmcnt(17)
	v_fma_f64 v[86:87], v[116:117], v[88:89], v[83:84]
	buffer_load_dword v95, off, s[0:3], 0 offset:292
	buffer_load_dword v83, off, s[0:3], 0 offset:312
	buffer_load_dword v106, off, s[0:3], 0 offset:304
	buffer_load_dword v116, off, s[0:3], 0 offset:296
	buffer_load_dword v94, off, s[0:3], 0 offset:288
	buffer_load_dword v117, off, s[0:3], 0 offset:300
	buffer_load_dword v107, off, s[0:3], 0 offset:308
	buffer_load_dword v84, off, s[0:3], 0 offset:316
	s_waitcnt vmcnt(24) lgkmcnt(0)
	v_fma_f64 v[86:87], v[108:109], v[90:91], v[86:87]
	s_waitcnt vmcnt(19)
	v_fma_f64 v[96:97], v[96:97], v[92:93], v[86:87]
	ds_read2_b64 v[86:89], v85 offset0:71 offset1:72
	ds_read2_b64 v[90:93], v85 offset0:73 offset1:74
	s_waitcnt vmcnt(18) lgkmcnt(1)
	v_fma_f64 v[86:87], v[114:115], v[86:87], v[96:97]
	buffer_load_dword v97, off, s[0:3], 0 offset:324
	buffer_load_dword v96, off, s[0:3], 0 offset:320
	s_waitcnt vmcnt(19)
	v_fma_f64 v[86:87], v[102:103], v[88:89], v[86:87]
	buffer_load_dword v102, off, s[0:3], 0
	buffer_load_dword v103, off, s[0:3], 0 offset:4
	s_waitcnt vmcnt(20) lgkmcnt(0)
	v_fma_f64 v[86:87], v[100:101], v[90:91], v[86:87]
	s_waitcnt vmcnt(15)
	v_fma_f64 v[98:99], v[98:99], v[92:93], v[86:87]
	ds_read2_b64 v[86:89], v85 offset0:75 offset1:76
	ds_read2_b64 v[90:93], v85 offset0:77 offset1:78
	s_waitcnt vmcnt(14) lgkmcnt(1)
	v_fma_f64 v[86:87], v[112:113], v[86:87], v[98:99]
	s_waitcnt vmcnt(13)
	v_fma_f64 v[86:87], v[110:111], v[88:89], v[86:87]
	s_waitcnt vmcnt(12) lgkmcnt(0)
	v_fma_f64 v[86:87], v[104:105], v[90:91], v[86:87]
	s_waitcnt vmcnt(7)
	v_fma_f64 v[94:95], v[94:95], v[92:93], v[86:87]
	ds_read2_b64 v[86:89], v85 offset0:79 offset1:80
	ds_read2_b64 v[90:93], v85 offset0:81 offset1:82
	s_waitcnt vmcnt(6) lgkmcnt(1)
	v_fma_f64 v[85:86], v[116:117], v[86:87], v[94:95]
	s_waitcnt vmcnt(5)
	v_fma_f64 v[85:86], v[106:107], v[88:89], v[85:86]
	s_waitcnt vmcnt(4) lgkmcnt(0)
	v_fma_f64 v[85:86], v[83:84], v[90:91], v[85:86]
	s_waitcnt vmcnt(2)
	v_fma_f64 v[85:86], v[96:97], v[92:93], v[85:86]
	s_waitcnt vmcnt(0)
	v_add_f64 v[85:86], v[102:103], -v[85:86]
	buffer_store_dword v86, off, s[0:3], 0 offset:4
	buffer_store_dword v85, off, s[0:3], 0
	s_cbranch_vccz .LBB104_334
; %bb.254:
	v_mov_b32_e32 v0, 0
	global_load_dword v85, v0, s[12:13] offset:156
	s_waitcnt vmcnt(0)
	v_add_u32_e32 v85, -1, v85
	v_cmp_ne_u32_e32 vcc, 39, v85
	s_cbranch_vccz .LBB104_256
; %bb.255:
	v_lshlrev_b32_e32 v85, 3, v85
	buffer_load_dword v86, v85, s[0:3], 0 offen
	buffer_load_dword v87, v85, s[0:3], 0 offen offset:4
	s_waitcnt vmcnt(1)
	buffer_store_dword v86, off, s[0:3], 0 offset:312
	s_waitcnt vmcnt(1)
	buffer_store_dword v87, off, s[0:3], 0 offset:316
	buffer_store_dword v83, v85, s[0:3], 0 offen
	buffer_store_dword v84, v85, s[0:3], 0 offen offset:4
.LBB104_256:
	global_load_dword v0, v0, s[12:13] offset:152
	s_waitcnt vmcnt(0)
	v_add_u32_e32 v0, -1, v0
	v_cmp_eq_u32_e32 vcc, 38, v0
	s_cbranch_vccnz .LBB104_258
; %bb.257:
	v_lshlrev_b32_e32 v0, 3, v0
	buffer_load_dword v83, v0, s[0:3], 0 offen
	buffer_load_dword v84, v0, s[0:3], 0 offen offset:4
	buffer_load_dword v85, off, s[0:3], 0 offset:308
	buffer_load_dword v86, off, s[0:3], 0 offset:304
	s_waitcnt vmcnt(3)
	buffer_store_dword v83, off, s[0:3], 0 offset:304
	s_waitcnt vmcnt(3)
	buffer_store_dword v84, off, s[0:3], 0 offset:308
	s_waitcnt vmcnt(3)
	buffer_store_dword v85, v0, s[0:3], 0 offen offset:4
	s_waitcnt vmcnt(3)
	buffer_store_dword v86, v0, s[0:3], 0 offen
.LBB104_258:
	v_mov_b32_e32 v0, 0
	global_load_dword v83, v0, s[12:13] offset:148
	s_waitcnt vmcnt(0)
	v_add_u32_e32 v83, -1, v83
	v_cmp_eq_u32_e32 vcc, 37, v83
	s_cbranch_vccnz .LBB104_260
; %bb.259:
	v_lshlrev_b32_e32 v83, 3, v83
	buffer_load_dword v84, v83, s[0:3], 0 offen
	buffer_load_dword v85, v83, s[0:3], 0 offen offset:4
	buffer_load_dword v86, off, s[0:3], 0 offset:296
	buffer_load_dword v87, off, s[0:3], 0 offset:300
	s_waitcnt vmcnt(3)
	buffer_store_dword v84, off, s[0:3], 0 offset:296
	s_waitcnt vmcnt(3)
	buffer_store_dword v85, off, s[0:3], 0 offset:300
	s_waitcnt vmcnt(3)
	buffer_store_dword v86, v83, s[0:3], 0 offen
	s_waitcnt vmcnt(3)
	buffer_store_dword v87, v83, s[0:3], 0 offen offset:4
.LBB104_260:
	global_load_dword v0, v0, s[12:13] offset:144
	s_waitcnt vmcnt(0)
	v_add_u32_e32 v0, -1, v0
	v_cmp_eq_u32_e32 vcc, 36, v0
	s_cbranch_vccnz .LBB104_262
; %bb.261:
	v_lshlrev_b32_e32 v0, 3, v0
	buffer_load_dword v83, v0, s[0:3], 0 offen
	buffer_load_dword v84, v0, s[0:3], 0 offen offset:4
	buffer_load_dword v85, off, s[0:3], 0 offset:292
	buffer_load_dword v86, off, s[0:3], 0 offset:288
	s_waitcnt vmcnt(3)
	buffer_store_dword v83, off, s[0:3], 0 offset:288
	s_waitcnt vmcnt(3)
	buffer_store_dword v84, off, s[0:3], 0 offset:292
	s_waitcnt vmcnt(3)
	buffer_store_dword v85, v0, s[0:3], 0 offen offset:4
	s_waitcnt vmcnt(3)
	buffer_store_dword v86, v0, s[0:3], 0 offen
.LBB104_262:
	v_mov_b32_e32 v0, 0
	global_load_dword v83, v0, s[12:13] offset:140
	s_waitcnt vmcnt(0)
	v_add_u32_e32 v83, -1, v83
	v_cmp_eq_u32_e32 vcc, 35, v83
	s_cbranch_vccnz .LBB104_264
; %bb.263:
	v_lshlrev_b32_e32 v83, 3, v83
	buffer_load_dword v84, v83, s[0:3], 0 offen
	buffer_load_dword v85, v83, s[0:3], 0 offen offset:4
	buffer_load_dword v86, off, s[0:3], 0 offset:280
	buffer_load_dword v87, off, s[0:3], 0 offset:284
	s_waitcnt vmcnt(3)
	buffer_store_dword v84, off, s[0:3], 0 offset:280
	s_waitcnt vmcnt(3)
	buffer_store_dword v85, off, s[0:3], 0 offset:284
	s_waitcnt vmcnt(3)
	buffer_store_dword v86, v83, s[0:3], 0 offen
	s_waitcnt vmcnt(3)
	buffer_store_dword v87, v83, s[0:3], 0 offen offset:4
.LBB104_264:
	;; [unrolled: 41-line block ×19, first 2 shown]
	global_load_dword v0, v0, s[12:13]
	s_nop 0
	buffer_load_dword v85, off, s[0:3], 0
	buffer_load_dword v86, off, s[0:3], 0 offset:4
	s_waitcnt vmcnt(2)
	v_add_u32_e32 v0, -1, v0
	v_cmp_eq_u32_e32 vcc, 0, v0
	s_cbranch_vccnz .LBB104_334
; %bb.333:
	v_lshlrev_b32_e32 v0, 3, v0
	buffer_load_dword v83, v0, s[0:3], 0 offen offset:4
	buffer_load_dword v84, v0, s[0:3], 0 offen
	s_waitcnt vmcnt(1)
	buffer_store_dword v83, off, s[0:3], 0 offset:4
	s_waitcnt vmcnt(1)
	buffer_store_dword v84, off, s[0:3], 0
	buffer_store_dword v86, v0, s[0:3], 0 offen offset:4
	buffer_store_dword v85, v0, s[0:3], 0 offen
	buffer_load_dword v85, off, s[0:3], 0
	s_nop 0
	buffer_load_dword v86, off, s[0:3], 0 offset:4
.LBB104_334:
	s_waitcnt vmcnt(0)
	flat_store_dwordx2 v[1:2], v[85:86]
	buffer_load_dword v0, off, s[0:3], 0 offset:8
	s_nop 0
	buffer_load_dword v1, off, s[0:3], 0 offset:12
	s_waitcnt vmcnt(0)
	flat_store_dwordx2 v[3:4], v[0:1]
	buffer_load_dword v0, off, s[0:3], 0 offset:16
	s_nop 0
	buffer_load_dword v1, off, s[0:3], 0 offset:20
	s_waitcnt vmcnt(0)
	flat_store_dwordx2 v[5:6], v[0:1]
	buffer_load_dword v0, off, s[0:3], 0 offset:24
	s_nop 0
	buffer_load_dword v1, off, s[0:3], 0 offset:28
	s_waitcnt vmcnt(0)
	flat_store_dwordx2 v[7:8], v[0:1]
	buffer_load_dword v0, off, s[0:3], 0 offset:32
	s_nop 0
	buffer_load_dword v1, off, s[0:3], 0 offset:36
	s_waitcnt vmcnt(0)
	flat_store_dwordx2 v[9:10], v[0:1]
	buffer_load_dword v0, off, s[0:3], 0 offset:40
	s_nop 0
	buffer_load_dword v1, off, s[0:3], 0 offset:44
	s_waitcnt vmcnt(0)
	flat_store_dwordx2 v[11:12], v[0:1]
	buffer_load_dword v0, off, s[0:3], 0 offset:48
	s_nop 0
	buffer_load_dword v1, off, s[0:3], 0 offset:52
	s_waitcnt vmcnt(0)
	flat_store_dwordx2 v[13:14], v[0:1]
	buffer_load_dword v0, off, s[0:3], 0 offset:56
	s_nop 0
	buffer_load_dword v1, off, s[0:3], 0 offset:60
	s_waitcnt vmcnt(0)
	flat_store_dwordx2 v[15:16], v[0:1]
	buffer_load_dword v0, off, s[0:3], 0 offset:64
	s_nop 0
	buffer_load_dword v1, off, s[0:3], 0 offset:68
	s_waitcnt vmcnt(0)
	flat_store_dwordx2 v[17:18], v[0:1]
	buffer_load_dword v0, off, s[0:3], 0 offset:72
	s_nop 0
	buffer_load_dword v1, off, s[0:3], 0 offset:76
	s_waitcnt vmcnt(0)
	flat_store_dwordx2 v[19:20], v[0:1]
	buffer_load_dword v0, off, s[0:3], 0 offset:80
	s_nop 0
	buffer_load_dword v1, off, s[0:3], 0 offset:84
	s_waitcnt vmcnt(0)
	flat_store_dwordx2 v[21:22], v[0:1]
	buffer_load_dword v0, off, s[0:3], 0 offset:88
	s_nop 0
	buffer_load_dword v1, off, s[0:3], 0 offset:92
	s_waitcnt vmcnt(0)
	flat_store_dwordx2 v[23:24], v[0:1]
	buffer_load_dword v0, off, s[0:3], 0 offset:96
	s_nop 0
	buffer_load_dword v1, off, s[0:3], 0 offset:100
	s_waitcnt vmcnt(0)
	flat_store_dwordx2 v[25:26], v[0:1]
	buffer_load_dword v0, off, s[0:3], 0 offset:104
	s_nop 0
	buffer_load_dword v1, off, s[0:3], 0 offset:108
	s_waitcnt vmcnt(0)
	flat_store_dwordx2 v[27:28], v[0:1]
	buffer_load_dword v0, off, s[0:3], 0 offset:112
	s_nop 0
	buffer_load_dword v1, off, s[0:3], 0 offset:116
	s_waitcnt vmcnt(0)
	flat_store_dwordx2 v[29:30], v[0:1]
	buffer_load_dword v0, off, s[0:3], 0 offset:120
	s_nop 0
	buffer_load_dword v1, off, s[0:3], 0 offset:124
	s_waitcnt vmcnt(0)
	flat_store_dwordx2 v[31:32], v[0:1]
	buffer_load_dword v0, off, s[0:3], 0 offset:128
	s_nop 0
	buffer_load_dword v1, off, s[0:3], 0 offset:132
	s_waitcnt vmcnt(0)
	flat_store_dwordx2 v[33:34], v[0:1]
	buffer_load_dword v0, off, s[0:3], 0 offset:136
	s_nop 0
	buffer_load_dword v1, off, s[0:3], 0 offset:140
	s_waitcnt vmcnt(0)
	flat_store_dwordx2 v[35:36], v[0:1]
	buffer_load_dword v0, off, s[0:3], 0 offset:144
	s_nop 0
	buffer_load_dword v1, off, s[0:3], 0 offset:148
	s_waitcnt vmcnt(0)
	flat_store_dwordx2 v[37:38], v[0:1]
	buffer_load_dword v0, off, s[0:3], 0 offset:152
	s_nop 0
	buffer_load_dword v1, off, s[0:3], 0 offset:156
	s_waitcnt vmcnt(0)
	flat_store_dwordx2 v[39:40], v[0:1]
	buffer_load_dword v0, off, s[0:3], 0 offset:160
	s_nop 0
	buffer_load_dword v1, off, s[0:3], 0 offset:164
	s_waitcnt vmcnt(0)
	flat_store_dwordx2 v[41:42], v[0:1]
	buffer_load_dword v0, off, s[0:3], 0 offset:168
	s_nop 0
	buffer_load_dword v1, off, s[0:3], 0 offset:172
	s_waitcnt vmcnt(0)
	flat_store_dwordx2 v[43:44], v[0:1]
	buffer_load_dword v0, off, s[0:3], 0 offset:176
	s_nop 0
	buffer_load_dword v1, off, s[0:3], 0 offset:180
	s_waitcnt vmcnt(0)
	flat_store_dwordx2 v[45:46], v[0:1]
	buffer_load_dword v0, off, s[0:3], 0 offset:184
	s_nop 0
	buffer_load_dword v1, off, s[0:3], 0 offset:188
	s_waitcnt vmcnt(0)
	flat_store_dwordx2 v[47:48], v[0:1]
	buffer_load_dword v0, off, s[0:3], 0 offset:192
	s_nop 0
	buffer_load_dword v1, off, s[0:3], 0 offset:196
	s_waitcnt vmcnt(0)
	flat_store_dwordx2 v[49:50], v[0:1]
	buffer_load_dword v0, off, s[0:3], 0 offset:200
	s_nop 0
	buffer_load_dword v1, off, s[0:3], 0 offset:204
	s_waitcnt vmcnt(0)
	flat_store_dwordx2 v[51:52], v[0:1]
	buffer_load_dword v0, off, s[0:3], 0 offset:208
	s_nop 0
	buffer_load_dword v1, off, s[0:3], 0 offset:212
	s_waitcnt vmcnt(0)
	flat_store_dwordx2 v[53:54], v[0:1]
	buffer_load_dword v0, off, s[0:3], 0 offset:216
	s_nop 0
	buffer_load_dword v1, off, s[0:3], 0 offset:220
	s_waitcnt vmcnt(0)
	flat_store_dwordx2 v[55:56], v[0:1]
	buffer_load_dword v0, off, s[0:3], 0 offset:224
	s_nop 0
	buffer_load_dword v1, off, s[0:3], 0 offset:228
	s_waitcnt vmcnt(0)
	flat_store_dwordx2 v[57:58], v[0:1]
	buffer_load_dword v0, off, s[0:3], 0 offset:232
	s_nop 0
	buffer_load_dword v1, off, s[0:3], 0 offset:236
	s_waitcnt vmcnt(0)
	flat_store_dwordx2 v[59:60], v[0:1]
	buffer_load_dword v0, off, s[0:3], 0 offset:240
	s_nop 0
	buffer_load_dword v1, off, s[0:3], 0 offset:244
	s_waitcnt vmcnt(0)
	flat_store_dwordx2 v[61:62], v[0:1]
	buffer_load_dword v0, off, s[0:3], 0 offset:248
	s_nop 0
	buffer_load_dword v1, off, s[0:3], 0 offset:252
	s_waitcnt vmcnt(0)
	flat_store_dwordx2 v[63:64], v[0:1]
	buffer_load_dword v0, off, s[0:3], 0 offset:256
	s_nop 0
	buffer_load_dword v1, off, s[0:3], 0 offset:260
	s_waitcnt vmcnt(0)
	flat_store_dwordx2 v[65:66], v[0:1]
	buffer_load_dword v0, off, s[0:3], 0 offset:264
	s_nop 0
	buffer_load_dword v1, off, s[0:3], 0 offset:268
	s_waitcnt vmcnt(0)
	flat_store_dwordx2 v[67:68], v[0:1]
	buffer_load_dword v0, off, s[0:3], 0 offset:272
	s_nop 0
	buffer_load_dword v1, off, s[0:3], 0 offset:276
	s_waitcnt vmcnt(0)
	flat_store_dwordx2 v[69:70], v[0:1]
	buffer_load_dword v0, off, s[0:3], 0 offset:280
	s_nop 0
	buffer_load_dword v1, off, s[0:3], 0 offset:284
	s_waitcnt vmcnt(0)
	flat_store_dwordx2 v[71:72], v[0:1]
	buffer_load_dword v0, off, s[0:3], 0 offset:288
	s_nop 0
	buffer_load_dword v1, off, s[0:3], 0 offset:292
	s_waitcnt vmcnt(0)
	flat_store_dwordx2 v[73:74], v[0:1]
	buffer_load_dword v0, off, s[0:3], 0 offset:296
	s_nop 0
	buffer_load_dword v1, off, s[0:3], 0 offset:300
	s_waitcnt vmcnt(0)
	flat_store_dwordx2 v[75:76], v[0:1]
	buffer_load_dword v0, off, s[0:3], 0 offset:304
	s_nop 0
	buffer_load_dword v1, off, s[0:3], 0 offset:308
	s_waitcnt vmcnt(0)
	flat_store_dwordx2 v[77:78], v[0:1]
	buffer_load_dword v0, off, s[0:3], 0 offset:312
	s_nop 0
	buffer_load_dword v1, off, s[0:3], 0 offset:316
	s_waitcnt vmcnt(0)
	flat_store_dwordx2 v[79:80], v[0:1]
	buffer_load_dword v0, off, s[0:3], 0 offset:320
	s_nop 0
	buffer_load_dword v1, off, s[0:3], 0 offset:324
	s_waitcnt vmcnt(0)
	flat_store_dwordx2 v[81:82], v[0:1]
	s_endpgm
	.section	.rodata,"a",@progbits
	.p2align	6, 0x0
	.amdhsa_kernel _ZN9rocsolver6v33100L18getri_kernel_smallILi41EdPKPdEEvT1_iilPiilS6_bb
		.amdhsa_group_segment_fixed_size 664
		.amdhsa_private_segment_fixed_size 336
		.amdhsa_kernarg_size 60
		.amdhsa_user_sgpr_count 6
		.amdhsa_user_sgpr_private_segment_buffer 1
		.amdhsa_user_sgpr_dispatch_ptr 0
		.amdhsa_user_sgpr_queue_ptr 0
		.amdhsa_user_sgpr_kernarg_segment_ptr 1
		.amdhsa_user_sgpr_dispatch_id 0
		.amdhsa_user_sgpr_flat_scratch_init 0
		.amdhsa_user_sgpr_private_segment_size 0
		.amdhsa_uses_dynamic_stack 0
		.amdhsa_system_sgpr_private_segment_wavefront_offset 1
		.amdhsa_system_sgpr_workgroup_id_x 1
		.amdhsa_system_sgpr_workgroup_id_y 0
		.amdhsa_system_sgpr_workgroup_id_z 0
		.amdhsa_system_sgpr_workgroup_info 0
		.amdhsa_system_vgpr_workitem_id 0
		.amdhsa_next_free_vgpr 120
		.amdhsa_next_free_sgpr 21
		.amdhsa_reserve_vcc 1
		.amdhsa_reserve_flat_scratch 0
		.amdhsa_float_round_mode_32 0
		.amdhsa_float_round_mode_16_64 0
		.amdhsa_float_denorm_mode_32 3
		.amdhsa_float_denorm_mode_16_64 3
		.amdhsa_dx10_clamp 1
		.amdhsa_ieee_mode 1
		.amdhsa_fp16_overflow 0
		.amdhsa_exception_fp_ieee_invalid_op 0
		.amdhsa_exception_fp_denorm_src 0
		.amdhsa_exception_fp_ieee_div_zero 0
		.amdhsa_exception_fp_ieee_overflow 0
		.amdhsa_exception_fp_ieee_underflow 0
		.amdhsa_exception_fp_ieee_inexact 0
		.amdhsa_exception_int_div_zero 0
	.end_amdhsa_kernel
	.section	.text._ZN9rocsolver6v33100L18getri_kernel_smallILi41EdPKPdEEvT1_iilPiilS6_bb,"axG",@progbits,_ZN9rocsolver6v33100L18getri_kernel_smallILi41EdPKPdEEvT1_iilPiilS6_bb,comdat
.Lfunc_end104:
	.size	_ZN9rocsolver6v33100L18getri_kernel_smallILi41EdPKPdEEvT1_iilPiilS6_bb, .Lfunc_end104-_ZN9rocsolver6v33100L18getri_kernel_smallILi41EdPKPdEEvT1_iilPiilS6_bb
                                        ; -- End function
	.set _ZN9rocsolver6v33100L18getri_kernel_smallILi41EdPKPdEEvT1_iilPiilS6_bb.num_vgpr, 120
	.set _ZN9rocsolver6v33100L18getri_kernel_smallILi41EdPKPdEEvT1_iilPiilS6_bb.num_agpr, 0
	.set _ZN9rocsolver6v33100L18getri_kernel_smallILi41EdPKPdEEvT1_iilPiilS6_bb.numbered_sgpr, 21
	.set _ZN9rocsolver6v33100L18getri_kernel_smallILi41EdPKPdEEvT1_iilPiilS6_bb.num_named_barrier, 0
	.set _ZN9rocsolver6v33100L18getri_kernel_smallILi41EdPKPdEEvT1_iilPiilS6_bb.private_seg_size, 336
	.set _ZN9rocsolver6v33100L18getri_kernel_smallILi41EdPKPdEEvT1_iilPiilS6_bb.uses_vcc, 1
	.set _ZN9rocsolver6v33100L18getri_kernel_smallILi41EdPKPdEEvT1_iilPiilS6_bb.uses_flat_scratch, 0
	.set _ZN9rocsolver6v33100L18getri_kernel_smallILi41EdPKPdEEvT1_iilPiilS6_bb.has_dyn_sized_stack, 0
	.set _ZN9rocsolver6v33100L18getri_kernel_smallILi41EdPKPdEEvT1_iilPiilS6_bb.has_recursion, 0
	.set _ZN9rocsolver6v33100L18getri_kernel_smallILi41EdPKPdEEvT1_iilPiilS6_bb.has_indirect_call, 0
	.section	.AMDGPU.csdata,"",@progbits
; Kernel info:
; codeLenInByte = 46724
; TotalNumSgprs: 25
; NumVgprs: 120
; ScratchSize: 336
; MemoryBound: 1
; FloatMode: 240
; IeeeMode: 1
; LDSByteSize: 664 bytes/workgroup (compile time only)
; SGPRBlocks: 3
; VGPRBlocks: 29
; NumSGPRsForWavesPerEU: 25
; NumVGPRsForWavesPerEU: 120
; Occupancy: 2
; WaveLimiterHint : 1
; COMPUTE_PGM_RSRC2:SCRATCH_EN: 1
; COMPUTE_PGM_RSRC2:USER_SGPR: 6
; COMPUTE_PGM_RSRC2:TRAP_HANDLER: 0
; COMPUTE_PGM_RSRC2:TGID_X_EN: 1
; COMPUTE_PGM_RSRC2:TGID_Y_EN: 0
; COMPUTE_PGM_RSRC2:TGID_Z_EN: 0
; COMPUTE_PGM_RSRC2:TIDIG_COMP_CNT: 0
	.section	.text._ZN9rocsolver6v33100L18getri_kernel_smallILi42EdPKPdEEvT1_iilPiilS6_bb,"axG",@progbits,_ZN9rocsolver6v33100L18getri_kernel_smallILi42EdPKPdEEvT1_iilPiilS6_bb,comdat
	.globl	_ZN9rocsolver6v33100L18getri_kernel_smallILi42EdPKPdEEvT1_iilPiilS6_bb ; -- Begin function _ZN9rocsolver6v33100L18getri_kernel_smallILi42EdPKPdEEvT1_iilPiilS6_bb
	.p2align	8
	.type	_ZN9rocsolver6v33100L18getri_kernel_smallILi42EdPKPdEEvT1_iilPiilS6_bb,@function
_ZN9rocsolver6v33100L18getri_kernel_smallILi42EdPKPdEEvT1_iilPiilS6_bb: ; @_ZN9rocsolver6v33100L18getri_kernel_smallILi42EdPKPdEEvT1_iilPiilS6_bb
; %bb.0:
	s_add_u32 s0, s0, s7
	s_addc_u32 s1, s1, 0
	v_cmp_gt_u32_e32 vcc, 42, v0
	s_and_saveexec_b64 s[8:9], vcc
	s_cbranch_execz .LBB105_176
; %bb.1:
	s_load_dword s18, s[4:5], 0x38
	s_load_dwordx2 s[12:13], s[4:5], 0x0
	s_load_dwordx4 s[8:11], s[4:5], 0x28
	s_waitcnt lgkmcnt(0)
	s_bitcmp1_b32 s18, 8
	s_cselect_b64 s[14:15], -1, 0
	s_ashr_i32 s7, s6, 31
	s_lshl_b64 s[16:17], s[6:7], 3
	s_add_u32 s12, s12, s16
	s_addc_u32 s13, s13, s17
	s_load_dwordx2 s[16:17], s[12:13], 0x0
	s_bfe_u32 s12, s18, 0x10008
	s_cmp_eq_u32 s12, 0
                                        ; implicit-def: $sgpr12_sgpr13
	s_cbranch_scc1 .LBB105_3
; %bb.2:
	s_load_dword s12, s[4:5], 0x20
	s_load_dwordx2 s[18:19], s[4:5], 0x18
	s_mul_i32 s13, s8, s7
	s_mul_hi_u32 s20, s8, s6
	s_add_i32 s20, s20, s13
	s_mul_i32 s9, s9, s6
	s_add_i32 s9, s20, s9
	s_mul_i32 s8, s8, s6
	s_waitcnt lgkmcnt(0)
	s_ashr_i32 s13, s12, 31
	s_lshl_b64 s[8:9], s[8:9], 2
	s_add_u32 s18, s18, s8
	s_addc_u32 s19, s19, s9
	s_lshl_b64 s[8:9], s[12:13], 2
	s_add_u32 s12, s18, s8
	s_addc_u32 s13, s19, s9
.LBB105_3:
	s_load_dwordx2 s[8:9], s[4:5], 0x8
	v_lshlrev_b32_e32 v87, 3, v0
	s_load_dword s4, s[4:5], 0x38
	s_waitcnt lgkmcnt(0)
	s_ashr_i32 s19, s8, 31
	s_mov_b32 s18, s8
	s_lshl_b64 s[18:19], s[18:19], 3
	s_add_u32 s5, s16, s18
	s_addc_u32 s8, s17, s19
	v_mov_b32_e32 v2, s8
	v_add_co_u32_e32 v1, vcc, s5, v87
	v_addc_co_u32_e32 v2, vcc, 0, v2, vcc
	flat_load_dwordx2 v[5:6], v[1:2]
	s_mov_b32 s16, s9
	s_ashr_i32 s17, s9, 31
	s_lshl_b64 s[16:17], s[16:17], 3
	v_mov_b32_e32 v4, s17
	v_add_co_u32_e32 v3, vcc, s16, v1
	v_addc_co_u32_e32 v4, vcc, v2, v4, vcc
	s_add_i32 s16, s9, s9
	v_add_u32_e32 v9, s16, v0
	v_ashrrev_i32_e32 v10, 31, v9
	v_mov_b32_e32 v11, s8
	v_add_u32_e32 v12, s9, v9
	v_ashrrev_i32_e32 v13, 31, v12
	v_mov_b32_e32 v14, s8
	v_mov_b32_e32 v15, s8
	;; [unrolled: 1-line block ×38, first 2 shown]
	s_bitcmp0_b32 s4, 0
	s_waitcnt vmcnt(0) lgkmcnt(0)
	buffer_store_dword v6, off, s[0:3], 0 offset:4
	buffer_store_dword v5, off, s[0:3], 0
	flat_load_dwordx2 v[7:8], v[3:4]
	v_lshlrev_b64 v[5:6], 3, v[9:10]
	s_waitcnt vmcnt(0) lgkmcnt(0)
	buffer_store_dword v8, off, s[0:3], 0 offset:12
	buffer_store_dword v7, off, s[0:3], 0 offset:8
	v_add_co_u32_e32 v5, vcc, s5, v5
	v_addc_co_u32_e32 v6, vcc, v11, v6, vcc
	flat_load_dwordx2 v[10:11], v[5:6]
	v_lshlrev_b64 v[7:8], 3, v[12:13]
	s_waitcnt vmcnt(0) lgkmcnt(0)
	buffer_store_dword v11, off, s[0:3], 0 offset:20
	buffer_store_dword v10, off, s[0:3], 0 offset:16
	v_add_co_u32_e32 v7, vcc, s5, v7
	v_addc_co_u32_e32 v8, vcc, v14, v8, vcc
	flat_load_dwordx2 v[13:14], v[7:8]
	v_add_u32_e32 v11, s9, v12
	v_ashrrev_i32_e32 v12, 31, v11
	v_lshlrev_b64 v[9:10], 3, v[11:12]
	s_waitcnt vmcnt(0) lgkmcnt(0)
	buffer_store_dword v14, off, s[0:3], 0 offset:28
	buffer_store_dword v13, off, s[0:3], 0 offset:24
	v_add_co_u32_e32 v9, vcc, s5, v9
	v_addc_co_u32_e32 v10, vcc, v15, v10, vcc
	flat_load_dwordx2 v[13:14], v[9:10]
	v_add_u32_e32 v15, s9, v11
	v_ashrrev_i32_e32 v16, 31, v15
	v_lshlrev_b64 v[11:12], 3, v[15:16]
	v_add_u32_e32 v18, s9, v15
	v_add_co_u32_e32 v11, vcc, s5, v11
	v_addc_co_u32_e32 v12, vcc, v17, v12, vcc
	v_ashrrev_i32_e32 v19, 31, v18
	s_waitcnt vmcnt(0) lgkmcnt(0)
	buffer_store_dword v14, off, s[0:3], 0 offset:36
	buffer_store_dword v13, off, s[0:3], 0 offset:32
	flat_load_dwordx2 v[16:17], v[11:12]
	v_lshlrev_b64 v[13:14], 3, v[18:19]
	s_waitcnt vmcnt(0) lgkmcnt(0)
	buffer_store_dword v17, off, s[0:3], 0 offset:44
	buffer_store_dword v16, off, s[0:3], 0 offset:40
	v_add_co_u32_e32 v13, vcc, s5, v13
	v_addc_co_u32_e32 v14, vcc, v20, v14, vcc
	flat_load_dwordx2 v[19:20], v[13:14]
	v_add_u32_e32 v17, s9, v18
	v_ashrrev_i32_e32 v18, 31, v17
	v_lshlrev_b64 v[15:16], 3, v[17:18]
	s_waitcnt vmcnt(0) lgkmcnt(0)
	buffer_store_dword v20, off, s[0:3], 0 offset:52
	buffer_store_dword v19, off, s[0:3], 0 offset:48
	v_add_co_u32_e32 v15, vcc, s5, v15
	v_addc_co_u32_e32 v16, vcc, v21, v16, vcc
	flat_load_dwordx2 v[19:20], v[15:16]
	v_add_u32_e32 v21, s9, v17
	v_ashrrev_i32_e32 v22, 31, v21
	v_lshlrev_b64 v[17:18], 3, v[21:22]
	v_add_u32_e32 v24, s9, v21
	v_add_co_u32_e32 v17, vcc, s5, v17
	v_addc_co_u32_e32 v18, vcc, v23, v18, vcc
	v_ashrrev_i32_e32 v25, 31, v24
	s_waitcnt vmcnt(0) lgkmcnt(0)
	buffer_store_dword v20, off, s[0:3], 0 offset:60
	buffer_store_dword v19, off, s[0:3], 0 offset:56
	;; [unrolled: 27-line block ×7, first 2 shown]
	flat_load_dwordx2 v[52:53], v[47:48]
	v_lshlrev_b64 v[49:50], 3, v[54:55]
	s_waitcnt vmcnt(0) lgkmcnt(0)
	buffer_store_dword v53, off, s[0:3], 0 offset:188
	buffer_store_dword v52, off, s[0:3], 0 offset:184
	v_add_co_u32_e32 v49, vcc, s5, v49
	v_addc_co_u32_e32 v50, vcc, v56, v50, vcc
	flat_load_dwordx2 v[55:56], v[49:50]
	v_add_u32_e32 v53, s9, v54
	v_ashrrev_i32_e32 v54, 31, v53
	v_lshlrev_b64 v[51:52], 3, v[53:54]
	s_waitcnt vmcnt(0) lgkmcnt(0)
	buffer_store_dword v56, off, s[0:3], 0 offset:196
	buffer_store_dword v55, off, s[0:3], 0 offset:192
	v_add_co_u32_e32 v51, vcc, s5, v51
	v_addc_co_u32_e32 v52, vcc, v57, v52, vcc
	flat_load_dwordx2 v[55:56], v[51:52]
	v_add_u32_e32 v57, s9, v53
	v_ashrrev_i32_e32 v58, 31, v57
	v_lshlrev_b64 v[53:54], 3, v[57:58]
	v_add_u32_e32 v60, s9, v57
	v_add_co_u32_e32 v53, vcc, s5, v53
	v_addc_co_u32_e32 v54, vcc, v59, v54, vcc
	s_waitcnt vmcnt(0) lgkmcnt(0)
	buffer_store_dword v56, off, s[0:3], 0 offset:204
	buffer_store_dword v55, off, s[0:3], 0 offset:200
	flat_load_dwordx2 v[58:59], v[53:54]
	v_ashrrev_i32_e32 v61, 31, v60
	v_lshlrev_b64 v[55:56], 3, v[60:61]
	s_waitcnt vmcnt(0) lgkmcnt(0)
	buffer_store_dword v59, off, s[0:3], 0 offset:212
	buffer_store_dword v58, off, s[0:3], 0 offset:208
	v_add_co_u32_e32 v55, vcc, s5, v55
	v_addc_co_u32_e32 v56, vcc, v62, v56, vcc
	flat_load_dwordx2 v[61:62], v[55:56]
	v_add_u32_e32 v59, s9, v60
	v_ashrrev_i32_e32 v60, 31, v59
	v_lshlrev_b64 v[57:58], 3, v[59:60]
	s_waitcnt vmcnt(0) lgkmcnt(0)
	buffer_store_dword v62, off, s[0:3], 0 offset:220
	buffer_store_dword v61, off, s[0:3], 0 offset:216
	v_add_co_u32_e32 v57, vcc, s5, v57
	v_addc_co_u32_e32 v58, vcc, v63, v58, vcc
	flat_load_dwordx2 v[61:62], v[57:58]
	v_add_u32_e32 v63, s9, v59
	;; [unrolled: 9-line block ×14, first 2 shown]
	v_ashrrev_i32_e32 v84, 31, v83
	v_lshlrev_b64 v[83:84], 3, v[83:84]
	s_waitcnt vmcnt(0) lgkmcnt(0)
	buffer_store_dword v86, off, s[0:3], 0 offset:324
	buffer_store_dword v85, off, s[0:3], 0 offset:320
	v_add_co_u32_e32 v83, vcc, s5, v83
	v_addc_co_u32_e32 v84, vcc, v88, v84, vcc
	flat_load_dwordx2 v[85:86], v[83:84]
	s_mov_b64 s[8:9], -1
	s_waitcnt vmcnt(0) lgkmcnt(0)
	buffer_store_dword v86, off, s[0:3], 0 offset:332
	buffer_store_dword v85, off, s[0:3], 0 offset:328
	s_cbranch_scc1 .LBB105_174
; %bb.4:
	v_cmp_eq_u32_e64 s[4:5], 0, v0
	s_and_saveexec_b64 s[8:9], s[4:5]
; %bb.5:
	v_mov_b32_e32 v85, 0
	ds_write_b32 v85, v85 offset:672
; %bb.6:
	s_or_b64 exec, exec, s[8:9]
	v_mov_b32_e32 v85, 0
	v_lshl_add_u32 v85, v0, 3, v85
	s_waitcnt lgkmcnt(0)
	; wave barrier
	buffer_load_dword v88, v85, s[0:3], 0 offen
	buffer_load_dword v89, v85, s[0:3], 0 offen offset:4
	s_waitcnt vmcnt(0)
	v_cmp_eq_f64_e32 vcc, 0, v[88:89]
	s_and_saveexec_b64 s[16:17], vcc
	s_cbranch_execz .LBB105_10
; %bb.7:
	v_mov_b32_e32 v86, 0
	ds_read_b32 v89, v86 offset:672
	v_add_u32_e32 v88, 1, v0
	s_waitcnt lgkmcnt(0)
	v_readfirstlane_b32 s8, v89
	s_cmp_eq_u32 s8, 0
	s_cselect_b64 s[18:19], -1, 0
	v_cmp_gt_i32_e32 vcc, s8, v88
	s_or_b64 s[18:19], s[18:19], vcc
	s_and_b64 exec, exec, s[18:19]
	s_cbranch_execz .LBB105_10
; %bb.8:
	s_mov_b64 s[18:19], 0
	v_mov_b32_e32 v89, s8
.LBB105_9:                              ; =>This Inner Loop Header: Depth=1
	ds_cmpst_rtn_b32 v89, v86, v89, v88 offset:672
	s_waitcnt lgkmcnt(0)
	v_cmp_ne_u32_e32 vcc, 0, v89
	v_cmp_le_i32_e64 s[8:9], v89, v88
	s_and_b64 s[8:9], vcc, s[8:9]
	s_and_b64 s[8:9], exec, s[8:9]
	s_or_b64 s[18:19], s[8:9], s[18:19]
	s_andn2_b64 exec, exec, s[18:19]
	s_cbranch_execnz .LBB105_9
.LBB105_10:
	s_or_b64 exec, exec, s[16:17]
	v_mov_b32_e32 v88, 0
	; wave barrier
	ds_read_b32 v86, v88 offset:672
	s_and_saveexec_b64 s[8:9], s[4:5]
	s_cbranch_execz .LBB105_12
; %bb.11:
	s_lshl_b64 s[16:17], s[6:7], 2
	s_add_u32 s16, s10, s16
	s_addc_u32 s17, s11, s17
	s_waitcnt lgkmcnt(0)
	global_store_dword v88, v86, s[16:17]
.LBB105_12:
	s_or_b64 exec, exec, s[8:9]
	s_waitcnt lgkmcnt(0)
	v_cmp_ne_u32_e32 vcc, 0, v86
	s_mov_b64 s[8:9], 0
	s_cbranch_vccnz .LBB105_174
; %bb.13:
	buffer_load_dword v88, v85, s[0:3], 0 offen
	buffer_load_dword v89, v85, s[0:3], 0 offen offset:4
	s_waitcnt vmcnt(0)
	v_div_scale_f64 v[90:91], s[8:9], v[88:89], v[88:89], 1.0
	v_rcp_f64_e32 v[92:93], v[90:91]
	v_fma_f64 v[94:95], -v[90:91], v[92:93], 1.0
	v_fma_f64 v[92:93], v[92:93], v[94:95], v[92:93]
	v_div_scale_f64 v[94:95], vcc, 1.0, v[88:89], 1.0
	v_fma_f64 v[96:97], -v[90:91], v[92:93], 1.0
	v_fma_f64 v[92:93], v[92:93], v[96:97], v[92:93]
	v_mul_f64 v[96:97], v[94:95], v[92:93]
	v_fma_f64 v[90:91], -v[90:91], v[96:97], v[94:95]
	v_div_fmas_f64 v[90:91], v[90:91], v[92:93], v[96:97]
	v_div_fixup_f64 v[89:90], v[90:91], v[88:89], 1.0
	v_add_u32_e32 v88, 0x150, v87
	buffer_store_dword v90, v85, s[0:3], 0 offen offset:4
	buffer_store_dword v89, v85, s[0:3], 0 offen
	buffer_load_dword v92, off, s[0:3], 0 offset:12
	buffer_load_dword v91, off, s[0:3], 0 offset:8
	v_xor_b32_e32 v90, 0x80000000, v90
	s_waitcnt vmcnt(0)
	ds_write2_b64 v87, v[89:90], v[91:92] offset1:42
	s_waitcnt lgkmcnt(0)
	; wave barrier
	s_and_saveexec_b64 s[8:9], s[4:5]
	s_cbranch_execz .LBB105_15
; %bb.14:
	buffer_load_dword v89, v85, s[0:3], 0 offen
	buffer_load_dword v90, v85, s[0:3], 0 offen offset:4
	ds_read_b64 v[91:92], v88
	v_mov_b32_e32 v86, 0
	ds_read_b64 v[93:94], v86 offset:8
	s_waitcnt vmcnt(0) lgkmcnt(1)
	v_fma_f64 v[89:90], v[89:90], v[91:92], 0
	s_waitcnt lgkmcnt(0)
	v_mul_f64 v[89:90], v[89:90], v[93:94]
	buffer_store_dword v89, off, s[0:3], 0 offset:8
	buffer_store_dword v90, off, s[0:3], 0 offset:12
.LBB105_15:
	s_or_b64 exec, exec, s[8:9]
	; wave barrier
	buffer_load_dword v89, off, s[0:3], 0 offset:16
	buffer_load_dword v90, off, s[0:3], 0 offset:20
	v_cmp_gt_u32_e32 vcc, 2, v0
	s_waitcnt vmcnt(0)
	ds_write_b64 v88, v[89:90]
	s_waitcnt lgkmcnt(0)
	; wave barrier
	s_and_saveexec_b64 s[8:9], vcc
	s_cbranch_execz .LBB105_17
; %bb.16:
	buffer_load_dword v89, v85, s[0:3], 0 offen
	buffer_load_dword v90, v85, s[0:3], 0 offen offset:4
                                        ; kill: killed $vgpr85
	s_nop 0
	buffer_load_dword v85, off, s[0:3], 0 offset:8
	buffer_load_dword v86, off, s[0:3], 0 offset:12
	ds_read_b64 v[91:92], v88
	s_waitcnt vmcnt(2) lgkmcnt(0)
	v_fma_f64 v[93:94], v[89:90], v[91:92], 0
	v_mov_b32_e32 v89, 0
	ds_read2_b64 v[89:92], v89 offset0:2 offset1:43
	s_waitcnt vmcnt(0) lgkmcnt(0)
	v_fma_f64 v[85:86], v[85:86], v[91:92], v[93:94]
	v_cndmask_b32_e64 v86, v94, v86, s[4:5]
	v_cndmask_b32_e64 v85, v93, v85, s[4:5]
	v_mul_f64 v[85:86], v[85:86], v[89:90]
	buffer_store_dword v86, off, s[0:3], 0 offset:20
	buffer_store_dword v85, off, s[0:3], 0 offset:16
.LBB105_17:
	s_or_b64 exec, exec, s[8:9]
	; wave barrier
	buffer_load_dword v85, off, s[0:3], 0 offset:24
	buffer_load_dword v86, off, s[0:3], 0 offset:28
	v_cmp_gt_u32_e32 vcc, 3, v0
	v_add_u32_e32 v89, -1, v0
	s_waitcnt vmcnt(0)
	ds_write_b64 v88, v[85:86]
	s_waitcnt lgkmcnt(0)
	; wave barrier
	s_and_saveexec_b64 s[4:5], vcc
	s_cbranch_execz .LBB105_21
; %bb.18:
	v_mov_b32_e32 v85, 0
	v_add_u32_e32 v90, -1, v0
	v_add_u32_e32 v91, 0x150, v87
	v_mov_b32_e32 v92, v87
	v_mov_b32_e32 v86, 0
	s_mov_b64 s[8:9], 0
.LBB105_19:                             ; =>This Inner Loop Header: Depth=1
	buffer_load_dword v93, v92, s[0:3], 0 offen
	buffer_load_dword v94, v92, s[0:3], 0 offen offset:4
	ds_read_b64 v[95:96], v91
	v_add_u32_e32 v90, 1, v90
	v_cmp_lt_u32_e32 vcc, 1, v90
	v_add_u32_e32 v91, 8, v91
	s_or_b64 s[8:9], vcc, s[8:9]
	v_add_u32_e32 v92, 8, v92
	s_waitcnt vmcnt(0) lgkmcnt(0)
	v_fma_f64 v[85:86], v[93:94], v[95:96], v[85:86]
	s_andn2_b64 exec, exec, s[8:9]
	s_cbranch_execnz .LBB105_19
; %bb.20:
	s_or_b64 exec, exec, s[8:9]
	v_mov_b32_e32 v90, 0
	ds_read_b64 v[90:91], v90 offset:24
	s_waitcnt lgkmcnt(0)
	v_mul_f64 v[85:86], v[85:86], v[90:91]
	buffer_store_dword v86, off, s[0:3], 0 offset:28
	buffer_store_dword v85, off, s[0:3], 0 offset:24
.LBB105_21:
	s_or_b64 exec, exec, s[4:5]
	; wave barrier
	buffer_load_dword v85, off, s[0:3], 0 offset:32
	buffer_load_dword v86, off, s[0:3], 0 offset:36
	v_cmp_gt_u32_e32 vcc, 4, v0
	s_waitcnt vmcnt(0)
	ds_write_b64 v88, v[85:86]
	s_waitcnt lgkmcnt(0)
	; wave barrier
	s_and_saveexec_b64 s[4:5], vcc
	s_cbranch_execz .LBB105_25
; %bb.22:
	v_mov_b32_e32 v85, 0
	v_add_u32_e32 v90, -1, v0
	v_add_u32_e32 v91, 0x150, v87
	v_mov_b32_e32 v92, v87
	v_mov_b32_e32 v86, 0
	s_mov_b64 s[8:9], 0
.LBB105_23:                             ; =>This Inner Loop Header: Depth=1
	buffer_load_dword v93, v92, s[0:3], 0 offen
	buffer_load_dword v94, v92, s[0:3], 0 offen offset:4
	ds_read_b64 v[95:96], v91
	v_add_u32_e32 v90, 1, v90
	v_cmp_lt_u32_e32 vcc, 2, v90
	v_add_u32_e32 v91, 8, v91
	s_or_b64 s[8:9], vcc, s[8:9]
	v_add_u32_e32 v92, 8, v92
	s_waitcnt vmcnt(0) lgkmcnt(0)
	v_fma_f64 v[85:86], v[93:94], v[95:96], v[85:86]
	s_andn2_b64 exec, exec, s[8:9]
	s_cbranch_execnz .LBB105_23
; %bb.24:
	s_or_b64 exec, exec, s[8:9]
	v_mov_b32_e32 v90, 0
	ds_read_b64 v[90:91], v90 offset:32
	s_waitcnt lgkmcnt(0)
	v_mul_f64 v[85:86], v[85:86], v[90:91]
	buffer_store_dword v86, off, s[0:3], 0 offset:36
	buffer_store_dword v85, off, s[0:3], 0 offset:32
.LBB105_25:
	s_or_b64 exec, exec, s[4:5]
	; wave barrier
	buffer_load_dword v85, off, s[0:3], 0 offset:40
	buffer_load_dword v86, off, s[0:3], 0 offset:44
	v_cmp_gt_u32_e32 vcc, 5, v0
	s_waitcnt vmcnt(0)
	ds_write_b64 v88, v[85:86]
	s_waitcnt lgkmcnt(0)
	; wave barrier
	s_and_saveexec_b64 s[4:5], vcc
	s_cbranch_execz .LBB105_29
; %bb.26:
	v_mov_b32_e32 v85, 0
	v_add_u32_e32 v90, -1, v0
	v_add_u32_e32 v91, 0x150, v87
	v_mov_b32_e32 v92, v87
	v_mov_b32_e32 v86, 0
	s_mov_b64 s[8:9], 0
.LBB105_27:                             ; =>This Inner Loop Header: Depth=1
	buffer_load_dword v93, v92, s[0:3], 0 offen
	buffer_load_dword v94, v92, s[0:3], 0 offen offset:4
	ds_read_b64 v[95:96], v91
	v_add_u32_e32 v90, 1, v90
	v_cmp_lt_u32_e32 vcc, 3, v90
	v_add_u32_e32 v91, 8, v91
	s_or_b64 s[8:9], vcc, s[8:9]
	v_add_u32_e32 v92, 8, v92
	s_waitcnt vmcnt(0) lgkmcnt(0)
	v_fma_f64 v[85:86], v[93:94], v[95:96], v[85:86]
	s_andn2_b64 exec, exec, s[8:9]
	s_cbranch_execnz .LBB105_27
; %bb.28:
	s_or_b64 exec, exec, s[8:9]
	v_mov_b32_e32 v90, 0
	ds_read_b64 v[90:91], v90 offset:40
	s_waitcnt lgkmcnt(0)
	v_mul_f64 v[85:86], v[85:86], v[90:91]
	buffer_store_dword v86, off, s[0:3], 0 offset:44
	buffer_store_dword v85, off, s[0:3], 0 offset:40
.LBB105_29:
	s_or_b64 exec, exec, s[4:5]
	; wave barrier
	buffer_load_dword v85, off, s[0:3], 0 offset:48
	buffer_load_dword v86, off, s[0:3], 0 offset:52
	v_cmp_gt_u32_e32 vcc, 6, v0
	s_waitcnt vmcnt(0)
	ds_write_b64 v88, v[85:86]
	s_waitcnt lgkmcnt(0)
	; wave barrier
	s_and_saveexec_b64 s[4:5], vcc
	s_cbranch_execz .LBB105_33
; %bb.30:
	v_mov_b32_e32 v85, 0
	v_add_u32_e32 v90, -1, v0
	v_add_u32_e32 v91, 0x150, v87
	v_mov_b32_e32 v92, v87
	v_mov_b32_e32 v86, 0
	s_mov_b64 s[8:9], 0
.LBB105_31:                             ; =>This Inner Loop Header: Depth=1
	buffer_load_dword v93, v92, s[0:3], 0 offen
	buffer_load_dword v94, v92, s[0:3], 0 offen offset:4
	ds_read_b64 v[95:96], v91
	v_add_u32_e32 v90, 1, v90
	v_cmp_lt_u32_e32 vcc, 4, v90
	v_add_u32_e32 v91, 8, v91
	s_or_b64 s[8:9], vcc, s[8:9]
	v_add_u32_e32 v92, 8, v92
	s_waitcnt vmcnt(0) lgkmcnt(0)
	v_fma_f64 v[85:86], v[93:94], v[95:96], v[85:86]
	s_andn2_b64 exec, exec, s[8:9]
	s_cbranch_execnz .LBB105_31
; %bb.32:
	s_or_b64 exec, exec, s[8:9]
	v_mov_b32_e32 v90, 0
	ds_read_b64 v[90:91], v90 offset:48
	s_waitcnt lgkmcnt(0)
	v_mul_f64 v[85:86], v[85:86], v[90:91]
	buffer_store_dword v86, off, s[0:3], 0 offset:52
	buffer_store_dword v85, off, s[0:3], 0 offset:48
.LBB105_33:
	s_or_b64 exec, exec, s[4:5]
	; wave barrier
	buffer_load_dword v85, off, s[0:3], 0 offset:56
	buffer_load_dword v86, off, s[0:3], 0 offset:60
	v_cmp_gt_u32_e32 vcc, 7, v0
	s_waitcnt vmcnt(0)
	ds_write_b64 v88, v[85:86]
	s_waitcnt lgkmcnt(0)
	; wave barrier
	s_and_saveexec_b64 s[4:5], vcc
	s_cbranch_execz .LBB105_37
; %bb.34:
	v_mov_b32_e32 v85, 0
	v_add_u32_e32 v90, -1, v0
	v_add_u32_e32 v91, 0x150, v87
	v_mov_b32_e32 v92, v87
	v_mov_b32_e32 v86, 0
	s_mov_b64 s[8:9], 0
.LBB105_35:                             ; =>This Inner Loop Header: Depth=1
	buffer_load_dword v93, v92, s[0:3], 0 offen
	buffer_load_dword v94, v92, s[0:3], 0 offen offset:4
	ds_read_b64 v[95:96], v91
	v_add_u32_e32 v90, 1, v90
	v_cmp_lt_u32_e32 vcc, 5, v90
	v_add_u32_e32 v91, 8, v91
	s_or_b64 s[8:9], vcc, s[8:9]
	v_add_u32_e32 v92, 8, v92
	s_waitcnt vmcnt(0) lgkmcnt(0)
	v_fma_f64 v[85:86], v[93:94], v[95:96], v[85:86]
	s_andn2_b64 exec, exec, s[8:9]
	s_cbranch_execnz .LBB105_35
; %bb.36:
	s_or_b64 exec, exec, s[8:9]
	v_mov_b32_e32 v90, 0
	ds_read_b64 v[90:91], v90 offset:56
	s_waitcnt lgkmcnt(0)
	v_mul_f64 v[85:86], v[85:86], v[90:91]
	buffer_store_dword v86, off, s[0:3], 0 offset:60
	buffer_store_dword v85, off, s[0:3], 0 offset:56
.LBB105_37:
	s_or_b64 exec, exec, s[4:5]
	; wave barrier
	buffer_load_dword v85, off, s[0:3], 0 offset:64
	buffer_load_dword v86, off, s[0:3], 0 offset:68
	v_cmp_gt_u32_e32 vcc, 8, v0
	s_waitcnt vmcnt(0)
	ds_write_b64 v88, v[85:86]
	s_waitcnt lgkmcnt(0)
	; wave barrier
	s_and_saveexec_b64 s[4:5], vcc
	s_cbranch_execz .LBB105_41
; %bb.38:
	v_mov_b32_e32 v85, 0
	v_add_u32_e32 v90, -1, v0
	v_add_u32_e32 v91, 0x150, v87
	v_mov_b32_e32 v92, v87
	v_mov_b32_e32 v86, 0
	s_mov_b64 s[8:9], 0
.LBB105_39:                             ; =>This Inner Loop Header: Depth=1
	buffer_load_dword v93, v92, s[0:3], 0 offen
	buffer_load_dword v94, v92, s[0:3], 0 offen offset:4
	ds_read_b64 v[95:96], v91
	v_add_u32_e32 v90, 1, v90
	v_cmp_lt_u32_e32 vcc, 6, v90
	v_add_u32_e32 v91, 8, v91
	s_or_b64 s[8:9], vcc, s[8:9]
	v_add_u32_e32 v92, 8, v92
	s_waitcnt vmcnt(0) lgkmcnt(0)
	v_fma_f64 v[85:86], v[93:94], v[95:96], v[85:86]
	s_andn2_b64 exec, exec, s[8:9]
	s_cbranch_execnz .LBB105_39
; %bb.40:
	s_or_b64 exec, exec, s[8:9]
	v_mov_b32_e32 v90, 0
	ds_read_b64 v[90:91], v90 offset:64
	s_waitcnt lgkmcnt(0)
	v_mul_f64 v[85:86], v[85:86], v[90:91]
	buffer_store_dword v86, off, s[0:3], 0 offset:68
	buffer_store_dword v85, off, s[0:3], 0 offset:64
.LBB105_41:
	s_or_b64 exec, exec, s[4:5]
	; wave barrier
	buffer_load_dword v85, off, s[0:3], 0 offset:72
	buffer_load_dword v86, off, s[0:3], 0 offset:76
	v_cmp_gt_u32_e32 vcc, 9, v0
	s_waitcnt vmcnt(0)
	ds_write_b64 v88, v[85:86]
	s_waitcnt lgkmcnt(0)
	; wave barrier
	s_and_saveexec_b64 s[4:5], vcc
	s_cbranch_execz .LBB105_45
; %bb.42:
	v_mov_b32_e32 v85, 0
	v_add_u32_e32 v90, -1, v0
	v_add_u32_e32 v91, 0x150, v87
	v_mov_b32_e32 v92, v87
	v_mov_b32_e32 v86, 0
	s_mov_b64 s[8:9], 0
.LBB105_43:                             ; =>This Inner Loop Header: Depth=1
	buffer_load_dword v93, v92, s[0:3], 0 offen
	buffer_load_dword v94, v92, s[0:3], 0 offen offset:4
	ds_read_b64 v[95:96], v91
	v_add_u32_e32 v90, 1, v90
	v_cmp_lt_u32_e32 vcc, 7, v90
	v_add_u32_e32 v91, 8, v91
	s_or_b64 s[8:9], vcc, s[8:9]
	v_add_u32_e32 v92, 8, v92
	s_waitcnt vmcnt(0) lgkmcnt(0)
	v_fma_f64 v[85:86], v[93:94], v[95:96], v[85:86]
	s_andn2_b64 exec, exec, s[8:9]
	s_cbranch_execnz .LBB105_43
; %bb.44:
	s_or_b64 exec, exec, s[8:9]
	v_mov_b32_e32 v90, 0
	ds_read_b64 v[90:91], v90 offset:72
	s_waitcnt lgkmcnt(0)
	v_mul_f64 v[85:86], v[85:86], v[90:91]
	buffer_store_dword v86, off, s[0:3], 0 offset:76
	buffer_store_dword v85, off, s[0:3], 0 offset:72
.LBB105_45:
	s_or_b64 exec, exec, s[4:5]
	; wave barrier
	buffer_load_dword v85, off, s[0:3], 0 offset:80
	buffer_load_dword v86, off, s[0:3], 0 offset:84
	v_cmp_gt_u32_e32 vcc, 10, v0
	s_waitcnt vmcnt(0)
	ds_write_b64 v88, v[85:86]
	s_waitcnt lgkmcnt(0)
	; wave barrier
	s_and_saveexec_b64 s[4:5], vcc
	s_cbranch_execz .LBB105_49
; %bb.46:
	v_mov_b32_e32 v85, 0
	v_add_u32_e32 v90, -1, v0
	v_add_u32_e32 v91, 0x150, v87
	v_mov_b32_e32 v92, v87
	v_mov_b32_e32 v86, 0
	s_mov_b64 s[8:9], 0
.LBB105_47:                             ; =>This Inner Loop Header: Depth=1
	buffer_load_dword v93, v92, s[0:3], 0 offen
	buffer_load_dword v94, v92, s[0:3], 0 offen offset:4
	ds_read_b64 v[95:96], v91
	v_add_u32_e32 v90, 1, v90
	v_cmp_lt_u32_e32 vcc, 8, v90
	v_add_u32_e32 v91, 8, v91
	s_or_b64 s[8:9], vcc, s[8:9]
	v_add_u32_e32 v92, 8, v92
	s_waitcnt vmcnt(0) lgkmcnt(0)
	v_fma_f64 v[85:86], v[93:94], v[95:96], v[85:86]
	s_andn2_b64 exec, exec, s[8:9]
	s_cbranch_execnz .LBB105_47
; %bb.48:
	s_or_b64 exec, exec, s[8:9]
	v_mov_b32_e32 v90, 0
	ds_read_b64 v[90:91], v90 offset:80
	s_waitcnt lgkmcnt(0)
	v_mul_f64 v[85:86], v[85:86], v[90:91]
	buffer_store_dword v86, off, s[0:3], 0 offset:84
	buffer_store_dword v85, off, s[0:3], 0 offset:80
.LBB105_49:
	s_or_b64 exec, exec, s[4:5]
	; wave barrier
	buffer_load_dword v85, off, s[0:3], 0 offset:88
	buffer_load_dword v86, off, s[0:3], 0 offset:92
	v_cmp_gt_u32_e32 vcc, 11, v0
	s_waitcnt vmcnt(0)
	ds_write_b64 v88, v[85:86]
	s_waitcnt lgkmcnt(0)
	; wave barrier
	s_and_saveexec_b64 s[4:5], vcc
	s_cbranch_execz .LBB105_53
; %bb.50:
	v_mov_b32_e32 v85, 0
	v_add_u32_e32 v90, -1, v0
	v_add_u32_e32 v91, 0x150, v87
	v_mov_b32_e32 v92, v87
	v_mov_b32_e32 v86, 0
	s_mov_b64 s[8:9], 0
.LBB105_51:                             ; =>This Inner Loop Header: Depth=1
	buffer_load_dword v93, v92, s[0:3], 0 offen
	buffer_load_dword v94, v92, s[0:3], 0 offen offset:4
	ds_read_b64 v[95:96], v91
	v_add_u32_e32 v90, 1, v90
	v_cmp_lt_u32_e32 vcc, 9, v90
	v_add_u32_e32 v91, 8, v91
	s_or_b64 s[8:9], vcc, s[8:9]
	v_add_u32_e32 v92, 8, v92
	s_waitcnt vmcnt(0) lgkmcnt(0)
	v_fma_f64 v[85:86], v[93:94], v[95:96], v[85:86]
	s_andn2_b64 exec, exec, s[8:9]
	s_cbranch_execnz .LBB105_51
; %bb.52:
	s_or_b64 exec, exec, s[8:9]
	v_mov_b32_e32 v90, 0
	ds_read_b64 v[90:91], v90 offset:88
	s_waitcnt lgkmcnt(0)
	v_mul_f64 v[85:86], v[85:86], v[90:91]
	buffer_store_dword v86, off, s[0:3], 0 offset:92
	buffer_store_dword v85, off, s[0:3], 0 offset:88
.LBB105_53:
	s_or_b64 exec, exec, s[4:5]
	; wave barrier
	buffer_load_dword v85, off, s[0:3], 0 offset:96
	buffer_load_dword v86, off, s[0:3], 0 offset:100
	v_cmp_gt_u32_e32 vcc, 12, v0
	s_waitcnt vmcnt(0)
	ds_write_b64 v88, v[85:86]
	s_waitcnt lgkmcnt(0)
	; wave barrier
	s_and_saveexec_b64 s[4:5], vcc
	s_cbranch_execz .LBB105_57
; %bb.54:
	v_mov_b32_e32 v85, 0
	v_add_u32_e32 v90, -1, v0
	v_add_u32_e32 v91, 0x150, v87
	v_mov_b32_e32 v92, v87
	v_mov_b32_e32 v86, 0
	s_mov_b64 s[8:9], 0
.LBB105_55:                             ; =>This Inner Loop Header: Depth=1
	buffer_load_dword v93, v92, s[0:3], 0 offen
	buffer_load_dword v94, v92, s[0:3], 0 offen offset:4
	ds_read_b64 v[95:96], v91
	v_add_u32_e32 v90, 1, v90
	v_cmp_lt_u32_e32 vcc, 10, v90
	v_add_u32_e32 v91, 8, v91
	s_or_b64 s[8:9], vcc, s[8:9]
	v_add_u32_e32 v92, 8, v92
	s_waitcnt vmcnt(0) lgkmcnt(0)
	v_fma_f64 v[85:86], v[93:94], v[95:96], v[85:86]
	s_andn2_b64 exec, exec, s[8:9]
	s_cbranch_execnz .LBB105_55
; %bb.56:
	s_or_b64 exec, exec, s[8:9]
	v_mov_b32_e32 v90, 0
	ds_read_b64 v[90:91], v90 offset:96
	s_waitcnt lgkmcnt(0)
	v_mul_f64 v[85:86], v[85:86], v[90:91]
	buffer_store_dword v86, off, s[0:3], 0 offset:100
	buffer_store_dword v85, off, s[0:3], 0 offset:96
.LBB105_57:
	s_or_b64 exec, exec, s[4:5]
	; wave barrier
	buffer_load_dword v85, off, s[0:3], 0 offset:104
	buffer_load_dword v86, off, s[0:3], 0 offset:108
	v_cmp_gt_u32_e32 vcc, 13, v0
	s_waitcnt vmcnt(0)
	ds_write_b64 v88, v[85:86]
	s_waitcnt lgkmcnt(0)
	; wave barrier
	s_and_saveexec_b64 s[4:5], vcc
	s_cbranch_execz .LBB105_61
; %bb.58:
	v_mov_b32_e32 v85, 0
	v_add_u32_e32 v90, -1, v0
	v_add_u32_e32 v91, 0x150, v87
	v_mov_b32_e32 v92, v87
	v_mov_b32_e32 v86, 0
	s_mov_b64 s[8:9], 0
.LBB105_59:                             ; =>This Inner Loop Header: Depth=1
	buffer_load_dword v93, v92, s[0:3], 0 offen
	buffer_load_dword v94, v92, s[0:3], 0 offen offset:4
	ds_read_b64 v[95:96], v91
	v_add_u32_e32 v90, 1, v90
	v_cmp_lt_u32_e32 vcc, 11, v90
	v_add_u32_e32 v91, 8, v91
	s_or_b64 s[8:9], vcc, s[8:9]
	v_add_u32_e32 v92, 8, v92
	s_waitcnt vmcnt(0) lgkmcnt(0)
	v_fma_f64 v[85:86], v[93:94], v[95:96], v[85:86]
	s_andn2_b64 exec, exec, s[8:9]
	s_cbranch_execnz .LBB105_59
; %bb.60:
	s_or_b64 exec, exec, s[8:9]
	v_mov_b32_e32 v90, 0
	ds_read_b64 v[90:91], v90 offset:104
	s_waitcnt lgkmcnt(0)
	v_mul_f64 v[85:86], v[85:86], v[90:91]
	buffer_store_dword v86, off, s[0:3], 0 offset:108
	buffer_store_dword v85, off, s[0:3], 0 offset:104
.LBB105_61:
	s_or_b64 exec, exec, s[4:5]
	; wave barrier
	buffer_load_dword v85, off, s[0:3], 0 offset:112
	buffer_load_dword v86, off, s[0:3], 0 offset:116
	v_cmp_gt_u32_e32 vcc, 14, v0
	s_waitcnt vmcnt(0)
	ds_write_b64 v88, v[85:86]
	s_waitcnt lgkmcnt(0)
	; wave barrier
	s_and_saveexec_b64 s[4:5], vcc
	s_cbranch_execz .LBB105_65
; %bb.62:
	v_mov_b32_e32 v85, 0
	v_add_u32_e32 v90, -1, v0
	v_add_u32_e32 v91, 0x150, v87
	v_mov_b32_e32 v92, v87
	v_mov_b32_e32 v86, 0
	s_mov_b64 s[8:9], 0
.LBB105_63:                             ; =>This Inner Loop Header: Depth=1
	buffer_load_dword v93, v92, s[0:3], 0 offen
	buffer_load_dword v94, v92, s[0:3], 0 offen offset:4
	ds_read_b64 v[95:96], v91
	v_add_u32_e32 v90, 1, v90
	v_cmp_lt_u32_e32 vcc, 12, v90
	v_add_u32_e32 v91, 8, v91
	s_or_b64 s[8:9], vcc, s[8:9]
	v_add_u32_e32 v92, 8, v92
	s_waitcnt vmcnt(0) lgkmcnt(0)
	v_fma_f64 v[85:86], v[93:94], v[95:96], v[85:86]
	s_andn2_b64 exec, exec, s[8:9]
	s_cbranch_execnz .LBB105_63
; %bb.64:
	s_or_b64 exec, exec, s[8:9]
	v_mov_b32_e32 v90, 0
	ds_read_b64 v[90:91], v90 offset:112
	s_waitcnt lgkmcnt(0)
	v_mul_f64 v[85:86], v[85:86], v[90:91]
	buffer_store_dword v86, off, s[0:3], 0 offset:116
	buffer_store_dword v85, off, s[0:3], 0 offset:112
.LBB105_65:
	s_or_b64 exec, exec, s[4:5]
	; wave barrier
	buffer_load_dword v85, off, s[0:3], 0 offset:120
	buffer_load_dword v86, off, s[0:3], 0 offset:124
	v_cmp_gt_u32_e32 vcc, 15, v0
	s_waitcnt vmcnt(0)
	ds_write_b64 v88, v[85:86]
	s_waitcnt lgkmcnt(0)
	; wave barrier
	s_and_saveexec_b64 s[4:5], vcc
	s_cbranch_execz .LBB105_69
; %bb.66:
	v_mov_b32_e32 v85, 0
	v_add_u32_e32 v90, -1, v0
	v_add_u32_e32 v91, 0x150, v87
	v_mov_b32_e32 v92, v87
	v_mov_b32_e32 v86, 0
	s_mov_b64 s[8:9], 0
.LBB105_67:                             ; =>This Inner Loop Header: Depth=1
	buffer_load_dword v93, v92, s[0:3], 0 offen
	buffer_load_dword v94, v92, s[0:3], 0 offen offset:4
	ds_read_b64 v[95:96], v91
	v_add_u32_e32 v90, 1, v90
	v_cmp_lt_u32_e32 vcc, 13, v90
	v_add_u32_e32 v91, 8, v91
	s_or_b64 s[8:9], vcc, s[8:9]
	v_add_u32_e32 v92, 8, v92
	s_waitcnt vmcnt(0) lgkmcnt(0)
	v_fma_f64 v[85:86], v[93:94], v[95:96], v[85:86]
	s_andn2_b64 exec, exec, s[8:9]
	s_cbranch_execnz .LBB105_67
; %bb.68:
	s_or_b64 exec, exec, s[8:9]
	v_mov_b32_e32 v90, 0
	ds_read_b64 v[90:91], v90 offset:120
	s_waitcnt lgkmcnt(0)
	v_mul_f64 v[85:86], v[85:86], v[90:91]
	buffer_store_dword v86, off, s[0:3], 0 offset:124
	buffer_store_dword v85, off, s[0:3], 0 offset:120
.LBB105_69:
	s_or_b64 exec, exec, s[4:5]
	; wave barrier
	buffer_load_dword v85, off, s[0:3], 0 offset:128
	buffer_load_dword v86, off, s[0:3], 0 offset:132
	v_cmp_gt_u32_e32 vcc, 16, v0
	s_waitcnt vmcnt(0)
	ds_write_b64 v88, v[85:86]
	s_waitcnt lgkmcnt(0)
	; wave barrier
	s_and_saveexec_b64 s[4:5], vcc
	s_cbranch_execz .LBB105_73
; %bb.70:
	v_mov_b32_e32 v85, 0
	v_add_u32_e32 v90, -1, v0
	v_add_u32_e32 v91, 0x150, v87
	v_mov_b32_e32 v92, v87
	v_mov_b32_e32 v86, 0
	s_mov_b64 s[8:9], 0
.LBB105_71:                             ; =>This Inner Loop Header: Depth=1
	buffer_load_dword v93, v92, s[0:3], 0 offen
	buffer_load_dword v94, v92, s[0:3], 0 offen offset:4
	ds_read_b64 v[95:96], v91
	v_add_u32_e32 v90, 1, v90
	v_cmp_lt_u32_e32 vcc, 14, v90
	v_add_u32_e32 v91, 8, v91
	s_or_b64 s[8:9], vcc, s[8:9]
	v_add_u32_e32 v92, 8, v92
	s_waitcnt vmcnt(0) lgkmcnt(0)
	v_fma_f64 v[85:86], v[93:94], v[95:96], v[85:86]
	s_andn2_b64 exec, exec, s[8:9]
	s_cbranch_execnz .LBB105_71
; %bb.72:
	s_or_b64 exec, exec, s[8:9]
	v_mov_b32_e32 v90, 0
	ds_read_b64 v[90:91], v90 offset:128
	s_waitcnt lgkmcnt(0)
	v_mul_f64 v[85:86], v[85:86], v[90:91]
	buffer_store_dword v86, off, s[0:3], 0 offset:132
	buffer_store_dword v85, off, s[0:3], 0 offset:128
.LBB105_73:
	s_or_b64 exec, exec, s[4:5]
	; wave barrier
	buffer_load_dword v85, off, s[0:3], 0 offset:136
	buffer_load_dword v86, off, s[0:3], 0 offset:140
	v_cmp_gt_u32_e32 vcc, 17, v0
	s_waitcnt vmcnt(0)
	ds_write_b64 v88, v[85:86]
	s_waitcnt lgkmcnt(0)
	; wave barrier
	s_and_saveexec_b64 s[4:5], vcc
	s_cbranch_execz .LBB105_77
; %bb.74:
	v_mov_b32_e32 v85, 0
	v_add_u32_e32 v90, -1, v0
	v_add_u32_e32 v91, 0x150, v87
	v_mov_b32_e32 v92, v87
	v_mov_b32_e32 v86, 0
	s_mov_b64 s[8:9], 0
.LBB105_75:                             ; =>This Inner Loop Header: Depth=1
	buffer_load_dword v93, v92, s[0:3], 0 offen
	buffer_load_dword v94, v92, s[0:3], 0 offen offset:4
	ds_read_b64 v[95:96], v91
	v_add_u32_e32 v90, 1, v90
	v_cmp_lt_u32_e32 vcc, 15, v90
	v_add_u32_e32 v91, 8, v91
	s_or_b64 s[8:9], vcc, s[8:9]
	v_add_u32_e32 v92, 8, v92
	s_waitcnt vmcnt(0) lgkmcnt(0)
	v_fma_f64 v[85:86], v[93:94], v[95:96], v[85:86]
	s_andn2_b64 exec, exec, s[8:9]
	s_cbranch_execnz .LBB105_75
; %bb.76:
	s_or_b64 exec, exec, s[8:9]
	v_mov_b32_e32 v90, 0
	ds_read_b64 v[90:91], v90 offset:136
	s_waitcnt lgkmcnt(0)
	v_mul_f64 v[85:86], v[85:86], v[90:91]
	buffer_store_dword v86, off, s[0:3], 0 offset:140
	buffer_store_dword v85, off, s[0:3], 0 offset:136
.LBB105_77:
	s_or_b64 exec, exec, s[4:5]
	; wave barrier
	buffer_load_dword v85, off, s[0:3], 0 offset:144
	buffer_load_dword v86, off, s[0:3], 0 offset:148
	v_cmp_gt_u32_e32 vcc, 18, v0
	s_waitcnt vmcnt(0)
	ds_write_b64 v88, v[85:86]
	s_waitcnt lgkmcnt(0)
	; wave barrier
	s_and_saveexec_b64 s[4:5], vcc
	s_cbranch_execz .LBB105_81
; %bb.78:
	v_mov_b32_e32 v85, 0
	v_add_u32_e32 v90, -1, v0
	v_add_u32_e32 v91, 0x150, v87
	v_mov_b32_e32 v92, v87
	v_mov_b32_e32 v86, 0
	s_mov_b64 s[8:9], 0
.LBB105_79:                             ; =>This Inner Loop Header: Depth=1
	buffer_load_dword v93, v92, s[0:3], 0 offen
	buffer_load_dword v94, v92, s[0:3], 0 offen offset:4
	ds_read_b64 v[95:96], v91
	v_add_u32_e32 v90, 1, v90
	v_cmp_lt_u32_e32 vcc, 16, v90
	v_add_u32_e32 v91, 8, v91
	s_or_b64 s[8:9], vcc, s[8:9]
	v_add_u32_e32 v92, 8, v92
	s_waitcnt vmcnt(0) lgkmcnt(0)
	v_fma_f64 v[85:86], v[93:94], v[95:96], v[85:86]
	s_andn2_b64 exec, exec, s[8:9]
	s_cbranch_execnz .LBB105_79
; %bb.80:
	s_or_b64 exec, exec, s[8:9]
	v_mov_b32_e32 v90, 0
	ds_read_b64 v[90:91], v90 offset:144
	s_waitcnt lgkmcnt(0)
	v_mul_f64 v[85:86], v[85:86], v[90:91]
	buffer_store_dword v86, off, s[0:3], 0 offset:148
	buffer_store_dword v85, off, s[0:3], 0 offset:144
.LBB105_81:
	s_or_b64 exec, exec, s[4:5]
	; wave barrier
	buffer_load_dword v85, off, s[0:3], 0 offset:152
	buffer_load_dword v86, off, s[0:3], 0 offset:156
	v_cmp_gt_u32_e32 vcc, 19, v0
	s_waitcnt vmcnt(0)
	ds_write_b64 v88, v[85:86]
	s_waitcnt lgkmcnt(0)
	; wave barrier
	s_and_saveexec_b64 s[4:5], vcc
	s_cbranch_execz .LBB105_85
; %bb.82:
	v_mov_b32_e32 v85, 0
	v_add_u32_e32 v90, -1, v0
	v_add_u32_e32 v91, 0x150, v87
	v_mov_b32_e32 v92, v87
	v_mov_b32_e32 v86, 0
	s_mov_b64 s[8:9], 0
.LBB105_83:                             ; =>This Inner Loop Header: Depth=1
	buffer_load_dword v93, v92, s[0:3], 0 offen
	buffer_load_dword v94, v92, s[0:3], 0 offen offset:4
	ds_read_b64 v[95:96], v91
	v_add_u32_e32 v90, 1, v90
	v_cmp_lt_u32_e32 vcc, 17, v90
	v_add_u32_e32 v91, 8, v91
	s_or_b64 s[8:9], vcc, s[8:9]
	v_add_u32_e32 v92, 8, v92
	s_waitcnt vmcnt(0) lgkmcnt(0)
	v_fma_f64 v[85:86], v[93:94], v[95:96], v[85:86]
	s_andn2_b64 exec, exec, s[8:9]
	s_cbranch_execnz .LBB105_83
; %bb.84:
	s_or_b64 exec, exec, s[8:9]
	v_mov_b32_e32 v90, 0
	ds_read_b64 v[90:91], v90 offset:152
	s_waitcnt lgkmcnt(0)
	v_mul_f64 v[85:86], v[85:86], v[90:91]
	buffer_store_dword v86, off, s[0:3], 0 offset:156
	buffer_store_dword v85, off, s[0:3], 0 offset:152
.LBB105_85:
	s_or_b64 exec, exec, s[4:5]
	; wave barrier
	buffer_load_dword v85, off, s[0:3], 0 offset:160
	buffer_load_dword v86, off, s[0:3], 0 offset:164
	v_cmp_gt_u32_e32 vcc, 20, v0
	s_waitcnt vmcnt(0)
	ds_write_b64 v88, v[85:86]
	s_waitcnt lgkmcnt(0)
	; wave barrier
	s_and_saveexec_b64 s[4:5], vcc
	s_cbranch_execz .LBB105_89
; %bb.86:
	v_mov_b32_e32 v85, 0
	v_add_u32_e32 v90, -1, v0
	v_add_u32_e32 v91, 0x150, v87
	v_mov_b32_e32 v92, v87
	v_mov_b32_e32 v86, 0
	s_mov_b64 s[8:9], 0
.LBB105_87:                             ; =>This Inner Loop Header: Depth=1
	buffer_load_dword v93, v92, s[0:3], 0 offen
	buffer_load_dword v94, v92, s[0:3], 0 offen offset:4
	ds_read_b64 v[95:96], v91
	v_add_u32_e32 v90, 1, v90
	v_cmp_lt_u32_e32 vcc, 18, v90
	v_add_u32_e32 v91, 8, v91
	s_or_b64 s[8:9], vcc, s[8:9]
	v_add_u32_e32 v92, 8, v92
	s_waitcnt vmcnt(0) lgkmcnt(0)
	v_fma_f64 v[85:86], v[93:94], v[95:96], v[85:86]
	s_andn2_b64 exec, exec, s[8:9]
	s_cbranch_execnz .LBB105_87
; %bb.88:
	s_or_b64 exec, exec, s[8:9]
	v_mov_b32_e32 v90, 0
	ds_read_b64 v[90:91], v90 offset:160
	s_waitcnt lgkmcnt(0)
	v_mul_f64 v[85:86], v[85:86], v[90:91]
	buffer_store_dword v86, off, s[0:3], 0 offset:164
	buffer_store_dword v85, off, s[0:3], 0 offset:160
.LBB105_89:
	s_or_b64 exec, exec, s[4:5]
	; wave barrier
	buffer_load_dword v85, off, s[0:3], 0 offset:168
	buffer_load_dword v86, off, s[0:3], 0 offset:172
	v_cmp_gt_u32_e32 vcc, 21, v0
	s_waitcnt vmcnt(0)
	ds_write_b64 v88, v[85:86]
	s_waitcnt lgkmcnt(0)
	; wave barrier
	s_and_saveexec_b64 s[4:5], vcc
	s_cbranch_execz .LBB105_93
; %bb.90:
	v_mov_b32_e32 v85, 0
	v_add_u32_e32 v90, -1, v0
	v_add_u32_e32 v91, 0x150, v87
	v_mov_b32_e32 v92, v87
	v_mov_b32_e32 v86, 0
	s_mov_b64 s[8:9], 0
.LBB105_91:                             ; =>This Inner Loop Header: Depth=1
	buffer_load_dword v93, v92, s[0:3], 0 offen
	buffer_load_dword v94, v92, s[0:3], 0 offen offset:4
	ds_read_b64 v[95:96], v91
	v_add_u32_e32 v90, 1, v90
	v_cmp_lt_u32_e32 vcc, 19, v90
	v_add_u32_e32 v91, 8, v91
	s_or_b64 s[8:9], vcc, s[8:9]
	v_add_u32_e32 v92, 8, v92
	s_waitcnt vmcnt(0) lgkmcnt(0)
	v_fma_f64 v[85:86], v[93:94], v[95:96], v[85:86]
	s_andn2_b64 exec, exec, s[8:9]
	s_cbranch_execnz .LBB105_91
; %bb.92:
	s_or_b64 exec, exec, s[8:9]
	v_mov_b32_e32 v90, 0
	ds_read_b64 v[90:91], v90 offset:168
	s_waitcnt lgkmcnt(0)
	v_mul_f64 v[85:86], v[85:86], v[90:91]
	buffer_store_dword v86, off, s[0:3], 0 offset:172
	buffer_store_dword v85, off, s[0:3], 0 offset:168
.LBB105_93:
	s_or_b64 exec, exec, s[4:5]
	; wave barrier
	buffer_load_dword v85, off, s[0:3], 0 offset:176
	buffer_load_dword v86, off, s[0:3], 0 offset:180
	v_cmp_gt_u32_e32 vcc, 22, v0
	s_waitcnt vmcnt(0)
	ds_write_b64 v88, v[85:86]
	s_waitcnt lgkmcnt(0)
	; wave barrier
	s_and_saveexec_b64 s[4:5], vcc
	s_cbranch_execz .LBB105_97
; %bb.94:
	v_mov_b32_e32 v85, 0
	v_add_u32_e32 v90, -1, v0
	v_add_u32_e32 v91, 0x150, v87
	v_mov_b32_e32 v92, v87
	v_mov_b32_e32 v86, 0
	s_mov_b64 s[8:9], 0
.LBB105_95:                             ; =>This Inner Loop Header: Depth=1
	buffer_load_dword v93, v92, s[0:3], 0 offen
	buffer_load_dword v94, v92, s[0:3], 0 offen offset:4
	ds_read_b64 v[95:96], v91
	v_add_u32_e32 v90, 1, v90
	v_cmp_lt_u32_e32 vcc, 20, v90
	v_add_u32_e32 v91, 8, v91
	s_or_b64 s[8:9], vcc, s[8:9]
	v_add_u32_e32 v92, 8, v92
	s_waitcnt vmcnt(0) lgkmcnt(0)
	v_fma_f64 v[85:86], v[93:94], v[95:96], v[85:86]
	s_andn2_b64 exec, exec, s[8:9]
	s_cbranch_execnz .LBB105_95
; %bb.96:
	s_or_b64 exec, exec, s[8:9]
	v_mov_b32_e32 v90, 0
	ds_read_b64 v[90:91], v90 offset:176
	s_waitcnt lgkmcnt(0)
	v_mul_f64 v[85:86], v[85:86], v[90:91]
	buffer_store_dword v86, off, s[0:3], 0 offset:180
	buffer_store_dword v85, off, s[0:3], 0 offset:176
.LBB105_97:
	s_or_b64 exec, exec, s[4:5]
	; wave barrier
	buffer_load_dword v85, off, s[0:3], 0 offset:184
	buffer_load_dword v86, off, s[0:3], 0 offset:188
	v_cmp_gt_u32_e32 vcc, 23, v0
	s_waitcnt vmcnt(0)
	ds_write_b64 v88, v[85:86]
	s_waitcnt lgkmcnt(0)
	; wave barrier
	s_and_saveexec_b64 s[4:5], vcc
	s_cbranch_execz .LBB105_101
; %bb.98:
	v_mov_b32_e32 v85, 0
	v_add_u32_e32 v90, -1, v0
	v_add_u32_e32 v91, 0x150, v87
	v_mov_b32_e32 v92, v87
	v_mov_b32_e32 v86, 0
	s_mov_b64 s[8:9], 0
.LBB105_99:                             ; =>This Inner Loop Header: Depth=1
	buffer_load_dword v93, v92, s[0:3], 0 offen
	buffer_load_dword v94, v92, s[0:3], 0 offen offset:4
	ds_read_b64 v[95:96], v91
	v_add_u32_e32 v90, 1, v90
	v_cmp_lt_u32_e32 vcc, 21, v90
	v_add_u32_e32 v91, 8, v91
	s_or_b64 s[8:9], vcc, s[8:9]
	v_add_u32_e32 v92, 8, v92
	s_waitcnt vmcnt(0) lgkmcnt(0)
	v_fma_f64 v[85:86], v[93:94], v[95:96], v[85:86]
	s_andn2_b64 exec, exec, s[8:9]
	s_cbranch_execnz .LBB105_99
; %bb.100:
	s_or_b64 exec, exec, s[8:9]
	v_mov_b32_e32 v90, 0
	ds_read_b64 v[90:91], v90 offset:184
	s_waitcnt lgkmcnt(0)
	v_mul_f64 v[85:86], v[85:86], v[90:91]
	buffer_store_dword v86, off, s[0:3], 0 offset:188
	buffer_store_dword v85, off, s[0:3], 0 offset:184
.LBB105_101:
	s_or_b64 exec, exec, s[4:5]
	; wave barrier
	buffer_load_dword v85, off, s[0:3], 0 offset:192
	buffer_load_dword v86, off, s[0:3], 0 offset:196
	v_cmp_gt_u32_e32 vcc, 24, v0
	s_waitcnt vmcnt(0)
	ds_write_b64 v88, v[85:86]
	s_waitcnt lgkmcnt(0)
	; wave barrier
	s_and_saveexec_b64 s[4:5], vcc
	s_cbranch_execz .LBB105_105
; %bb.102:
	v_mov_b32_e32 v85, 0
	v_add_u32_e32 v90, -1, v0
	v_add_u32_e32 v91, 0x150, v87
	v_mov_b32_e32 v92, v87
	v_mov_b32_e32 v86, 0
	s_mov_b64 s[8:9], 0
.LBB105_103:                            ; =>This Inner Loop Header: Depth=1
	buffer_load_dword v93, v92, s[0:3], 0 offen
	buffer_load_dword v94, v92, s[0:3], 0 offen offset:4
	ds_read_b64 v[95:96], v91
	v_add_u32_e32 v90, 1, v90
	v_cmp_lt_u32_e32 vcc, 22, v90
	v_add_u32_e32 v91, 8, v91
	s_or_b64 s[8:9], vcc, s[8:9]
	v_add_u32_e32 v92, 8, v92
	s_waitcnt vmcnt(0) lgkmcnt(0)
	v_fma_f64 v[85:86], v[93:94], v[95:96], v[85:86]
	s_andn2_b64 exec, exec, s[8:9]
	s_cbranch_execnz .LBB105_103
; %bb.104:
	s_or_b64 exec, exec, s[8:9]
	v_mov_b32_e32 v90, 0
	ds_read_b64 v[90:91], v90 offset:192
	s_waitcnt lgkmcnt(0)
	v_mul_f64 v[85:86], v[85:86], v[90:91]
	buffer_store_dword v86, off, s[0:3], 0 offset:196
	buffer_store_dword v85, off, s[0:3], 0 offset:192
.LBB105_105:
	s_or_b64 exec, exec, s[4:5]
	; wave barrier
	buffer_load_dword v85, off, s[0:3], 0 offset:200
	buffer_load_dword v86, off, s[0:3], 0 offset:204
	v_cmp_gt_u32_e32 vcc, 25, v0
	s_waitcnt vmcnt(0)
	ds_write_b64 v88, v[85:86]
	s_waitcnt lgkmcnt(0)
	; wave barrier
	s_and_saveexec_b64 s[4:5], vcc
	s_cbranch_execz .LBB105_109
; %bb.106:
	v_mov_b32_e32 v85, 0
	v_add_u32_e32 v90, -1, v0
	v_add_u32_e32 v91, 0x150, v87
	v_mov_b32_e32 v92, v87
	v_mov_b32_e32 v86, 0
	s_mov_b64 s[8:9], 0
.LBB105_107:                            ; =>This Inner Loop Header: Depth=1
	buffer_load_dword v93, v92, s[0:3], 0 offen
	buffer_load_dword v94, v92, s[0:3], 0 offen offset:4
	ds_read_b64 v[95:96], v91
	v_add_u32_e32 v90, 1, v90
	v_cmp_lt_u32_e32 vcc, 23, v90
	v_add_u32_e32 v91, 8, v91
	s_or_b64 s[8:9], vcc, s[8:9]
	v_add_u32_e32 v92, 8, v92
	s_waitcnt vmcnt(0) lgkmcnt(0)
	v_fma_f64 v[85:86], v[93:94], v[95:96], v[85:86]
	s_andn2_b64 exec, exec, s[8:9]
	s_cbranch_execnz .LBB105_107
; %bb.108:
	s_or_b64 exec, exec, s[8:9]
	v_mov_b32_e32 v90, 0
	ds_read_b64 v[90:91], v90 offset:200
	s_waitcnt lgkmcnt(0)
	v_mul_f64 v[85:86], v[85:86], v[90:91]
	buffer_store_dword v86, off, s[0:3], 0 offset:204
	buffer_store_dword v85, off, s[0:3], 0 offset:200
.LBB105_109:
	s_or_b64 exec, exec, s[4:5]
	; wave barrier
	buffer_load_dword v85, off, s[0:3], 0 offset:208
	buffer_load_dword v86, off, s[0:3], 0 offset:212
	v_cmp_gt_u32_e32 vcc, 26, v0
	;; [unrolled: 40-line block ×16, first 2 shown]
	s_waitcnt vmcnt(0)
	ds_write_b64 v88, v[85:86]
	s_waitcnt lgkmcnt(0)
	; wave barrier
	s_and_saveexec_b64 s[4:5], vcc
	s_cbranch_execz .LBB105_169
; %bb.166:
	v_mov_b32_e32 v85, 0
	v_add_u32_e32 v90, -1, v0
	v_add_u32_e32 v91, 0x150, v87
	v_mov_b32_e32 v92, v87
	v_mov_b32_e32 v86, 0
	s_mov_b64 s[8:9], 0
.LBB105_167:                            ; =>This Inner Loop Header: Depth=1
	buffer_load_dword v93, v92, s[0:3], 0 offen
	buffer_load_dword v94, v92, s[0:3], 0 offen offset:4
	ds_read_b64 v[95:96], v91
	v_add_u32_e32 v90, 1, v90
	v_cmp_lt_u32_e32 vcc, 38, v90
	v_add_u32_e32 v91, 8, v91
	s_or_b64 s[8:9], vcc, s[8:9]
	v_add_u32_e32 v92, 8, v92
	s_waitcnt vmcnt(0) lgkmcnt(0)
	v_fma_f64 v[85:86], v[93:94], v[95:96], v[85:86]
	s_andn2_b64 exec, exec, s[8:9]
	s_cbranch_execnz .LBB105_167
; %bb.168:
	s_or_b64 exec, exec, s[8:9]
	v_mov_b32_e32 v90, 0
	ds_read_b64 v[90:91], v90 offset:320
	s_waitcnt lgkmcnt(0)
	v_mul_f64 v[85:86], v[85:86], v[90:91]
	buffer_store_dword v86, off, s[0:3], 0 offset:324
	buffer_store_dword v85, off, s[0:3], 0 offset:320
.LBB105_169:
	s_or_b64 exec, exec, s[4:5]
	; wave barrier
	buffer_load_dword v85, off, s[0:3], 0 offset:328
	buffer_load_dword v86, off, s[0:3], 0 offset:332
	v_cmp_ne_u32_e32 vcc, 41, v0
	s_waitcnt vmcnt(0)
	ds_write_b64 v88, v[85:86]
	s_waitcnt lgkmcnt(0)
	; wave barrier
	s_and_saveexec_b64 s[4:5], vcc
	s_cbranch_execz .LBB105_173
; %bb.170:
	v_mov_b32_e32 v85, 0
	v_add_u32_e32 v88, 0x150, v87
	v_mov_b32_e32 v86, 0
	s_mov_b64 s[8:9], 0
.LBB105_171:                            ; =>This Inner Loop Header: Depth=1
	buffer_load_dword v90, v87, s[0:3], 0 offen
	buffer_load_dword v91, v87, s[0:3], 0 offen offset:4
	ds_read_b64 v[92:93], v88
	v_add_u32_e32 v89, 1, v89
	v_cmp_lt_u32_e32 vcc, 39, v89
	v_add_u32_e32 v88, 8, v88
	s_or_b64 s[8:9], vcc, s[8:9]
	v_add_u32_e32 v87, 8, v87
	s_waitcnt vmcnt(0) lgkmcnt(0)
	v_fma_f64 v[85:86], v[90:91], v[92:93], v[85:86]
	s_andn2_b64 exec, exec, s[8:9]
	s_cbranch_execnz .LBB105_171
; %bb.172:
	s_or_b64 exec, exec, s[8:9]
	v_mov_b32_e32 v87, 0
	ds_read_b64 v[87:88], v87 offset:328
	s_waitcnt lgkmcnt(0)
	v_mul_f64 v[85:86], v[85:86], v[87:88]
	buffer_store_dword v86, off, s[0:3], 0 offset:332
	buffer_store_dword v85, off, s[0:3], 0 offset:328
.LBB105_173:
	s_or_b64 exec, exec, s[4:5]
	s_mov_b64 s[8:9], -1
	; wave barrier
.LBB105_174:
	s_and_b64 vcc, exec, s[8:9]
	s_cbranch_vccz .LBB105_176
; %bb.175:
	s_lshl_b64 s[4:5], s[6:7], 2
	s_add_u32 s4, s10, s4
	s_addc_u32 s5, s11, s5
	v_mov_b32_e32 v85, 0
	global_load_dword v85, v85, s[4:5]
	s_waitcnt vmcnt(0)
	v_cmp_ne_u32_e32 vcc, 0, v85
	s_cbranch_vccz .LBB105_177
.LBB105_176:
	s_endpgm
.LBB105_177:
	v_mov_b32_e32 v85, 0x150
	v_lshl_add_u32 v85, v0, 3, v85
	v_cmp_eq_u32_e32 vcc, 41, v0
	s_and_saveexec_b64 s[4:5], vcc
	s_cbranch_execz .LBB105_179
; %bb.178:
	buffer_load_dword v86, off, s[0:3], 0 offset:320
	buffer_load_dword v87, off, s[0:3], 0 offset:324
	v_mov_b32_e32 v88, 0
	buffer_store_dword v88, off, s[0:3], 0 offset:320
	buffer_store_dword v88, off, s[0:3], 0 offset:324
	s_waitcnt vmcnt(2)
	ds_write_b64 v85, v[86:87]
.LBB105_179:
	s_or_b64 exec, exec, s[4:5]
	s_waitcnt lgkmcnt(0)
	; wave barrier
	buffer_load_dword v87, off, s[0:3], 0 offset:328
	buffer_load_dword v88, off, s[0:3], 0 offset:332
	;; [unrolled: 1-line block ×4, first 2 shown]
	v_mov_b32_e32 v86, 0
	ds_read_b64 v[91:92], v86 offset:664
	v_cmp_lt_u32_e32 vcc, 39, v0
	s_waitcnt vmcnt(2) lgkmcnt(0)
	v_fma_f64 v[87:88], v[87:88], v[91:92], 0
	s_waitcnt vmcnt(0)
	v_add_f64 v[87:88], v[89:90], -v[87:88]
	buffer_store_dword v87, off, s[0:3], 0 offset:320
	buffer_store_dword v88, off, s[0:3], 0 offset:324
	s_and_saveexec_b64 s[4:5], vcc
	s_cbranch_execz .LBB105_181
; %bb.180:
	buffer_load_dword v87, off, s[0:3], 0 offset:312
	buffer_load_dword v88, off, s[0:3], 0 offset:316
	s_waitcnt vmcnt(0)
	ds_write_b64 v85, v[87:88]
	buffer_store_dword v86, off, s[0:3], 0 offset:312
	buffer_store_dword v86, off, s[0:3], 0 offset:316
.LBB105_181:
	s_or_b64 exec, exec, s[4:5]
	s_waitcnt lgkmcnt(0)
	; wave barrier
	buffer_load_dword v90, off, s[0:3], 0 offset:320
	buffer_load_dword v91, off, s[0:3], 0 offset:324
	;; [unrolled: 1-line block ×6, first 2 shown]
	ds_read_b128 v[86:89], v86 offset:656
	v_cmp_lt_u32_e32 vcc, 38, v0
	s_waitcnt vmcnt(4) lgkmcnt(0)
	v_fma_f64 v[86:87], v[90:91], v[86:87], 0
	s_waitcnt vmcnt(2)
	v_fma_f64 v[86:87], v[92:93], v[88:89], v[86:87]
	s_waitcnt vmcnt(0)
	v_add_f64 v[86:87], v[94:95], -v[86:87]
	buffer_store_dword v86, off, s[0:3], 0 offset:312
	buffer_store_dword v87, off, s[0:3], 0 offset:316
	s_and_saveexec_b64 s[4:5], vcc
	s_cbranch_execz .LBB105_183
; %bb.182:
	buffer_load_dword v86, off, s[0:3], 0 offset:304
	buffer_load_dword v87, off, s[0:3], 0 offset:308
	v_mov_b32_e32 v88, 0
	buffer_store_dword v88, off, s[0:3], 0 offset:304
	buffer_store_dword v88, off, s[0:3], 0 offset:308
	s_waitcnt vmcnt(2)
	ds_write_b64 v85, v[86:87]
.LBB105_183:
	s_or_b64 exec, exec, s[4:5]
	s_waitcnt lgkmcnt(0)
	; wave barrier
	buffer_load_dword v91, off, s[0:3], 0 offset:312
	buffer_load_dword v92, off, s[0:3], 0 offset:316
	;; [unrolled: 1-line block ×8, first 2 shown]
	v_mov_b32_e32 v86, 0
	ds_read2_b64 v[87:90], v86 offset0:81 offset1:82
	ds_read_b64 v[99:100], v86 offset:664
	v_cmp_lt_u32_e32 vcc, 37, v0
	s_waitcnt vmcnt(6) lgkmcnt(1)
	v_fma_f64 v[87:88], v[91:92], v[87:88], 0
	s_waitcnt vmcnt(4)
	v_fma_f64 v[87:88], v[93:94], v[89:90], v[87:88]
	s_waitcnt vmcnt(2) lgkmcnt(0)
	v_fma_f64 v[87:88], v[95:96], v[99:100], v[87:88]
	s_waitcnt vmcnt(0)
	v_add_f64 v[87:88], v[97:98], -v[87:88]
	buffer_store_dword v87, off, s[0:3], 0 offset:304
	buffer_store_dword v88, off, s[0:3], 0 offset:308
	s_and_saveexec_b64 s[4:5], vcc
	s_cbranch_execz .LBB105_185
; %bb.184:
	buffer_load_dword v87, off, s[0:3], 0 offset:296
	buffer_load_dword v88, off, s[0:3], 0 offset:300
	s_waitcnt vmcnt(0)
	ds_write_b64 v85, v[87:88]
	buffer_store_dword v86, off, s[0:3], 0 offset:296
	buffer_store_dword v86, off, s[0:3], 0 offset:300
.LBB105_185:
	s_or_b64 exec, exec, s[4:5]
	s_waitcnt lgkmcnt(0)
	; wave barrier
	buffer_load_dword v95, off, s[0:3], 0 offset:304
	buffer_load_dword v96, off, s[0:3], 0 offset:308
	;; [unrolled: 1-line block ×10, first 2 shown]
	ds_read_b128 v[87:90], v86 offset:640
	ds_read_b128 v[91:94], v86 offset:656
	v_cmp_lt_u32_e32 vcc, 36, v0
	s_waitcnt vmcnt(8) lgkmcnt(1)
	v_fma_f64 v[86:87], v[95:96], v[87:88], 0
	s_waitcnt vmcnt(6)
	v_fma_f64 v[86:87], v[97:98], v[89:90], v[86:87]
	s_waitcnt vmcnt(4) lgkmcnt(0)
	v_fma_f64 v[86:87], v[99:100], v[91:92], v[86:87]
	s_waitcnt vmcnt(2)
	v_fma_f64 v[86:87], v[101:102], v[93:94], v[86:87]
	s_waitcnt vmcnt(0)
	v_add_f64 v[86:87], v[103:104], -v[86:87]
	buffer_store_dword v86, off, s[0:3], 0 offset:296
	buffer_store_dword v87, off, s[0:3], 0 offset:300
	s_and_saveexec_b64 s[4:5], vcc
	s_cbranch_execz .LBB105_187
; %bb.186:
	buffer_load_dword v86, off, s[0:3], 0 offset:288
	buffer_load_dword v87, off, s[0:3], 0 offset:292
	v_mov_b32_e32 v88, 0
	buffer_store_dword v88, off, s[0:3], 0 offset:288
	buffer_store_dword v88, off, s[0:3], 0 offset:292
	s_waitcnt vmcnt(2)
	ds_write_b64 v85, v[86:87]
.LBB105_187:
	s_or_b64 exec, exec, s[4:5]
	s_waitcnt lgkmcnt(0)
	; wave barrier
	buffer_load_dword v95, off, s[0:3], 0 offset:296
	buffer_load_dword v96, off, s[0:3], 0 offset:300
	;; [unrolled: 1-line block ×12, first 2 shown]
	v_mov_b32_e32 v86, 0
	ds_read2_b64 v[87:90], v86 offset0:79 offset1:80
	ds_read2_b64 v[91:94], v86 offset0:81 offset1:82
	v_cmp_lt_u32_e32 vcc, 35, v0
	s_waitcnt vmcnt(10) lgkmcnt(1)
	v_fma_f64 v[87:88], v[95:96], v[87:88], 0
	s_waitcnt vmcnt(8)
	v_fma_f64 v[87:88], v[97:98], v[89:90], v[87:88]
	ds_read_b64 v[89:90], v86 offset:664
	s_waitcnt vmcnt(6) lgkmcnt(1)
	v_fma_f64 v[87:88], v[99:100], v[91:92], v[87:88]
	s_waitcnt vmcnt(4)
	v_fma_f64 v[87:88], v[101:102], v[93:94], v[87:88]
	s_waitcnt vmcnt(2) lgkmcnt(0)
	v_fma_f64 v[87:88], v[103:104], v[89:90], v[87:88]
	s_waitcnt vmcnt(0)
	v_add_f64 v[87:88], v[105:106], -v[87:88]
	buffer_store_dword v87, off, s[0:3], 0 offset:288
	buffer_store_dword v88, off, s[0:3], 0 offset:292
	s_and_saveexec_b64 s[4:5], vcc
	s_cbranch_execz .LBB105_189
; %bb.188:
	buffer_load_dword v87, off, s[0:3], 0 offset:280
	buffer_load_dword v88, off, s[0:3], 0 offset:284
	s_waitcnt vmcnt(0)
	ds_write_b64 v85, v[87:88]
	buffer_store_dword v86, off, s[0:3], 0 offset:280
	buffer_store_dword v86, off, s[0:3], 0 offset:284
.LBB105_189:
	s_or_b64 exec, exec, s[4:5]
	s_waitcnt lgkmcnt(0)
	; wave barrier
	buffer_load_dword v95, off, s[0:3], 0 offset:288
	buffer_load_dword v96, off, s[0:3], 0 offset:292
	;; [unrolled: 1-line block ×14, first 2 shown]
	ds_read_b128 v[87:90], v86 offset:624
	ds_read_b128 v[91:94], v86 offset:640
	v_cmp_lt_u32_e32 vcc, 34, v0
	s_waitcnt vmcnt(12) lgkmcnt(1)
	v_fma_f64 v[87:88], v[95:96], v[87:88], 0
	s_waitcnt vmcnt(10)
	v_fma_f64 v[87:88], v[97:98], v[89:90], v[87:88]
	s_waitcnt vmcnt(8) lgkmcnt(0)
	v_fma_f64 v[87:88], v[99:100], v[91:92], v[87:88]
	s_waitcnt vmcnt(6)
	v_fma_f64 v[90:91], v[101:102], v[93:94], v[87:88]
	ds_read_b128 v[86:89], v86 offset:656
	s_waitcnt vmcnt(4) lgkmcnt(0)
	v_fma_f64 v[86:87], v[103:104], v[86:87], v[90:91]
	s_waitcnt vmcnt(2)
	v_fma_f64 v[86:87], v[105:106], v[88:89], v[86:87]
	s_waitcnt vmcnt(0)
	v_add_f64 v[86:87], v[107:108], -v[86:87]
	buffer_store_dword v86, off, s[0:3], 0 offset:280
	buffer_store_dword v87, off, s[0:3], 0 offset:284
	s_and_saveexec_b64 s[4:5], vcc
	s_cbranch_execz .LBB105_191
; %bb.190:
	buffer_load_dword v86, off, s[0:3], 0 offset:272
	buffer_load_dword v87, off, s[0:3], 0 offset:276
	v_mov_b32_e32 v88, 0
	buffer_store_dword v88, off, s[0:3], 0 offset:272
	buffer_store_dword v88, off, s[0:3], 0 offset:276
	s_waitcnt vmcnt(2)
	ds_write_b64 v85, v[86:87]
.LBB105_191:
	s_or_b64 exec, exec, s[4:5]
	s_waitcnt lgkmcnt(0)
	; wave barrier
	buffer_load_dword v95, off, s[0:3], 0 offset:280
	buffer_load_dword v96, off, s[0:3], 0 offset:284
	buffer_load_dword v97, off, s[0:3], 0 offset:288
	buffer_load_dword v98, off, s[0:3], 0 offset:292
	buffer_load_dword v99, off, s[0:3], 0 offset:296
	buffer_load_dword v100, off, s[0:3], 0 offset:300
	buffer_load_dword v101, off, s[0:3], 0 offset:304
	buffer_load_dword v102, off, s[0:3], 0 offset:308
	buffer_load_dword v103, off, s[0:3], 0 offset:312
	buffer_load_dword v104, off, s[0:3], 0 offset:316
	buffer_load_dword v105, off, s[0:3], 0 offset:320
	buffer_load_dword v106, off, s[0:3], 0 offset:324
	buffer_load_dword v107, off, s[0:3], 0 offset:328
	buffer_load_dword v108, off, s[0:3], 0 offset:332
	buffer_load_dword v109, off, s[0:3], 0 offset:272
	buffer_load_dword v110, off, s[0:3], 0 offset:276
	v_mov_b32_e32 v86, 0
	ds_read2_b64 v[87:90], v86 offset0:77 offset1:78
	ds_read2_b64 v[91:94], v86 offset0:79 offset1:80
	v_cmp_lt_u32_e32 vcc, 33, v0
	s_waitcnt vmcnt(14) lgkmcnt(1)
	v_fma_f64 v[87:88], v[95:96], v[87:88], 0
	s_waitcnt vmcnt(12)
	v_fma_f64 v[87:88], v[97:98], v[89:90], v[87:88]
	s_waitcnt vmcnt(10) lgkmcnt(0)
	v_fma_f64 v[87:88], v[99:100], v[91:92], v[87:88]
	s_waitcnt vmcnt(8)
	v_fma_f64 v[91:92], v[101:102], v[93:94], v[87:88]
	ds_read2_b64 v[87:90], v86 offset0:81 offset1:82
	ds_read_b64 v[93:94], v86 offset:664
	s_waitcnt vmcnt(6) lgkmcnt(1)
	v_fma_f64 v[87:88], v[103:104], v[87:88], v[91:92]
	s_waitcnt vmcnt(4)
	v_fma_f64 v[87:88], v[105:106], v[89:90], v[87:88]
	s_waitcnt vmcnt(2) lgkmcnt(0)
	v_fma_f64 v[87:88], v[107:108], v[93:94], v[87:88]
	s_waitcnt vmcnt(0)
	v_add_f64 v[87:88], v[109:110], -v[87:88]
	buffer_store_dword v87, off, s[0:3], 0 offset:272
	buffer_store_dword v88, off, s[0:3], 0 offset:276
	s_and_saveexec_b64 s[4:5], vcc
	s_cbranch_execz .LBB105_193
; %bb.192:
	buffer_load_dword v87, off, s[0:3], 0 offset:264
	buffer_load_dword v88, off, s[0:3], 0 offset:268
	s_waitcnt vmcnt(0)
	ds_write_b64 v85, v[87:88]
	buffer_store_dword v86, off, s[0:3], 0 offset:264
	buffer_store_dword v86, off, s[0:3], 0 offset:268
.LBB105_193:
	s_or_b64 exec, exec, s[4:5]
	s_waitcnt lgkmcnt(0)
	; wave barrier
	buffer_load_dword v95, off, s[0:3], 0 offset:272
	buffer_load_dword v96, off, s[0:3], 0 offset:276
	;; [unrolled: 1-line block ×18, first 2 shown]
	ds_read_b128 v[87:90], v86 offset:608
	ds_read_b128 v[91:94], v86 offset:624
	v_cmp_lt_u32_e32 vcc, 32, v0
	s_waitcnt vmcnt(16) lgkmcnt(1)
	v_fma_f64 v[87:88], v[95:96], v[87:88], 0
	s_waitcnt vmcnt(14)
	v_fma_f64 v[87:88], v[97:98], v[89:90], v[87:88]
	s_waitcnt vmcnt(12) lgkmcnt(0)
	v_fma_f64 v[87:88], v[99:100], v[91:92], v[87:88]
	s_waitcnt vmcnt(10)
	v_fma_f64 v[95:96], v[101:102], v[93:94], v[87:88]
	ds_read_b128 v[87:90], v86 offset:640
	ds_read_b128 v[91:94], v86 offset:656
	s_waitcnt vmcnt(8) lgkmcnt(1)
	v_fma_f64 v[86:87], v[103:104], v[87:88], v[95:96]
	s_waitcnt vmcnt(6)
	v_fma_f64 v[86:87], v[105:106], v[89:90], v[86:87]
	s_waitcnt vmcnt(4) lgkmcnt(0)
	v_fma_f64 v[86:87], v[107:108], v[91:92], v[86:87]
	s_waitcnt vmcnt(2)
	v_fma_f64 v[86:87], v[109:110], v[93:94], v[86:87]
	s_waitcnt vmcnt(0)
	v_add_f64 v[86:87], v[111:112], -v[86:87]
	buffer_store_dword v86, off, s[0:3], 0 offset:264
	buffer_store_dword v87, off, s[0:3], 0 offset:268
	s_and_saveexec_b64 s[4:5], vcc
	s_cbranch_execz .LBB105_195
; %bb.194:
	buffer_load_dword v86, off, s[0:3], 0 offset:256
	buffer_load_dword v87, off, s[0:3], 0 offset:260
	v_mov_b32_e32 v88, 0
	buffer_store_dword v88, off, s[0:3], 0 offset:256
	buffer_store_dword v88, off, s[0:3], 0 offset:260
	s_waitcnt vmcnt(2)
	ds_write_b64 v85, v[86:87]
.LBB105_195:
	s_or_b64 exec, exec, s[4:5]
	s_waitcnt lgkmcnt(0)
	; wave barrier
	buffer_load_dword v95, off, s[0:3], 0 offset:264
	buffer_load_dword v96, off, s[0:3], 0 offset:268
	;; [unrolled: 1-line block ×20, first 2 shown]
	v_mov_b32_e32 v86, 0
	ds_read2_b64 v[87:90], v86 offset0:75 offset1:76
	ds_read2_b64 v[91:94], v86 offset0:77 offset1:78
	v_cmp_lt_u32_e32 vcc, 31, v0
	s_waitcnt vmcnt(18) lgkmcnt(1)
	v_fma_f64 v[87:88], v[95:96], v[87:88], 0
	s_waitcnt vmcnt(16)
	v_fma_f64 v[87:88], v[97:98], v[89:90], v[87:88]
	s_waitcnt vmcnt(14) lgkmcnt(0)
	v_fma_f64 v[87:88], v[99:100], v[91:92], v[87:88]
	s_waitcnt vmcnt(12)
	v_fma_f64 v[95:96], v[101:102], v[93:94], v[87:88]
	ds_read2_b64 v[87:90], v86 offset0:79 offset1:80
	ds_read2_b64 v[91:94], v86 offset0:81 offset1:82
	s_waitcnt vmcnt(10) lgkmcnt(1)
	v_fma_f64 v[87:88], v[103:104], v[87:88], v[95:96]
	s_waitcnt vmcnt(8)
	v_fma_f64 v[87:88], v[105:106], v[89:90], v[87:88]
	ds_read_b64 v[89:90], v86 offset:664
	s_waitcnt vmcnt(6) lgkmcnt(1)
	v_fma_f64 v[87:88], v[107:108], v[91:92], v[87:88]
	s_waitcnt vmcnt(3)
	v_fma_f64 v[87:88], v[109:110], v[93:94], v[87:88]
	s_waitcnt vmcnt(2) lgkmcnt(0)
	v_fma_f64 v[87:88], v[111:112], v[89:90], v[87:88]
	s_waitcnt vmcnt(0)
	v_add_f64 v[87:88], v[113:114], -v[87:88]
	buffer_store_dword v87, off, s[0:3], 0 offset:256
	buffer_store_dword v88, off, s[0:3], 0 offset:260
	s_and_saveexec_b64 s[4:5], vcc
	s_cbranch_execz .LBB105_197
; %bb.196:
	buffer_load_dword v87, off, s[0:3], 0 offset:248
	buffer_load_dword v88, off, s[0:3], 0 offset:252
	s_waitcnt vmcnt(0)
	ds_write_b64 v85, v[87:88]
	buffer_store_dword v86, off, s[0:3], 0 offset:248
	buffer_store_dword v86, off, s[0:3], 0 offset:252
.LBB105_197:
	s_or_b64 exec, exec, s[4:5]
	s_waitcnt lgkmcnt(0)
	; wave barrier
	buffer_load_dword v95, off, s[0:3], 0 offset:256
	buffer_load_dword v96, off, s[0:3], 0 offset:260
	;; [unrolled: 1-line block ×20, first 2 shown]
	ds_read_b128 v[87:90], v86 offset:592
	buffer_load_dword v115, off, s[0:3], 0 offset:248
	buffer_load_dword v116, off, s[0:3], 0 offset:252
	ds_read_b128 v[91:94], v86 offset:608
	v_cmp_lt_u32_e32 vcc, 30, v0
	s_waitcnt vmcnt(20) lgkmcnt(1)
	v_fma_f64 v[87:88], v[95:96], v[87:88], 0
	s_waitcnt vmcnt(18)
	v_fma_f64 v[87:88], v[97:98], v[89:90], v[87:88]
	s_waitcnt vmcnt(16) lgkmcnt(0)
	v_fma_f64 v[87:88], v[99:100], v[91:92], v[87:88]
	s_waitcnt vmcnt(14)
	v_fma_f64 v[95:96], v[101:102], v[93:94], v[87:88]
	ds_read_b128 v[87:90], v86 offset:624
	ds_read_b128 v[91:94], v86 offset:640
	s_waitcnt vmcnt(12) lgkmcnt(1)
	v_fma_f64 v[87:88], v[103:104], v[87:88], v[95:96]
	s_waitcnt vmcnt(10)
	v_fma_f64 v[87:88], v[105:106], v[89:90], v[87:88]
	s_waitcnt vmcnt(8) lgkmcnt(0)
	v_fma_f64 v[87:88], v[107:108], v[91:92], v[87:88]
	s_waitcnt vmcnt(4)
	v_fma_f64 v[90:91], v[109:110], v[93:94], v[87:88]
	ds_read_b128 v[86:89], v86 offset:656
	s_waitcnt vmcnt(3) lgkmcnt(0)
	v_fma_f64 v[86:87], v[113:114], v[86:87], v[90:91]
	s_waitcnt vmcnt(2)
	v_fma_f64 v[86:87], v[111:112], v[88:89], v[86:87]
	s_waitcnt vmcnt(0)
	v_add_f64 v[86:87], v[115:116], -v[86:87]
	buffer_store_dword v86, off, s[0:3], 0 offset:248
	buffer_store_dword v87, off, s[0:3], 0 offset:252
	s_and_saveexec_b64 s[4:5], vcc
	s_cbranch_execz .LBB105_199
; %bb.198:
	buffer_load_dword v86, off, s[0:3], 0 offset:240
	buffer_load_dword v87, off, s[0:3], 0 offset:244
	v_mov_b32_e32 v88, 0
	buffer_store_dword v88, off, s[0:3], 0 offset:240
	buffer_store_dword v88, off, s[0:3], 0 offset:244
	s_waitcnt vmcnt(2)
	ds_write_b64 v85, v[86:87]
.LBB105_199:
	s_or_b64 exec, exec, s[4:5]
	s_waitcnt lgkmcnt(0)
	; wave barrier
	buffer_load_dword v95, off, s[0:3], 0 offset:248
	buffer_load_dword v96, off, s[0:3], 0 offset:252
	;; [unrolled: 1-line block ×21, first 2 shown]
	v_mov_b32_e32 v86, 0
	ds_read2_b64 v[87:90], v86 offset0:73 offset1:74
	ds_read2_b64 v[91:94], v86 offset0:75 offset1:76
	buffer_load_dword v112, off, s[0:3], 0 offset:332
	v_cmp_lt_u32_e32 vcc, 29, v0
	s_waitcnt vmcnt(20) lgkmcnt(1)
	v_fma_f64 v[87:88], v[95:96], v[87:88], 0
	buffer_load_dword v95, off, s[0:3], 0 offset:240
	buffer_load_dword v96, off, s[0:3], 0 offset:244
	s_waitcnt vmcnt(20)
	v_fma_f64 v[87:88], v[97:98], v[89:90], v[87:88]
	s_waitcnt vmcnt(18) lgkmcnt(0)
	v_fma_f64 v[87:88], v[99:100], v[91:92], v[87:88]
	s_waitcnt vmcnt(16)
	v_fma_f64 v[97:98], v[101:102], v[93:94], v[87:88]
	ds_read2_b64 v[87:90], v86 offset0:77 offset1:78
	ds_read2_b64 v[91:94], v86 offset0:79 offset1:80
	s_waitcnt vmcnt(14) lgkmcnt(1)
	v_fma_f64 v[87:88], v[103:104], v[87:88], v[97:98]
	s_waitcnt vmcnt(12)
	v_fma_f64 v[87:88], v[105:106], v[89:90], v[87:88]
	s_waitcnt vmcnt(10) lgkmcnt(0)
	v_fma_f64 v[87:88], v[107:108], v[91:92], v[87:88]
	s_waitcnt vmcnt(5)
	v_fma_f64 v[91:92], v[109:110], v[93:94], v[87:88]
	ds_read2_b64 v[87:90], v86 offset0:81 offset1:82
	ds_read_b64 v[93:94], v86 offset:664
	s_waitcnt vmcnt(4) lgkmcnt(1)
	v_fma_f64 v[87:88], v[115:116], v[87:88], v[91:92]
	s_waitcnt vmcnt(3)
	v_fma_f64 v[87:88], v[113:114], v[89:90], v[87:88]
	s_waitcnt vmcnt(2) lgkmcnt(0)
	v_fma_f64 v[87:88], v[111:112], v[93:94], v[87:88]
	s_waitcnt vmcnt(0)
	v_add_f64 v[87:88], v[95:96], -v[87:88]
	buffer_store_dword v88, off, s[0:3], 0 offset:244
	buffer_store_dword v87, off, s[0:3], 0 offset:240
	s_and_saveexec_b64 s[4:5], vcc
	s_cbranch_execz .LBB105_201
; %bb.200:
	buffer_load_dword v87, off, s[0:3], 0 offset:232
	buffer_load_dword v88, off, s[0:3], 0 offset:236
	s_waitcnt vmcnt(0)
	ds_write_b64 v85, v[87:88]
	buffer_store_dword v86, off, s[0:3], 0 offset:232
	buffer_store_dword v86, off, s[0:3], 0 offset:236
.LBB105_201:
	s_or_b64 exec, exec, s[4:5]
	s_waitcnt lgkmcnt(0)
	; wave barrier
	buffer_load_dword v95, off, s[0:3], 0 offset:240
	buffer_load_dword v96, off, s[0:3], 0 offset:244
	;; [unrolled: 1-line block ×21, first 2 shown]
	ds_read_b128 v[87:90], v86 offset:576
	ds_read_b128 v[91:94], v86 offset:592
	buffer_load_dword v112, off, s[0:3], 0 offset:324
	v_cmp_lt_u32_e32 vcc, 28, v0
	s_waitcnt vmcnt(20) lgkmcnt(1)
	v_fma_f64 v[87:88], v[95:96], v[87:88], 0
	buffer_load_dword v96, off, s[0:3], 0 offset:332
	buffer_load_dword v95, off, s[0:3], 0 offset:328
	s_waitcnt vmcnt(20)
	v_fma_f64 v[87:88], v[97:98], v[89:90], v[87:88]
	buffer_load_dword v97, off, s[0:3], 0 offset:232
	buffer_load_dword v98, off, s[0:3], 0 offset:236
	s_waitcnt vmcnt(20) lgkmcnt(0)
	v_fma_f64 v[87:88], v[99:100], v[91:92], v[87:88]
	s_waitcnt vmcnt(18)
	v_fma_f64 v[99:100], v[101:102], v[93:94], v[87:88]
	ds_read_b128 v[87:90], v86 offset:608
	ds_read_b128 v[91:94], v86 offset:624
	s_waitcnt vmcnt(16) lgkmcnt(1)
	v_fma_f64 v[87:88], v[103:104], v[87:88], v[99:100]
	s_waitcnt vmcnt(14)
	v_fma_f64 v[87:88], v[105:106], v[89:90], v[87:88]
	s_waitcnt vmcnt(12) lgkmcnt(0)
	v_fma_f64 v[87:88], v[107:108], v[91:92], v[87:88]
	s_waitcnt vmcnt(7)
	v_fma_f64 v[99:100], v[109:110], v[93:94], v[87:88]
	ds_read_b128 v[87:90], v86 offset:640
	ds_read_b128 v[91:94], v86 offset:656
	s_waitcnt vmcnt(6) lgkmcnt(1)
	v_fma_f64 v[86:87], v[115:116], v[87:88], v[99:100]
	s_waitcnt vmcnt(5)
	v_fma_f64 v[86:87], v[113:114], v[89:90], v[86:87]
	s_waitcnt vmcnt(4) lgkmcnt(0)
	v_fma_f64 v[86:87], v[111:112], v[91:92], v[86:87]
	s_waitcnt vmcnt(2)
	v_fma_f64 v[86:87], v[95:96], v[93:94], v[86:87]
	s_waitcnt vmcnt(0)
	v_add_f64 v[86:87], v[97:98], -v[86:87]
	buffer_store_dword v87, off, s[0:3], 0 offset:236
	buffer_store_dword v86, off, s[0:3], 0 offset:232
	s_and_saveexec_b64 s[4:5], vcc
	s_cbranch_execz .LBB105_203
; %bb.202:
	buffer_load_dword v86, off, s[0:3], 0 offset:224
	buffer_load_dword v87, off, s[0:3], 0 offset:228
	v_mov_b32_e32 v88, 0
	buffer_store_dword v88, off, s[0:3], 0 offset:224
	buffer_store_dword v88, off, s[0:3], 0 offset:228
	s_waitcnt vmcnt(2)
	ds_write_b64 v85, v[86:87]
.LBB105_203:
	s_or_b64 exec, exec, s[4:5]
	s_waitcnt lgkmcnt(0)
	; wave barrier
	buffer_load_dword v95, off, s[0:3], 0 offset:232
	buffer_load_dword v96, off, s[0:3], 0 offset:236
	;; [unrolled: 1-line block ×21, first 2 shown]
	v_mov_b32_e32 v86, 0
	ds_read2_b64 v[87:90], v86 offset0:71 offset1:72
	ds_read2_b64 v[91:94], v86 offset0:73 offset1:74
	buffer_load_dword v112, off, s[0:3], 0 offset:316
	v_cmp_lt_u32_e32 vcc, 27, v0
	s_waitcnt vmcnt(20) lgkmcnt(1)
	v_fma_f64 v[87:88], v[95:96], v[87:88], 0
	s_waitcnt vmcnt(18)
	v_fma_f64 v[87:88], v[97:98], v[89:90], v[87:88]
	buffer_load_dword v96, off, s[0:3], 0 offset:324
	buffer_load_dword v97, off, s[0:3], 0 offset:328
	;; [unrolled: 1-line block ×4, first 2 shown]
	s_waitcnt vmcnt(20) lgkmcnt(0)
	v_fma_f64 v[87:88], v[99:100], v[91:92], v[87:88]
	buffer_load_dword v99, off, s[0:3], 0 offset:224
	buffer_load_dword v100, off, s[0:3], 0 offset:228
	s_waitcnt vmcnt(20)
	v_fma_f64 v[101:102], v[101:102], v[93:94], v[87:88]
	ds_read2_b64 v[87:90], v86 offset0:75 offset1:76
	ds_read2_b64 v[91:94], v86 offset0:77 offset1:78
	s_waitcnt vmcnt(18) lgkmcnt(1)
	v_fma_f64 v[87:88], v[103:104], v[87:88], v[101:102]
	s_waitcnt vmcnt(16)
	v_fma_f64 v[87:88], v[105:106], v[89:90], v[87:88]
	s_waitcnt vmcnt(14) lgkmcnt(0)
	v_fma_f64 v[87:88], v[107:108], v[91:92], v[87:88]
	s_waitcnt vmcnt(9)
	v_fma_f64 v[101:102], v[109:110], v[93:94], v[87:88]
	ds_read2_b64 v[87:90], v86 offset0:79 offset1:80
	ds_read2_b64 v[91:94], v86 offset0:81 offset1:82
	s_waitcnt vmcnt(8) lgkmcnt(1)
	v_fma_f64 v[87:88], v[115:116], v[87:88], v[101:102]
	s_waitcnt vmcnt(7)
	v_fma_f64 v[87:88], v[113:114], v[89:90], v[87:88]
	ds_read_b64 v[89:90], v86 offset:664
	s_waitcnt vmcnt(6) lgkmcnt(1)
	v_fma_f64 v[87:88], v[111:112], v[91:92], v[87:88]
	s_waitcnt vmcnt(3)
	v_fma_f64 v[87:88], v[95:96], v[93:94], v[87:88]
	s_waitcnt vmcnt(2) lgkmcnt(0)
	v_fma_f64 v[87:88], v[97:98], v[89:90], v[87:88]
	s_waitcnt vmcnt(0)
	v_add_f64 v[87:88], v[99:100], -v[87:88]
	buffer_store_dword v88, off, s[0:3], 0 offset:228
	buffer_store_dword v87, off, s[0:3], 0 offset:224
	s_and_saveexec_b64 s[4:5], vcc
	s_cbranch_execz .LBB105_205
; %bb.204:
	buffer_load_dword v87, off, s[0:3], 0 offset:216
	buffer_load_dword v88, off, s[0:3], 0 offset:220
	s_waitcnt vmcnt(0)
	ds_write_b64 v85, v[87:88]
	buffer_store_dword v86, off, s[0:3], 0 offset:216
	buffer_store_dword v86, off, s[0:3], 0 offset:220
.LBB105_205:
	s_or_b64 exec, exec, s[4:5]
	s_waitcnt lgkmcnt(0)
	; wave barrier
	buffer_load_dword v95, off, s[0:3], 0 offset:224
	buffer_load_dword v96, off, s[0:3], 0 offset:228
	;; [unrolled: 1-line block ×22, first 2 shown]
	ds_read_b128 v[87:90], v86 offset:560
	ds_read_b128 v[91:94], v86 offset:576
	v_cmp_lt_u32_e32 vcc, 26, v0
	s_waitcnt vmcnt(20) lgkmcnt(1)
	v_fma_f64 v[87:88], v[95:96], v[87:88], 0
	s_waitcnt vmcnt(18)
	v_fma_f64 v[87:88], v[97:98], v[89:90], v[87:88]
	buffer_load_dword v96, off, s[0:3], 0 offset:316
	buffer_load_dword v97, off, s[0:3], 0 offset:328
	;; [unrolled: 1-line block ×6, first 2 shown]
	s_waitcnt vmcnt(22) lgkmcnt(0)
	v_fma_f64 v[87:88], v[99:100], v[91:92], v[87:88]
	s_waitcnt vmcnt(20)
	v_fma_f64 v[99:100], v[101:102], v[93:94], v[87:88]
	ds_read_b128 v[87:90], v86 offset:592
	buffer_load_dword v101, off, s[0:3], 0 offset:216
	buffer_load_dword v102, off, s[0:3], 0 offset:220
	ds_read_b128 v[91:94], v86 offset:608
	s_waitcnt vmcnt(20) lgkmcnt(1)
	v_fma_f64 v[87:88], v[103:104], v[87:88], v[99:100]
	s_waitcnt vmcnt(18)
	v_fma_f64 v[87:88], v[105:106], v[89:90], v[87:88]
	s_waitcnt vmcnt(16) lgkmcnt(0)
	v_fma_f64 v[87:88], v[107:108], v[91:92], v[87:88]
	s_waitcnt vmcnt(11)
	v_fma_f64 v[99:100], v[109:110], v[93:94], v[87:88]
	ds_read_b128 v[87:90], v86 offset:624
	ds_read_b128 v[91:94], v86 offset:640
	s_waitcnt vmcnt(10) lgkmcnt(1)
	v_fma_f64 v[87:88], v[115:116], v[87:88], v[99:100]
	s_waitcnt vmcnt(9)
	v_fma_f64 v[87:88], v[113:114], v[89:90], v[87:88]
	s_waitcnt vmcnt(8) lgkmcnt(0)
	v_fma_f64 v[87:88], v[111:112], v[91:92], v[87:88]
	s_waitcnt vmcnt(4)
	v_fma_f64 v[90:91], v[95:96], v[93:94], v[87:88]
	ds_read_b128 v[86:89], v86 offset:656
	s_waitcnt vmcnt(3) lgkmcnt(0)
	v_fma_f64 v[86:87], v[117:118], v[86:87], v[90:91]
	s_waitcnt vmcnt(2)
	v_fma_f64 v[86:87], v[97:98], v[88:89], v[86:87]
	s_waitcnt vmcnt(0)
	v_add_f64 v[86:87], v[101:102], -v[86:87]
	buffer_store_dword v87, off, s[0:3], 0 offset:220
	buffer_store_dword v86, off, s[0:3], 0 offset:216
	s_and_saveexec_b64 s[4:5], vcc
	s_cbranch_execz .LBB105_207
; %bb.206:
	buffer_load_dword v86, off, s[0:3], 0 offset:208
	buffer_load_dword v87, off, s[0:3], 0 offset:212
	v_mov_b32_e32 v88, 0
	buffer_store_dword v88, off, s[0:3], 0 offset:208
	buffer_store_dword v88, off, s[0:3], 0 offset:212
	s_waitcnt vmcnt(2)
	ds_write_b64 v85, v[86:87]
.LBB105_207:
	s_or_b64 exec, exec, s[4:5]
	s_waitcnt lgkmcnt(0)
	; wave barrier
	buffer_load_dword v95, off, s[0:3], 0 offset:216
	buffer_load_dword v96, off, s[0:3], 0 offset:220
	;; [unrolled: 1-line block ×22, first 2 shown]
	v_mov_b32_e32 v86, 0
	ds_read2_b64 v[87:90], v86 offset0:69 offset1:70
	ds_read2_b64 v[91:94], v86 offset0:71 offset1:72
	v_cmp_lt_u32_e32 vcc, 25, v0
	s_waitcnt vmcnt(20) lgkmcnt(1)
	v_fma_f64 v[87:88], v[95:96], v[87:88], 0
	s_waitcnt vmcnt(18)
	v_fma_f64 v[87:88], v[97:98], v[89:90], v[87:88]
	buffer_load_dword v96, off, s[0:3], 0 offset:308
	buffer_load_dword v97, off, s[0:3], 0 offset:328
	;; [unrolled: 1-line block ×8, first 2 shown]
	s_waitcnt vmcnt(24) lgkmcnt(0)
	v_fma_f64 v[87:88], v[99:100], v[91:92], v[87:88]
	s_waitcnt vmcnt(22)
	v_fma_f64 v[99:100], v[101:102], v[93:94], v[87:88]
	ds_read2_b64 v[87:90], v86 offset0:73 offset1:74
	ds_read2_b64 v[91:94], v86 offset0:75 offset1:76
	s_waitcnt vmcnt(20) lgkmcnt(1)
	v_fma_f64 v[87:88], v[103:104], v[87:88], v[99:100]
	buffer_load_dword v99, off, s[0:3], 0 offset:208
	buffer_load_dword v100, off, s[0:3], 0 offset:212
	s_waitcnt vmcnt(20)
	v_fma_f64 v[87:88], v[105:106], v[89:90], v[87:88]
	s_waitcnt vmcnt(18) lgkmcnt(0)
	v_fma_f64 v[87:88], v[107:108], v[91:92], v[87:88]
	s_waitcnt vmcnt(13)
	v_fma_f64 v[101:102], v[109:110], v[93:94], v[87:88]
	ds_read2_b64 v[87:90], v86 offset0:77 offset1:78
	ds_read2_b64 v[91:94], v86 offset0:79 offset1:80
	s_waitcnt vmcnt(12) lgkmcnt(1)
	v_fma_f64 v[87:88], v[115:116], v[87:88], v[101:102]
	s_waitcnt vmcnt(11)
	v_fma_f64 v[87:88], v[113:114], v[89:90], v[87:88]
	s_waitcnt vmcnt(10) lgkmcnt(0)
	v_fma_f64 v[87:88], v[111:112], v[91:92], v[87:88]
	s_waitcnt vmcnt(5)
	v_fma_f64 v[91:92], v[95:96], v[93:94], v[87:88]
	ds_read2_b64 v[87:90], v86 offset0:81 offset1:82
	ds_read_b64 v[93:94], v86 offset:664
	s_waitcnt vmcnt(4) lgkmcnt(1)
	v_fma_f64 v[87:88], v[119:120], v[87:88], v[91:92]
	s_waitcnt vmcnt(3)
	v_fma_f64 v[87:88], v[117:118], v[89:90], v[87:88]
	s_waitcnt vmcnt(2) lgkmcnt(0)
	v_fma_f64 v[87:88], v[97:98], v[93:94], v[87:88]
	s_waitcnt vmcnt(0)
	v_add_f64 v[87:88], v[99:100], -v[87:88]
	buffer_store_dword v88, off, s[0:3], 0 offset:212
	buffer_store_dword v87, off, s[0:3], 0 offset:208
	s_and_saveexec_b64 s[4:5], vcc
	s_cbranch_execz .LBB105_209
; %bb.208:
	buffer_load_dword v87, off, s[0:3], 0 offset:200
	buffer_load_dword v88, off, s[0:3], 0 offset:204
	s_waitcnt vmcnt(0)
	ds_write_b64 v85, v[87:88]
	buffer_store_dword v86, off, s[0:3], 0 offset:200
	buffer_store_dword v86, off, s[0:3], 0 offset:204
.LBB105_209:
	s_or_b64 exec, exec, s[4:5]
	s_waitcnt lgkmcnt(0)
	; wave barrier
	buffer_load_dword v95, off, s[0:3], 0 offset:208
	buffer_load_dword v96, off, s[0:3], 0 offset:212
	;; [unrolled: 1-line block ×22, first 2 shown]
	ds_read_b128 v[87:90], v86 offset:544
	ds_read_b128 v[91:94], v86 offset:560
	v_cmp_lt_u32_e32 vcc, 24, v0
	s_waitcnt vmcnt(20) lgkmcnt(1)
	v_fma_f64 v[87:88], v[95:96], v[87:88], 0
	s_waitcnt vmcnt(18)
	v_fma_f64 v[87:88], v[97:98], v[89:90], v[87:88]
	buffer_load_dword v96, off, s[0:3], 0 offset:300
	buffer_load_dword v97, off, s[0:3], 0 offset:320
	;; [unrolled: 1-line block ×8, first 2 shown]
	s_waitcnt vmcnt(24) lgkmcnt(0)
	v_fma_f64 v[87:88], v[99:100], v[91:92], v[87:88]
	s_waitcnt vmcnt(22)
	v_fma_f64 v[99:100], v[101:102], v[93:94], v[87:88]
	ds_read_b128 v[87:90], v86 offset:576
	ds_read_b128 v[91:94], v86 offset:592
	s_waitcnt vmcnt(20) lgkmcnt(1)
	v_fma_f64 v[87:88], v[103:104], v[87:88], v[99:100]
	buffer_load_dword v100, off, s[0:3], 0 offset:332
	buffer_load_dword v99, off, s[0:3], 0 offset:328
	;; [unrolled: 1-line block ×4, first 2 shown]
	s_waitcnt vmcnt(22)
	v_fma_f64 v[87:88], v[105:106], v[89:90], v[87:88]
	s_waitcnt vmcnt(20) lgkmcnt(0)
	v_fma_f64 v[87:88], v[107:108], v[91:92], v[87:88]
	s_waitcnt vmcnt(15)
	v_fma_f64 v[103:104], v[109:110], v[93:94], v[87:88]
	ds_read_b128 v[87:90], v86 offset:608
	ds_read_b128 v[91:94], v86 offset:624
	s_waitcnt vmcnt(14) lgkmcnt(1)
	v_fma_f64 v[87:88], v[115:116], v[87:88], v[103:104]
	s_waitcnt vmcnt(13)
	v_fma_f64 v[87:88], v[113:114], v[89:90], v[87:88]
	s_waitcnt vmcnt(12) lgkmcnt(0)
	v_fma_f64 v[87:88], v[111:112], v[91:92], v[87:88]
	s_waitcnt vmcnt(7)
	v_fma_f64 v[95:96], v[95:96], v[93:94], v[87:88]
	ds_read_b128 v[87:90], v86 offset:640
	ds_read_b128 v[91:94], v86 offset:656
	s_waitcnt vmcnt(6) lgkmcnt(1)
	v_fma_f64 v[86:87], v[119:120], v[87:88], v[95:96]
	s_waitcnt vmcnt(5)
	v_fma_f64 v[86:87], v[117:118], v[89:90], v[86:87]
	s_waitcnt vmcnt(4) lgkmcnt(0)
	v_fma_f64 v[86:87], v[97:98], v[91:92], v[86:87]
	s_waitcnt vmcnt(2)
	v_fma_f64 v[86:87], v[99:100], v[93:94], v[86:87]
	s_waitcnt vmcnt(0)
	v_add_f64 v[86:87], v[101:102], -v[86:87]
	buffer_store_dword v87, off, s[0:3], 0 offset:204
	buffer_store_dword v86, off, s[0:3], 0 offset:200
	s_and_saveexec_b64 s[4:5], vcc
	s_cbranch_execz .LBB105_211
; %bb.210:
	buffer_load_dword v86, off, s[0:3], 0 offset:192
	buffer_load_dword v87, off, s[0:3], 0 offset:196
	v_mov_b32_e32 v88, 0
	buffer_store_dword v88, off, s[0:3], 0 offset:192
	buffer_store_dword v88, off, s[0:3], 0 offset:196
	s_waitcnt vmcnt(2)
	ds_write_b64 v85, v[86:87]
.LBB105_211:
	s_or_b64 exec, exec, s[4:5]
	s_waitcnt lgkmcnt(0)
	; wave barrier
	buffer_load_dword v95, off, s[0:3], 0 offset:200
	buffer_load_dword v96, off, s[0:3], 0 offset:204
	;; [unrolled: 1-line block ×22, first 2 shown]
	v_mov_b32_e32 v86, 0
	ds_read2_b64 v[87:90], v86 offset0:67 offset1:68
	ds_read2_b64 v[91:94], v86 offset0:69 offset1:70
	v_cmp_lt_u32_e32 vcc, 23, v0
	s_waitcnt vmcnt(20) lgkmcnt(1)
	v_fma_f64 v[87:88], v[95:96], v[87:88], 0
	s_waitcnt vmcnt(18)
	v_fma_f64 v[87:88], v[97:98], v[89:90], v[87:88]
	buffer_load_dword v96, off, s[0:3], 0 offset:292
	buffer_load_dword v97, off, s[0:3], 0 offset:312
	;; [unrolled: 1-line block ×7, first 2 shown]
	s_waitcnt vmcnt(23) lgkmcnt(0)
	v_fma_f64 v[87:88], v[99:100], v[91:92], v[87:88]
	s_waitcnt vmcnt(21)
	v_fma_f64 v[98:99], v[101:102], v[93:94], v[87:88]
	ds_read2_b64 v[87:90], v86 offset0:71 offset1:72
	ds_read2_b64 v[91:94], v86 offset0:73 offset1:74
	s_waitcnt vmcnt(19) lgkmcnt(1)
	v_fma_f64 v[87:88], v[103:104], v[87:88], v[98:99]
	buffer_load_dword v98, off, s[0:3], 0 offset:316
	buffer_load_dword v100, off, s[0:3], 0 offset:324
	;; [unrolled: 1-line block ×7, first 2 shown]
	s_waitcnt vmcnt(24)
	v_fma_f64 v[87:88], v[105:106], v[89:90], v[87:88]
	s_waitcnt vmcnt(22) lgkmcnt(0)
	v_fma_f64 v[87:88], v[107:108], v[91:92], v[87:88]
	s_waitcnt vmcnt(17)
	v_fma_f64 v[105:106], v[109:110], v[93:94], v[87:88]
	ds_read2_b64 v[87:90], v86 offset0:75 offset1:76
	ds_read2_b64 v[91:94], v86 offset0:77 offset1:78
	s_waitcnt vmcnt(16) lgkmcnt(1)
	v_fma_f64 v[87:88], v[115:116], v[87:88], v[105:106]
	s_waitcnt vmcnt(15)
	v_fma_f64 v[87:88], v[113:114], v[89:90], v[87:88]
	s_waitcnt vmcnt(14) lgkmcnt(0)
	v_fma_f64 v[87:88], v[111:112], v[91:92], v[87:88]
	s_waitcnt vmcnt(9)
	v_fma_f64 v[95:96], v[95:96], v[93:94], v[87:88]
	ds_read2_b64 v[87:90], v86 offset0:79 offset1:80
	ds_read2_b64 v[91:94], v86 offset0:81 offset1:82
	s_waitcnt vmcnt(8) lgkmcnt(1)
	v_fma_f64 v[87:88], v[119:120], v[87:88], v[95:96]
	s_waitcnt vmcnt(7)
	v_fma_f64 v[87:88], v[117:118], v[89:90], v[87:88]
	ds_read_b64 v[89:90], v86 offset:664
	s_waitcnt vmcnt(6) lgkmcnt(1)
	v_fma_f64 v[87:88], v[97:98], v[91:92], v[87:88]
	s_waitcnt vmcnt(3)
	v_fma_f64 v[87:88], v[99:100], v[93:94], v[87:88]
	s_waitcnt vmcnt(2) lgkmcnt(0)
	v_fma_f64 v[87:88], v[101:102], v[89:90], v[87:88]
	s_waitcnt vmcnt(0)
	v_add_f64 v[87:88], v[103:104], -v[87:88]
	buffer_store_dword v88, off, s[0:3], 0 offset:196
	buffer_store_dword v87, off, s[0:3], 0 offset:192
	s_and_saveexec_b64 s[4:5], vcc
	s_cbranch_execz .LBB105_213
; %bb.212:
	buffer_load_dword v87, off, s[0:3], 0 offset:184
	buffer_load_dword v88, off, s[0:3], 0 offset:188
	s_waitcnt vmcnt(0)
	ds_write_b64 v85, v[87:88]
	buffer_store_dword v86, off, s[0:3], 0 offset:184
	buffer_store_dword v86, off, s[0:3], 0 offset:188
.LBB105_213:
	s_or_b64 exec, exec, s[4:5]
	s_waitcnt lgkmcnt(0)
	; wave barrier
	buffer_load_dword v95, off, s[0:3], 0 offset:192
	buffer_load_dword v96, off, s[0:3], 0 offset:196
	;; [unrolled: 1-line block ×22, first 2 shown]
	ds_read_b128 v[87:90], v86 offset:528
	ds_read_b128 v[91:94], v86 offset:544
	v_cmp_lt_u32_e32 vcc, 22, v0
	s_waitcnt vmcnt(20) lgkmcnt(1)
	v_fma_f64 v[87:88], v[95:96], v[87:88], 0
	s_waitcnt vmcnt(18)
	v_fma_f64 v[87:88], v[97:98], v[89:90], v[87:88]
	buffer_load_dword v96, off, s[0:3], 0 offset:284
	buffer_load_dword v97, off, s[0:3], 0 offset:304
	;; [unrolled: 1-line block ×7, first 2 shown]
	s_waitcnt vmcnt(23) lgkmcnt(0)
	v_fma_f64 v[87:88], v[99:100], v[91:92], v[87:88]
	s_waitcnt vmcnt(21)
	v_fma_f64 v[98:99], v[101:102], v[93:94], v[87:88]
	ds_read_b128 v[87:90], v86 offset:560
	ds_read_b128 v[91:94], v86 offset:576
	s_waitcnt vmcnt(19) lgkmcnt(1)
	v_fma_f64 v[87:88], v[103:104], v[87:88], v[98:99]
	buffer_load_dword v98, off, s[0:3], 0 offset:308
	buffer_load_dword v100, off, s[0:3], 0 offset:316
	;; [unrolled: 1-line block ×7, first 2 shown]
	s_waitcnt vmcnt(24)
	v_fma_f64 v[87:88], v[105:106], v[89:90], v[87:88]
	s_waitcnt vmcnt(22) lgkmcnt(0)
	v_fma_f64 v[87:88], v[107:108], v[91:92], v[87:88]
	s_waitcnt vmcnt(17)
	v_fma_f64 v[105:106], v[109:110], v[93:94], v[87:88]
	ds_read_b128 v[87:90], v86 offset:592
	buffer_load_dword v107, off, s[0:3], 0 offset:184
	buffer_load_dword v108, off, s[0:3], 0 offset:188
	ds_read_b128 v[91:94], v86 offset:608
	s_waitcnt vmcnt(18) lgkmcnt(1)
	v_fma_f64 v[87:88], v[115:116], v[87:88], v[105:106]
	s_waitcnt vmcnt(17)
	v_fma_f64 v[87:88], v[113:114], v[89:90], v[87:88]
	s_waitcnt vmcnt(16) lgkmcnt(0)
	v_fma_f64 v[87:88], v[111:112], v[91:92], v[87:88]
	s_waitcnt vmcnt(11)
	v_fma_f64 v[95:96], v[95:96], v[93:94], v[87:88]
	ds_read_b128 v[87:90], v86 offset:624
	ds_read_b128 v[91:94], v86 offset:640
	s_waitcnt vmcnt(10) lgkmcnt(1)
	v_fma_f64 v[87:88], v[119:120], v[87:88], v[95:96]
	s_waitcnt vmcnt(9)
	v_fma_f64 v[87:88], v[117:118], v[89:90], v[87:88]
	s_waitcnt vmcnt(8) lgkmcnt(0)
	v_fma_f64 v[87:88], v[97:98], v[91:92], v[87:88]
	s_waitcnt vmcnt(4)
	v_fma_f64 v[90:91], v[99:100], v[93:94], v[87:88]
	ds_read_b128 v[86:89], v86 offset:656
	s_waitcnt vmcnt(3) lgkmcnt(0)
	v_fma_f64 v[86:87], v[103:104], v[86:87], v[90:91]
	s_waitcnt vmcnt(2)
	v_fma_f64 v[86:87], v[101:102], v[88:89], v[86:87]
	s_waitcnt vmcnt(0)
	v_add_f64 v[86:87], v[107:108], -v[86:87]
	buffer_store_dword v87, off, s[0:3], 0 offset:188
	buffer_store_dword v86, off, s[0:3], 0 offset:184
	s_and_saveexec_b64 s[4:5], vcc
	s_cbranch_execz .LBB105_215
; %bb.214:
	buffer_load_dword v86, off, s[0:3], 0 offset:176
	buffer_load_dword v87, off, s[0:3], 0 offset:180
	v_mov_b32_e32 v88, 0
	buffer_store_dword v88, off, s[0:3], 0 offset:176
	buffer_store_dword v88, off, s[0:3], 0 offset:180
	s_waitcnt vmcnt(2)
	ds_write_b64 v85, v[86:87]
.LBB105_215:
	s_or_b64 exec, exec, s[4:5]
	s_waitcnt lgkmcnt(0)
	; wave barrier
	buffer_load_dword v95, off, s[0:3], 0 offset:184
	buffer_load_dword v96, off, s[0:3], 0 offset:188
	;; [unrolled: 1-line block ×22, first 2 shown]
	v_mov_b32_e32 v86, 0
	ds_read2_b64 v[87:90], v86 offset0:65 offset1:66
	ds_read2_b64 v[91:94], v86 offset0:67 offset1:68
	v_cmp_lt_u32_e32 vcc, 21, v0
	s_waitcnt vmcnt(20) lgkmcnt(1)
	v_fma_f64 v[87:88], v[95:96], v[87:88], 0
	s_waitcnt vmcnt(18)
	v_fma_f64 v[87:88], v[97:98], v[89:90], v[87:88]
	buffer_load_dword v96, off, s[0:3], 0 offset:276
	buffer_load_dword v97, off, s[0:3], 0 offset:296
	;; [unrolled: 1-line block ×7, first 2 shown]
	s_waitcnt vmcnt(23) lgkmcnt(0)
	v_fma_f64 v[87:88], v[99:100], v[91:92], v[87:88]
	s_waitcnt vmcnt(21)
	v_fma_f64 v[98:99], v[101:102], v[93:94], v[87:88]
	ds_read2_b64 v[87:90], v86 offset0:69 offset1:70
	ds_read2_b64 v[91:94], v86 offset0:71 offset1:72
	s_waitcnt vmcnt(19) lgkmcnt(1)
	v_fma_f64 v[87:88], v[103:104], v[87:88], v[98:99]
	buffer_load_dword v98, off, s[0:3], 0 offset:300
	s_waitcnt vmcnt(18)
	v_fma_f64 v[87:88], v[105:106], v[89:90], v[87:88]
	buffer_load_dword v100, off, s[0:3], 0 offset:308
	buffer_load_dword v101, off, s[0:3], 0 offset:328
	;; [unrolled: 1-line block ×8, first 2 shown]
	s_waitcnt vmcnt(24) lgkmcnt(0)
	v_fma_f64 v[87:88], v[107:108], v[91:92], v[87:88]
	s_waitcnt vmcnt(19)
	v_fma_f64 v[107:108], v[109:110], v[93:94], v[87:88]
	ds_read2_b64 v[87:90], v86 offset0:73 offset1:74
	ds_read2_b64 v[91:94], v86 offset0:75 offset1:76
	s_waitcnt vmcnt(18) lgkmcnt(1)
	v_fma_f64 v[87:88], v[115:116], v[87:88], v[107:108]
	buffer_load_dword v107, off, s[0:3], 0 offset:176
	buffer_load_dword v108, off, s[0:3], 0 offset:180
	s_waitcnt vmcnt(19)
	v_fma_f64 v[87:88], v[113:114], v[89:90], v[87:88]
	s_waitcnt vmcnt(18) lgkmcnt(0)
	v_fma_f64 v[87:88], v[111:112], v[91:92], v[87:88]
	s_waitcnt vmcnt(13)
	v_fma_f64 v[95:96], v[95:96], v[93:94], v[87:88]
	ds_read2_b64 v[87:90], v86 offset0:77 offset1:78
	ds_read2_b64 v[91:94], v86 offset0:79 offset1:80
	s_waitcnt vmcnt(12) lgkmcnt(1)
	v_fma_f64 v[87:88], v[119:120], v[87:88], v[95:96]
	s_waitcnt vmcnt(11)
	v_fma_f64 v[87:88], v[117:118], v[89:90], v[87:88]
	s_waitcnt vmcnt(10) lgkmcnt(0)
	v_fma_f64 v[87:88], v[97:98], v[91:92], v[87:88]
	s_waitcnt vmcnt(5)
	v_fma_f64 v[91:92], v[99:100], v[93:94], v[87:88]
	ds_read2_b64 v[87:90], v86 offset0:81 offset1:82
	ds_read_b64 v[93:94], v86 offset:664
	s_waitcnt vmcnt(4) lgkmcnt(1)
	v_fma_f64 v[87:88], v[105:106], v[87:88], v[91:92]
	s_waitcnt vmcnt(3)
	v_fma_f64 v[87:88], v[103:104], v[89:90], v[87:88]
	s_waitcnt vmcnt(2) lgkmcnt(0)
	v_fma_f64 v[87:88], v[101:102], v[93:94], v[87:88]
	s_waitcnt vmcnt(0)
	v_add_f64 v[87:88], v[107:108], -v[87:88]
	buffer_store_dword v88, off, s[0:3], 0 offset:180
	buffer_store_dword v87, off, s[0:3], 0 offset:176
	s_and_saveexec_b64 s[4:5], vcc
	s_cbranch_execz .LBB105_217
; %bb.216:
	buffer_load_dword v87, off, s[0:3], 0 offset:168
	buffer_load_dword v88, off, s[0:3], 0 offset:172
	s_waitcnt vmcnt(0)
	ds_write_b64 v85, v[87:88]
	buffer_store_dword v86, off, s[0:3], 0 offset:168
	buffer_store_dword v86, off, s[0:3], 0 offset:172
.LBB105_217:
	s_or_b64 exec, exec, s[4:5]
	s_waitcnt lgkmcnt(0)
	; wave barrier
	buffer_load_dword v95, off, s[0:3], 0 offset:176
	buffer_load_dword v96, off, s[0:3], 0 offset:180
	;; [unrolled: 1-line block ×22, first 2 shown]
	ds_read_b128 v[87:90], v86 offset:512
	ds_read_b128 v[91:94], v86 offset:528
	v_cmp_lt_u32_e32 vcc, 20, v0
	s_waitcnt vmcnt(20) lgkmcnt(1)
	v_fma_f64 v[87:88], v[95:96], v[87:88], 0
	s_waitcnt vmcnt(18)
	v_fma_f64 v[87:88], v[97:98], v[89:90], v[87:88]
	buffer_load_dword v96, off, s[0:3], 0 offset:268
	buffer_load_dword v97, off, s[0:3], 0 offset:288
	;; [unrolled: 1-line block ×7, first 2 shown]
	s_waitcnt vmcnt(23) lgkmcnt(0)
	v_fma_f64 v[87:88], v[99:100], v[91:92], v[87:88]
	s_waitcnt vmcnt(21)
	v_fma_f64 v[98:99], v[101:102], v[93:94], v[87:88]
	ds_read_b128 v[87:90], v86 offset:544
	ds_read_b128 v[91:94], v86 offset:560
	s_waitcnt vmcnt(19) lgkmcnt(1)
	v_fma_f64 v[87:88], v[103:104], v[87:88], v[98:99]
	buffer_load_dword v98, off, s[0:3], 0 offset:292
	s_waitcnt vmcnt(18)
	v_fma_f64 v[87:88], v[105:106], v[89:90], v[87:88]
	buffer_load_dword v100, off, s[0:3], 0 offset:300
	buffer_load_dword v101, off, s[0:3], 0 offset:320
	;; [unrolled: 1-line block ×8, first 2 shown]
	s_waitcnt vmcnt(24) lgkmcnt(0)
	v_fma_f64 v[87:88], v[107:108], v[91:92], v[87:88]
	s_waitcnt vmcnt(19)
	v_fma_f64 v[107:108], v[109:110], v[93:94], v[87:88]
	ds_read_b128 v[87:90], v86 offset:576
	ds_read_b128 v[91:94], v86 offset:592
	s_waitcnt vmcnt(18) lgkmcnt(1)
	v_fma_f64 v[87:88], v[115:116], v[87:88], v[107:108]
	buffer_load_dword v108, off, s[0:3], 0 offset:332
	buffer_load_dword v107, off, s[0:3], 0 offset:328
	buffer_load_dword v109, off, s[0:3], 0 offset:168
	buffer_load_dword v110, off, s[0:3], 0 offset:172
	s_waitcnt vmcnt(21)
	v_fma_f64 v[87:88], v[113:114], v[89:90], v[87:88]
	s_waitcnt vmcnt(20) lgkmcnt(0)
	v_fma_f64 v[87:88], v[111:112], v[91:92], v[87:88]
	s_waitcnt vmcnt(15)
	v_fma_f64 v[95:96], v[95:96], v[93:94], v[87:88]
	ds_read_b128 v[87:90], v86 offset:608
	ds_read_b128 v[91:94], v86 offset:624
	s_waitcnt vmcnt(14) lgkmcnt(1)
	v_fma_f64 v[87:88], v[119:120], v[87:88], v[95:96]
	s_waitcnt vmcnt(13)
	v_fma_f64 v[87:88], v[117:118], v[89:90], v[87:88]
	s_waitcnt vmcnt(12) lgkmcnt(0)
	v_fma_f64 v[87:88], v[97:98], v[91:92], v[87:88]
	s_waitcnt vmcnt(7)
	v_fma_f64 v[95:96], v[99:100], v[93:94], v[87:88]
	ds_read_b128 v[87:90], v86 offset:640
	ds_read_b128 v[91:94], v86 offset:656
	s_waitcnt vmcnt(6) lgkmcnt(1)
	v_fma_f64 v[86:87], v[105:106], v[87:88], v[95:96]
	s_waitcnt vmcnt(5)
	v_fma_f64 v[86:87], v[103:104], v[89:90], v[86:87]
	s_waitcnt vmcnt(4) lgkmcnt(0)
	v_fma_f64 v[86:87], v[101:102], v[91:92], v[86:87]
	s_waitcnt vmcnt(2)
	v_fma_f64 v[86:87], v[107:108], v[93:94], v[86:87]
	s_waitcnt vmcnt(0)
	v_add_f64 v[86:87], v[109:110], -v[86:87]
	buffer_store_dword v87, off, s[0:3], 0 offset:172
	buffer_store_dword v86, off, s[0:3], 0 offset:168
	s_and_saveexec_b64 s[4:5], vcc
	s_cbranch_execz .LBB105_219
; %bb.218:
	buffer_load_dword v86, off, s[0:3], 0 offset:160
	buffer_load_dword v87, off, s[0:3], 0 offset:164
	v_mov_b32_e32 v88, 0
	buffer_store_dword v88, off, s[0:3], 0 offset:160
	buffer_store_dword v88, off, s[0:3], 0 offset:164
	s_waitcnt vmcnt(2)
	ds_write_b64 v85, v[86:87]
.LBB105_219:
	s_or_b64 exec, exec, s[4:5]
	s_waitcnt lgkmcnt(0)
	; wave barrier
	buffer_load_dword v95, off, s[0:3], 0 offset:168
	buffer_load_dword v96, off, s[0:3], 0 offset:172
	;; [unrolled: 1-line block ×21, first 2 shown]
	v_mov_b32_e32 v86, 0
	ds_read2_b64 v[87:90], v86 offset0:63 offset1:64
	ds_read2_b64 v[91:94], v86 offset0:65 offset1:66
	buffer_load_dword v112, off, s[0:3], 0 offset:252
	v_cmp_lt_u32_e32 vcc, 19, v0
	s_waitcnt vmcnt(20) lgkmcnt(1)
	v_fma_f64 v[87:88], v[95:96], v[87:88], 0
	s_waitcnt vmcnt(18)
	v_fma_f64 v[87:88], v[97:98], v[89:90], v[87:88]
	buffer_load_dword v96, off, s[0:3], 0 offset:260
	buffer_load_dword v97, off, s[0:3], 0 offset:280
	;; [unrolled: 1-line block ×7, first 2 shown]
	s_waitcnt vmcnt(23) lgkmcnt(0)
	v_fma_f64 v[87:88], v[99:100], v[91:92], v[87:88]
	s_waitcnt vmcnt(21)
	v_fma_f64 v[98:99], v[101:102], v[93:94], v[87:88]
	ds_read2_b64 v[87:90], v86 offset0:67 offset1:68
	ds_read2_b64 v[91:94], v86 offset0:69 offset1:70
	s_waitcnt vmcnt(19) lgkmcnt(1)
	v_fma_f64 v[87:88], v[103:104], v[87:88], v[98:99]
	buffer_load_dword v98, off, s[0:3], 0 offset:284
	s_waitcnt vmcnt(18)
	v_fma_f64 v[87:88], v[105:106], v[89:90], v[87:88]
	buffer_load_dword v100, off, s[0:3], 0 offset:292
	buffer_load_dword v101, off, s[0:3], 0 offset:312
	;; [unrolled: 1-line block ×7, first 2 shown]
	s_waitcnt vmcnt(23) lgkmcnt(0)
	v_fma_f64 v[87:88], v[107:108], v[91:92], v[87:88]
	s_waitcnt vmcnt(18)
	v_fma_f64 v[107:108], v[109:110], v[93:94], v[87:88]
	ds_read2_b64 v[87:90], v86 offset0:71 offset1:72
	ds_read2_b64 v[91:94], v86 offset0:73 offset1:74
	buffer_load_dword v102, off, s[0:3], 0 offset:316
	s_waitcnt vmcnt(18) lgkmcnt(1)
	v_fma_f64 v[87:88], v[115:116], v[87:88], v[107:108]
	buffer_load_dword v108, off, s[0:3], 0 offset:324
	buffer_load_dword v109, off, s[0:3], 0 offset:328
	;; [unrolled: 1-line block ×4, first 2 shown]
	s_waitcnt vmcnt(21)
	v_fma_f64 v[87:88], v[113:114], v[89:90], v[87:88]
	s_waitcnt vmcnt(20) lgkmcnt(0)
	v_fma_f64 v[87:88], v[111:112], v[91:92], v[87:88]
	buffer_load_dword v111, off, s[0:3], 0 offset:160
	buffer_load_dword v112, off, s[0:3], 0 offset:164
	s_waitcnt vmcnt(17)
	v_fma_f64 v[95:96], v[95:96], v[93:94], v[87:88]
	ds_read2_b64 v[87:90], v86 offset0:75 offset1:76
	ds_read2_b64 v[91:94], v86 offset0:77 offset1:78
	s_waitcnt vmcnt(16) lgkmcnt(1)
	v_fma_f64 v[87:88], v[119:120], v[87:88], v[95:96]
	s_waitcnt vmcnt(15)
	v_fma_f64 v[87:88], v[117:118], v[89:90], v[87:88]
	s_waitcnt vmcnt(14) lgkmcnt(0)
	v_fma_f64 v[87:88], v[97:98], v[91:92], v[87:88]
	s_waitcnt vmcnt(9)
	v_fma_f64 v[95:96], v[99:100], v[93:94], v[87:88]
	ds_read2_b64 v[87:90], v86 offset0:79 offset1:80
	ds_read2_b64 v[91:94], v86 offset0:81 offset1:82
	s_waitcnt vmcnt(8) lgkmcnt(1)
	v_fma_f64 v[87:88], v[105:106], v[87:88], v[95:96]
	s_waitcnt vmcnt(7)
	v_fma_f64 v[87:88], v[103:104], v[89:90], v[87:88]
	ds_read_b64 v[89:90], v86 offset:664
	s_waitcnt vmcnt(6) lgkmcnt(1)
	v_fma_f64 v[87:88], v[101:102], v[91:92], v[87:88]
	s_waitcnt vmcnt(3)
	v_fma_f64 v[87:88], v[107:108], v[93:94], v[87:88]
	s_waitcnt vmcnt(2) lgkmcnt(0)
	v_fma_f64 v[87:88], v[109:110], v[89:90], v[87:88]
	s_waitcnt vmcnt(0)
	v_add_f64 v[87:88], v[111:112], -v[87:88]
	buffer_store_dword v88, off, s[0:3], 0 offset:164
	buffer_store_dword v87, off, s[0:3], 0 offset:160
	s_and_saveexec_b64 s[4:5], vcc
	s_cbranch_execz .LBB105_221
; %bb.220:
	buffer_load_dword v87, off, s[0:3], 0 offset:152
	buffer_load_dword v88, off, s[0:3], 0 offset:156
	s_waitcnt vmcnt(0)
	ds_write_b64 v85, v[87:88]
	buffer_store_dword v86, off, s[0:3], 0 offset:152
	buffer_store_dword v86, off, s[0:3], 0 offset:156
.LBB105_221:
	s_or_b64 exec, exec, s[4:5]
	s_waitcnt lgkmcnt(0)
	; wave barrier
	buffer_load_dword v95, off, s[0:3], 0 offset:160
	buffer_load_dword v96, off, s[0:3], 0 offset:164
	;; [unrolled: 1-line block ×21, first 2 shown]
	ds_read_b128 v[87:90], v86 offset:496
	ds_read_b128 v[91:94], v86 offset:512
	buffer_load_dword v112, off, s[0:3], 0 offset:244
	v_cmp_lt_u32_e32 vcc, 18, v0
	s_waitcnt vmcnt(20) lgkmcnt(1)
	v_fma_f64 v[87:88], v[95:96], v[87:88], 0
	s_waitcnt vmcnt(18)
	v_fma_f64 v[87:88], v[97:98], v[89:90], v[87:88]
	buffer_load_dword v96, off, s[0:3], 0 offset:252
	buffer_load_dword v97, off, s[0:3], 0 offset:272
	;; [unrolled: 1-line block ×7, first 2 shown]
	s_waitcnt vmcnt(23) lgkmcnt(0)
	v_fma_f64 v[87:88], v[99:100], v[91:92], v[87:88]
	s_waitcnt vmcnt(21)
	v_fma_f64 v[98:99], v[101:102], v[93:94], v[87:88]
	ds_read_b128 v[87:90], v86 offset:528
	ds_read_b128 v[91:94], v86 offset:544
	s_waitcnt vmcnt(19) lgkmcnt(1)
	v_fma_f64 v[87:88], v[103:104], v[87:88], v[98:99]
	buffer_load_dword v98, off, s[0:3], 0 offset:276
	s_waitcnt vmcnt(18)
	v_fma_f64 v[87:88], v[105:106], v[89:90], v[87:88]
	buffer_load_dword v100, off, s[0:3], 0 offset:284
	buffer_load_dword v101, off, s[0:3], 0 offset:304
	buffer_load_dword v103, off, s[0:3], 0 offset:296
	buffer_load_dword v105, off, s[0:3], 0 offset:288
	buffer_load_dword v99, off, s[0:3], 0 offset:280
	buffer_load_dword v106, off, s[0:3], 0 offset:292
	buffer_load_dword v104, off, s[0:3], 0 offset:300
	buffer_load_dword v102, off, s[0:3], 0 offset:308
	s_waitcnt vmcnt(24) lgkmcnt(0)
	v_fma_f64 v[87:88], v[107:108], v[91:92], v[87:88]
	s_waitcnt vmcnt(19)
	v_fma_f64 v[107:108], v[109:110], v[93:94], v[87:88]
	ds_read_b128 v[87:90], v86 offset:560
	ds_read_b128 v[91:94], v86 offset:576
	s_waitcnt vmcnt(18) lgkmcnt(1)
	v_fma_f64 v[87:88], v[115:116], v[87:88], v[107:108]
	s_waitcnt vmcnt(17)
	v_fma_f64 v[87:88], v[113:114], v[89:90], v[87:88]
	buffer_load_dword v108, off, s[0:3], 0 offset:316
	buffer_load_dword v109, off, s[0:3], 0 offset:328
	;; [unrolled: 1-line block ×6, first 2 shown]
	s_waitcnt vmcnt(22) lgkmcnt(0)
	v_fma_f64 v[87:88], v[111:112], v[91:92], v[87:88]
	s_waitcnt vmcnt(17)
	v_fma_f64 v[95:96], v[95:96], v[93:94], v[87:88]
	ds_read_b128 v[87:90], v86 offset:592
	buffer_load_dword v111, off, s[0:3], 0 offset:152
	buffer_load_dword v112, off, s[0:3], 0 offset:156
	ds_read_b128 v[91:94], v86 offset:608
	s_waitcnt vmcnt(18) lgkmcnt(1)
	v_fma_f64 v[87:88], v[119:120], v[87:88], v[95:96]
	s_waitcnt vmcnt(17)
	v_fma_f64 v[87:88], v[117:118], v[89:90], v[87:88]
	s_waitcnt vmcnt(16) lgkmcnt(0)
	v_fma_f64 v[87:88], v[97:98], v[91:92], v[87:88]
	s_waitcnt vmcnt(11)
	v_fma_f64 v[95:96], v[99:100], v[93:94], v[87:88]
	ds_read_b128 v[87:90], v86 offset:624
	ds_read_b128 v[91:94], v86 offset:640
	s_waitcnt vmcnt(10) lgkmcnt(1)
	v_fma_f64 v[87:88], v[105:106], v[87:88], v[95:96]
	s_waitcnt vmcnt(9)
	v_fma_f64 v[87:88], v[103:104], v[89:90], v[87:88]
	s_waitcnt vmcnt(8) lgkmcnt(0)
	v_fma_f64 v[87:88], v[101:102], v[91:92], v[87:88]
	s_waitcnt vmcnt(4)
	v_fma_f64 v[90:91], v[107:108], v[93:94], v[87:88]
	ds_read_b128 v[86:89], v86 offset:656
	s_waitcnt vmcnt(3) lgkmcnt(0)
	v_fma_f64 v[86:87], v[113:114], v[86:87], v[90:91]
	s_waitcnt vmcnt(2)
	v_fma_f64 v[86:87], v[109:110], v[88:89], v[86:87]
	s_waitcnt vmcnt(0)
	v_add_f64 v[86:87], v[111:112], -v[86:87]
	buffer_store_dword v87, off, s[0:3], 0 offset:156
	buffer_store_dword v86, off, s[0:3], 0 offset:152
	s_and_saveexec_b64 s[4:5], vcc
	s_cbranch_execz .LBB105_223
; %bb.222:
	buffer_load_dword v86, off, s[0:3], 0 offset:144
	buffer_load_dword v87, off, s[0:3], 0 offset:148
	v_mov_b32_e32 v88, 0
	buffer_store_dword v88, off, s[0:3], 0 offset:144
	buffer_store_dword v88, off, s[0:3], 0 offset:148
	s_waitcnt vmcnt(2)
	ds_write_b64 v85, v[86:87]
.LBB105_223:
	s_or_b64 exec, exec, s[4:5]
	s_waitcnt lgkmcnt(0)
	; wave barrier
	buffer_load_dword v95, off, s[0:3], 0 offset:152
	buffer_load_dword v96, off, s[0:3], 0 offset:156
	buffer_load_dword v97, off, s[0:3], 0 offset:160
	buffer_load_dword v98, off, s[0:3], 0 offset:164
	buffer_load_dword v99, off, s[0:3], 0 offset:168
	buffer_load_dword v100, off, s[0:3], 0 offset:172
	buffer_load_dword v101, off, s[0:3], 0 offset:176
	buffer_load_dword v102, off, s[0:3], 0 offset:180
	buffer_load_dword v103, off, s[0:3], 0 offset:184
	buffer_load_dword v104, off, s[0:3], 0 offset:188
	buffer_load_dword v105, off, s[0:3], 0 offset:192
	buffer_load_dword v106, off, s[0:3], 0 offset:196
	buffer_load_dword v107, off, s[0:3], 0 offset:200
	buffer_load_dword v108, off, s[0:3], 0 offset:204
	buffer_load_dword v110, off, s[0:3], 0 offset:212
	buffer_load_dword v111, off, s[0:3], 0 offset:232
	buffer_load_dword v113, off, s[0:3], 0 offset:224
	buffer_load_dword v115, off, s[0:3], 0 offset:216
	buffer_load_dword v109, off, s[0:3], 0 offset:208
	buffer_load_dword v116, off, s[0:3], 0 offset:220
	buffer_load_dword v114, off, s[0:3], 0 offset:228
	v_mov_b32_e32 v86, 0
	ds_read2_b64 v[87:90], v86 offset0:61 offset1:62
	ds_read2_b64 v[91:94], v86 offset0:63 offset1:64
	buffer_load_dword v112, off, s[0:3], 0 offset:236
	v_cmp_lt_u32_e32 vcc, 17, v0
	s_waitcnt vmcnt(20) lgkmcnt(1)
	v_fma_f64 v[87:88], v[95:96], v[87:88], 0
	s_waitcnt vmcnt(18)
	v_fma_f64 v[87:88], v[97:98], v[89:90], v[87:88]
	buffer_load_dword v96, off, s[0:3], 0 offset:244
	buffer_load_dword v97, off, s[0:3], 0 offset:264
	;; [unrolled: 1-line block ×7, first 2 shown]
	s_waitcnt vmcnt(23) lgkmcnt(0)
	v_fma_f64 v[87:88], v[99:100], v[91:92], v[87:88]
	s_waitcnt vmcnt(21)
	v_fma_f64 v[98:99], v[101:102], v[93:94], v[87:88]
	ds_read2_b64 v[87:90], v86 offset0:65 offset1:66
	ds_read2_b64 v[91:94], v86 offset0:67 offset1:68
	s_waitcnt vmcnt(19) lgkmcnt(1)
	v_fma_f64 v[87:88], v[103:104], v[87:88], v[98:99]
	buffer_load_dword v98, off, s[0:3], 0 offset:268
	s_waitcnt vmcnt(18)
	v_fma_f64 v[87:88], v[105:106], v[89:90], v[87:88]
	buffer_load_dword v100, off, s[0:3], 0 offset:276
	buffer_load_dword v101, off, s[0:3], 0 offset:296
	;; [unrolled: 1-line block ×8, first 2 shown]
	s_waitcnt vmcnt(24) lgkmcnt(0)
	v_fma_f64 v[87:88], v[107:108], v[91:92], v[87:88]
	s_waitcnt vmcnt(19)
	v_fma_f64 v[107:108], v[109:110], v[93:94], v[87:88]
	ds_read2_b64 v[87:90], v86 offset0:69 offset1:70
	ds_read2_b64 v[91:94], v86 offset0:71 offset1:72
	s_waitcnt vmcnt(18) lgkmcnt(1)
	v_fma_f64 v[87:88], v[115:116], v[87:88], v[107:108]
	s_waitcnt vmcnt(17)
	v_fma_f64 v[87:88], v[113:114], v[89:90], v[87:88]
	buffer_load_dword v108, off, s[0:3], 0 offset:308
	buffer_load_dword v109, off, s[0:3], 0 offset:328
	;; [unrolled: 1-line block ×8, first 2 shown]
	s_waitcnt vmcnt(24) lgkmcnt(0)
	v_fma_f64 v[87:88], v[111:112], v[91:92], v[87:88]
	s_waitcnt vmcnt(19)
	v_fma_f64 v[95:96], v[95:96], v[93:94], v[87:88]
	ds_read2_b64 v[87:90], v86 offset0:73 offset1:74
	ds_read2_b64 v[91:94], v86 offset0:75 offset1:76
	s_waitcnt vmcnt(18) lgkmcnt(1)
	v_fma_f64 v[87:88], v[119:120], v[87:88], v[95:96]
	buffer_load_dword v95, off, s[0:3], 0 offset:144
	buffer_load_dword v96, off, s[0:3], 0 offset:148
	s_waitcnt vmcnt(19)
	v_fma_f64 v[87:88], v[117:118], v[89:90], v[87:88]
	s_waitcnt vmcnt(18) lgkmcnt(0)
	v_fma_f64 v[87:88], v[97:98], v[91:92], v[87:88]
	s_waitcnt vmcnt(13)
	v_fma_f64 v[97:98], v[99:100], v[93:94], v[87:88]
	ds_read2_b64 v[87:90], v86 offset0:77 offset1:78
	ds_read2_b64 v[91:94], v86 offset0:79 offset1:80
	s_waitcnt vmcnt(12) lgkmcnt(1)
	v_fma_f64 v[87:88], v[105:106], v[87:88], v[97:98]
	s_waitcnt vmcnt(11)
	v_fma_f64 v[87:88], v[103:104], v[89:90], v[87:88]
	s_waitcnt vmcnt(10) lgkmcnt(0)
	v_fma_f64 v[87:88], v[101:102], v[91:92], v[87:88]
	s_waitcnt vmcnt(5)
	v_fma_f64 v[91:92], v[107:108], v[93:94], v[87:88]
	ds_read2_b64 v[87:90], v86 offset0:81 offset1:82
	ds_read_b64 v[93:94], v86 offset:664
	s_waitcnt vmcnt(4) lgkmcnt(1)
	v_fma_f64 v[87:88], v[115:116], v[87:88], v[91:92]
	s_waitcnt vmcnt(3)
	v_fma_f64 v[87:88], v[113:114], v[89:90], v[87:88]
	s_waitcnt vmcnt(2) lgkmcnt(0)
	v_fma_f64 v[87:88], v[109:110], v[93:94], v[87:88]
	s_waitcnt vmcnt(0)
	v_add_f64 v[87:88], v[95:96], -v[87:88]
	buffer_store_dword v88, off, s[0:3], 0 offset:148
	buffer_store_dword v87, off, s[0:3], 0 offset:144
	s_and_saveexec_b64 s[4:5], vcc
	s_cbranch_execz .LBB105_225
; %bb.224:
	buffer_load_dword v87, off, s[0:3], 0 offset:136
	buffer_load_dword v88, off, s[0:3], 0 offset:140
	s_waitcnt vmcnt(0)
	ds_write_b64 v85, v[87:88]
	buffer_store_dword v86, off, s[0:3], 0 offset:136
	buffer_store_dword v86, off, s[0:3], 0 offset:140
.LBB105_225:
	s_or_b64 exec, exec, s[4:5]
	s_waitcnt lgkmcnt(0)
	; wave barrier
	buffer_load_dword v95, off, s[0:3], 0 offset:144
	buffer_load_dword v96, off, s[0:3], 0 offset:148
	;; [unrolled: 1-line block ×21, first 2 shown]
	ds_read_b128 v[87:90], v86 offset:480
	ds_read_b128 v[91:94], v86 offset:496
	buffer_load_dword v112, off, s[0:3], 0 offset:228
	v_cmp_lt_u32_e32 vcc, 16, v0
	s_waitcnt vmcnt(20) lgkmcnt(1)
	v_fma_f64 v[87:88], v[95:96], v[87:88], 0
	s_waitcnt vmcnt(18)
	v_fma_f64 v[87:88], v[97:98], v[89:90], v[87:88]
	buffer_load_dword v96, off, s[0:3], 0 offset:236
	buffer_load_dword v97, off, s[0:3], 0 offset:256
	;; [unrolled: 1-line block ×7, first 2 shown]
	s_waitcnt vmcnt(23) lgkmcnt(0)
	v_fma_f64 v[87:88], v[99:100], v[91:92], v[87:88]
	s_waitcnt vmcnt(21)
	v_fma_f64 v[98:99], v[101:102], v[93:94], v[87:88]
	ds_read_b128 v[87:90], v86 offset:512
	ds_read_b128 v[91:94], v86 offset:528
	s_waitcnt vmcnt(19) lgkmcnt(1)
	v_fma_f64 v[87:88], v[103:104], v[87:88], v[98:99]
	buffer_load_dword v98, off, s[0:3], 0 offset:260
	s_waitcnt vmcnt(18)
	v_fma_f64 v[87:88], v[105:106], v[89:90], v[87:88]
	buffer_load_dword v100, off, s[0:3], 0 offset:268
	buffer_load_dword v101, off, s[0:3], 0 offset:288
	;; [unrolled: 1-line block ×8, first 2 shown]
	s_waitcnt vmcnt(24) lgkmcnt(0)
	v_fma_f64 v[87:88], v[107:108], v[91:92], v[87:88]
	s_waitcnt vmcnt(19)
	v_fma_f64 v[107:108], v[109:110], v[93:94], v[87:88]
	ds_read_b128 v[87:90], v86 offset:544
	ds_read_b128 v[91:94], v86 offset:560
	s_waitcnt vmcnt(18) lgkmcnt(1)
	v_fma_f64 v[87:88], v[115:116], v[87:88], v[107:108]
	s_waitcnt vmcnt(17)
	v_fma_f64 v[87:88], v[113:114], v[89:90], v[87:88]
	buffer_load_dword v108, off, s[0:3], 0 offset:300
	buffer_load_dword v109, off, s[0:3], 0 offset:320
	;; [unrolled: 1-line block ×8, first 2 shown]
	s_waitcnt vmcnt(24) lgkmcnt(0)
	v_fma_f64 v[87:88], v[111:112], v[91:92], v[87:88]
	s_waitcnt vmcnt(19)
	v_fma_f64 v[95:96], v[95:96], v[93:94], v[87:88]
	ds_read_b128 v[87:90], v86 offset:576
	ds_read_b128 v[91:94], v86 offset:592
	s_waitcnt vmcnt(18) lgkmcnt(1)
	v_fma_f64 v[87:88], v[119:120], v[87:88], v[95:96]
	buffer_load_dword v96, off, s[0:3], 0 offset:332
	buffer_load_dword v95, off, s[0:3], 0 offset:328
	;; [unrolled: 1-line block ×4, first 2 shown]
	s_waitcnt vmcnt(21)
	v_fma_f64 v[87:88], v[117:118], v[89:90], v[87:88]
	s_waitcnt vmcnt(20) lgkmcnt(0)
	v_fma_f64 v[87:88], v[97:98], v[91:92], v[87:88]
	s_waitcnt vmcnt(15)
	v_fma_f64 v[97:98], v[99:100], v[93:94], v[87:88]
	ds_read_b128 v[87:90], v86 offset:608
	ds_read_b128 v[91:94], v86 offset:624
	s_waitcnt vmcnt(14) lgkmcnt(1)
	v_fma_f64 v[87:88], v[105:106], v[87:88], v[97:98]
	s_waitcnt vmcnt(13)
	v_fma_f64 v[87:88], v[103:104], v[89:90], v[87:88]
	s_waitcnt vmcnt(12) lgkmcnt(0)
	v_fma_f64 v[87:88], v[101:102], v[91:92], v[87:88]
	s_waitcnt vmcnt(7)
	v_fma_f64 v[97:98], v[107:108], v[93:94], v[87:88]
	ds_read_b128 v[87:90], v86 offset:640
	ds_read_b128 v[91:94], v86 offset:656
	s_waitcnt vmcnt(6) lgkmcnt(1)
	v_fma_f64 v[86:87], v[115:116], v[87:88], v[97:98]
	s_waitcnt vmcnt(5)
	v_fma_f64 v[86:87], v[113:114], v[89:90], v[86:87]
	s_waitcnt vmcnt(4) lgkmcnt(0)
	v_fma_f64 v[86:87], v[109:110], v[91:92], v[86:87]
	s_waitcnt vmcnt(2)
	v_fma_f64 v[86:87], v[95:96], v[93:94], v[86:87]
	s_waitcnt vmcnt(0)
	v_add_f64 v[86:87], v[111:112], -v[86:87]
	buffer_store_dword v87, off, s[0:3], 0 offset:140
	buffer_store_dword v86, off, s[0:3], 0 offset:136
	s_and_saveexec_b64 s[4:5], vcc
	s_cbranch_execz .LBB105_227
; %bb.226:
	buffer_load_dword v86, off, s[0:3], 0 offset:128
	buffer_load_dword v87, off, s[0:3], 0 offset:132
	v_mov_b32_e32 v88, 0
	buffer_store_dword v88, off, s[0:3], 0 offset:128
	buffer_store_dword v88, off, s[0:3], 0 offset:132
	s_waitcnt vmcnt(2)
	ds_write_b64 v85, v[86:87]
.LBB105_227:
	s_or_b64 exec, exec, s[4:5]
	s_waitcnt lgkmcnt(0)
	; wave barrier
	buffer_load_dword v95, off, s[0:3], 0 offset:136
	buffer_load_dword v96, off, s[0:3], 0 offset:140
	buffer_load_dword v97, off, s[0:3], 0 offset:144
	buffer_load_dword v98, off, s[0:3], 0 offset:148
	buffer_load_dword v99, off, s[0:3], 0 offset:152
	buffer_load_dword v100, off, s[0:3], 0 offset:156
	buffer_load_dword v101, off, s[0:3], 0 offset:160
	buffer_load_dword v102, off, s[0:3], 0 offset:164
	buffer_load_dword v103, off, s[0:3], 0 offset:168
	buffer_load_dword v104, off, s[0:3], 0 offset:172
	buffer_load_dword v105, off, s[0:3], 0 offset:176
	buffer_load_dword v106, off, s[0:3], 0 offset:180
	buffer_load_dword v107, off, s[0:3], 0 offset:184
	buffer_load_dword v108, off, s[0:3], 0 offset:188
	buffer_load_dword v110, off, s[0:3], 0 offset:196
	buffer_load_dword v111, off, s[0:3], 0 offset:216
	buffer_load_dword v113, off, s[0:3], 0 offset:208
	buffer_load_dword v115, off, s[0:3], 0 offset:200
	buffer_load_dword v109, off, s[0:3], 0 offset:192
	buffer_load_dword v116, off, s[0:3], 0 offset:204
	buffer_load_dword v114, off, s[0:3], 0 offset:212
	v_mov_b32_e32 v86, 0
	ds_read2_b64 v[87:90], v86 offset0:59 offset1:60
	ds_read2_b64 v[91:94], v86 offset0:61 offset1:62
	buffer_load_dword v112, off, s[0:3], 0 offset:220
	v_cmp_lt_u32_e32 vcc, 15, v0
	s_waitcnt vmcnt(20) lgkmcnt(1)
	v_fma_f64 v[87:88], v[95:96], v[87:88], 0
	s_waitcnt vmcnt(18)
	v_fma_f64 v[87:88], v[97:98], v[89:90], v[87:88]
	buffer_load_dword v96, off, s[0:3], 0 offset:228
	buffer_load_dword v97, off, s[0:3], 0 offset:248
	buffer_load_dword v117, off, s[0:3], 0 offset:240
	buffer_load_dword v119, off, s[0:3], 0 offset:232
	buffer_load_dword v95, off, s[0:3], 0 offset:224
	buffer_load_dword v120, off, s[0:3], 0 offset:236
	buffer_load_dword v118, off, s[0:3], 0 offset:244
	s_waitcnt vmcnt(23) lgkmcnt(0)
	v_fma_f64 v[87:88], v[99:100], v[91:92], v[87:88]
	s_waitcnt vmcnt(21)
	v_fma_f64 v[98:99], v[101:102], v[93:94], v[87:88]
	ds_read2_b64 v[87:90], v86 offset0:63 offset1:64
	ds_read2_b64 v[91:94], v86 offset0:65 offset1:66
	s_waitcnt vmcnt(19) lgkmcnt(1)
	v_fma_f64 v[87:88], v[103:104], v[87:88], v[98:99]
	buffer_load_dword v98, off, s[0:3], 0 offset:252
	s_waitcnt vmcnt(18)
	v_fma_f64 v[87:88], v[105:106], v[89:90], v[87:88]
	buffer_load_dword v100, off, s[0:3], 0 offset:260
	buffer_load_dword v101, off, s[0:3], 0 offset:280
	;; [unrolled: 1-line block ×8, first 2 shown]
	s_waitcnt vmcnt(24) lgkmcnt(0)
	v_fma_f64 v[87:88], v[107:108], v[91:92], v[87:88]
	s_waitcnt vmcnt(19)
	v_fma_f64 v[107:108], v[109:110], v[93:94], v[87:88]
	ds_read2_b64 v[87:90], v86 offset0:67 offset1:68
	ds_read2_b64 v[91:94], v86 offset0:69 offset1:70
	s_waitcnt vmcnt(18) lgkmcnt(1)
	v_fma_f64 v[87:88], v[115:116], v[87:88], v[107:108]
	s_waitcnt vmcnt(17)
	v_fma_f64 v[87:88], v[113:114], v[89:90], v[87:88]
	buffer_load_dword v108, off, s[0:3], 0 offset:292
	buffer_load_dword v109, off, s[0:3], 0 offset:312
	;; [unrolled: 1-line block ×7, first 2 shown]
	s_waitcnt vmcnt(23) lgkmcnt(0)
	v_fma_f64 v[87:88], v[111:112], v[91:92], v[87:88]
	s_waitcnt vmcnt(18)
	v_fma_f64 v[95:96], v[95:96], v[93:94], v[87:88]
	ds_read2_b64 v[87:90], v86 offset0:71 offset1:72
	ds_read2_b64 v[91:94], v86 offset0:73 offset1:74
	buffer_load_dword v110, off, s[0:3], 0 offset:316
	s_waitcnt vmcnt(18) lgkmcnt(1)
	v_fma_f64 v[87:88], v[119:120], v[87:88], v[95:96]
	buffer_load_dword v96, off, s[0:3], 0 offset:324
	buffer_load_dword v111, off, s[0:3], 0 offset:328
	;; [unrolled: 1-line block ×4, first 2 shown]
	s_waitcnt vmcnt(21)
	v_fma_f64 v[87:88], v[117:118], v[89:90], v[87:88]
	s_waitcnt vmcnt(20) lgkmcnt(0)
	v_fma_f64 v[87:88], v[97:98], v[91:92], v[87:88]
	buffer_load_dword v97, off, s[0:3], 0 offset:128
	buffer_load_dword v98, off, s[0:3], 0 offset:132
	s_waitcnt vmcnt(17)
	v_fma_f64 v[99:100], v[99:100], v[93:94], v[87:88]
	ds_read2_b64 v[87:90], v86 offset0:75 offset1:76
	ds_read2_b64 v[91:94], v86 offset0:77 offset1:78
	s_waitcnt vmcnt(16) lgkmcnt(1)
	v_fma_f64 v[87:88], v[105:106], v[87:88], v[99:100]
	s_waitcnt vmcnt(15)
	v_fma_f64 v[87:88], v[103:104], v[89:90], v[87:88]
	s_waitcnt vmcnt(14) lgkmcnt(0)
	v_fma_f64 v[87:88], v[101:102], v[91:92], v[87:88]
	s_waitcnt vmcnt(9)
	v_fma_f64 v[99:100], v[107:108], v[93:94], v[87:88]
	ds_read2_b64 v[87:90], v86 offset0:79 offset1:80
	ds_read2_b64 v[91:94], v86 offset0:81 offset1:82
	s_waitcnt vmcnt(8) lgkmcnt(1)
	v_fma_f64 v[87:88], v[115:116], v[87:88], v[99:100]
	s_waitcnt vmcnt(7)
	v_fma_f64 v[87:88], v[113:114], v[89:90], v[87:88]
	ds_read_b64 v[89:90], v86 offset:664
	s_waitcnt vmcnt(6) lgkmcnt(1)
	v_fma_f64 v[87:88], v[109:110], v[91:92], v[87:88]
	s_waitcnt vmcnt(3)
	v_fma_f64 v[87:88], v[95:96], v[93:94], v[87:88]
	s_waitcnt vmcnt(2) lgkmcnt(0)
	v_fma_f64 v[87:88], v[111:112], v[89:90], v[87:88]
	s_waitcnt vmcnt(0)
	v_add_f64 v[87:88], v[97:98], -v[87:88]
	buffer_store_dword v88, off, s[0:3], 0 offset:132
	buffer_store_dword v87, off, s[0:3], 0 offset:128
	s_and_saveexec_b64 s[4:5], vcc
	s_cbranch_execz .LBB105_229
; %bb.228:
	buffer_load_dword v87, off, s[0:3], 0 offset:120
	buffer_load_dword v88, off, s[0:3], 0 offset:124
	s_waitcnt vmcnt(0)
	ds_write_b64 v85, v[87:88]
	buffer_store_dword v86, off, s[0:3], 0 offset:120
	buffer_store_dword v86, off, s[0:3], 0 offset:124
.LBB105_229:
	s_or_b64 exec, exec, s[4:5]
	s_waitcnt lgkmcnt(0)
	; wave barrier
	buffer_load_dword v95, off, s[0:3], 0 offset:128
	buffer_load_dword v96, off, s[0:3], 0 offset:132
	;; [unrolled: 1-line block ×22, first 2 shown]
	ds_read_b128 v[87:90], v86 offset:464
	ds_read_b128 v[91:94], v86 offset:480
	v_cmp_lt_u32_e32 vcc, 14, v0
	s_waitcnt vmcnt(20) lgkmcnt(1)
	v_fma_f64 v[87:88], v[95:96], v[87:88], 0
	s_waitcnt vmcnt(18)
	v_fma_f64 v[87:88], v[97:98], v[89:90], v[87:88]
	buffer_load_dword v96, off, s[0:3], 0 offset:220
	buffer_load_dword v97, off, s[0:3], 0 offset:240
	buffer_load_dword v117, off, s[0:3], 0 offset:232
	buffer_load_dword v119, off, s[0:3], 0 offset:224
	buffer_load_dword v95, off, s[0:3], 0 offset:216
	buffer_load_dword v120, off, s[0:3], 0 offset:228
	buffer_load_dword v118, off, s[0:3], 0 offset:236
	s_waitcnt vmcnt(23) lgkmcnt(0)
	v_fma_f64 v[87:88], v[99:100], v[91:92], v[87:88]
	s_waitcnt vmcnt(21)
	v_fma_f64 v[98:99], v[101:102], v[93:94], v[87:88]
	ds_read_b128 v[87:90], v86 offset:496
	ds_read_b128 v[91:94], v86 offset:512
	s_waitcnt vmcnt(19) lgkmcnt(1)
	v_fma_f64 v[87:88], v[103:104], v[87:88], v[98:99]
	buffer_load_dword v98, off, s[0:3], 0 offset:244
	s_waitcnt vmcnt(18)
	v_fma_f64 v[87:88], v[105:106], v[89:90], v[87:88]
	buffer_load_dword v100, off, s[0:3], 0 offset:252
	buffer_load_dword v101, off, s[0:3], 0 offset:272
	buffer_load_dword v103, off, s[0:3], 0 offset:264
	buffer_load_dword v105, off, s[0:3], 0 offset:256
	buffer_load_dword v99, off, s[0:3], 0 offset:248
	buffer_load_dword v106, off, s[0:3], 0 offset:260
	buffer_load_dword v104, off, s[0:3], 0 offset:268
	buffer_load_dword v102, off, s[0:3], 0 offset:276
	s_waitcnt vmcnt(24) lgkmcnt(0)
	v_fma_f64 v[87:88], v[107:108], v[91:92], v[87:88]
	s_waitcnt vmcnt(19)
	v_fma_f64 v[107:108], v[109:110], v[93:94], v[87:88]
	ds_read_b128 v[87:90], v86 offset:528
	ds_read_b128 v[91:94], v86 offset:544
	s_waitcnt vmcnt(18) lgkmcnt(1)
	v_fma_f64 v[87:88], v[115:116], v[87:88], v[107:108]
	s_waitcnt vmcnt(17)
	v_fma_f64 v[87:88], v[113:114], v[89:90], v[87:88]
	buffer_load_dword v108, off, s[0:3], 0 offset:284
	buffer_load_dword v109, off, s[0:3], 0 offset:304
	;; [unrolled: 1-line block ×8, first 2 shown]
	s_waitcnt vmcnt(24) lgkmcnt(0)
	v_fma_f64 v[87:88], v[111:112], v[91:92], v[87:88]
	s_waitcnt vmcnt(19)
	v_fma_f64 v[95:96], v[95:96], v[93:94], v[87:88]
	ds_read_b128 v[87:90], v86 offset:560
	ds_read_b128 v[91:94], v86 offset:576
	s_waitcnt vmcnt(18) lgkmcnt(1)
	v_fma_f64 v[87:88], v[119:120], v[87:88], v[95:96]
	s_waitcnt vmcnt(17)
	v_fma_f64 v[87:88], v[117:118], v[89:90], v[87:88]
	buffer_load_dword v96, off, s[0:3], 0 offset:316
	buffer_load_dword v111, off, s[0:3], 0 offset:328
	buffer_load_dword v117, off, s[0:3], 0 offset:320
	buffer_load_dword v95, off, s[0:3], 0 offset:312
	buffer_load_dword v118, off, s[0:3], 0 offset:324
	buffer_load_dword v112, off, s[0:3], 0 offset:332
	s_waitcnt vmcnt(22) lgkmcnt(0)
	v_fma_f64 v[87:88], v[97:98], v[91:92], v[87:88]
	s_waitcnt vmcnt(17)
	v_fma_f64 v[97:98], v[99:100], v[93:94], v[87:88]
	ds_read_b128 v[87:90], v86 offset:592
	buffer_load_dword v99, off, s[0:3], 0 offset:120
	buffer_load_dword v100, off, s[0:3], 0 offset:124
	ds_read_b128 v[91:94], v86 offset:608
	s_waitcnt vmcnt(18) lgkmcnt(1)
	v_fma_f64 v[87:88], v[105:106], v[87:88], v[97:98]
	s_waitcnt vmcnt(17)
	v_fma_f64 v[87:88], v[103:104], v[89:90], v[87:88]
	s_waitcnt vmcnt(16) lgkmcnt(0)
	v_fma_f64 v[87:88], v[101:102], v[91:92], v[87:88]
	s_waitcnt vmcnt(11)
	v_fma_f64 v[97:98], v[107:108], v[93:94], v[87:88]
	ds_read_b128 v[87:90], v86 offset:624
	ds_read_b128 v[91:94], v86 offset:640
	s_waitcnt vmcnt(10) lgkmcnt(1)
	v_fma_f64 v[87:88], v[115:116], v[87:88], v[97:98]
	s_waitcnt vmcnt(9)
	v_fma_f64 v[87:88], v[113:114], v[89:90], v[87:88]
	s_waitcnt vmcnt(8) lgkmcnt(0)
	v_fma_f64 v[87:88], v[109:110], v[91:92], v[87:88]
	s_waitcnt vmcnt(4)
	v_fma_f64 v[90:91], v[95:96], v[93:94], v[87:88]
	ds_read_b128 v[86:89], v86 offset:656
	s_waitcnt vmcnt(3) lgkmcnt(0)
	v_fma_f64 v[86:87], v[117:118], v[86:87], v[90:91]
	s_waitcnt vmcnt(2)
	v_fma_f64 v[86:87], v[111:112], v[88:89], v[86:87]
	s_waitcnt vmcnt(0)
	v_add_f64 v[86:87], v[99:100], -v[86:87]
	buffer_store_dword v87, off, s[0:3], 0 offset:124
	buffer_store_dword v86, off, s[0:3], 0 offset:120
	s_and_saveexec_b64 s[4:5], vcc
	s_cbranch_execz .LBB105_231
; %bb.230:
	buffer_load_dword v86, off, s[0:3], 0 offset:112
	buffer_load_dword v87, off, s[0:3], 0 offset:116
	v_mov_b32_e32 v88, 0
	buffer_store_dword v88, off, s[0:3], 0 offset:112
	buffer_store_dword v88, off, s[0:3], 0 offset:116
	s_waitcnt vmcnt(2)
	ds_write_b64 v85, v[86:87]
.LBB105_231:
	s_or_b64 exec, exec, s[4:5]
	s_waitcnt lgkmcnt(0)
	; wave barrier
	buffer_load_dword v95, off, s[0:3], 0 offset:120
	buffer_load_dword v96, off, s[0:3], 0 offset:124
	;; [unrolled: 1-line block ×22, first 2 shown]
	v_mov_b32_e32 v86, 0
	ds_read2_b64 v[87:90], v86 offset0:57 offset1:58
	ds_read2_b64 v[91:94], v86 offset0:59 offset1:60
	v_cmp_lt_u32_e32 vcc, 13, v0
	s_waitcnt vmcnt(20) lgkmcnt(1)
	v_fma_f64 v[87:88], v[95:96], v[87:88], 0
	s_waitcnt vmcnt(18)
	v_fma_f64 v[87:88], v[97:98], v[89:90], v[87:88]
	buffer_load_dword v96, off, s[0:3], 0 offset:212
	buffer_load_dword v97, off, s[0:3], 0 offset:232
	;; [unrolled: 1-line block ×7, first 2 shown]
	s_waitcnt vmcnt(23) lgkmcnt(0)
	v_fma_f64 v[87:88], v[99:100], v[91:92], v[87:88]
	s_waitcnt vmcnt(21)
	v_fma_f64 v[98:99], v[101:102], v[93:94], v[87:88]
	ds_read2_b64 v[87:90], v86 offset0:61 offset1:62
	ds_read2_b64 v[91:94], v86 offset0:63 offset1:64
	s_waitcnt vmcnt(19) lgkmcnt(1)
	v_fma_f64 v[87:88], v[103:104], v[87:88], v[98:99]
	buffer_load_dword v98, off, s[0:3], 0 offset:236
	s_waitcnt vmcnt(18)
	v_fma_f64 v[87:88], v[105:106], v[89:90], v[87:88]
	buffer_load_dword v100, off, s[0:3], 0 offset:244
	buffer_load_dword v101, off, s[0:3], 0 offset:264
	buffer_load_dword v103, off, s[0:3], 0 offset:256
	buffer_load_dword v105, off, s[0:3], 0 offset:248
	buffer_load_dword v99, off, s[0:3], 0 offset:240
	buffer_load_dword v106, off, s[0:3], 0 offset:252
	buffer_load_dword v104, off, s[0:3], 0 offset:260
	buffer_load_dword v102, off, s[0:3], 0 offset:268
	s_waitcnt vmcnt(24) lgkmcnt(0)
	v_fma_f64 v[87:88], v[107:108], v[91:92], v[87:88]
	s_waitcnt vmcnt(19)
	v_fma_f64 v[107:108], v[109:110], v[93:94], v[87:88]
	ds_read2_b64 v[87:90], v86 offset0:65 offset1:66
	ds_read2_b64 v[91:94], v86 offset0:67 offset1:68
	s_waitcnt vmcnt(18) lgkmcnt(1)
	v_fma_f64 v[87:88], v[115:116], v[87:88], v[107:108]
	s_waitcnt vmcnt(17)
	v_fma_f64 v[87:88], v[113:114], v[89:90], v[87:88]
	buffer_load_dword v108, off, s[0:3], 0 offset:276
	buffer_load_dword v109, off, s[0:3], 0 offset:296
	buffer_load_dword v113, off, s[0:3], 0 offset:288
	buffer_load_dword v115, off, s[0:3], 0 offset:280
	buffer_load_dword v107, off, s[0:3], 0 offset:272
	buffer_load_dword v116, off, s[0:3], 0 offset:284
	buffer_load_dword v114, off, s[0:3], 0 offset:292
	buffer_load_dword v110, off, s[0:3], 0 offset:300
	s_waitcnt vmcnt(24) lgkmcnt(0)
	v_fma_f64 v[87:88], v[111:112], v[91:92], v[87:88]
	s_waitcnt vmcnt(19)
	v_fma_f64 v[95:96], v[95:96], v[93:94], v[87:88]
	ds_read2_b64 v[87:90], v86 offset0:69 offset1:70
	ds_read2_b64 v[91:94], v86 offset0:71 offset1:72
	s_waitcnt vmcnt(18) lgkmcnt(1)
	v_fma_f64 v[87:88], v[119:120], v[87:88], v[95:96]
	;; [unrolled: 18-line block ×3, first 2 shown]
	buffer_load_dword v97, off, s[0:3], 0 offset:112
	buffer_load_dword v98, off, s[0:3], 0 offset:116
	s_waitcnt vmcnt(19)
	v_fma_f64 v[87:88], v[103:104], v[89:90], v[87:88]
	s_waitcnt vmcnt(18) lgkmcnt(0)
	v_fma_f64 v[87:88], v[101:102], v[91:92], v[87:88]
	s_waitcnt vmcnt(13)
	v_fma_f64 v[99:100], v[107:108], v[93:94], v[87:88]
	ds_read2_b64 v[87:90], v86 offset0:77 offset1:78
	ds_read2_b64 v[91:94], v86 offset0:79 offset1:80
	s_waitcnt vmcnt(12) lgkmcnt(1)
	v_fma_f64 v[87:88], v[115:116], v[87:88], v[99:100]
	s_waitcnt vmcnt(11)
	v_fma_f64 v[87:88], v[113:114], v[89:90], v[87:88]
	s_waitcnt vmcnt(10) lgkmcnt(0)
	v_fma_f64 v[87:88], v[109:110], v[91:92], v[87:88]
	s_waitcnt vmcnt(5)
	v_fma_f64 v[91:92], v[95:96], v[93:94], v[87:88]
	ds_read2_b64 v[87:90], v86 offset0:81 offset1:82
	ds_read_b64 v[93:94], v86 offset:664
	s_waitcnt vmcnt(4) lgkmcnt(1)
	v_fma_f64 v[87:88], v[119:120], v[87:88], v[91:92]
	s_waitcnt vmcnt(3)
	v_fma_f64 v[87:88], v[117:118], v[89:90], v[87:88]
	s_waitcnt vmcnt(2) lgkmcnt(0)
	v_fma_f64 v[87:88], v[111:112], v[93:94], v[87:88]
	s_waitcnt vmcnt(0)
	v_add_f64 v[87:88], v[97:98], -v[87:88]
	buffer_store_dword v88, off, s[0:3], 0 offset:116
	buffer_store_dword v87, off, s[0:3], 0 offset:112
	s_and_saveexec_b64 s[4:5], vcc
	s_cbranch_execz .LBB105_233
; %bb.232:
	buffer_load_dword v87, off, s[0:3], 0 offset:104
	buffer_load_dword v88, off, s[0:3], 0 offset:108
	s_waitcnt vmcnt(0)
	ds_write_b64 v85, v[87:88]
	buffer_store_dword v86, off, s[0:3], 0 offset:104
	buffer_store_dword v86, off, s[0:3], 0 offset:108
.LBB105_233:
	s_or_b64 exec, exec, s[4:5]
	s_waitcnt lgkmcnt(0)
	; wave barrier
	buffer_load_dword v95, off, s[0:3], 0 offset:112
	buffer_load_dword v96, off, s[0:3], 0 offset:116
	;; [unrolled: 1-line block ×22, first 2 shown]
	ds_read_b128 v[87:90], v86 offset:448
	ds_read_b128 v[91:94], v86 offset:464
	v_cmp_lt_u32_e32 vcc, 12, v0
	s_waitcnt vmcnt(20) lgkmcnt(1)
	v_fma_f64 v[87:88], v[95:96], v[87:88], 0
	s_waitcnt vmcnt(18)
	v_fma_f64 v[87:88], v[97:98], v[89:90], v[87:88]
	buffer_load_dword v96, off, s[0:3], 0 offset:204
	buffer_load_dword v97, off, s[0:3], 0 offset:224
	;; [unrolled: 1-line block ×7, first 2 shown]
	s_waitcnt vmcnt(23) lgkmcnt(0)
	v_fma_f64 v[87:88], v[99:100], v[91:92], v[87:88]
	s_waitcnt vmcnt(21)
	v_fma_f64 v[98:99], v[101:102], v[93:94], v[87:88]
	ds_read_b128 v[87:90], v86 offset:480
	ds_read_b128 v[91:94], v86 offset:496
	s_waitcnt vmcnt(19) lgkmcnt(1)
	v_fma_f64 v[87:88], v[103:104], v[87:88], v[98:99]
	buffer_load_dword v98, off, s[0:3], 0 offset:228
	s_waitcnt vmcnt(18)
	v_fma_f64 v[87:88], v[105:106], v[89:90], v[87:88]
	buffer_load_dword v100, off, s[0:3], 0 offset:236
	buffer_load_dword v101, off, s[0:3], 0 offset:256
	buffer_load_dword v103, off, s[0:3], 0 offset:248
	buffer_load_dword v105, off, s[0:3], 0 offset:240
	buffer_load_dword v99, off, s[0:3], 0 offset:232
	buffer_load_dword v106, off, s[0:3], 0 offset:244
	buffer_load_dword v104, off, s[0:3], 0 offset:252
	buffer_load_dword v102, off, s[0:3], 0 offset:260
	s_waitcnt vmcnt(24) lgkmcnt(0)
	v_fma_f64 v[87:88], v[107:108], v[91:92], v[87:88]
	s_waitcnt vmcnt(19)
	v_fma_f64 v[107:108], v[109:110], v[93:94], v[87:88]
	ds_read_b128 v[87:90], v86 offset:512
	ds_read_b128 v[91:94], v86 offset:528
	s_waitcnt vmcnt(18) lgkmcnt(1)
	v_fma_f64 v[87:88], v[115:116], v[87:88], v[107:108]
	s_waitcnt vmcnt(17)
	v_fma_f64 v[87:88], v[113:114], v[89:90], v[87:88]
	buffer_load_dword v108, off, s[0:3], 0 offset:268
	buffer_load_dword v109, off, s[0:3], 0 offset:288
	buffer_load_dword v113, off, s[0:3], 0 offset:280
	buffer_load_dword v115, off, s[0:3], 0 offset:272
	buffer_load_dword v107, off, s[0:3], 0 offset:264
	buffer_load_dword v116, off, s[0:3], 0 offset:276
	buffer_load_dword v114, off, s[0:3], 0 offset:284
	buffer_load_dword v110, off, s[0:3], 0 offset:292
	s_waitcnt vmcnt(24) lgkmcnt(0)
	v_fma_f64 v[87:88], v[111:112], v[91:92], v[87:88]
	s_waitcnt vmcnt(19)
	v_fma_f64 v[95:96], v[95:96], v[93:94], v[87:88]
	ds_read_b128 v[87:90], v86 offset:544
	ds_read_b128 v[91:94], v86 offset:560
	s_waitcnt vmcnt(18) lgkmcnt(1)
	v_fma_f64 v[87:88], v[119:120], v[87:88], v[95:96]
	;; [unrolled: 18-line block ×3, first 2 shown]
	buffer_load_dword v98, off, s[0:3], 0 offset:332
	buffer_load_dword v97, off, s[0:3], 0 offset:328
	;; [unrolled: 1-line block ×4, first 2 shown]
	s_waitcnt vmcnt(21)
	v_fma_f64 v[87:88], v[103:104], v[89:90], v[87:88]
	s_waitcnt vmcnt(20) lgkmcnt(0)
	v_fma_f64 v[87:88], v[101:102], v[91:92], v[87:88]
	s_waitcnt vmcnt(15)
	v_fma_f64 v[101:102], v[107:108], v[93:94], v[87:88]
	ds_read_b128 v[87:90], v86 offset:608
	ds_read_b128 v[91:94], v86 offset:624
	s_waitcnt vmcnt(14) lgkmcnt(1)
	v_fma_f64 v[87:88], v[115:116], v[87:88], v[101:102]
	s_waitcnt vmcnt(13)
	v_fma_f64 v[87:88], v[113:114], v[89:90], v[87:88]
	s_waitcnt vmcnt(12) lgkmcnt(0)
	v_fma_f64 v[87:88], v[109:110], v[91:92], v[87:88]
	s_waitcnt vmcnt(7)
	v_fma_f64 v[95:96], v[95:96], v[93:94], v[87:88]
	ds_read_b128 v[87:90], v86 offset:640
	ds_read_b128 v[91:94], v86 offset:656
	s_waitcnt vmcnt(6) lgkmcnt(1)
	v_fma_f64 v[86:87], v[119:120], v[87:88], v[95:96]
	s_waitcnt vmcnt(5)
	v_fma_f64 v[86:87], v[117:118], v[89:90], v[86:87]
	s_waitcnt vmcnt(4) lgkmcnt(0)
	v_fma_f64 v[86:87], v[111:112], v[91:92], v[86:87]
	s_waitcnt vmcnt(2)
	v_fma_f64 v[86:87], v[97:98], v[93:94], v[86:87]
	s_waitcnt vmcnt(0)
	v_add_f64 v[86:87], v[99:100], -v[86:87]
	buffer_store_dword v87, off, s[0:3], 0 offset:108
	buffer_store_dword v86, off, s[0:3], 0 offset:104
	s_and_saveexec_b64 s[4:5], vcc
	s_cbranch_execz .LBB105_235
; %bb.234:
	buffer_load_dword v86, off, s[0:3], 0 offset:96
	buffer_load_dword v87, off, s[0:3], 0 offset:100
	v_mov_b32_e32 v88, 0
	buffer_store_dword v88, off, s[0:3], 0 offset:96
	buffer_store_dword v88, off, s[0:3], 0 offset:100
	s_waitcnt vmcnt(2)
	ds_write_b64 v85, v[86:87]
.LBB105_235:
	s_or_b64 exec, exec, s[4:5]
	s_waitcnt lgkmcnt(0)
	; wave barrier
	buffer_load_dword v95, off, s[0:3], 0 offset:104
	buffer_load_dword v96, off, s[0:3], 0 offset:108
	buffer_load_dword v97, off, s[0:3], 0 offset:112
	buffer_load_dword v98, off, s[0:3], 0 offset:116
	buffer_load_dword v99, off, s[0:3], 0 offset:120
	buffer_load_dword v100, off, s[0:3], 0 offset:124
	buffer_load_dword v101, off, s[0:3], 0 offset:128
	buffer_load_dword v102, off, s[0:3], 0 offset:132
	buffer_load_dword v103, off, s[0:3], 0 offset:136
	buffer_load_dword v104, off, s[0:3], 0 offset:140
	buffer_load_dword v105, off, s[0:3], 0 offset:144
	buffer_load_dword v106, off, s[0:3], 0 offset:148
	buffer_load_dword v107, off, s[0:3], 0 offset:152
	buffer_load_dword v108, off, s[0:3], 0 offset:156
	buffer_load_dword v110, off, s[0:3], 0 offset:164
	buffer_load_dword v111, off, s[0:3], 0 offset:184
	buffer_load_dword v113, off, s[0:3], 0 offset:176
	buffer_load_dword v115, off, s[0:3], 0 offset:168
	buffer_load_dword v109, off, s[0:3], 0 offset:160
	buffer_load_dword v116, off, s[0:3], 0 offset:172
	buffer_load_dword v114, off, s[0:3], 0 offset:180
	buffer_load_dword v112, off, s[0:3], 0 offset:188
	v_mov_b32_e32 v86, 0
	ds_read2_b64 v[87:90], v86 offset0:55 offset1:56
	ds_read2_b64 v[91:94], v86 offset0:57 offset1:58
	v_cmp_lt_u32_e32 vcc, 11, v0
	s_waitcnt vmcnt(20) lgkmcnt(1)
	v_fma_f64 v[87:88], v[95:96], v[87:88], 0
	s_waitcnt vmcnt(18)
	v_fma_f64 v[87:88], v[97:98], v[89:90], v[87:88]
	buffer_load_dword v96, off, s[0:3], 0 offset:196
	buffer_load_dword v97, off, s[0:3], 0 offset:216
	;; [unrolled: 1-line block ×7, first 2 shown]
	s_waitcnt vmcnt(23) lgkmcnt(0)
	v_fma_f64 v[87:88], v[99:100], v[91:92], v[87:88]
	s_waitcnt vmcnt(21)
	v_fma_f64 v[98:99], v[101:102], v[93:94], v[87:88]
	ds_read2_b64 v[87:90], v86 offset0:59 offset1:60
	ds_read2_b64 v[91:94], v86 offset0:61 offset1:62
	s_waitcnt vmcnt(19) lgkmcnt(1)
	v_fma_f64 v[87:88], v[103:104], v[87:88], v[98:99]
	buffer_load_dword v98, off, s[0:3], 0 offset:220
	s_waitcnt vmcnt(18)
	v_fma_f64 v[87:88], v[105:106], v[89:90], v[87:88]
	buffer_load_dword v100, off, s[0:3], 0 offset:228
	buffer_load_dword v101, off, s[0:3], 0 offset:248
	;; [unrolled: 1-line block ×7, first 2 shown]
	s_waitcnt vmcnt(23) lgkmcnt(0)
	v_fma_f64 v[87:88], v[107:108], v[91:92], v[87:88]
	s_waitcnt vmcnt(18)
	v_fma_f64 v[107:108], v[109:110], v[93:94], v[87:88]
	ds_read2_b64 v[87:90], v86 offset0:63 offset1:64
	ds_read2_b64 v[91:94], v86 offset0:65 offset1:66
	buffer_load_dword v102, off, s[0:3], 0 offset:252
	s_waitcnt vmcnt(18) lgkmcnt(1)
	v_fma_f64 v[87:88], v[115:116], v[87:88], v[107:108]
	s_waitcnt vmcnt(17)
	v_fma_f64 v[87:88], v[113:114], v[89:90], v[87:88]
	buffer_load_dword v108, off, s[0:3], 0 offset:260
	buffer_load_dword v109, off, s[0:3], 0 offset:280
	;; [unrolled: 1-line block ×8, first 2 shown]
	s_waitcnt vmcnt(24) lgkmcnt(0)
	v_fma_f64 v[87:88], v[111:112], v[91:92], v[87:88]
	s_waitcnt vmcnt(19)
	v_fma_f64 v[95:96], v[95:96], v[93:94], v[87:88]
	ds_read2_b64 v[87:90], v86 offset0:67 offset1:68
	ds_read2_b64 v[91:94], v86 offset0:69 offset1:70
	s_waitcnt vmcnt(18) lgkmcnt(1)
	v_fma_f64 v[87:88], v[119:120], v[87:88], v[95:96]
	s_waitcnt vmcnt(17)
	v_fma_f64 v[87:88], v[117:118], v[89:90], v[87:88]
	buffer_load_dword v96, off, s[0:3], 0 offset:292
	buffer_load_dword v111, off, s[0:3], 0 offset:312
	;; [unrolled: 1-line block ×7, first 2 shown]
	s_waitcnt vmcnt(23) lgkmcnt(0)
	v_fma_f64 v[87:88], v[97:98], v[91:92], v[87:88]
	s_waitcnt vmcnt(18)
	v_fma_f64 v[97:98], v[99:100], v[93:94], v[87:88]
	ds_read2_b64 v[87:90], v86 offset0:71 offset1:72
	ds_read2_b64 v[91:94], v86 offset0:73 offset1:74
	buffer_load_dword v112, off, s[0:3], 0 offset:316
	s_waitcnt vmcnt(18) lgkmcnt(1)
	v_fma_f64 v[87:88], v[105:106], v[87:88], v[97:98]
	buffer_load_dword v98, off, s[0:3], 0 offset:324
	buffer_load_dword v99, off, s[0:3], 0 offset:328
	;; [unrolled: 1-line block ×4, first 2 shown]
	s_waitcnt vmcnt(21)
	v_fma_f64 v[87:88], v[103:104], v[89:90], v[87:88]
	s_waitcnt vmcnt(20) lgkmcnt(0)
	v_fma_f64 v[87:88], v[101:102], v[91:92], v[87:88]
	buffer_load_dword v101, off, s[0:3], 0 offset:96
	buffer_load_dword v102, off, s[0:3], 0 offset:100
	s_waitcnt vmcnt(17)
	v_fma_f64 v[103:104], v[107:108], v[93:94], v[87:88]
	ds_read2_b64 v[87:90], v86 offset0:75 offset1:76
	ds_read2_b64 v[91:94], v86 offset0:77 offset1:78
	s_waitcnt vmcnt(16) lgkmcnt(1)
	v_fma_f64 v[87:88], v[115:116], v[87:88], v[103:104]
	s_waitcnt vmcnt(15)
	v_fma_f64 v[87:88], v[113:114], v[89:90], v[87:88]
	s_waitcnt vmcnt(14) lgkmcnt(0)
	v_fma_f64 v[87:88], v[109:110], v[91:92], v[87:88]
	s_waitcnt vmcnt(9)
	v_fma_f64 v[95:96], v[95:96], v[93:94], v[87:88]
	ds_read2_b64 v[87:90], v86 offset0:79 offset1:80
	ds_read2_b64 v[91:94], v86 offset0:81 offset1:82
	s_waitcnt vmcnt(8) lgkmcnt(1)
	v_fma_f64 v[87:88], v[119:120], v[87:88], v[95:96]
	s_waitcnt vmcnt(7)
	v_fma_f64 v[87:88], v[117:118], v[89:90], v[87:88]
	ds_read_b64 v[89:90], v86 offset:664
	s_waitcnt vmcnt(6) lgkmcnt(1)
	v_fma_f64 v[87:88], v[111:112], v[91:92], v[87:88]
	s_waitcnt vmcnt(3)
	v_fma_f64 v[87:88], v[97:98], v[93:94], v[87:88]
	s_waitcnt vmcnt(2) lgkmcnt(0)
	v_fma_f64 v[87:88], v[99:100], v[89:90], v[87:88]
	s_waitcnt vmcnt(0)
	v_add_f64 v[87:88], v[101:102], -v[87:88]
	buffer_store_dword v88, off, s[0:3], 0 offset:100
	buffer_store_dword v87, off, s[0:3], 0 offset:96
	s_and_saveexec_b64 s[4:5], vcc
	s_cbranch_execz .LBB105_237
; %bb.236:
	buffer_load_dword v87, off, s[0:3], 0 offset:88
	buffer_load_dword v88, off, s[0:3], 0 offset:92
	s_waitcnt vmcnt(0)
	ds_write_b64 v85, v[87:88]
	buffer_store_dword v86, off, s[0:3], 0 offset:88
	buffer_store_dword v86, off, s[0:3], 0 offset:92
.LBB105_237:
	s_or_b64 exec, exec, s[4:5]
	s_waitcnt lgkmcnt(0)
	; wave barrier
	buffer_load_dword v95, off, s[0:3], 0 offset:96
	buffer_load_dword v96, off, s[0:3], 0 offset:100
	;; [unrolled: 1-line block ×22, first 2 shown]
	ds_read_b128 v[87:90], v86 offset:432
	ds_read_b128 v[91:94], v86 offset:448
	v_cmp_lt_u32_e32 vcc, 10, v0
	s_waitcnt vmcnt(20) lgkmcnt(1)
	v_fma_f64 v[87:88], v[95:96], v[87:88], 0
	s_waitcnt vmcnt(18)
	v_fma_f64 v[87:88], v[97:98], v[89:90], v[87:88]
	buffer_load_dword v96, off, s[0:3], 0 offset:188
	buffer_load_dword v97, off, s[0:3], 0 offset:208
	;; [unrolled: 1-line block ×7, first 2 shown]
	s_waitcnt vmcnt(23) lgkmcnt(0)
	v_fma_f64 v[87:88], v[99:100], v[91:92], v[87:88]
	s_waitcnt vmcnt(21)
	v_fma_f64 v[98:99], v[101:102], v[93:94], v[87:88]
	ds_read_b128 v[87:90], v86 offset:464
	ds_read_b128 v[91:94], v86 offset:480
	s_waitcnt vmcnt(19) lgkmcnt(1)
	v_fma_f64 v[87:88], v[103:104], v[87:88], v[98:99]
	buffer_load_dword v98, off, s[0:3], 0 offset:212
	s_waitcnt vmcnt(18)
	v_fma_f64 v[87:88], v[105:106], v[89:90], v[87:88]
	buffer_load_dword v100, off, s[0:3], 0 offset:220
	buffer_load_dword v101, off, s[0:3], 0 offset:240
	;; [unrolled: 1-line block ×7, first 2 shown]
	s_waitcnt vmcnt(23) lgkmcnt(0)
	v_fma_f64 v[87:88], v[107:108], v[91:92], v[87:88]
	s_waitcnt vmcnt(18)
	v_fma_f64 v[107:108], v[109:110], v[93:94], v[87:88]
	ds_read_b128 v[87:90], v86 offset:496
	ds_read_b128 v[91:94], v86 offset:512
	buffer_load_dword v102, off, s[0:3], 0 offset:244
	s_waitcnt vmcnt(18) lgkmcnt(1)
	v_fma_f64 v[87:88], v[115:116], v[87:88], v[107:108]
	s_waitcnt vmcnt(17)
	v_fma_f64 v[87:88], v[113:114], v[89:90], v[87:88]
	buffer_load_dword v108, off, s[0:3], 0 offset:252
	buffer_load_dword v109, off, s[0:3], 0 offset:272
	;; [unrolled: 1-line block ×8, first 2 shown]
	s_waitcnt vmcnt(24) lgkmcnt(0)
	v_fma_f64 v[87:88], v[111:112], v[91:92], v[87:88]
	s_waitcnt vmcnt(19)
	v_fma_f64 v[95:96], v[95:96], v[93:94], v[87:88]
	ds_read_b128 v[87:90], v86 offset:528
	ds_read_b128 v[91:94], v86 offset:544
	s_waitcnt vmcnt(18) lgkmcnt(1)
	v_fma_f64 v[87:88], v[119:120], v[87:88], v[95:96]
	s_waitcnt vmcnt(17)
	v_fma_f64 v[87:88], v[117:118], v[89:90], v[87:88]
	buffer_load_dword v96, off, s[0:3], 0 offset:284
	buffer_load_dword v111, off, s[0:3], 0 offset:304
	;; [unrolled: 1-line block ×8, first 2 shown]
	s_waitcnt vmcnt(24) lgkmcnt(0)
	v_fma_f64 v[87:88], v[97:98], v[91:92], v[87:88]
	s_waitcnt vmcnt(19)
	v_fma_f64 v[97:98], v[99:100], v[93:94], v[87:88]
	ds_read_b128 v[87:90], v86 offset:560
	ds_read_b128 v[91:94], v86 offset:576
	s_waitcnt vmcnt(18) lgkmcnt(1)
	v_fma_f64 v[87:88], v[105:106], v[87:88], v[97:98]
	s_waitcnt vmcnt(17)
	v_fma_f64 v[87:88], v[103:104], v[89:90], v[87:88]
	buffer_load_dword v98, off, s[0:3], 0 offset:316
	buffer_load_dword v99, off, s[0:3], 0 offset:328
	;; [unrolled: 1-line block ×6, first 2 shown]
	s_waitcnt vmcnt(22) lgkmcnt(0)
	v_fma_f64 v[87:88], v[101:102], v[91:92], v[87:88]
	s_waitcnt vmcnt(17)
	v_fma_f64 v[101:102], v[107:108], v[93:94], v[87:88]
	ds_read_b128 v[87:90], v86 offset:592
	buffer_load_dword v105, off, s[0:3], 0 offset:88
	buffer_load_dword v106, off, s[0:3], 0 offset:92
	ds_read_b128 v[91:94], v86 offset:608
	s_waitcnt vmcnt(18) lgkmcnt(1)
	v_fma_f64 v[87:88], v[115:116], v[87:88], v[101:102]
	s_waitcnt vmcnt(17)
	v_fma_f64 v[87:88], v[113:114], v[89:90], v[87:88]
	s_waitcnt vmcnt(16) lgkmcnt(0)
	v_fma_f64 v[87:88], v[109:110], v[91:92], v[87:88]
	s_waitcnt vmcnt(11)
	v_fma_f64 v[95:96], v[95:96], v[93:94], v[87:88]
	ds_read_b128 v[87:90], v86 offset:624
	ds_read_b128 v[91:94], v86 offset:640
	s_waitcnt vmcnt(10) lgkmcnt(1)
	v_fma_f64 v[87:88], v[119:120], v[87:88], v[95:96]
	s_waitcnt vmcnt(9)
	v_fma_f64 v[87:88], v[117:118], v[89:90], v[87:88]
	s_waitcnt vmcnt(8) lgkmcnt(0)
	v_fma_f64 v[87:88], v[111:112], v[91:92], v[87:88]
	s_waitcnt vmcnt(4)
	v_fma_f64 v[90:91], v[97:98], v[93:94], v[87:88]
	ds_read_b128 v[86:89], v86 offset:656
	s_waitcnt vmcnt(3) lgkmcnt(0)
	v_fma_f64 v[86:87], v[103:104], v[86:87], v[90:91]
	s_waitcnt vmcnt(2)
	v_fma_f64 v[86:87], v[99:100], v[88:89], v[86:87]
	s_waitcnt vmcnt(0)
	v_add_f64 v[86:87], v[105:106], -v[86:87]
	buffer_store_dword v87, off, s[0:3], 0 offset:92
	buffer_store_dword v86, off, s[0:3], 0 offset:88
	s_and_saveexec_b64 s[4:5], vcc
	s_cbranch_execz .LBB105_239
; %bb.238:
	buffer_load_dword v86, off, s[0:3], 0 offset:80
	buffer_load_dword v87, off, s[0:3], 0 offset:84
	v_mov_b32_e32 v88, 0
	buffer_store_dword v88, off, s[0:3], 0 offset:80
	buffer_store_dword v88, off, s[0:3], 0 offset:84
	s_waitcnt vmcnt(2)
	ds_write_b64 v85, v[86:87]
.LBB105_239:
	s_or_b64 exec, exec, s[4:5]
	s_waitcnt lgkmcnt(0)
	; wave barrier
	buffer_load_dword v95, off, s[0:3], 0 offset:88
	buffer_load_dword v96, off, s[0:3], 0 offset:92
	;; [unrolled: 1-line block ×22, first 2 shown]
	v_mov_b32_e32 v86, 0
	ds_read2_b64 v[87:90], v86 offset0:53 offset1:54
	ds_read2_b64 v[91:94], v86 offset0:55 offset1:56
	v_cmp_lt_u32_e32 vcc, 9, v0
	s_waitcnt vmcnt(20) lgkmcnt(1)
	v_fma_f64 v[87:88], v[95:96], v[87:88], 0
	s_waitcnt vmcnt(18)
	v_fma_f64 v[87:88], v[97:98], v[89:90], v[87:88]
	buffer_load_dword v96, off, s[0:3], 0 offset:180
	buffer_load_dword v97, off, s[0:3], 0 offset:200
	;; [unrolled: 1-line block ×7, first 2 shown]
	s_waitcnt vmcnt(23) lgkmcnt(0)
	v_fma_f64 v[87:88], v[99:100], v[91:92], v[87:88]
	s_waitcnt vmcnt(21)
	v_fma_f64 v[98:99], v[101:102], v[93:94], v[87:88]
	ds_read2_b64 v[87:90], v86 offset0:57 offset1:58
	ds_read2_b64 v[91:94], v86 offset0:59 offset1:60
	s_waitcnt vmcnt(19) lgkmcnt(1)
	v_fma_f64 v[87:88], v[103:104], v[87:88], v[98:99]
	buffer_load_dword v98, off, s[0:3], 0 offset:204
	s_waitcnt vmcnt(18)
	v_fma_f64 v[87:88], v[105:106], v[89:90], v[87:88]
	buffer_load_dword v100, off, s[0:3], 0 offset:212
	buffer_load_dword v101, off, s[0:3], 0 offset:232
	;; [unrolled: 1-line block ×7, first 2 shown]
	s_waitcnt vmcnt(23) lgkmcnt(0)
	v_fma_f64 v[87:88], v[107:108], v[91:92], v[87:88]
	s_waitcnt vmcnt(18)
	v_fma_f64 v[107:108], v[109:110], v[93:94], v[87:88]
	ds_read2_b64 v[87:90], v86 offset0:61 offset1:62
	ds_read2_b64 v[91:94], v86 offset0:63 offset1:64
	buffer_load_dword v102, off, s[0:3], 0 offset:236
	s_waitcnt vmcnt(18) lgkmcnt(1)
	v_fma_f64 v[87:88], v[115:116], v[87:88], v[107:108]
	s_waitcnt vmcnt(17)
	v_fma_f64 v[87:88], v[113:114], v[89:90], v[87:88]
	buffer_load_dword v108, off, s[0:3], 0 offset:244
	buffer_load_dword v109, off, s[0:3], 0 offset:264
	buffer_load_dword v113, off, s[0:3], 0 offset:256
	buffer_load_dword v115, off, s[0:3], 0 offset:248
	buffer_load_dword v107, off, s[0:3], 0 offset:240
	buffer_load_dword v116, off, s[0:3], 0 offset:252
	buffer_load_dword v114, off, s[0:3], 0 offset:260
	buffer_load_dword v110, off, s[0:3], 0 offset:268
	s_waitcnt vmcnt(24) lgkmcnt(0)
	v_fma_f64 v[87:88], v[111:112], v[91:92], v[87:88]
	s_waitcnt vmcnt(19)
	v_fma_f64 v[95:96], v[95:96], v[93:94], v[87:88]
	ds_read2_b64 v[87:90], v86 offset0:65 offset1:66
	ds_read2_b64 v[91:94], v86 offset0:67 offset1:68
	s_waitcnt vmcnt(18) lgkmcnt(1)
	v_fma_f64 v[87:88], v[119:120], v[87:88], v[95:96]
	s_waitcnt vmcnt(17)
	v_fma_f64 v[87:88], v[117:118], v[89:90], v[87:88]
	buffer_load_dword v96, off, s[0:3], 0 offset:276
	buffer_load_dword v111, off, s[0:3], 0 offset:296
	buffer_load_dword v117, off, s[0:3], 0 offset:288
	buffer_load_dword v119, off, s[0:3], 0 offset:280
	buffer_load_dword v95, off, s[0:3], 0 offset:272
	buffer_load_dword v120, off, s[0:3], 0 offset:284
	buffer_load_dword v118, off, s[0:3], 0 offset:292
	buffer_load_dword v112, off, s[0:3], 0 offset:300
	s_waitcnt vmcnt(24) lgkmcnt(0)
	v_fma_f64 v[87:88], v[97:98], v[91:92], v[87:88]
	s_waitcnt vmcnt(19)
	v_fma_f64 v[97:98], v[99:100], v[93:94], v[87:88]
	ds_read2_b64 v[87:90], v86 offset0:69 offset1:70
	ds_read2_b64 v[91:94], v86 offset0:71 offset1:72
	;; [unrolled: 18-line block ×3, first 2 shown]
	s_waitcnt vmcnt(18) lgkmcnt(1)
	v_fma_f64 v[87:88], v[115:116], v[87:88], v[101:102]
	buffer_load_dword v101, off, s[0:3], 0 offset:80
	buffer_load_dword v102, off, s[0:3], 0 offset:84
	s_waitcnt vmcnt(19)
	v_fma_f64 v[87:88], v[113:114], v[89:90], v[87:88]
	s_waitcnt vmcnt(18) lgkmcnt(0)
	v_fma_f64 v[87:88], v[109:110], v[91:92], v[87:88]
	s_waitcnt vmcnt(13)
	v_fma_f64 v[95:96], v[95:96], v[93:94], v[87:88]
	ds_read2_b64 v[87:90], v86 offset0:77 offset1:78
	ds_read2_b64 v[91:94], v86 offset0:79 offset1:80
	s_waitcnt vmcnt(12) lgkmcnt(1)
	v_fma_f64 v[87:88], v[119:120], v[87:88], v[95:96]
	s_waitcnt vmcnt(11)
	v_fma_f64 v[87:88], v[117:118], v[89:90], v[87:88]
	s_waitcnt vmcnt(10) lgkmcnt(0)
	v_fma_f64 v[87:88], v[111:112], v[91:92], v[87:88]
	s_waitcnt vmcnt(5)
	v_fma_f64 v[91:92], v[97:98], v[93:94], v[87:88]
	ds_read2_b64 v[87:90], v86 offset0:81 offset1:82
	ds_read_b64 v[93:94], v86 offset:664
	s_waitcnt vmcnt(4) lgkmcnt(1)
	v_fma_f64 v[87:88], v[105:106], v[87:88], v[91:92]
	s_waitcnt vmcnt(3)
	v_fma_f64 v[87:88], v[103:104], v[89:90], v[87:88]
	s_waitcnt vmcnt(2) lgkmcnt(0)
	v_fma_f64 v[87:88], v[99:100], v[93:94], v[87:88]
	s_waitcnt vmcnt(0)
	v_add_f64 v[87:88], v[101:102], -v[87:88]
	buffer_store_dword v88, off, s[0:3], 0 offset:84
	buffer_store_dword v87, off, s[0:3], 0 offset:80
	s_and_saveexec_b64 s[4:5], vcc
	s_cbranch_execz .LBB105_241
; %bb.240:
	buffer_load_dword v87, off, s[0:3], 0 offset:72
	buffer_load_dword v88, off, s[0:3], 0 offset:76
	s_waitcnt vmcnt(0)
	ds_write_b64 v85, v[87:88]
	buffer_store_dword v86, off, s[0:3], 0 offset:72
	buffer_store_dword v86, off, s[0:3], 0 offset:76
.LBB105_241:
	s_or_b64 exec, exec, s[4:5]
	s_waitcnt lgkmcnt(0)
	; wave barrier
	buffer_load_dword v95, off, s[0:3], 0 offset:80
	buffer_load_dword v96, off, s[0:3], 0 offset:84
	;; [unrolled: 1-line block ×22, first 2 shown]
	ds_read_b128 v[87:90], v86 offset:416
	ds_read_b128 v[91:94], v86 offset:432
	v_cmp_lt_u32_e32 vcc, 8, v0
	s_waitcnt vmcnt(20) lgkmcnt(1)
	v_fma_f64 v[87:88], v[95:96], v[87:88], 0
	s_waitcnt vmcnt(18)
	v_fma_f64 v[87:88], v[97:98], v[89:90], v[87:88]
	buffer_load_dword v96, off, s[0:3], 0 offset:172
	buffer_load_dword v97, off, s[0:3], 0 offset:192
	;; [unrolled: 1-line block ×7, first 2 shown]
	s_waitcnt vmcnt(23) lgkmcnt(0)
	v_fma_f64 v[87:88], v[99:100], v[91:92], v[87:88]
	s_waitcnt vmcnt(21)
	v_fma_f64 v[98:99], v[101:102], v[93:94], v[87:88]
	ds_read_b128 v[87:90], v86 offset:448
	ds_read_b128 v[91:94], v86 offset:464
	s_waitcnt vmcnt(19) lgkmcnt(1)
	v_fma_f64 v[87:88], v[103:104], v[87:88], v[98:99]
	buffer_load_dword v98, off, s[0:3], 0 offset:196
	s_waitcnt vmcnt(18)
	v_fma_f64 v[87:88], v[105:106], v[89:90], v[87:88]
	buffer_load_dword v100, off, s[0:3], 0 offset:204
	buffer_load_dword v101, off, s[0:3], 0 offset:224
	buffer_load_dword v103, off, s[0:3], 0 offset:216
	buffer_load_dword v105, off, s[0:3], 0 offset:208
	buffer_load_dword v99, off, s[0:3], 0 offset:200
	buffer_load_dword v106, off, s[0:3], 0 offset:212
	buffer_load_dword v104, off, s[0:3], 0 offset:220
	s_waitcnt vmcnt(23) lgkmcnt(0)
	v_fma_f64 v[87:88], v[107:108], v[91:92], v[87:88]
	s_waitcnt vmcnt(18)
	v_fma_f64 v[107:108], v[109:110], v[93:94], v[87:88]
	ds_read_b128 v[87:90], v86 offset:480
	ds_read_b128 v[91:94], v86 offset:496
	buffer_load_dword v102, off, s[0:3], 0 offset:228
	s_waitcnt vmcnt(18) lgkmcnt(1)
	v_fma_f64 v[87:88], v[115:116], v[87:88], v[107:108]
	s_waitcnt vmcnt(17)
	v_fma_f64 v[87:88], v[113:114], v[89:90], v[87:88]
	buffer_load_dword v108, off, s[0:3], 0 offset:236
	buffer_load_dword v109, off, s[0:3], 0 offset:256
	buffer_load_dword v113, off, s[0:3], 0 offset:248
	buffer_load_dword v115, off, s[0:3], 0 offset:240
	buffer_load_dword v107, off, s[0:3], 0 offset:232
	buffer_load_dword v116, off, s[0:3], 0 offset:244
	buffer_load_dword v114, off, s[0:3], 0 offset:252
	buffer_load_dword v110, off, s[0:3], 0 offset:260
	s_waitcnt vmcnt(24) lgkmcnt(0)
	v_fma_f64 v[87:88], v[111:112], v[91:92], v[87:88]
	s_waitcnt vmcnt(19)
	v_fma_f64 v[95:96], v[95:96], v[93:94], v[87:88]
	ds_read_b128 v[87:90], v86 offset:512
	ds_read_b128 v[91:94], v86 offset:528
	s_waitcnt vmcnt(18) lgkmcnt(1)
	v_fma_f64 v[87:88], v[119:120], v[87:88], v[95:96]
	s_waitcnt vmcnt(17)
	v_fma_f64 v[87:88], v[117:118], v[89:90], v[87:88]
	buffer_load_dword v96, off, s[0:3], 0 offset:268
	buffer_load_dword v111, off, s[0:3], 0 offset:288
	buffer_load_dword v117, off, s[0:3], 0 offset:280
	buffer_load_dword v119, off, s[0:3], 0 offset:272
	buffer_load_dword v95, off, s[0:3], 0 offset:264
	buffer_load_dword v120, off, s[0:3], 0 offset:276
	buffer_load_dword v118, off, s[0:3], 0 offset:284
	buffer_load_dword v112, off, s[0:3], 0 offset:292
	s_waitcnt vmcnt(24) lgkmcnt(0)
	v_fma_f64 v[87:88], v[97:98], v[91:92], v[87:88]
	s_waitcnt vmcnt(19)
	v_fma_f64 v[97:98], v[99:100], v[93:94], v[87:88]
	ds_read_b128 v[87:90], v86 offset:544
	ds_read_b128 v[91:94], v86 offset:560
	;; [unrolled: 18-line block ×3, first 2 shown]
	s_waitcnt vmcnt(18) lgkmcnt(1)
	v_fma_f64 v[87:88], v[115:116], v[87:88], v[101:102]
	buffer_load_dword v102, off, s[0:3], 0 offset:332
	buffer_load_dword v101, off, s[0:3], 0 offset:328
	;; [unrolled: 1-line block ×4, first 2 shown]
	s_waitcnt vmcnt(21)
	v_fma_f64 v[87:88], v[113:114], v[89:90], v[87:88]
	s_waitcnt vmcnt(20) lgkmcnt(0)
	v_fma_f64 v[87:88], v[109:110], v[91:92], v[87:88]
	s_waitcnt vmcnt(15)
	v_fma_f64 v[95:96], v[95:96], v[93:94], v[87:88]
	ds_read_b128 v[87:90], v86 offset:608
	ds_read_b128 v[91:94], v86 offset:624
	s_waitcnt vmcnt(14) lgkmcnt(1)
	v_fma_f64 v[87:88], v[119:120], v[87:88], v[95:96]
	s_waitcnt vmcnt(13)
	v_fma_f64 v[87:88], v[117:118], v[89:90], v[87:88]
	s_waitcnt vmcnt(12) lgkmcnt(0)
	v_fma_f64 v[87:88], v[111:112], v[91:92], v[87:88]
	s_waitcnt vmcnt(7)
	v_fma_f64 v[95:96], v[97:98], v[93:94], v[87:88]
	ds_read_b128 v[87:90], v86 offset:640
	ds_read_b128 v[91:94], v86 offset:656
	s_waitcnt vmcnt(6) lgkmcnt(1)
	v_fma_f64 v[86:87], v[105:106], v[87:88], v[95:96]
	s_waitcnt vmcnt(5)
	v_fma_f64 v[86:87], v[103:104], v[89:90], v[86:87]
	s_waitcnt vmcnt(4) lgkmcnt(0)
	v_fma_f64 v[86:87], v[99:100], v[91:92], v[86:87]
	s_waitcnt vmcnt(2)
	v_fma_f64 v[86:87], v[101:102], v[93:94], v[86:87]
	s_waitcnt vmcnt(0)
	v_add_f64 v[86:87], v[107:108], -v[86:87]
	buffer_store_dword v87, off, s[0:3], 0 offset:76
	buffer_store_dword v86, off, s[0:3], 0 offset:72
	s_and_saveexec_b64 s[4:5], vcc
	s_cbranch_execz .LBB105_243
; %bb.242:
	buffer_load_dword v86, off, s[0:3], 0 offset:64
	buffer_load_dword v87, off, s[0:3], 0 offset:68
	v_mov_b32_e32 v88, 0
	buffer_store_dword v88, off, s[0:3], 0 offset:64
	buffer_store_dword v88, off, s[0:3], 0 offset:68
	s_waitcnt vmcnt(2)
	ds_write_b64 v85, v[86:87]
.LBB105_243:
	s_or_b64 exec, exec, s[4:5]
	s_waitcnt lgkmcnt(0)
	; wave barrier
	buffer_load_dword v95, off, s[0:3], 0 offset:72
	buffer_load_dword v96, off, s[0:3], 0 offset:76
	;; [unrolled: 1-line block ×21, first 2 shown]
	v_mov_b32_e32 v86, 0
	ds_read2_b64 v[87:90], v86 offset0:51 offset1:52
	ds_read2_b64 v[91:94], v86 offset0:53 offset1:54
	buffer_load_dword v112, off, s[0:3], 0 offset:156
	v_cmp_lt_u32_e32 vcc, 7, v0
	s_waitcnt vmcnt(20) lgkmcnt(1)
	v_fma_f64 v[87:88], v[95:96], v[87:88], 0
	s_waitcnt vmcnt(18)
	v_fma_f64 v[87:88], v[97:98], v[89:90], v[87:88]
	buffer_load_dword v96, off, s[0:3], 0 offset:164
	buffer_load_dword v97, off, s[0:3], 0 offset:184
	;; [unrolled: 1-line block ×7, first 2 shown]
	s_waitcnt vmcnt(23) lgkmcnt(0)
	v_fma_f64 v[87:88], v[99:100], v[91:92], v[87:88]
	s_waitcnt vmcnt(21)
	v_fma_f64 v[98:99], v[101:102], v[93:94], v[87:88]
	ds_read2_b64 v[87:90], v86 offset0:55 offset1:56
	ds_read2_b64 v[91:94], v86 offset0:57 offset1:58
	s_waitcnt vmcnt(19) lgkmcnt(1)
	v_fma_f64 v[87:88], v[103:104], v[87:88], v[98:99]
	buffer_load_dword v98, off, s[0:3], 0 offset:188
	s_waitcnt vmcnt(18)
	v_fma_f64 v[87:88], v[105:106], v[89:90], v[87:88]
	buffer_load_dword v100, off, s[0:3], 0 offset:196
	buffer_load_dword v101, off, s[0:3], 0 offset:216
	;; [unrolled: 1-line block ×7, first 2 shown]
	s_waitcnt vmcnt(23) lgkmcnt(0)
	v_fma_f64 v[87:88], v[107:108], v[91:92], v[87:88]
	s_waitcnt vmcnt(18)
	v_fma_f64 v[107:108], v[109:110], v[93:94], v[87:88]
	ds_read2_b64 v[87:90], v86 offset0:59 offset1:60
	ds_read2_b64 v[91:94], v86 offset0:61 offset1:62
	buffer_load_dword v102, off, s[0:3], 0 offset:220
	s_waitcnt vmcnt(18) lgkmcnt(1)
	v_fma_f64 v[87:88], v[115:116], v[87:88], v[107:108]
	s_waitcnt vmcnt(17)
	v_fma_f64 v[87:88], v[113:114], v[89:90], v[87:88]
	buffer_load_dword v108, off, s[0:3], 0 offset:228
	buffer_load_dword v109, off, s[0:3], 0 offset:248
	;; [unrolled: 1-line block ×7, first 2 shown]
	s_waitcnt vmcnt(23) lgkmcnt(0)
	v_fma_f64 v[87:88], v[111:112], v[91:92], v[87:88]
	s_waitcnt vmcnt(18)
	v_fma_f64 v[95:96], v[95:96], v[93:94], v[87:88]
	ds_read2_b64 v[87:90], v86 offset0:63 offset1:64
	ds_read2_b64 v[91:94], v86 offset0:65 offset1:66
	buffer_load_dword v110, off, s[0:3], 0 offset:252
	s_waitcnt vmcnt(18) lgkmcnt(1)
	v_fma_f64 v[87:88], v[119:120], v[87:88], v[95:96]
	s_waitcnt vmcnt(17)
	v_fma_f64 v[87:88], v[117:118], v[89:90], v[87:88]
	buffer_load_dword v96, off, s[0:3], 0 offset:260
	buffer_load_dword v111, off, s[0:3], 0 offset:280
	;; [unrolled: 1-line block ×8, first 2 shown]
	s_waitcnt vmcnt(24) lgkmcnt(0)
	v_fma_f64 v[87:88], v[97:98], v[91:92], v[87:88]
	s_waitcnt vmcnt(19)
	v_fma_f64 v[97:98], v[99:100], v[93:94], v[87:88]
	ds_read2_b64 v[87:90], v86 offset0:67 offset1:68
	ds_read2_b64 v[91:94], v86 offset0:69 offset1:70
	s_waitcnt vmcnt(18) lgkmcnt(1)
	v_fma_f64 v[87:88], v[105:106], v[87:88], v[97:98]
	s_waitcnt vmcnt(17)
	v_fma_f64 v[87:88], v[103:104], v[89:90], v[87:88]
	buffer_load_dword v98, off, s[0:3], 0 offset:292
	buffer_load_dword v99, off, s[0:3], 0 offset:312
	;; [unrolled: 1-line block ×7, first 2 shown]
	s_waitcnt vmcnt(23) lgkmcnt(0)
	v_fma_f64 v[87:88], v[101:102], v[91:92], v[87:88]
	s_waitcnt vmcnt(18)
	v_fma_f64 v[100:101], v[107:108], v[93:94], v[87:88]
	ds_read2_b64 v[87:90], v86 offset0:71 offset1:72
	ds_read2_b64 v[91:94], v86 offset0:73 offset1:74
	s_waitcnt vmcnt(17) lgkmcnt(1)
	v_fma_f64 v[87:88], v[115:116], v[87:88], v[100:101]
	buffer_load_dword v100, off, s[0:3], 0 offset:316
	buffer_load_dword v102, off, s[0:3], 0 offset:324
	;; [unrolled: 1-line block ×5, first 2 shown]
	s_waitcnt vmcnt(21)
	v_fma_f64 v[87:88], v[113:114], v[89:90], v[87:88]
	s_waitcnt vmcnt(20) lgkmcnt(0)
	v_fma_f64 v[87:88], v[109:110], v[91:92], v[87:88]
	buffer_load_dword v109, off, s[0:3], 0 offset:64
	buffer_load_dword v110, off, s[0:3], 0 offset:68
	s_waitcnt vmcnt(17)
	v_fma_f64 v[95:96], v[95:96], v[93:94], v[87:88]
	ds_read2_b64 v[87:90], v86 offset0:75 offset1:76
	ds_read2_b64 v[91:94], v86 offset0:77 offset1:78
	s_waitcnt vmcnt(16) lgkmcnt(1)
	v_fma_f64 v[87:88], v[119:120], v[87:88], v[95:96]
	s_waitcnt vmcnt(15)
	v_fma_f64 v[87:88], v[117:118], v[89:90], v[87:88]
	s_waitcnt vmcnt(14) lgkmcnt(0)
	v_fma_f64 v[87:88], v[111:112], v[91:92], v[87:88]
	s_waitcnt vmcnt(9)
	v_fma_f64 v[95:96], v[97:98], v[93:94], v[87:88]
	ds_read2_b64 v[87:90], v86 offset0:79 offset1:80
	ds_read2_b64 v[91:94], v86 offset0:81 offset1:82
	s_waitcnt vmcnt(8) lgkmcnt(1)
	v_fma_f64 v[87:88], v[105:106], v[87:88], v[95:96]
	s_waitcnt vmcnt(7)
	v_fma_f64 v[87:88], v[103:104], v[89:90], v[87:88]
	ds_read_b64 v[89:90], v86 offset:664
	s_waitcnt vmcnt(6) lgkmcnt(1)
	v_fma_f64 v[87:88], v[99:100], v[91:92], v[87:88]
	s_waitcnt vmcnt(3)
	v_fma_f64 v[87:88], v[101:102], v[93:94], v[87:88]
	s_waitcnt vmcnt(2) lgkmcnt(0)
	v_fma_f64 v[87:88], v[107:108], v[89:90], v[87:88]
	s_waitcnt vmcnt(0)
	v_add_f64 v[87:88], v[109:110], -v[87:88]
	buffer_store_dword v88, off, s[0:3], 0 offset:68
	buffer_store_dword v87, off, s[0:3], 0 offset:64
	s_and_saveexec_b64 s[4:5], vcc
	s_cbranch_execz .LBB105_245
; %bb.244:
	buffer_load_dword v87, off, s[0:3], 0 offset:56
	buffer_load_dword v88, off, s[0:3], 0 offset:60
	s_waitcnt vmcnt(0)
	ds_write_b64 v85, v[87:88]
	buffer_store_dword v86, off, s[0:3], 0 offset:56
	buffer_store_dword v86, off, s[0:3], 0 offset:60
.LBB105_245:
	s_or_b64 exec, exec, s[4:5]
	s_waitcnt lgkmcnt(0)
	; wave barrier
	buffer_load_dword v95, off, s[0:3], 0 offset:64
	buffer_load_dword v96, off, s[0:3], 0 offset:68
	;; [unrolled: 1-line block ×21, first 2 shown]
	ds_read_b128 v[87:90], v86 offset:400
	ds_read_b128 v[91:94], v86 offset:416
	buffer_load_dword v112, off, s[0:3], 0 offset:148
	v_cmp_lt_u32_e32 vcc, 6, v0
	s_waitcnt vmcnt(20) lgkmcnt(1)
	v_fma_f64 v[87:88], v[95:96], v[87:88], 0
	s_waitcnt vmcnt(18)
	v_fma_f64 v[87:88], v[97:98], v[89:90], v[87:88]
	buffer_load_dword v96, off, s[0:3], 0 offset:156
	buffer_load_dword v97, off, s[0:3], 0 offset:176
	;; [unrolled: 1-line block ×7, first 2 shown]
	s_waitcnt vmcnt(23) lgkmcnt(0)
	v_fma_f64 v[87:88], v[99:100], v[91:92], v[87:88]
	s_waitcnt vmcnt(21)
	v_fma_f64 v[98:99], v[101:102], v[93:94], v[87:88]
	ds_read_b128 v[87:90], v86 offset:432
	ds_read_b128 v[91:94], v86 offset:448
	s_waitcnt vmcnt(19) lgkmcnt(1)
	v_fma_f64 v[87:88], v[103:104], v[87:88], v[98:99]
	buffer_load_dword v98, off, s[0:3], 0 offset:180
	s_waitcnt vmcnt(18)
	v_fma_f64 v[87:88], v[105:106], v[89:90], v[87:88]
	buffer_load_dword v100, off, s[0:3], 0 offset:188
	buffer_load_dword v101, off, s[0:3], 0 offset:208
	;; [unrolled: 1-line block ×8, first 2 shown]
	s_waitcnt vmcnt(24) lgkmcnt(0)
	v_fma_f64 v[87:88], v[107:108], v[91:92], v[87:88]
	s_waitcnt vmcnt(19)
	v_fma_f64 v[107:108], v[109:110], v[93:94], v[87:88]
	ds_read_b128 v[87:90], v86 offset:464
	ds_read_b128 v[91:94], v86 offset:480
	s_waitcnt vmcnt(18) lgkmcnt(1)
	v_fma_f64 v[87:88], v[115:116], v[87:88], v[107:108]
	s_waitcnt vmcnt(17)
	v_fma_f64 v[87:88], v[113:114], v[89:90], v[87:88]
	buffer_load_dword v108, off, s[0:3], 0 offset:220
	buffer_load_dword v109, off, s[0:3], 0 offset:240
	;; [unrolled: 1-line block ×7, first 2 shown]
	s_waitcnt vmcnt(23) lgkmcnt(0)
	v_fma_f64 v[87:88], v[111:112], v[91:92], v[87:88]
	s_waitcnt vmcnt(18)
	v_fma_f64 v[95:96], v[95:96], v[93:94], v[87:88]
	ds_read_b128 v[87:90], v86 offset:496
	ds_read_b128 v[91:94], v86 offset:512
	buffer_load_dword v110, off, s[0:3], 0 offset:244
	s_waitcnt vmcnt(18) lgkmcnt(1)
	v_fma_f64 v[87:88], v[119:120], v[87:88], v[95:96]
	s_waitcnt vmcnt(17)
	v_fma_f64 v[87:88], v[117:118], v[89:90], v[87:88]
	buffer_load_dword v96, off, s[0:3], 0 offset:252
	buffer_load_dword v111, off, s[0:3], 0 offset:272
	buffer_load_dword v117, off, s[0:3], 0 offset:264
	buffer_load_dword v119, off, s[0:3], 0 offset:256
	buffer_load_dword v95, off, s[0:3], 0 offset:248
	buffer_load_dword v120, off, s[0:3], 0 offset:260
	buffer_load_dword v118, off, s[0:3], 0 offset:268
	buffer_load_dword v112, off, s[0:3], 0 offset:276
	s_waitcnt vmcnt(24) lgkmcnt(0)
	v_fma_f64 v[87:88], v[97:98], v[91:92], v[87:88]
	s_waitcnt vmcnt(19)
	v_fma_f64 v[97:98], v[99:100], v[93:94], v[87:88]
	ds_read_b128 v[87:90], v86 offset:528
	ds_read_b128 v[91:94], v86 offset:544
	s_waitcnt vmcnt(18) lgkmcnt(1)
	v_fma_f64 v[87:88], v[105:106], v[87:88], v[97:98]
	s_waitcnt vmcnt(17)
	v_fma_f64 v[87:88], v[103:104], v[89:90], v[87:88]
	buffer_load_dword v98, off, s[0:3], 0 offset:284
	buffer_load_dword v99, off, s[0:3], 0 offset:304
	;; [unrolled: 1-line block ×7, first 2 shown]
	s_waitcnt vmcnt(23) lgkmcnt(0)
	v_fma_f64 v[87:88], v[101:102], v[91:92], v[87:88]
	s_waitcnt vmcnt(18)
	v_fma_f64 v[100:101], v[107:108], v[93:94], v[87:88]
	ds_read_b128 v[87:90], v86 offset:560
	ds_read_b128 v[91:94], v86 offset:576
	s_waitcnt vmcnt(17) lgkmcnt(1)
	v_fma_f64 v[87:88], v[115:116], v[87:88], v[100:101]
	buffer_load_dword v100, off, s[0:3], 0 offset:308
	s_waitcnt vmcnt(17)
	v_fma_f64 v[87:88], v[113:114], v[89:90], v[87:88]
	buffer_load_dword v102, off, s[0:3], 0 offset:316
	buffer_load_dword v107, off, s[0:3], 0 offset:328
	;; [unrolled: 1-line block ×6, first 2 shown]
	s_waitcnt vmcnt(22) lgkmcnt(0)
	v_fma_f64 v[87:88], v[109:110], v[91:92], v[87:88]
	s_waitcnt vmcnt(17)
	v_fma_f64 v[95:96], v[95:96], v[93:94], v[87:88]
	ds_read_b128 v[87:90], v86 offset:592
	buffer_load_dword v109, off, s[0:3], 0 offset:56
	buffer_load_dword v110, off, s[0:3], 0 offset:60
	ds_read_b128 v[91:94], v86 offset:608
	s_waitcnt vmcnt(18) lgkmcnt(1)
	v_fma_f64 v[87:88], v[119:120], v[87:88], v[95:96]
	s_waitcnt vmcnt(17)
	v_fma_f64 v[87:88], v[117:118], v[89:90], v[87:88]
	s_waitcnt vmcnt(16) lgkmcnt(0)
	v_fma_f64 v[87:88], v[111:112], v[91:92], v[87:88]
	s_waitcnt vmcnt(11)
	v_fma_f64 v[95:96], v[97:98], v[93:94], v[87:88]
	ds_read_b128 v[87:90], v86 offset:624
	ds_read_b128 v[91:94], v86 offset:640
	s_waitcnt vmcnt(10) lgkmcnt(1)
	v_fma_f64 v[87:88], v[105:106], v[87:88], v[95:96]
	s_waitcnt vmcnt(9)
	v_fma_f64 v[87:88], v[103:104], v[89:90], v[87:88]
	s_waitcnt vmcnt(8) lgkmcnt(0)
	v_fma_f64 v[87:88], v[99:100], v[91:92], v[87:88]
	s_waitcnt vmcnt(4)
	v_fma_f64 v[90:91], v[101:102], v[93:94], v[87:88]
	ds_read_b128 v[86:89], v86 offset:656
	s_waitcnt vmcnt(3) lgkmcnt(0)
	v_fma_f64 v[86:87], v[113:114], v[86:87], v[90:91]
	s_waitcnt vmcnt(2)
	v_fma_f64 v[86:87], v[107:108], v[88:89], v[86:87]
	s_waitcnt vmcnt(0)
	v_add_f64 v[86:87], v[109:110], -v[86:87]
	buffer_store_dword v87, off, s[0:3], 0 offset:60
	buffer_store_dword v86, off, s[0:3], 0 offset:56
	s_and_saveexec_b64 s[4:5], vcc
	s_cbranch_execz .LBB105_247
; %bb.246:
	buffer_load_dword v86, off, s[0:3], 0 offset:48
	buffer_load_dword v87, off, s[0:3], 0 offset:52
	v_mov_b32_e32 v88, 0
	buffer_store_dword v88, off, s[0:3], 0 offset:48
	buffer_store_dword v88, off, s[0:3], 0 offset:52
	s_waitcnt vmcnt(2)
	ds_write_b64 v85, v[86:87]
.LBB105_247:
	s_or_b64 exec, exec, s[4:5]
	s_waitcnt lgkmcnt(0)
	; wave barrier
	buffer_load_dword v95, off, s[0:3], 0 offset:56
	buffer_load_dword v96, off, s[0:3], 0 offset:60
	;; [unrolled: 1-line block ×21, first 2 shown]
	v_mov_b32_e32 v86, 0
	ds_read2_b64 v[87:90], v86 offset0:49 offset1:50
	ds_read2_b64 v[91:94], v86 offset0:51 offset1:52
	buffer_load_dword v112, off, s[0:3], 0 offset:140
	v_cmp_lt_u32_e32 vcc, 5, v0
	s_waitcnt vmcnt(20) lgkmcnt(1)
	v_fma_f64 v[87:88], v[95:96], v[87:88], 0
	s_waitcnt vmcnt(18)
	v_fma_f64 v[87:88], v[97:98], v[89:90], v[87:88]
	buffer_load_dword v96, off, s[0:3], 0 offset:148
	buffer_load_dword v97, off, s[0:3], 0 offset:168
	;; [unrolled: 1-line block ×7, first 2 shown]
	s_waitcnt vmcnt(23) lgkmcnt(0)
	v_fma_f64 v[87:88], v[99:100], v[91:92], v[87:88]
	s_waitcnt vmcnt(21)
	v_fma_f64 v[98:99], v[101:102], v[93:94], v[87:88]
	ds_read2_b64 v[87:90], v86 offset0:53 offset1:54
	ds_read2_b64 v[91:94], v86 offset0:55 offset1:56
	s_waitcnt vmcnt(19) lgkmcnt(1)
	v_fma_f64 v[87:88], v[103:104], v[87:88], v[98:99]
	buffer_load_dword v98, off, s[0:3], 0 offset:172
	s_waitcnt vmcnt(18)
	v_fma_f64 v[87:88], v[105:106], v[89:90], v[87:88]
	buffer_load_dword v100, off, s[0:3], 0 offset:180
	buffer_load_dword v101, off, s[0:3], 0 offset:200
	;; [unrolled: 1-line block ×8, first 2 shown]
	s_waitcnt vmcnt(24) lgkmcnt(0)
	v_fma_f64 v[87:88], v[107:108], v[91:92], v[87:88]
	s_waitcnt vmcnt(19)
	v_fma_f64 v[107:108], v[109:110], v[93:94], v[87:88]
	ds_read2_b64 v[87:90], v86 offset0:57 offset1:58
	ds_read2_b64 v[91:94], v86 offset0:59 offset1:60
	s_waitcnt vmcnt(18) lgkmcnt(1)
	v_fma_f64 v[87:88], v[115:116], v[87:88], v[107:108]
	s_waitcnt vmcnt(17)
	v_fma_f64 v[87:88], v[113:114], v[89:90], v[87:88]
	buffer_load_dword v108, off, s[0:3], 0 offset:212
	buffer_load_dword v109, off, s[0:3], 0 offset:232
	buffer_load_dword v113, off, s[0:3], 0 offset:224
	buffer_load_dword v115, off, s[0:3], 0 offset:216
	buffer_load_dword v107, off, s[0:3], 0 offset:208
	buffer_load_dword v116, off, s[0:3], 0 offset:220
	buffer_load_dword v114, off, s[0:3], 0 offset:228
	s_waitcnt vmcnt(23) lgkmcnt(0)
	v_fma_f64 v[87:88], v[111:112], v[91:92], v[87:88]
	s_waitcnt vmcnt(18)
	v_fma_f64 v[95:96], v[95:96], v[93:94], v[87:88]
	ds_read2_b64 v[87:90], v86 offset0:61 offset1:62
	ds_read2_b64 v[91:94], v86 offset0:63 offset1:64
	buffer_load_dword v110, off, s[0:3], 0 offset:236
	s_waitcnt vmcnt(18) lgkmcnt(1)
	v_fma_f64 v[87:88], v[119:120], v[87:88], v[95:96]
	s_waitcnt vmcnt(17)
	v_fma_f64 v[87:88], v[117:118], v[89:90], v[87:88]
	buffer_load_dword v96, off, s[0:3], 0 offset:244
	buffer_load_dword v111, off, s[0:3], 0 offset:264
	;; [unrolled: 1-line block ×8, first 2 shown]
	s_waitcnt vmcnt(24) lgkmcnt(0)
	v_fma_f64 v[87:88], v[97:98], v[91:92], v[87:88]
	s_waitcnt vmcnt(19)
	v_fma_f64 v[97:98], v[99:100], v[93:94], v[87:88]
	ds_read2_b64 v[87:90], v86 offset0:65 offset1:66
	ds_read2_b64 v[91:94], v86 offset0:67 offset1:68
	s_waitcnt vmcnt(18) lgkmcnt(1)
	v_fma_f64 v[87:88], v[105:106], v[87:88], v[97:98]
	s_waitcnt vmcnt(17)
	v_fma_f64 v[87:88], v[103:104], v[89:90], v[87:88]
	buffer_load_dword v98, off, s[0:3], 0 offset:276
	buffer_load_dword v99, off, s[0:3], 0 offset:296
	;; [unrolled: 1-line block ×7, first 2 shown]
	s_waitcnt vmcnt(23) lgkmcnt(0)
	v_fma_f64 v[87:88], v[101:102], v[91:92], v[87:88]
	s_waitcnt vmcnt(18)
	v_fma_f64 v[100:101], v[107:108], v[93:94], v[87:88]
	ds_read2_b64 v[87:90], v86 offset0:69 offset1:70
	ds_read2_b64 v[91:94], v86 offset0:71 offset1:72
	s_waitcnt vmcnt(17) lgkmcnt(1)
	v_fma_f64 v[87:88], v[115:116], v[87:88], v[100:101]
	buffer_load_dword v100, off, s[0:3], 0 offset:300
	s_waitcnt vmcnt(17)
	v_fma_f64 v[87:88], v[113:114], v[89:90], v[87:88]
	buffer_load_dword v102, off, s[0:3], 0 offset:308
	buffer_load_dword v107, off, s[0:3], 0 offset:328
	;; [unrolled: 1-line block ×8, first 2 shown]
	s_waitcnt vmcnt(24) lgkmcnt(0)
	v_fma_f64 v[87:88], v[109:110], v[91:92], v[87:88]
	s_waitcnt vmcnt(19)
	v_fma_f64 v[95:96], v[95:96], v[93:94], v[87:88]
	ds_read2_b64 v[87:90], v86 offset0:73 offset1:74
	ds_read2_b64 v[91:94], v86 offset0:75 offset1:76
	s_waitcnt vmcnt(18) lgkmcnt(1)
	v_fma_f64 v[87:88], v[119:120], v[87:88], v[95:96]
	buffer_load_dword v95, off, s[0:3], 0 offset:48
	buffer_load_dword v96, off, s[0:3], 0 offset:52
	s_waitcnt vmcnt(19)
	v_fma_f64 v[87:88], v[117:118], v[89:90], v[87:88]
	s_waitcnt vmcnt(18) lgkmcnt(0)
	v_fma_f64 v[87:88], v[111:112], v[91:92], v[87:88]
	s_waitcnt vmcnt(13)
	v_fma_f64 v[97:98], v[97:98], v[93:94], v[87:88]
	ds_read2_b64 v[87:90], v86 offset0:77 offset1:78
	ds_read2_b64 v[91:94], v86 offset0:79 offset1:80
	s_waitcnt vmcnt(12) lgkmcnt(1)
	v_fma_f64 v[87:88], v[105:106], v[87:88], v[97:98]
	s_waitcnt vmcnt(11)
	v_fma_f64 v[87:88], v[103:104], v[89:90], v[87:88]
	s_waitcnt vmcnt(10) lgkmcnt(0)
	v_fma_f64 v[87:88], v[99:100], v[91:92], v[87:88]
	s_waitcnt vmcnt(5)
	v_fma_f64 v[91:92], v[101:102], v[93:94], v[87:88]
	ds_read2_b64 v[87:90], v86 offset0:81 offset1:82
	ds_read_b64 v[93:94], v86 offset:664
	s_waitcnt vmcnt(4) lgkmcnt(1)
	v_fma_f64 v[87:88], v[115:116], v[87:88], v[91:92]
	s_waitcnt vmcnt(3)
	v_fma_f64 v[87:88], v[113:114], v[89:90], v[87:88]
	s_waitcnt vmcnt(2) lgkmcnt(0)
	v_fma_f64 v[87:88], v[107:108], v[93:94], v[87:88]
	s_waitcnt vmcnt(0)
	v_add_f64 v[87:88], v[95:96], -v[87:88]
	buffer_store_dword v88, off, s[0:3], 0 offset:52
	buffer_store_dword v87, off, s[0:3], 0 offset:48
	s_and_saveexec_b64 s[4:5], vcc
	s_cbranch_execz .LBB105_249
; %bb.248:
	buffer_load_dword v87, off, s[0:3], 0 offset:40
	buffer_load_dword v88, off, s[0:3], 0 offset:44
	s_waitcnt vmcnt(0)
	ds_write_b64 v85, v[87:88]
	buffer_store_dword v86, off, s[0:3], 0 offset:40
	buffer_store_dword v86, off, s[0:3], 0 offset:44
.LBB105_249:
	s_or_b64 exec, exec, s[4:5]
	s_waitcnt lgkmcnt(0)
	; wave barrier
	buffer_load_dword v95, off, s[0:3], 0 offset:48
	buffer_load_dword v96, off, s[0:3], 0 offset:52
	;; [unrolled: 1-line block ×21, first 2 shown]
	ds_read_b128 v[87:90], v86 offset:384
	ds_read_b128 v[91:94], v86 offset:400
	buffer_load_dword v112, off, s[0:3], 0 offset:132
	v_cmp_lt_u32_e32 vcc, 4, v0
	s_waitcnt vmcnt(20) lgkmcnt(1)
	v_fma_f64 v[87:88], v[95:96], v[87:88], 0
	s_waitcnt vmcnt(18)
	v_fma_f64 v[87:88], v[97:98], v[89:90], v[87:88]
	buffer_load_dword v96, off, s[0:3], 0 offset:140
	buffer_load_dword v97, off, s[0:3], 0 offset:160
	;; [unrolled: 1-line block ×7, first 2 shown]
	s_waitcnt vmcnt(23) lgkmcnt(0)
	v_fma_f64 v[87:88], v[99:100], v[91:92], v[87:88]
	s_waitcnt vmcnt(21)
	v_fma_f64 v[98:99], v[101:102], v[93:94], v[87:88]
	ds_read_b128 v[87:90], v86 offset:416
	ds_read_b128 v[91:94], v86 offset:432
	s_waitcnt vmcnt(19) lgkmcnt(1)
	v_fma_f64 v[87:88], v[103:104], v[87:88], v[98:99]
	buffer_load_dword v98, off, s[0:3], 0 offset:164
	s_waitcnt vmcnt(18)
	v_fma_f64 v[87:88], v[105:106], v[89:90], v[87:88]
	buffer_load_dword v100, off, s[0:3], 0 offset:172
	buffer_load_dword v101, off, s[0:3], 0 offset:192
	;; [unrolled: 1-line block ×8, first 2 shown]
	s_waitcnt vmcnt(24) lgkmcnt(0)
	v_fma_f64 v[87:88], v[107:108], v[91:92], v[87:88]
	s_waitcnt vmcnt(19)
	v_fma_f64 v[107:108], v[109:110], v[93:94], v[87:88]
	ds_read_b128 v[87:90], v86 offset:448
	ds_read_b128 v[91:94], v86 offset:464
	s_waitcnt vmcnt(18) lgkmcnt(1)
	v_fma_f64 v[87:88], v[115:116], v[87:88], v[107:108]
	s_waitcnt vmcnt(17)
	v_fma_f64 v[87:88], v[113:114], v[89:90], v[87:88]
	buffer_load_dword v108, off, s[0:3], 0 offset:204
	buffer_load_dword v109, off, s[0:3], 0 offset:224
	;; [unrolled: 1-line block ×7, first 2 shown]
	s_waitcnt vmcnt(23) lgkmcnt(0)
	v_fma_f64 v[87:88], v[111:112], v[91:92], v[87:88]
	s_waitcnt vmcnt(18)
	v_fma_f64 v[95:96], v[95:96], v[93:94], v[87:88]
	ds_read_b128 v[87:90], v86 offset:480
	ds_read_b128 v[91:94], v86 offset:496
	buffer_load_dword v110, off, s[0:3], 0 offset:228
	s_waitcnt vmcnt(18) lgkmcnt(1)
	v_fma_f64 v[87:88], v[119:120], v[87:88], v[95:96]
	s_waitcnt vmcnt(17)
	v_fma_f64 v[87:88], v[117:118], v[89:90], v[87:88]
	buffer_load_dword v96, off, s[0:3], 0 offset:236
	buffer_load_dword v111, off, s[0:3], 0 offset:256
	;; [unrolled: 1-line block ×8, first 2 shown]
	s_waitcnt vmcnt(24) lgkmcnt(0)
	v_fma_f64 v[87:88], v[97:98], v[91:92], v[87:88]
	s_waitcnt vmcnt(19)
	v_fma_f64 v[97:98], v[99:100], v[93:94], v[87:88]
	ds_read_b128 v[87:90], v86 offset:512
	ds_read_b128 v[91:94], v86 offset:528
	s_waitcnt vmcnt(18) lgkmcnt(1)
	v_fma_f64 v[87:88], v[105:106], v[87:88], v[97:98]
	s_waitcnt vmcnt(17)
	v_fma_f64 v[87:88], v[103:104], v[89:90], v[87:88]
	buffer_load_dword v98, off, s[0:3], 0 offset:268
	buffer_load_dword v99, off, s[0:3], 0 offset:288
	;; [unrolled: 1-line block ×7, first 2 shown]
	s_waitcnt vmcnt(23) lgkmcnt(0)
	v_fma_f64 v[87:88], v[101:102], v[91:92], v[87:88]
	s_waitcnt vmcnt(18)
	v_fma_f64 v[100:101], v[107:108], v[93:94], v[87:88]
	ds_read_b128 v[87:90], v86 offset:544
	ds_read_b128 v[91:94], v86 offset:560
	s_waitcnt vmcnt(17) lgkmcnt(1)
	v_fma_f64 v[87:88], v[115:116], v[87:88], v[100:101]
	buffer_load_dword v100, off, s[0:3], 0 offset:292
	s_waitcnt vmcnt(17)
	v_fma_f64 v[87:88], v[113:114], v[89:90], v[87:88]
	buffer_load_dword v102, off, s[0:3], 0 offset:300
	buffer_load_dword v107, off, s[0:3], 0 offset:320
	buffer_load_dword v113, off, s[0:3], 0 offset:312
	buffer_load_dword v115, off, s[0:3], 0 offset:304
	buffer_load_dword v101, off, s[0:3], 0 offset:296
	buffer_load_dword v116, off, s[0:3], 0 offset:308
	buffer_load_dword v114, off, s[0:3], 0 offset:316
	buffer_load_dword v108, off, s[0:3], 0 offset:324
	s_waitcnt vmcnt(24) lgkmcnt(0)
	v_fma_f64 v[87:88], v[109:110], v[91:92], v[87:88]
	s_waitcnt vmcnt(19)
	v_fma_f64 v[95:96], v[95:96], v[93:94], v[87:88]
	ds_read_b128 v[87:90], v86 offset:576
	ds_read_b128 v[91:94], v86 offset:592
	s_waitcnt vmcnt(18) lgkmcnt(1)
	v_fma_f64 v[87:88], v[119:120], v[87:88], v[95:96]
	buffer_load_dword v96, off, s[0:3], 0 offset:332
	buffer_load_dword v95, off, s[0:3], 0 offset:328
	buffer_load_dword v109, off, s[0:3], 0 offset:40
	buffer_load_dword v110, off, s[0:3], 0 offset:44
	s_waitcnt vmcnt(21)
	v_fma_f64 v[87:88], v[117:118], v[89:90], v[87:88]
	s_waitcnt vmcnt(20) lgkmcnt(0)
	v_fma_f64 v[87:88], v[111:112], v[91:92], v[87:88]
	s_waitcnt vmcnt(15)
	v_fma_f64 v[97:98], v[97:98], v[93:94], v[87:88]
	ds_read_b128 v[87:90], v86 offset:608
	ds_read_b128 v[91:94], v86 offset:624
	s_waitcnt vmcnt(14) lgkmcnt(1)
	v_fma_f64 v[87:88], v[105:106], v[87:88], v[97:98]
	s_waitcnt vmcnt(13)
	v_fma_f64 v[87:88], v[103:104], v[89:90], v[87:88]
	s_waitcnt vmcnt(12) lgkmcnt(0)
	v_fma_f64 v[87:88], v[99:100], v[91:92], v[87:88]
	s_waitcnt vmcnt(7)
	v_fma_f64 v[97:98], v[101:102], v[93:94], v[87:88]
	ds_read_b128 v[87:90], v86 offset:640
	ds_read_b128 v[91:94], v86 offset:656
	s_waitcnt vmcnt(6) lgkmcnt(1)
	v_fma_f64 v[86:87], v[115:116], v[87:88], v[97:98]
	s_waitcnt vmcnt(5)
	v_fma_f64 v[86:87], v[113:114], v[89:90], v[86:87]
	s_waitcnt vmcnt(4) lgkmcnt(0)
	v_fma_f64 v[86:87], v[107:108], v[91:92], v[86:87]
	s_waitcnt vmcnt(2)
	v_fma_f64 v[86:87], v[95:96], v[93:94], v[86:87]
	s_waitcnt vmcnt(0)
	v_add_f64 v[86:87], v[109:110], -v[86:87]
	buffer_store_dword v87, off, s[0:3], 0 offset:44
	buffer_store_dword v86, off, s[0:3], 0 offset:40
	s_and_saveexec_b64 s[4:5], vcc
	s_cbranch_execz .LBB105_251
; %bb.250:
	buffer_load_dword v86, off, s[0:3], 0 offset:32
	buffer_load_dword v87, off, s[0:3], 0 offset:36
	v_mov_b32_e32 v88, 0
	buffer_store_dword v88, off, s[0:3], 0 offset:32
	buffer_store_dword v88, off, s[0:3], 0 offset:36
	s_waitcnt vmcnt(2)
	ds_write_b64 v85, v[86:87]
.LBB105_251:
	s_or_b64 exec, exec, s[4:5]
	s_waitcnt lgkmcnt(0)
	; wave barrier
	buffer_load_dword v95, off, s[0:3], 0 offset:40
	buffer_load_dword v96, off, s[0:3], 0 offset:44
	buffer_load_dword v97, off, s[0:3], 0 offset:48
	buffer_load_dword v98, off, s[0:3], 0 offset:52
	buffer_load_dword v99, off, s[0:3], 0 offset:56
	buffer_load_dword v100, off, s[0:3], 0 offset:60
	buffer_load_dword v101, off, s[0:3], 0 offset:64
	buffer_load_dword v102, off, s[0:3], 0 offset:68
	buffer_load_dword v103, off, s[0:3], 0 offset:72
	buffer_load_dword v104, off, s[0:3], 0 offset:76
	buffer_load_dword v105, off, s[0:3], 0 offset:80
	buffer_load_dword v106, off, s[0:3], 0 offset:84
	buffer_load_dword v107, off, s[0:3], 0 offset:88
	buffer_load_dword v108, off, s[0:3], 0 offset:92
	buffer_load_dword v110, off, s[0:3], 0 offset:100
	buffer_load_dword v111, off, s[0:3], 0 offset:120
	buffer_load_dword v113, off, s[0:3], 0 offset:112
	buffer_load_dword v115, off, s[0:3], 0 offset:104
	buffer_load_dword v109, off, s[0:3], 0 offset:96
	buffer_load_dword v116, off, s[0:3], 0 offset:108
	buffer_load_dword v114, off, s[0:3], 0 offset:116
	v_mov_b32_e32 v86, 0
	ds_read2_b64 v[87:90], v86 offset0:47 offset1:48
	ds_read2_b64 v[91:94], v86 offset0:49 offset1:50
	buffer_load_dword v112, off, s[0:3], 0 offset:124
	v_cmp_lt_u32_e32 vcc, 3, v0
	s_waitcnt vmcnt(20) lgkmcnt(1)
	v_fma_f64 v[87:88], v[95:96], v[87:88], 0
	s_waitcnt vmcnt(18)
	v_fma_f64 v[87:88], v[97:98], v[89:90], v[87:88]
	buffer_load_dword v96, off, s[0:3], 0 offset:132
	buffer_load_dword v97, off, s[0:3], 0 offset:152
	buffer_load_dword v117, off, s[0:3], 0 offset:144
	buffer_load_dword v119, off, s[0:3], 0 offset:136
	buffer_load_dword v95, off, s[0:3], 0 offset:128
	buffer_load_dword v120, off, s[0:3], 0 offset:140
	buffer_load_dword v118, off, s[0:3], 0 offset:148
	s_waitcnt vmcnt(23) lgkmcnt(0)
	v_fma_f64 v[87:88], v[99:100], v[91:92], v[87:88]
	s_waitcnt vmcnt(21)
	v_fma_f64 v[98:99], v[101:102], v[93:94], v[87:88]
	ds_read2_b64 v[87:90], v86 offset0:51 offset1:52
	ds_read2_b64 v[91:94], v86 offset0:53 offset1:54
	s_waitcnt vmcnt(19) lgkmcnt(1)
	v_fma_f64 v[87:88], v[103:104], v[87:88], v[98:99]
	buffer_load_dword v98, off, s[0:3], 0 offset:156
	s_waitcnt vmcnt(18)
	v_fma_f64 v[87:88], v[105:106], v[89:90], v[87:88]
	buffer_load_dword v100, off, s[0:3], 0 offset:164
	buffer_load_dword v101, off, s[0:3], 0 offset:184
	;; [unrolled: 1-line block ×8, first 2 shown]
	s_waitcnt vmcnt(24) lgkmcnt(0)
	v_fma_f64 v[87:88], v[107:108], v[91:92], v[87:88]
	s_waitcnt vmcnt(19)
	v_fma_f64 v[107:108], v[109:110], v[93:94], v[87:88]
	ds_read2_b64 v[87:90], v86 offset0:55 offset1:56
	ds_read2_b64 v[91:94], v86 offset0:57 offset1:58
	s_waitcnt vmcnt(18) lgkmcnt(1)
	v_fma_f64 v[87:88], v[115:116], v[87:88], v[107:108]
	s_waitcnt vmcnt(17)
	v_fma_f64 v[87:88], v[113:114], v[89:90], v[87:88]
	buffer_load_dword v108, off, s[0:3], 0 offset:196
	buffer_load_dword v109, off, s[0:3], 0 offset:216
	buffer_load_dword v113, off, s[0:3], 0 offset:208
	buffer_load_dword v115, off, s[0:3], 0 offset:200
	buffer_load_dword v107, off, s[0:3], 0 offset:192
	buffer_load_dword v116, off, s[0:3], 0 offset:204
	buffer_load_dword v114, off, s[0:3], 0 offset:212
	s_waitcnt vmcnt(23) lgkmcnt(0)
	v_fma_f64 v[87:88], v[111:112], v[91:92], v[87:88]
	s_waitcnt vmcnt(18)
	v_fma_f64 v[95:96], v[95:96], v[93:94], v[87:88]
	ds_read2_b64 v[87:90], v86 offset0:59 offset1:60
	ds_read2_b64 v[91:94], v86 offset0:61 offset1:62
	buffer_load_dword v110, off, s[0:3], 0 offset:220
	s_waitcnt vmcnt(18) lgkmcnt(1)
	v_fma_f64 v[87:88], v[119:120], v[87:88], v[95:96]
	s_waitcnt vmcnt(17)
	v_fma_f64 v[87:88], v[117:118], v[89:90], v[87:88]
	buffer_load_dword v96, off, s[0:3], 0 offset:228
	buffer_load_dword v111, off, s[0:3], 0 offset:248
	;; [unrolled: 1-line block ×7, first 2 shown]
	s_waitcnt vmcnt(23) lgkmcnt(0)
	v_fma_f64 v[87:88], v[97:98], v[91:92], v[87:88]
	s_waitcnt vmcnt(18)
	v_fma_f64 v[97:98], v[99:100], v[93:94], v[87:88]
	ds_read2_b64 v[87:90], v86 offset0:63 offset1:64
	ds_read2_b64 v[91:94], v86 offset0:65 offset1:66
	buffer_load_dword v112, off, s[0:3], 0 offset:252
	s_waitcnt vmcnt(18) lgkmcnt(1)
	v_fma_f64 v[87:88], v[105:106], v[87:88], v[97:98]
	s_waitcnt vmcnt(17)
	v_fma_f64 v[87:88], v[103:104], v[89:90], v[87:88]
	buffer_load_dword v98, off, s[0:3], 0 offset:260
	buffer_load_dword v99, off, s[0:3], 0 offset:280
	;; [unrolled: 1-line block ×7, first 2 shown]
	s_waitcnt vmcnt(23) lgkmcnt(0)
	v_fma_f64 v[87:88], v[101:102], v[91:92], v[87:88]
	s_waitcnt vmcnt(18)
	v_fma_f64 v[100:101], v[107:108], v[93:94], v[87:88]
	ds_read2_b64 v[87:90], v86 offset0:67 offset1:68
	ds_read2_b64 v[91:94], v86 offset0:69 offset1:70
	s_waitcnt vmcnt(17) lgkmcnt(1)
	v_fma_f64 v[87:88], v[115:116], v[87:88], v[100:101]
	buffer_load_dword v100, off, s[0:3], 0 offset:284
	s_waitcnt vmcnt(17)
	v_fma_f64 v[87:88], v[113:114], v[89:90], v[87:88]
	buffer_load_dword v102, off, s[0:3], 0 offset:292
	buffer_load_dword v107, off, s[0:3], 0 offset:312
	;; [unrolled: 1-line block ×7, first 2 shown]
	s_waitcnt vmcnt(23) lgkmcnt(0)
	v_fma_f64 v[87:88], v[109:110], v[91:92], v[87:88]
	s_waitcnt vmcnt(18)
	v_fma_f64 v[95:96], v[95:96], v[93:94], v[87:88]
	ds_read2_b64 v[87:90], v86 offset0:71 offset1:72
	ds_read2_b64 v[91:94], v86 offset0:73 offset1:74
	buffer_load_dword v108, off, s[0:3], 0 offset:316
	s_waitcnt vmcnt(18) lgkmcnt(1)
	v_fma_f64 v[87:88], v[119:120], v[87:88], v[95:96]
	buffer_load_dword v96, off, s[0:3], 0 offset:324
	buffer_load_dword v109, off, s[0:3], 0 offset:328
	;; [unrolled: 1-line block ×4, first 2 shown]
	s_waitcnt vmcnt(21)
	v_fma_f64 v[87:88], v[117:118], v[89:90], v[87:88]
	s_waitcnt vmcnt(20) lgkmcnt(0)
	v_fma_f64 v[87:88], v[111:112], v[91:92], v[87:88]
	buffer_load_dword v111, off, s[0:3], 0 offset:32
	buffer_load_dword v112, off, s[0:3], 0 offset:36
	s_waitcnt vmcnt(17)
	v_fma_f64 v[97:98], v[97:98], v[93:94], v[87:88]
	ds_read2_b64 v[87:90], v86 offset0:75 offset1:76
	ds_read2_b64 v[91:94], v86 offset0:77 offset1:78
	s_waitcnt vmcnt(16) lgkmcnt(1)
	v_fma_f64 v[87:88], v[105:106], v[87:88], v[97:98]
	s_waitcnt vmcnt(15)
	v_fma_f64 v[87:88], v[103:104], v[89:90], v[87:88]
	s_waitcnt vmcnt(14) lgkmcnt(0)
	v_fma_f64 v[87:88], v[99:100], v[91:92], v[87:88]
	s_waitcnt vmcnt(9)
	v_fma_f64 v[97:98], v[101:102], v[93:94], v[87:88]
	ds_read2_b64 v[87:90], v86 offset0:79 offset1:80
	ds_read2_b64 v[91:94], v86 offset0:81 offset1:82
	s_waitcnt vmcnt(8) lgkmcnt(1)
	v_fma_f64 v[87:88], v[115:116], v[87:88], v[97:98]
	s_waitcnt vmcnt(7)
	v_fma_f64 v[87:88], v[113:114], v[89:90], v[87:88]
	ds_read_b64 v[89:90], v86 offset:664
	s_waitcnt vmcnt(6) lgkmcnt(1)
	v_fma_f64 v[87:88], v[107:108], v[91:92], v[87:88]
	s_waitcnt vmcnt(3)
	v_fma_f64 v[87:88], v[95:96], v[93:94], v[87:88]
	s_waitcnt vmcnt(2) lgkmcnt(0)
	v_fma_f64 v[87:88], v[109:110], v[89:90], v[87:88]
	s_waitcnt vmcnt(0)
	v_add_f64 v[87:88], v[111:112], -v[87:88]
	buffer_store_dword v88, off, s[0:3], 0 offset:36
	buffer_store_dword v87, off, s[0:3], 0 offset:32
	s_and_saveexec_b64 s[4:5], vcc
	s_cbranch_execz .LBB105_253
; %bb.252:
	buffer_load_dword v87, off, s[0:3], 0 offset:24
	buffer_load_dword v88, off, s[0:3], 0 offset:28
	s_waitcnt vmcnt(0)
	ds_write_b64 v85, v[87:88]
	buffer_store_dword v86, off, s[0:3], 0 offset:24
	buffer_store_dword v86, off, s[0:3], 0 offset:28
.LBB105_253:
	s_or_b64 exec, exec, s[4:5]
	s_waitcnt lgkmcnt(0)
	; wave barrier
	buffer_load_dword v95, off, s[0:3], 0 offset:32
	buffer_load_dword v96, off, s[0:3], 0 offset:36
	;; [unrolled: 1-line block ×22, first 2 shown]
	ds_read_b128 v[87:90], v86 offset:368
	ds_read_b128 v[91:94], v86 offset:384
	v_cmp_lt_u32_e32 vcc, 2, v0
	s_waitcnt vmcnt(20) lgkmcnt(1)
	v_fma_f64 v[87:88], v[95:96], v[87:88], 0
	s_waitcnt vmcnt(18)
	v_fma_f64 v[87:88], v[97:98], v[89:90], v[87:88]
	buffer_load_dword v96, off, s[0:3], 0 offset:124
	buffer_load_dword v97, off, s[0:3], 0 offset:144
	;; [unrolled: 1-line block ×7, first 2 shown]
	s_waitcnt vmcnt(23) lgkmcnt(0)
	v_fma_f64 v[87:88], v[99:100], v[91:92], v[87:88]
	s_waitcnt vmcnt(21)
	v_fma_f64 v[98:99], v[101:102], v[93:94], v[87:88]
	ds_read_b128 v[87:90], v86 offset:400
	ds_read_b128 v[91:94], v86 offset:416
	s_waitcnt vmcnt(19) lgkmcnt(1)
	v_fma_f64 v[87:88], v[103:104], v[87:88], v[98:99]
	buffer_load_dword v98, off, s[0:3], 0 offset:148
	s_waitcnt vmcnt(18)
	v_fma_f64 v[87:88], v[105:106], v[89:90], v[87:88]
	buffer_load_dword v100, off, s[0:3], 0 offset:156
	buffer_load_dword v101, off, s[0:3], 0 offset:176
	;; [unrolled: 1-line block ×8, first 2 shown]
	s_waitcnt vmcnt(24) lgkmcnt(0)
	v_fma_f64 v[87:88], v[107:108], v[91:92], v[87:88]
	s_waitcnt vmcnt(19)
	v_fma_f64 v[107:108], v[109:110], v[93:94], v[87:88]
	ds_read_b128 v[87:90], v86 offset:432
	ds_read_b128 v[91:94], v86 offset:448
	s_waitcnt vmcnt(18) lgkmcnt(1)
	v_fma_f64 v[87:88], v[115:116], v[87:88], v[107:108]
	s_waitcnt vmcnt(17)
	v_fma_f64 v[87:88], v[113:114], v[89:90], v[87:88]
	buffer_load_dword v108, off, s[0:3], 0 offset:188
	buffer_load_dword v109, off, s[0:3], 0 offset:208
	;; [unrolled: 1-line block ×8, first 2 shown]
	s_waitcnt vmcnt(24) lgkmcnt(0)
	v_fma_f64 v[87:88], v[111:112], v[91:92], v[87:88]
	s_waitcnt vmcnt(19)
	v_fma_f64 v[95:96], v[95:96], v[93:94], v[87:88]
	ds_read_b128 v[87:90], v86 offset:464
	ds_read_b128 v[91:94], v86 offset:480
	s_waitcnt vmcnt(18) lgkmcnt(1)
	v_fma_f64 v[87:88], v[119:120], v[87:88], v[95:96]
	s_waitcnt vmcnt(17)
	v_fma_f64 v[87:88], v[117:118], v[89:90], v[87:88]
	buffer_load_dword v96, off, s[0:3], 0 offset:220
	buffer_load_dword v111, off, s[0:3], 0 offset:240
	;; [unrolled: 1-line block ×7, first 2 shown]
	s_waitcnt vmcnt(23) lgkmcnt(0)
	v_fma_f64 v[87:88], v[97:98], v[91:92], v[87:88]
	s_waitcnt vmcnt(18)
	v_fma_f64 v[97:98], v[99:100], v[93:94], v[87:88]
	ds_read_b128 v[87:90], v86 offset:496
	ds_read_b128 v[91:94], v86 offset:512
	buffer_load_dword v112, off, s[0:3], 0 offset:244
	s_waitcnt vmcnt(18) lgkmcnt(1)
	v_fma_f64 v[87:88], v[105:106], v[87:88], v[97:98]
	s_waitcnt vmcnt(17)
	v_fma_f64 v[87:88], v[103:104], v[89:90], v[87:88]
	buffer_load_dword v98, off, s[0:3], 0 offset:252
	buffer_load_dword v99, off, s[0:3], 0 offset:272
	buffer_load_dword v103, off, s[0:3], 0 offset:264
	buffer_load_dword v105, off, s[0:3], 0 offset:256
	buffer_load_dword v97, off, s[0:3], 0 offset:248
	buffer_load_dword v106, off, s[0:3], 0 offset:260
	buffer_load_dword v104, off, s[0:3], 0 offset:268
	s_waitcnt vmcnt(23) lgkmcnt(0)
	v_fma_f64 v[87:88], v[101:102], v[91:92], v[87:88]
	s_waitcnt vmcnt(18)
	v_fma_f64 v[100:101], v[107:108], v[93:94], v[87:88]
	ds_read_b128 v[87:90], v86 offset:528
	ds_read_b128 v[91:94], v86 offset:544
	s_waitcnt vmcnt(17) lgkmcnt(1)
	v_fma_f64 v[87:88], v[115:116], v[87:88], v[100:101]
	buffer_load_dword v100, off, s[0:3], 0 offset:276
	s_waitcnt vmcnt(17)
	v_fma_f64 v[87:88], v[113:114], v[89:90], v[87:88]
	buffer_load_dword v102, off, s[0:3], 0 offset:284
	buffer_load_dword v107, off, s[0:3], 0 offset:304
	;; [unrolled: 1-line block ×8, first 2 shown]
	s_waitcnt vmcnt(24) lgkmcnt(0)
	v_fma_f64 v[87:88], v[109:110], v[91:92], v[87:88]
	s_waitcnt vmcnt(19)
	v_fma_f64 v[95:96], v[95:96], v[93:94], v[87:88]
	ds_read_b128 v[87:90], v86 offset:560
	ds_read_b128 v[91:94], v86 offset:576
	s_waitcnt vmcnt(18) lgkmcnt(1)
	v_fma_f64 v[87:88], v[119:120], v[87:88], v[95:96]
	s_waitcnt vmcnt(17)
	v_fma_f64 v[87:88], v[117:118], v[89:90], v[87:88]
	buffer_load_dword v96, off, s[0:3], 0 offset:316
	buffer_load_dword v109, off, s[0:3], 0 offset:328
	;; [unrolled: 1-line block ×6, first 2 shown]
	s_waitcnt vmcnt(22) lgkmcnt(0)
	v_fma_f64 v[87:88], v[111:112], v[91:92], v[87:88]
	s_waitcnt vmcnt(17)
	v_fma_f64 v[97:98], v[97:98], v[93:94], v[87:88]
	ds_read_b128 v[87:90], v86 offset:592
	buffer_load_dword v111, off, s[0:3], 0 offset:24
	buffer_load_dword v112, off, s[0:3], 0 offset:28
	ds_read_b128 v[91:94], v86 offset:608
	s_waitcnt vmcnt(18) lgkmcnt(1)
	v_fma_f64 v[87:88], v[105:106], v[87:88], v[97:98]
	s_waitcnt vmcnt(17)
	v_fma_f64 v[87:88], v[103:104], v[89:90], v[87:88]
	s_waitcnt vmcnt(16) lgkmcnt(0)
	v_fma_f64 v[87:88], v[99:100], v[91:92], v[87:88]
	s_waitcnt vmcnt(11)
	v_fma_f64 v[97:98], v[101:102], v[93:94], v[87:88]
	ds_read_b128 v[87:90], v86 offset:624
	ds_read_b128 v[91:94], v86 offset:640
	s_waitcnt vmcnt(10) lgkmcnt(1)
	v_fma_f64 v[87:88], v[115:116], v[87:88], v[97:98]
	s_waitcnt vmcnt(9)
	v_fma_f64 v[87:88], v[113:114], v[89:90], v[87:88]
	s_waitcnt vmcnt(8) lgkmcnt(0)
	v_fma_f64 v[87:88], v[107:108], v[91:92], v[87:88]
	s_waitcnt vmcnt(4)
	v_fma_f64 v[90:91], v[95:96], v[93:94], v[87:88]
	ds_read_b128 v[86:89], v86 offset:656
	s_waitcnt vmcnt(3) lgkmcnt(0)
	v_fma_f64 v[86:87], v[117:118], v[86:87], v[90:91]
	s_waitcnt vmcnt(2)
	v_fma_f64 v[86:87], v[109:110], v[88:89], v[86:87]
	s_waitcnt vmcnt(0)
	v_add_f64 v[86:87], v[111:112], -v[86:87]
	buffer_store_dword v87, off, s[0:3], 0 offset:28
	buffer_store_dword v86, off, s[0:3], 0 offset:24
	s_and_saveexec_b64 s[4:5], vcc
	s_cbranch_execz .LBB105_255
; %bb.254:
	buffer_load_dword v86, off, s[0:3], 0 offset:16
	buffer_load_dword v87, off, s[0:3], 0 offset:20
	v_mov_b32_e32 v88, 0
	buffer_store_dword v88, off, s[0:3], 0 offset:16
	buffer_store_dword v88, off, s[0:3], 0 offset:20
	s_waitcnt vmcnt(2)
	ds_write_b64 v85, v[86:87]
.LBB105_255:
	s_or_b64 exec, exec, s[4:5]
	s_waitcnt lgkmcnt(0)
	; wave barrier
	buffer_load_dword v95, off, s[0:3], 0 offset:24
	buffer_load_dword v96, off, s[0:3], 0 offset:28
	;; [unrolled: 1-line block ×22, first 2 shown]
	v_mov_b32_e32 v86, 0
	ds_read2_b64 v[87:90], v86 offset0:45 offset1:46
	ds_read2_b64 v[91:94], v86 offset0:47 offset1:48
	v_cmp_lt_u32_e32 vcc, 1, v0
	s_waitcnt vmcnt(20) lgkmcnt(1)
	v_fma_f64 v[87:88], v[95:96], v[87:88], 0
	s_waitcnt vmcnt(18)
	v_fma_f64 v[87:88], v[97:98], v[89:90], v[87:88]
	buffer_load_dword v96, off, s[0:3], 0 offset:116
	buffer_load_dword v97, off, s[0:3], 0 offset:136
	;; [unrolled: 1-line block ×7, first 2 shown]
	s_waitcnt vmcnt(23) lgkmcnt(0)
	v_fma_f64 v[87:88], v[99:100], v[91:92], v[87:88]
	s_waitcnt vmcnt(21)
	v_fma_f64 v[98:99], v[101:102], v[93:94], v[87:88]
	ds_read2_b64 v[87:90], v86 offset0:49 offset1:50
	ds_read2_b64 v[91:94], v86 offset0:51 offset1:52
	s_waitcnt vmcnt(19) lgkmcnt(1)
	v_fma_f64 v[87:88], v[103:104], v[87:88], v[98:99]
	buffer_load_dword v98, off, s[0:3], 0 offset:140
	s_waitcnt vmcnt(18)
	v_fma_f64 v[87:88], v[105:106], v[89:90], v[87:88]
	buffer_load_dword v100, off, s[0:3], 0 offset:148
	buffer_load_dword v101, off, s[0:3], 0 offset:168
	;; [unrolled: 1-line block ×8, first 2 shown]
	s_waitcnt vmcnt(24) lgkmcnt(0)
	v_fma_f64 v[87:88], v[107:108], v[91:92], v[87:88]
	s_waitcnt vmcnt(19)
	v_fma_f64 v[107:108], v[109:110], v[93:94], v[87:88]
	ds_read2_b64 v[87:90], v86 offset0:53 offset1:54
	ds_read2_b64 v[91:94], v86 offset0:55 offset1:56
	s_waitcnt vmcnt(18) lgkmcnt(1)
	v_fma_f64 v[87:88], v[115:116], v[87:88], v[107:108]
	s_waitcnt vmcnt(17)
	v_fma_f64 v[87:88], v[113:114], v[89:90], v[87:88]
	buffer_load_dword v108, off, s[0:3], 0 offset:180
	buffer_load_dword v109, off, s[0:3], 0 offset:200
	;; [unrolled: 1-line block ×8, first 2 shown]
	s_waitcnt vmcnt(24) lgkmcnt(0)
	v_fma_f64 v[87:88], v[111:112], v[91:92], v[87:88]
	s_waitcnt vmcnt(19)
	v_fma_f64 v[95:96], v[95:96], v[93:94], v[87:88]
	ds_read2_b64 v[87:90], v86 offset0:57 offset1:58
	ds_read2_b64 v[91:94], v86 offset0:59 offset1:60
	s_waitcnt vmcnt(18) lgkmcnt(1)
	v_fma_f64 v[87:88], v[119:120], v[87:88], v[95:96]
	s_waitcnt vmcnt(17)
	v_fma_f64 v[87:88], v[117:118], v[89:90], v[87:88]
	buffer_load_dword v96, off, s[0:3], 0 offset:212
	buffer_load_dword v111, off, s[0:3], 0 offset:232
	;; [unrolled: 1-line block ×7, first 2 shown]
	s_waitcnt vmcnt(23) lgkmcnt(0)
	v_fma_f64 v[87:88], v[97:98], v[91:92], v[87:88]
	s_waitcnt vmcnt(18)
	v_fma_f64 v[97:98], v[99:100], v[93:94], v[87:88]
	ds_read2_b64 v[87:90], v86 offset0:61 offset1:62
	ds_read2_b64 v[91:94], v86 offset0:63 offset1:64
	buffer_load_dword v112, off, s[0:3], 0 offset:236
	s_waitcnt vmcnt(18) lgkmcnt(1)
	v_fma_f64 v[87:88], v[105:106], v[87:88], v[97:98]
	s_waitcnt vmcnt(17)
	v_fma_f64 v[87:88], v[103:104], v[89:90], v[87:88]
	buffer_load_dword v98, off, s[0:3], 0 offset:244
	buffer_load_dword v99, off, s[0:3], 0 offset:264
	;; [unrolled: 1-line block ×7, first 2 shown]
	s_waitcnt vmcnt(23) lgkmcnt(0)
	v_fma_f64 v[87:88], v[101:102], v[91:92], v[87:88]
	s_waitcnt vmcnt(18)
	v_fma_f64 v[100:101], v[107:108], v[93:94], v[87:88]
	ds_read2_b64 v[87:90], v86 offset0:65 offset1:66
	ds_read2_b64 v[91:94], v86 offset0:67 offset1:68
	s_waitcnt vmcnt(17) lgkmcnt(1)
	v_fma_f64 v[87:88], v[115:116], v[87:88], v[100:101]
	buffer_load_dword v100, off, s[0:3], 0 offset:268
	s_waitcnt vmcnt(17)
	v_fma_f64 v[87:88], v[113:114], v[89:90], v[87:88]
	buffer_load_dword v102, off, s[0:3], 0 offset:276
	buffer_load_dword v107, off, s[0:3], 0 offset:296
	;; [unrolled: 1-line block ×8, first 2 shown]
	s_waitcnt vmcnt(24) lgkmcnt(0)
	v_fma_f64 v[87:88], v[109:110], v[91:92], v[87:88]
	s_waitcnt vmcnt(19)
	v_fma_f64 v[95:96], v[95:96], v[93:94], v[87:88]
	ds_read2_b64 v[87:90], v86 offset0:69 offset1:70
	ds_read2_b64 v[91:94], v86 offset0:71 offset1:72
	s_waitcnt vmcnt(18) lgkmcnt(1)
	v_fma_f64 v[87:88], v[119:120], v[87:88], v[95:96]
	s_waitcnt vmcnt(17)
	v_fma_f64 v[87:88], v[117:118], v[89:90], v[87:88]
	buffer_load_dword v96, off, s[0:3], 0 offset:308
	buffer_load_dword v109, off, s[0:3], 0 offset:328
	;; [unrolled: 1-line block ×8, first 2 shown]
	s_waitcnt vmcnt(24) lgkmcnt(0)
	v_fma_f64 v[87:88], v[111:112], v[91:92], v[87:88]
	s_waitcnt vmcnt(19)
	v_fma_f64 v[97:98], v[97:98], v[93:94], v[87:88]
	ds_read2_b64 v[87:90], v86 offset0:73 offset1:74
	ds_read2_b64 v[91:94], v86 offset0:75 offset1:76
	s_waitcnt vmcnt(18) lgkmcnt(1)
	v_fma_f64 v[87:88], v[105:106], v[87:88], v[97:98]
	buffer_load_dword v97, off, s[0:3], 0 offset:16
	buffer_load_dword v98, off, s[0:3], 0 offset:20
	s_waitcnt vmcnt(19)
	v_fma_f64 v[87:88], v[103:104], v[89:90], v[87:88]
	s_waitcnt vmcnt(18) lgkmcnt(0)
	v_fma_f64 v[87:88], v[99:100], v[91:92], v[87:88]
	s_waitcnt vmcnt(13)
	v_fma_f64 v[99:100], v[101:102], v[93:94], v[87:88]
	ds_read2_b64 v[87:90], v86 offset0:77 offset1:78
	ds_read2_b64 v[91:94], v86 offset0:79 offset1:80
	s_waitcnt vmcnt(12) lgkmcnt(1)
	v_fma_f64 v[87:88], v[115:116], v[87:88], v[99:100]
	s_waitcnt vmcnt(11)
	v_fma_f64 v[87:88], v[113:114], v[89:90], v[87:88]
	s_waitcnt vmcnt(10) lgkmcnt(0)
	v_fma_f64 v[87:88], v[107:108], v[91:92], v[87:88]
	s_waitcnt vmcnt(5)
	v_fma_f64 v[91:92], v[95:96], v[93:94], v[87:88]
	ds_read2_b64 v[87:90], v86 offset0:81 offset1:82
	ds_read_b64 v[93:94], v86 offset:664
	s_waitcnt vmcnt(4) lgkmcnt(1)
	v_fma_f64 v[87:88], v[119:120], v[87:88], v[91:92]
	s_waitcnt vmcnt(3)
	v_fma_f64 v[87:88], v[117:118], v[89:90], v[87:88]
	s_waitcnt vmcnt(2) lgkmcnt(0)
	v_fma_f64 v[87:88], v[109:110], v[93:94], v[87:88]
	s_waitcnt vmcnt(0)
	v_add_f64 v[87:88], v[97:98], -v[87:88]
	buffer_store_dword v88, off, s[0:3], 0 offset:20
	buffer_store_dword v87, off, s[0:3], 0 offset:16
	s_and_saveexec_b64 s[4:5], vcc
	s_cbranch_execz .LBB105_257
; %bb.256:
	buffer_load_dword v87, off, s[0:3], 0 offset:8
	buffer_load_dword v88, off, s[0:3], 0 offset:12
	s_waitcnt vmcnt(0)
	ds_write_b64 v85, v[87:88]
	buffer_store_dword v86, off, s[0:3], 0 offset:8
	buffer_store_dword v86, off, s[0:3], 0 offset:12
.LBB105_257:
	s_or_b64 exec, exec, s[4:5]
	s_waitcnt lgkmcnt(0)
	; wave barrier
	buffer_load_dword v95, off, s[0:3], 0 offset:16
	buffer_load_dword v96, off, s[0:3], 0 offset:20
	;; [unrolled: 1-line block ×22, first 2 shown]
	ds_read_b128 v[87:90], v86 offset:352
	ds_read_b128 v[91:94], v86 offset:368
	v_cmp_ne_u32_e32 vcc, 0, v0
	s_waitcnt vmcnt(20) lgkmcnt(1)
	v_fma_f64 v[87:88], v[95:96], v[87:88], 0
	s_waitcnt vmcnt(18)
	v_fma_f64 v[87:88], v[97:98], v[89:90], v[87:88]
	buffer_load_dword v96, off, s[0:3], 0 offset:108
	buffer_load_dword v97, off, s[0:3], 0 offset:128
	;; [unrolled: 1-line block ×7, first 2 shown]
	s_waitcnt vmcnt(23) lgkmcnt(0)
	v_fma_f64 v[87:88], v[99:100], v[91:92], v[87:88]
	s_waitcnt vmcnt(21)
	v_fma_f64 v[98:99], v[101:102], v[93:94], v[87:88]
	ds_read_b128 v[87:90], v86 offset:384
	ds_read_b128 v[91:94], v86 offset:400
	s_waitcnt vmcnt(19) lgkmcnt(1)
	v_fma_f64 v[87:88], v[103:104], v[87:88], v[98:99]
	buffer_load_dword v98, off, s[0:3], 0 offset:132
	s_waitcnt vmcnt(18)
	v_fma_f64 v[87:88], v[105:106], v[89:90], v[87:88]
	buffer_load_dword v100, off, s[0:3], 0 offset:140
	buffer_load_dword v101, off, s[0:3], 0 offset:160
	;; [unrolled: 1-line block ×8, first 2 shown]
	s_waitcnt vmcnt(24) lgkmcnt(0)
	v_fma_f64 v[87:88], v[107:108], v[91:92], v[87:88]
	s_waitcnt vmcnt(19)
	v_fma_f64 v[107:108], v[109:110], v[93:94], v[87:88]
	ds_read_b128 v[87:90], v86 offset:416
	ds_read_b128 v[91:94], v86 offset:432
	s_waitcnt vmcnt(18) lgkmcnt(1)
	v_fma_f64 v[87:88], v[115:116], v[87:88], v[107:108]
	s_waitcnt vmcnt(17)
	v_fma_f64 v[87:88], v[113:114], v[89:90], v[87:88]
	buffer_load_dword v108, off, s[0:3], 0 offset:172
	buffer_load_dword v109, off, s[0:3], 0 offset:192
	;; [unrolled: 1-line block ×8, first 2 shown]
	s_waitcnt vmcnt(24) lgkmcnt(0)
	v_fma_f64 v[87:88], v[111:112], v[91:92], v[87:88]
	s_waitcnt vmcnt(19)
	v_fma_f64 v[95:96], v[95:96], v[93:94], v[87:88]
	ds_read_b128 v[87:90], v86 offset:448
	ds_read_b128 v[91:94], v86 offset:464
	s_waitcnt vmcnt(18) lgkmcnt(1)
	v_fma_f64 v[87:88], v[119:120], v[87:88], v[95:96]
	s_waitcnt vmcnt(17)
	v_fma_f64 v[87:88], v[117:118], v[89:90], v[87:88]
	buffer_load_dword v96, off, s[0:3], 0 offset:204
	buffer_load_dword v111, off, s[0:3], 0 offset:224
	;; [unrolled: 1-line block ×7, first 2 shown]
	s_waitcnt vmcnt(23) lgkmcnt(0)
	v_fma_f64 v[87:88], v[97:98], v[91:92], v[87:88]
	s_waitcnt vmcnt(18)
	v_fma_f64 v[97:98], v[99:100], v[93:94], v[87:88]
	ds_read_b128 v[87:90], v86 offset:480
	ds_read_b128 v[91:94], v86 offset:496
	buffer_load_dword v112, off, s[0:3], 0 offset:228
	s_waitcnt vmcnt(18) lgkmcnt(1)
	v_fma_f64 v[87:88], v[105:106], v[87:88], v[97:98]
	s_waitcnt vmcnt(17)
	v_fma_f64 v[87:88], v[103:104], v[89:90], v[87:88]
	buffer_load_dword v98, off, s[0:3], 0 offset:236
	buffer_load_dword v99, off, s[0:3], 0 offset:256
	;; [unrolled: 1-line block ×7, first 2 shown]
	s_waitcnt vmcnt(23) lgkmcnt(0)
	v_fma_f64 v[87:88], v[101:102], v[91:92], v[87:88]
	s_waitcnt vmcnt(18)
	v_fma_f64 v[100:101], v[107:108], v[93:94], v[87:88]
	ds_read_b128 v[87:90], v86 offset:512
	ds_read_b128 v[91:94], v86 offset:528
	s_waitcnt vmcnt(17) lgkmcnt(1)
	v_fma_f64 v[87:88], v[115:116], v[87:88], v[100:101]
	buffer_load_dword v100, off, s[0:3], 0 offset:260
	s_waitcnt vmcnt(17)
	v_fma_f64 v[87:88], v[113:114], v[89:90], v[87:88]
	buffer_load_dword v102, off, s[0:3], 0 offset:268
	buffer_load_dword v107, off, s[0:3], 0 offset:288
	buffer_load_dword v113, off, s[0:3], 0 offset:280
	buffer_load_dword v115, off, s[0:3], 0 offset:272
	buffer_load_dword v101, off, s[0:3], 0 offset:264
	buffer_load_dword v116, off, s[0:3], 0 offset:276
	buffer_load_dword v114, off, s[0:3], 0 offset:284
	buffer_load_dword v108, off, s[0:3], 0 offset:292
	s_waitcnt vmcnt(24) lgkmcnt(0)
	v_fma_f64 v[87:88], v[109:110], v[91:92], v[87:88]
	s_waitcnt vmcnt(19)
	v_fma_f64 v[95:96], v[95:96], v[93:94], v[87:88]
	ds_read_b128 v[87:90], v86 offset:544
	ds_read_b128 v[91:94], v86 offset:560
	s_waitcnt vmcnt(18) lgkmcnt(1)
	v_fma_f64 v[87:88], v[119:120], v[87:88], v[95:96]
	s_waitcnt vmcnt(17)
	v_fma_f64 v[87:88], v[117:118], v[89:90], v[87:88]
	buffer_load_dword v96, off, s[0:3], 0 offset:300
	buffer_load_dword v109, off, s[0:3], 0 offset:320
	;; [unrolled: 1-line block ×8, first 2 shown]
	s_waitcnt vmcnt(24) lgkmcnt(0)
	v_fma_f64 v[87:88], v[111:112], v[91:92], v[87:88]
	s_waitcnt vmcnt(19)
	v_fma_f64 v[97:98], v[97:98], v[93:94], v[87:88]
	ds_read_b128 v[87:90], v86 offset:576
	ds_read_b128 v[91:94], v86 offset:592
	s_waitcnt vmcnt(18) lgkmcnt(1)
	v_fma_f64 v[87:88], v[105:106], v[87:88], v[97:98]
	buffer_load_dword v98, off, s[0:3], 0 offset:332
	buffer_load_dword v97, off, s[0:3], 0 offset:328
	s_waitcnt vmcnt(19)
	v_fma_f64 v[87:88], v[103:104], v[89:90], v[87:88]
	buffer_load_dword v103, off, s[0:3], 0 offset:8
	buffer_load_dword v104, off, s[0:3], 0 offset:12
	s_waitcnt vmcnt(20) lgkmcnt(0)
	v_fma_f64 v[87:88], v[99:100], v[91:92], v[87:88]
	s_waitcnt vmcnt(15)
	v_fma_f64 v[99:100], v[101:102], v[93:94], v[87:88]
	ds_read_b128 v[87:90], v86 offset:608
	ds_read_b128 v[91:94], v86 offset:624
	s_waitcnt vmcnt(14) lgkmcnt(1)
	v_fma_f64 v[87:88], v[115:116], v[87:88], v[99:100]
	s_waitcnt vmcnt(13)
	v_fma_f64 v[87:88], v[113:114], v[89:90], v[87:88]
	s_waitcnt vmcnt(12) lgkmcnt(0)
	v_fma_f64 v[87:88], v[107:108], v[91:92], v[87:88]
	s_waitcnt vmcnt(7)
	v_fma_f64 v[95:96], v[95:96], v[93:94], v[87:88]
	ds_read_b128 v[87:90], v86 offset:640
	ds_read_b128 v[91:94], v86 offset:656
	s_waitcnt vmcnt(6) lgkmcnt(1)
	v_fma_f64 v[86:87], v[119:120], v[87:88], v[95:96]
	s_waitcnt vmcnt(5)
	v_fma_f64 v[86:87], v[117:118], v[89:90], v[86:87]
	s_waitcnt vmcnt(4) lgkmcnt(0)
	v_fma_f64 v[86:87], v[109:110], v[91:92], v[86:87]
	s_waitcnt vmcnt(2)
	v_fma_f64 v[86:87], v[97:98], v[93:94], v[86:87]
	s_waitcnt vmcnt(0)
	v_add_f64 v[86:87], v[103:104], -v[86:87]
	buffer_store_dword v87, off, s[0:3], 0 offset:12
	buffer_store_dword v86, off, s[0:3], 0 offset:8
	s_and_saveexec_b64 s[4:5], vcc
	s_cbranch_execz .LBB105_259
; %bb.258:
	buffer_load_dword v86, off, s[0:3], 0
	buffer_load_dword v87, off, s[0:3], 0 offset:4
	v_mov_b32_e32 v0, 0
	buffer_store_dword v0, off, s[0:3], 0
	buffer_store_dword v0, off, s[0:3], 0 offset:4
	s_waitcnt vmcnt(2)
	ds_write_b64 v85, v[86:87]
.LBB105_259:
	s_or_b64 exec, exec, s[4:5]
	s_waitcnt lgkmcnt(0)
	; wave barrier
	buffer_load_dword v93, off, s[0:3], 0 offset:8
	buffer_load_dword v94, off, s[0:3], 0 offset:12
	;; [unrolled: 1-line block ×22, first 2 shown]
	v_mov_b32_e32 v0, 0
	ds_read2_b64 v[85:88], v0 offset0:43 offset1:44
	ds_read2_b64 v[89:92], v0 offset0:45 offset1:46
	s_and_b64 vcc, exec, s[14:15]
	s_waitcnt vmcnt(20) lgkmcnt(1)
	v_fma_f64 v[85:86], v[93:94], v[85:86], 0
	s_waitcnt vmcnt(18)
	v_fma_f64 v[85:86], v[95:96], v[87:88], v[85:86]
	buffer_load_dword v94, off, s[0:3], 0 offset:100
	buffer_load_dword v95, off, s[0:3], 0 offset:120
	;; [unrolled: 1-line block ×7, first 2 shown]
	s_waitcnt vmcnt(23) lgkmcnt(0)
	v_fma_f64 v[85:86], v[97:98], v[89:90], v[85:86]
	s_waitcnt vmcnt(21)
	v_fma_f64 v[96:97], v[99:100], v[91:92], v[85:86]
	ds_read2_b64 v[85:88], v0 offset0:47 offset1:48
	ds_read2_b64 v[89:92], v0 offset0:49 offset1:50
	s_waitcnt vmcnt(19) lgkmcnt(1)
	v_fma_f64 v[85:86], v[101:102], v[85:86], v[96:97]
	buffer_load_dword v96, off, s[0:3], 0 offset:124
	s_waitcnt vmcnt(18)
	v_fma_f64 v[85:86], v[103:104], v[87:88], v[85:86]
	buffer_load_dword v98, off, s[0:3], 0 offset:132
	buffer_load_dword v99, off, s[0:3], 0 offset:152
	;; [unrolled: 1-line block ×7, first 2 shown]
	s_waitcnt vmcnt(23) lgkmcnt(0)
	v_fma_f64 v[85:86], v[105:106], v[89:90], v[85:86]
	s_waitcnt vmcnt(18)
	v_fma_f64 v[105:106], v[107:108], v[91:92], v[85:86]
	ds_read2_b64 v[85:88], v0 offset0:51 offset1:52
	ds_read2_b64 v[89:92], v0 offset0:53 offset1:54
	buffer_load_dword v100, off, s[0:3], 0 offset:156
	s_waitcnt vmcnt(18) lgkmcnt(1)
	v_fma_f64 v[85:86], v[113:114], v[85:86], v[105:106]
	s_waitcnt vmcnt(17)
	v_fma_f64 v[85:86], v[111:112], v[87:88], v[85:86]
	buffer_load_dword v106, off, s[0:3], 0 offset:164
	buffer_load_dword v107, off, s[0:3], 0 offset:184
	;; [unrolled: 1-line block ×8, first 2 shown]
	s_waitcnt vmcnt(24) lgkmcnt(0)
	v_fma_f64 v[85:86], v[109:110], v[89:90], v[85:86]
	s_waitcnt vmcnt(19)
	v_fma_f64 v[93:94], v[93:94], v[91:92], v[85:86]
	ds_read2_b64 v[85:88], v0 offset0:55 offset1:56
	ds_read2_b64 v[89:92], v0 offset0:57 offset1:58
	s_waitcnt vmcnt(18) lgkmcnt(1)
	v_fma_f64 v[85:86], v[117:118], v[85:86], v[93:94]
	s_waitcnt vmcnt(17)
	v_fma_f64 v[85:86], v[115:116], v[87:88], v[85:86]
	buffer_load_dword v94, off, s[0:3], 0 offset:196
	buffer_load_dword v109, off, s[0:3], 0 offset:216
	;; [unrolled: 1-line block ×7, first 2 shown]
	s_waitcnt vmcnt(23) lgkmcnt(0)
	v_fma_f64 v[85:86], v[95:96], v[89:90], v[85:86]
	s_waitcnt vmcnt(18)
	v_fma_f64 v[95:96], v[97:98], v[91:92], v[85:86]
	ds_read2_b64 v[85:88], v0 offset0:59 offset1:60
	ds_read2_b64 v[89:92], v0 offset0:61 offset1:62
	buffer_load_dword v110, off, s[0:3], 0 offset:220
	s_waitcnt vmcnt(18) lgkmcnt(1)
	v_fma_f64 v[85:86], v[103:104], v[85:86], v[95:96]
	s_waitcnt vmcnt(17)
	v_fma_f64 v[85:86], v[101:102], v[87:88], v[85:86]
	buffer_load_dword v96, off, s[0:3], 0 offset:228
	buffer_load_dword v97, off, s[0:3], 0 offset:248
	;; [unrolled: 1-line block ×7, first 2 shown]
	s_waitcnt vmcnt(23) lgkmcnt(0)
	v_fma_f64 v[85:86], v[99:100], v[89:90], v[85:86]
	s_waitcnt vmcnt(18)
	v_fma_f64 v[98:99], v[105:106], v[91:92], v[85:86]
	ds_read2_b64 v[85:88], v0 offset0:63 offset1:64
	ds_read2_b64 v[89:92], v0 offset0:65 offset1:66
	s_waitcnt vmcnt(17) lgkmcnt(1)
	v_fma_f64 v[85:86], v[113:114], v[85:86], v[98:99]
	buffer_load_dword v98, off, s[0:3], 0 offset:252
	s_waitcnt vmcnt(17)
	v_fma_f64 v[85:86], v[111:112], v[87:88], v[85:86]
	buffer_load_dword v100, off, s[0:3], 0 offset:260
	buffer_load_dword v105, off, s[0:3], 0 offset:280
	;; [unrolled: 1-line block ×8, first 2 shown]
	s_waitcnt vmcnt(24) lgkmcnt(0)
	v_fma_f64 v[85:86], v[107:108], v[89:90], v[85:86]
	s_waitcnt vmcnt(19)
	v_fma_f64 v[93:94], v[93:94], v[91:92], v[85:86]
	ds_read2_b64 v[85:88], v0 offset0:67 offset1:68
	ds_read2_b64 v[89:92], v0 offset0:69 offset1:70
	s_waitcnt vmcnt(18) lgkmcnt(1)
	v_fma_f64 v[85:86], v[117:118], v[85:86], v[93:94]
	s_waitcnt vmcnt(17)
	v_fma_f64 v[85:86], v[115:116], v[87:88], v[85:86]
	buffer_load_dword v108, off, s[0:3], 0 offset:292
	buffer_load_dword v115, off, s[0:3], 0 offset:312
	;; [unrolled: 1-line block ×7, first 2 shown]
	s_waitcnt vmcnt(23) lgkmcnt(0)
	v_fma_f64 v[85:86], v[109:110], v[89:90], v[85:86]
	s_waitcnt vmcnt(18)
	v_fma_f64 v[93:94], v[95:96], v[91:92], v[85:86]
	ds_read2_b64 v[85:88], v0 offset0:71 offset1:72
	ds_read2_b64 v[89:92], v0 offset0:73 offset1:74
	buffer_load_dword v116, off, s[0:3], 0 offset:316
	s_waitcnt vmcnt(18) lgkmcnt(1)
	v_fma_f64 v[85:86], v[103:104], v[85:86], v[93:94]
	s_waitcnt vmcnt(17)
	v_fma_f64 v[87:88], v[101:102], v[87:88], v[85:86]
	buffer_load_dword v86, off, s[0:3], 0 offset:324
	buffer_load_dword v95, off, s[0:3], 0 offset:328
	buffer_load_dword v85, off, s[0:3], 0 offset:320
	buffer_load_dword v96, off, s[0:3], 0 offset:332
	s_waitcnt vmcnt(20) lgkmcnt(0)
	v_fma_f64 v[87:88], v[97:98], v[89:90], v[87:88]
	buffer_load_dword v97, off, s[0:3], 0
	buffer_load_dword v98, off, s[0:3], 0 offset:4
	s_waitcnt vmcnt(17)
	v_fma_f64 v[99:100], v[99:100], v[91:92], v[87:88]
	ds_read2_b64 v[87:90], v0 offset0:75 offset1:76
	ds_read2_b64 v[91:94], v0 offset0:77 offset1:78
	s_waitcnt vmcnt(16) lgkmcnt(1)
	v_fma_f64 v[87:88], v[113:114], v[87:88], v[99:100]
	s_waitcnt vmcnt(15)
	v_fma_f64 v[87:88], v[111:112], v[89:90], v[87:88]
	s_waitcnt vmcnt(14) lgkmcnt(0)
	v_fma_f64 v[87:88], v[105:106], v[91:92], v[87:88]
	s_waitcnt vmcnt(9)
	v_fma_f64 v[99:100], v[107:108], v[93:94], v[87:88]
	ds_read2_b64 v[87:90], v0 offset0:79 offset1:80
	ds_read2_b64 v[91:94], v0 offset0:81 offset1:82
	s_waitcnt vmcnt(8) lgkmcnt(1)
	v_fma_f64 v[87:88], v[119:120], v[87:88], v[99:100]
	s_waitcnt vmcnt(7)
	v_fma_f64 v[87:88], v[117:118], v[89:90], v[87:88]
	ds_read_b64 v[89:90], v0 offset:664
	s_waitcnt vmcnt(6) lgkmcnt(1)
	v_fma_f64 v[87:88], v[115:116], v[91:92], v[87:88]
	s_waitcnt vmcnt(3)
	v_fma_f64 v[87:88], v[85:86], v[93:94], v[87:88]
	s_waitcnt vmcnt(2) lgkmcnt(0)
	v_fma_f64 v[87:88], v[95:96], v[89:90], v[87:88]
	s_waitcnt vmcnt(0)
	v_add_f64 v[87:88], v[97:98], -v[87:88]
	buffer_store_dword v88, off, s[0:3], 0 offset:4
	buffer_store_dword v87, off, s[0:3], 0
	s_cbranch_vccz .LBB105_342
; %bb.260:
	global_load_dword v0, v0, s[12:13] offset:160
	s_waitcnt vmcnt(0)
	v_add_u32_e32 v0, -1, v0
	v_cmp_ne_u32_e32 vcc, 40, v0
	s_cbranch_vccz .LBB105_262
; %bb.261:
	v_lshlrev_b32_e32 v0, 3, v0
	buffer_load_dword v87, v0, s[0:3], 0 offen offset:4
	buffer_load_dword v88, v0, s[0:3], 0 offen
	s_waitcnt vmcnt(1)
	buffer_store_dword v87, off, s[0:3], 0 offset:324
	s_waitcnt vmcnt(1)
	buffer_store_dword v88, off, s[0:3], 0 offset:320
	buffer_store_dword v86, v0, s[0:3], 0 offen offset:4
	buffer_store_dword v85, v0, s[0:3], 0 offen
.LBB105_262:
	v_mov_b32_e32 v0, 0
	global_load_dword v85, v0, s[12:13] offset:156
	s_waitcnt vmcnt(0)
	v_add_u32_e32 v85, -1, v85
	v_cmp_eq_u32_e32 vcc, 39, v85
	s_cbranch_vccnz .LBB105_264
; %bb.263:
	v_lshlrev_b32_e32 v85, 3, v85
	buffer_load_dword v86, v85, s[0:3], 0 offen
	buffer_load_dword v87, v85, s[0:3], 0 offen offset:4
	buffer_load_dword v88, off, s[0:3], 0 offset:312
	buffer_load_dword v89, off, s[0:3], 0 offset:316
	s_waitcnt vmcnt(3)
	buffer_store_dword v86, off, s[0:3], 0 offset:312
	s_waitcnt vmcnt(3)
	buffer_store_dword v87, off, s[0:3], 0 offset:316
	s_waitcnt vmcnt(3)
	buffer_store_dword v88, v85, s[0:3], 0 offen
	s_waitcnt vmcnt(3)
	buffer_store_dword v89, v85, s[0:3], 0 offen offset:4
.LBB105_264:
	global_load_dword v0, v0, s[12:13] offset:152
	s_waitcnt vmcnt(0)
	v_add_u32_e32 v0, -1, v0
	v_cmp_eq_u32_e32 vcc, 38, v0
	s_cbranch_vccnz .LBB105_266
; %bb.265:
	v_lshlrev_b32_e32 v0, 3, v0
	buffer_load_dword v85, v0, s[0:3], 0 offen
	buffer_load_dword v86, v0, s[0:3], 0 offen offset:4
	buffer_load_dword v87, off, s[0:3], 0 offset:308
	buffer_load_dword v88, off, s[0:3], 0 offset:304
	s_waitcnt vmcnt(3)
	buffer_store_dword v85, off, s[0:3], 0 offset:304
	s_waitcnt vmcnt(3)
	buffer_store_dword v86, off, s[0:3], 0 offset:308
	s_waitcnt vmcnt(3)
	buffer_store_dword v87, v0, s[0:3], 0 offen offset:4
	s_waitcnt vmcnt(3)
	buffer_store_dword v88, v0, s[0:3], 0 offen
.LBB105_266:
	v_mov_b32_e32 v0, 0
	global_load_dword v85, v0, s[12:13] offset:148
	s_waitcnt vmcnt(0)
	v_add_u32_e32 v85, -1, v85
	v_cmp_eq_u32_e32 vcc, 37, v85
	s_cbranch_vccnz .LBB105_268
; %bb.267:
	v_lshlrev_b32_e32 v85, 3, v85
	buffer_load_dword v86, v85, s[0:3], 0 offen
	buffer_load_dword v87, v85, s[0:3], 0 offen offset:4
	buffer_load_dword v88, off, s[0:3], 0 offset:296
	buffer_load_dword v89, off, s[0:3], 0 offset:300
	s_waitcnt vmcnt(3)
	buffer_store_dword v86, off, s[0:3], 0 offset:296
	s_waitcnt vmcnt(3)
	buffer_store_dword v87, off, s[0:3], 0 offset:300
	s_waitcnt vmcnt(3)
	buffer_store_dword v88, v85, s[0:3], 0 offen
	s_waitcnt vmcnt(3)
	buffer_store_dword v89, v85, s[0:3], 0 offen offset:4
.LBB105_268:
	global_load_dword v0, v0, s[12:13] offset:144
	s_waitcnt vmcnt(0)
	v_add_u32_e32 v0, -1, v0
	v_cmp_eq_u32_e32 vcc, 36, v0
	s_cbranch_vccnz .LBB105_270
; %bb.269:
	v_lshlrev_b32_e32 v0, 3, v0
	buffer_load_dword v85, v0, s[0:3], 0 offen
	buffer_load_dword v86, v0, s[0:3], 0 offen offset:4
	buffer_load_dword v87, off, s[0:3], 0 offset:292
	buffer_load_dword v88, off, s[0:3], 0 offset:288
	s_waitcnt vmcnt(3)
	buffer_store_dword v85, off, s[0:3], 0 offset:288
	s_waitcnt vmcnt(3)
	buffer_store_dword v86, off, s[0:3], 0 offset:292
	s_waitcnt vmcnt(3)
	buffer_store_dword v87, v0, s[0:3], 0 offen offset:4
	s_waitcnt vmcnt(3)
	buffer_store_dword v88, v0, s[0:3], 0 offen
.LBB105_270:
	;; [unrolled: 41-line block ×19, first 2 shown]
	v_mov_b32_e32 v0, 0
	global_load_dword v85, v0, s[12:13] offset:4
	s_waitcnt vmcnt(0)
	v_add_u32_e32 v85, -1, v85
	v_cmp_eq_u32_e32 vcc, 1, v85
	s_cbranch_vccnz .LBB105_340
; %bb.339:
	v_lshlrev_b32_e32 v85, 3, v85
	buffer_load_dword v86, v85, s[0:3], 0 offen
	buffer_load_dword v87, v85, s[0:3], 0 offen offset:4
	buffer_load_dword v88, off, s[0:3], 0 offset:8
	buffer_load_dword v89, off, s[0:3], 0 offset:12
	s_waitcnt vmcnt(3)
	buffer_store_dword v86, off, s[0:3], 0 offset:8
	s_waitcnt vmcnt(3)
	buffer_store_dword v87, off, s[0:3], 0 offset:12
	s_waitcnt vmcnt(3)
	buffer_store_dword v88, v85, s[0:3], 0 offen
	s_waitcnt vmcnt(3)
	buffer_store_dword v89, v85, s[0:3], 0 offen offset:4
.LBB105_340:
	global_load_dword v0, v0, s[12:13]
	s_nop 0
	buffer_load_dword v87, off, s[0:3], 0
	buffer_load_dword v88, off, s[0:3], 0 offset:4
	s_waitcnt vmcnt(2)
	v_add_u32_e32 v0, -1, v0
	v_cmp_eq_u32_e32 vcc, 0, v0
	s_cbranch_vccnz .LBB105_342
; %bb.341:
	v_lshlrev_b32_e32 v0, 3, v0
	buffer_load_dword v85, v0, s[0:3], 0 offen offset:4
	buffer_load_dword v86, v0, s[0:3], 0 offen
	s_waitcnt vmcnt(1)
	buffer_store_dword v85, off, s[0:3], 0 offset:4
	s_waitcnt vmcnt(1)
	buffer_store_dword v86, off, s[0:3], 0
	buffer_store_dword v88, v0, s[0:3], 0 offen offset:4
	buffer_store_dword v87, v0, s[0:3], 0 offen
	buffer_load_dword v87, off, s[0:3], 0
	s_nop 0
	buffer_load_dword v88, off, s[0:3], 0 offset:4
.LBB105_342:
	s_waitcnt vmcnt(0)
	flat_store_dwordx2 v[1:2], v[87:88]
	buffer_load_dword v0, off, s[0:3], 0 offset:8
	s_nop 0
	buffer_load_dword v1, off, s[0:3], 0 offset:12
	s_waitcnt vmcnt(0)
	flat_store_dwordx2 v[3:4], v[0:1]
	buffer_load_dword v0, off, s[0:3], 0 offset:16
	s_nop 0
	buffer_load_dword v1, off, s[0:3], 0 offset:20
	;; [unrolled: 5-line block ×41, first 2 shown]
	s_waitcnt vmcnt(0)
	flat_store_dwordx2 v[83:84], v[0:1]
	s_endpgm
	.section	.rodata,"a",@progbits
	.p2align	6, 0x0
	.amdhsa_kernel _ZN9rocsolver6v33100L18getri_kernel_smallILi42EdPKPdEEvT1_iilPiilS6_bb
		.amdhsa_group_segment_fixed_size 680
		.amdhsa_private_segment_fixed_size 352
		.amdhsa_kernarg_size 60
		.amdhsa_user_sgpr_count 6
		.amdhsa_user_sgpr_private_segment_buffer 1
		.amdhsa_user_sgpr_dispatch_ptr 0
		.amdhsa_user_sgpr_queue_ptr 0
		.amdhsa_user_sgpr_kernarg_segment_ptr 1
		.amdhsa_user_sgpr_dispatch_id 0
		.amdhsa_user_sgpr_flat_scratch_init 0
		.amdhsa_user_sgpr_private_segment_size 0
		.amdhsa_uses_dynamic_stack 0
		.amdhsa_system_sgpr_private_segment_wavefront_offset 1
		.amdhsa_system_sgpr_workgroup_id_x 1
		.amdhsa_system_sgpr_workgroup_id_y 0
		.amdhsa_system_sgpr_workgroup_id_z 0
		.amdhsa_system_sgpr_workgroup_info 0
		.amdhsa_system_vgpr_workitem_id 0
		.amdhsa_next_free_vgpr 121
		.amdhsa_next_free_sgpr 21
		.amdhsa_reserve_vcc 1
		.amdhsa_reserve_flat_scratch 0
		.amdhsa_float_round_mode_32 0
		.amdhsa_float_round_mode_16_64 0
		.amdhsa_float_denorm_mode_32 3
		.amdhsa_float_denorm_mode_16_64 3
		.amdhsa_dx10_clamp 1
		.amdhsa_ieee_mode 1
		.amdhsa_fp16_overflow 0
		.amdhsa_exception_fp_ieee_invalid_op 0
		.amdhsa_exception_fp_denorm_src 0
		.amdhsa_exception_fp_ieee_div_zero 0
		.amdhsa_exception_fp_ieee_overflow 0
		.amdhsa_exception_fp_ieee_underflow 0
		.amdhsa_exception_fp_ieee_inexact 0
		.amdhsa_exception_int_div_zero 0
	.end_amdhsa_kernel
	.section	.text._ZN9rocsolver6v33100L18getri_kernel_smallILi42EdPKPdEEvT1_iilPiilS6_bb,"axG",@progbits,_ZN9rocsolver6v33100L18getri_kernel_smallILi42EdPKPdEEvT1_iilPiilS6_bb,comdat
.Lfunc_end105:
	.size	_ZN9rocsolver6v33100L18getri_kernel_smallILi42EdPKPdEEvT1_iilPiilS6_bb, .Lfunc_end105-_ZN9rocsolver6v33100L18getri_kernel_smallILi42EdPKPdEEvT1_iilPiilS6_bb
                                        ; -- End function
	.set _ZN9rocsolver6v33100L18getri_kernel_smallILi42EdPKPdEEvT1_iilPiilS6_bb.num_vgpr, 121
	.set _ZN9rocsolver6v33100L18getri_kernel_smallILi42EdPKPdEEvT1_iilPiilS6_bb.num_agpr, 0
	.set _ZN9rocsolver6v33100L18getri_kernel_smallILi42EdPKPdEEvT1_iilPiilS6_bb.numbered_sgpr, 21
	.set _ZN9rocsolver6v33100L18getri_kernel_smallILi42EdPKPdEEvT1_iilPiilS6_bb.num_named_barrier, 0
	.set _ZN9rocsolver6v33100L18getri_kernel_smallILi42EdPKPdEEvT1_iilPiilS6_bb.private_seg_size, 352
	.set _ZN9rocsolver6v33100L18getri_kernel_smallILi42EdPKPdEEvT1_iilPiilS6_bb.uses_vcc, 1
	.set _ZN9rocsolver6v33100L18getri_kernel_smallILi42EdPKPdEEvT1_iilPiilS6_bb.uses_flat_scratch, 0
	.set _ZN9rocsolver6v33100L18getri_kernel_smallILi42EdPKPdEEvT1_iilPiilS6_bb.has_dyn_sized_stack, 0
	.set _ZN9rocsolver6v33100L18getri_kernel_smallILi42EdPKPdEEvT1_iilPiilS6_bb.has_recursion, 0
	.set _ZN9rocsolver6v33100L18getri_kernel_smallILi42EdPKPdEEvT1_iilPiilS6_bb.has_indirect_call, 0
	.section	.AMDGPU.csdata,"",@progbits
; Kernel info:
; codeLenInByte = 48532
; TotalNumSgprs: 25
; NumVgprs: 121
; ScratchSize: 352
; MemoryBound: 1
; FloatMode: 240
; IeeeMode: 1
; LDSByteSize: 680 bytes/workgroup (compile time only)
; SGPRBlocks: 3
; VGPRBlocks: 30
; NumSGPRsForWavesPerEU: 25
; NumVGPRsForWavesPerEU: 121
; Occupancy: 2
; WaveLimiterHint : 1
; COMPUTE_PGM_RSRC2:SCRATCH_EN: 1
; COMPUTE_PGM_RSRC2:USER_SGPR: 6
; COMPUTE_PGM_RSRC2:TRAP_HANDLER: 0
; COMPUTE_PGM_RSRC2:TGID_X_EN: 1
; COMPUTE_PGM_RSRC2:TGID_Y_EN: 0
; COMPUTE_PGM_RSRC2:TGID_Z_EN: 0
; COMPUTE_PGM_RSRC2:TIDIG_COMP_CNT: 0
	.section	.text._ZN9rocsolver6v33100L18getri_kernel_smallILi43EdPKPdEEvT1_iilPiilS6_bb,"axG",@progbits,_ZN9rocsolver6v33100L18getri_kernel_smallILi43EdPKPdEEvT1_iilPiilS6_bb,comdat
	.globl	_ZN9rocsolver6v33100L18getri_kernel_smallILi43EdPKPdEEvT1_iilPiilS6_bb ; -- Begin function _ZN9rocsolver6v33100L18getri_kernel_smallILi43EdPKPdEEvT1_iilPiilS6_bb
	.p2align	8
	.type	_ZN9rocsolver6v33100L18getri_kernel_smallILi43EdPKPdEEvT1_iilPiilS6_bb,@function
_ZN9rocsolver6v33100L18getri_kernel_smallILi43EdPKPdEEvT1_iilPiilS6_bb: ; @_ZN9rocsolver6v33100L18getri_kernel_smallILi43EdPKPdEEvT1_iilPiilS6_bb
; %bb.0:
	s_add_u32 s0, s0, s7
	s_addc_u32 s1, s1, 0
	v_cmp_gt_u32_e32 vcc, 43, v0
	s_and_saveexec_b64 s[8:9], vcc
	s_cbranch_execz .LBB106_180
; %bb.1:
	s_load_dword s18, s[4:5], 0x38
	s_load_dwordx2 s[12:13], s[4:5], 0x0
	s_load_dwordx4 s[8:11], s[4:5], 0x28
	s_waitcnt lgkmcnt(0)
	s_bitcmp1_b32 s18, 8
	s_cselect_b64 s[14:15], -1, 0
	s_ashr_i32 s7, s6, 31
	s_lshl_b64 s[16:17], s[6:7], 3
	s_add_u32 s12, s12, s16
	s_addc_u32 s13, s13, s17
	s_load_dwordx2 s[16:17], s[12:13], 0x0
	s_bfe_u32 s12, s18, 0x10008
	s_cmp_eq_u32 s12, 0
                                        ; implicit-def: $sgpr12_sgpr13
	s_cbranch_scc1 .LBB106_3
; %bb.2:
	s_load_dword s12, s[4:5], 0x20
	s_load_dwordx2 s[18:19], s[4:5], 0x18
	s_mul_i32 s13, s8, s7
	s_mul_hi_u32 s20, s8, s6
	s_add_i32 s20, s20, s13
	s_mul_i32 s9, s9, s6
	s_add_i32 s9, s20, s9
	s_mul_i32 s8, s8, s6
	s_waitcnt lgkmcnt(0)
	s_ashr_i32 s13, s12, 31
	s_lshl_b64 s[8:9], s[8:9], 2
	s_add_u32 s18, s18, s8
	s_addc_u32 s19, s19, s9
	s_lshl_b64 s[8:9], s[12:13], 2
	s_add_u32 s12, s18, s8
	s_addc_u32 s13, s19, s9
.LBB106_3:
	s_load_dwordx2 s[8:9], s[4:5], 0x8
	v_lshlrev_b32_e32 v89, 3, v0
	s_load_dword s4, s[4:5], 0x38
	s_waitcnt lgkmcnt(0)
	s_ashr_i32 s19, s8, 31
	s_mov_b32 s18, s8
	s_lshl_b64 s[18:19], s[18:19], 3
	s_add_u32 s5, s16, s18
	s_addc_u32 s8, s17, s19
	v_mov_b32_e32 v2, s8
	v_add_co_u32_e32 v1, vcc, s5, v89
	v_addc_co_u32_e32 v2, vcc, 0, v2, vcc
	flat_load_dwordx2 v[5:6], v[1:2]
	s_mov_b32 s16, s9
	s_ashr_i32 s17, s9, 31
	s_lshl_b64 s[16:17], s[16:17], 3
	v_mov_b32_e32 v4, s17
	v_add_co_u32_e32 v3, vcc, s16, v1
	v_addc_co_u32_e32 v4, vcc, v2, v4, vcc
	s_add_i32 s16, s9, s9
	v_add_u32_e32 v9, s16, v0
	v_ashrrev_i32_e32 v10, 31, v9
	v_mov_b32_e32 v11, s8
	v_add_u32_e32 v12, s9, v9
	v_ashrrev_i32_e32 v13, 31, v12
	v_mov_b32_e32 v14, s8
	v_mov_b32_e32 v15, s8
	;; [unrolled: 1-line block ×39, first 2 shown]
	s_bitcmp0_b32 s4, 0
	s_waitcnt vmcnt(0) lgkmcnt(0)
	buffer_store_dword v6, off, s[0:3], 0 offset:4
	buffer_store_dword v5, off, s[0:3], 0
	flat_load_dwordx2 v[7:8], v[3:4]
	v_lshlrev_b64 v[5:6], 3, v[9:10]
	s_waitcnt vmcnt(0) lgkmcnt(0)
	buffer_store_dword v8, off, s[0:3], 0 offset:12
	buffer_store_dword v7, off, s[0:3], 0 offset:8
	v_add_co_u32_e32 v5, vcc, s5, v5
	v_addc_co_u32_e32 v6, vcc, v11, v6, vcc
	flat_load_dwordx2 v[10:11], v[5:6]
	v_lshlrev_b64 v[7:8], 3, v[12:13]
	s_waitcnt vmcnt(0) lgkmcnt(0)
	buffer_store_dword v11, off, s[0:3], 0 offset:20
	buffer_store_dword v10, off, s[0:3], 0 offset:16
	v_add_co_u32_e32 v7, vcc, s5, v7
	v_addc_co_u32_e32 v8, vcc, v14, v8, vcc
	flat_load_dwordx2 v[13:14], v[7:8]
	v_add_u32_e32 v11, s9, v12
	v_ashrrev_i32_e32 v12, 31, v11
	v_lshlrev_b64 v[9:10], 3, v[11:12]
	s_waitcnt vmcnt(0) lgkmcnt(0)
	buffer_store_dword v14, off, s[0:3], 0 offset:28
	buffer_store_dword v13, off, s[0:3], 0 offset:24
	v_add_co_u32_e32 v9, vcc, s5, v9
	v_addc_co_u32_e32 v10, vcc, v15, v10, vcc
	flat_load_dwordx2 v[13:14], v[9:10]
	v_add_u32_e32 v15, s9, v11
	v_ashrrev_i32_e32 v16, 31, v15
	v_lshlrev_b64 v[11:12], 3, v[15:16]
	v_add_u32_e32 v18, s9, v15
	v_add_co_u32_e32 v11, vcc, s5, v11
	v_addc_co_u32_e32 v12, vcc, v17, v12, vcc
	v_ashrrev_i32_e32 v19, 31, v18
	s_waitcnt vmcnt(0) lgkmcnt(0)
	buffer_store_dword v14, off, s[0:3], 0 offset:36
	buffer_store_dword v13, off, s[0:3], 0 offset:32
	flat_load_dwordx2 v[16:17], v[11:12]
	v_lshlrev_b64 v[13:14], 3, v[18:19]
	s_waitcnt vmcnt(0) lgkmcnt(0)
	buffer_store_dword v17, off, s[0:3], 0 offset:44
	buffer_store_dword v16, off, s[0:3], 0 offset:40
	v_add_co_u32_e32 v13, vcc, s5, v13
	v_addc_co_u32_e32 v14, vcc, v20, v14, vcc
	flat_load_dwordx2 v[19:20], v[13:14]
	v_add_u32_e32 v17, s9, v18
	v_ashrrev_i32_e32 v18, 31, v17
	v_lshlrev_b64 v[15:16], 3, v[17:18]
	s_waitcnt vmcnt(0) lgkmcnt(0)
	buffer_store_dword v20, off, s[0:3], 0 offset:52
	buffer_store_dword v19, off, s[0:3], 0 offset:48
	v_add_co_u32_e32 v15, vcc, s5, v15
	v_addc_co_u32_e32 v16, vcc, v21, v16, vcc
	flat_load_dwordx2 v[19:20], v[15:16]
	v_add_u32_e32 v21, s9, v17
	v_ashrrev_i32_e32 v22, 31, v21
	v_lshlrev_b64 v[17:18], 3, v[21:22]
	v_add_u32_e32 v24, s9, v21
	v_add_co_u32_e32 v17, vcc, s5, v17
	v_addc_co_u32_e32 v18, vcc, v23, v18, vcc
	v_ashrrev_i32_e32 v25, 31, v24
	s_waitcnt vmcnt(0) lgkmcnt(0)
	buffer_store_dword v20, off, s[0:3], 0 offset:60
	buffer_store_dword v19, off, s[0:3], 0 offset:56
	;; [unrolled: 27-line block ×7, first 2 shown]
	flat_load_dwordx2 v[52:53], v[47:48]
	v_lshlrev_b64 v[49:50], 3, v[54:55]
	s_waitcnt vmcnt(0) lgkmcnt(0)
	buffer_store_dword v53, off, s[0:3], 0 offset:188
	buffer_store_dword v52, off, s[0:3], 0 offset:184
	v_add_co_u32_e32 v49, vcc, s5, v49
	v_addc_co_u32_e32 v50, vcc, v56, v50, vcc
	flat_load_dwordx2 v[55:56], v[49:50]
	v_add_u32_e32 v53, s9, v54
	v_ashrrev_i32_e32 v54, 31, v53
	v_lshlrev_b64 v[51:52], 3, v[53:54]
	s_waitcnt vmcnt(0) lgkmcnt(0)
	buffer_store_dword v56, off, s[0:3], 0 offset:196
	buffer_store_dword v55, off, s[0:3], 0 offset:192
	v_add_co_u32_e32 v51, vcc, s5, v51
	v_addc_co_u32_e32 v52, vcc, v57, v52, vcc
	flat_load_dwordx2 v[55:56], v[51:52]
	v_add_u32_e32 v57, s9, v53
	v_ashrrev_i32_e32 v58, 31, v57
	v_lshlrev_b64 v[53:54], 3, v[57:58]
	v_add_u32_e32 v60, s9, v57
	v_add_co_u32_e32 v53, vcc, s5, v53
	v_addc_co_u32_e32 v54, vcc, v59, v54, vcc
	s_waitcnt vmcnt(0) lgkmcnt(0)
	buffer_store_dword v56, off, s[0:3], 0 offset:204
	buffer_store_dword v55, off, s[0:3], 0 offset:200
	flat_load_dwordx2 v[58:59], v[53:54]
	v_ashrrev_i32_e32 v61, 31, v60
	v_lshlrev_b64 v[55:56], 3, v[60:61]
	s_waitcnt vmcnt(0) lgkmcnt(0)
	buffer_store_dword v59, off, s[0:3], 0 offset:212
	buffer_store_dword v58, off, s[0:3], 0 offset:208
	v_add_co_u32_e32 v55, vcc, s5, v55
	v_addc_co_u32_e32 v56, vcc, v62, v56, vcc
	flat_load_dwordx2 v[61:62], v[55:56]
	v_add_u32_e32 v59, s9, v60
	v_ashrrev_i32_e32 v60, 31, v59
	v_lshlrev_b64 v[57:58], 3, v[59:60]
	s_waitcnt vmcnt(0) lgkmcnt(0)
	buffer_store_dword v62, off, s[0:3], 0 offset:220
	buffer_store_dword v61, off, s[0:3], 0 offset:216
	v_add_co_u32_e32 v57, vcc, s5, v57
	v_addc_co_u32_e32 v58, vcc, v63, v58, vcc
	flat_load_dwordx2 v[61:62], v[57:58]
	v_add_u32_e32 v63, s9, v59
	;; [unrolled: 9-line block ×15, first 2 shown]
	v_ashrrev_i32_e32 v86, 31, v85
	v_lshlrev_b64 v[85:86], 3, v[85:86]
	v_mov_b32_e32 v88, s8
	v_add_co_u32_e32 v85, vcc, s5, v85
	v_addc_co_u32_e32 v86, vcc, v88, v86, vcc
	s_waitcnt vmcnt(0) lgkmcnt(0)
	buffer_store_dword v91, off, s[0:3], 0 offset:332
	buffer_store_dword v90, off, s[0:3], 0 offset:328
	flat_load_dwordx2 v[87:88], v[85:86]
	s_mov_b64 s[8:9], -1
	s_waitcnt vmcnt(0) lgkmcnt(0)
	buffer_store_dword v88, off, s[0:3], 0 offset:340
	buffer_store_dword v87, off, s[0:3], 0 offset:336
	s_cbranch_scc1 .LBB106_178
; %bb.4:
	v_cmp_eq_u32_e64 s[4:5], 0, v0
	s_and_saveexec_b64 s[8:9], s[4:5]
; %bb.5:
	v_mov_b32_e32 v87, 0
	ds_write_b32 v87, v87 offset:344
; %bb.6:
	s_or_b64 exec, exec, s[8:9]
	v_mov_b32_e32 v87, 0
	v_lshl_add_u32 v87, v0, 3, v87
	s_waitcnt lgkmcnt(0)
	; wave barrier
	buffer_load_dword v90, v87, s[0:3], 0 offen
	buffer_load_dword v91, v87, s[0:3], 0 offen offset:4
	s_waitcnt vmcnt(0)
	v_cmp_eq_f64_e32 vcc, 0, v[90:91]
	s_and_saveexec_b64 s[16:17], vcc
	s_cbranch_execz .LBB106_10
; %bb.7:
	v_mov_b32_e32 v88, 0
	ds_read_b32 v91, v88 offset:344
	v_add_u32_e32 v90, 1, v0
	s_waitcnt lgkmcnt(0)
	v_readfirstlane_b32 s8, v91
	s_cmp_eq_u32 s8, 0
	s_cselect_b64 s[18:19], -1, 0
	v_cmp_gt_i32_e32 vcc, s8, v90
	s_or_b64 s[18:19], s[18:19], vcc
	s_and_b64 exec, exec, s[18:19]
	s_cbranch_execz .LBB106_10
; %bb.8:
	s_mov_b64 s[18:19], 0
	v_mov_b32_e32 v91, s8
.LBB106_9:                              ; =>This Inner Loop Header: Depth=1
	ds_cmpst_rtn_b32 v91, v88, v91, v90 offset:344
	s_waitcnt lgkmcnt(0)
	v_cmp_ne_u32_e32 vcc, 0, v91
	v_cmp_le_i32_e64 s[8:9], v91, v90
	s_and_b64 s[8:9], vcc, s[8:9]
	s_and_b64 s[8:9], exec, s[8:9]
	s_or_b64 s[18:19], s[8:9], s[18:19]
	s_andn2_b64 exec, exec, s[18:19]
	s_cbranch_execnz .LBB106_9
.LBB106_10:
	s_or_b64 exec, exec, s[16:17]
	v_mov_b32_e32 v90, 0
	; wave barrier
	ds_read_b32 v88, v90 offset:344
	s_and_saveexec_b64 s[8:9], s[4:5]
	s_cbranch_execz .LBB106_12
; %bb.11:
	s_lshl_b64 s[16:17], s[6:7], 2
	s_add_u32 s16, s10, s16
	s_addc_u32 s17, s11, s17
	s_waitcnt lgkmcnt(0)
	global_store_dword v90, v88, s[16:17]
.LBB106_12:
	s_or_b64 exec, exec, s[8:9]
	s_waitcnt lgkmcnt(0)
	v_cmp_ne_u32_e32 vcc, 0, v88
	s_mov_b64 s[8:9], 0
	s_cbranch_vccnz .LBB106_178
; %bb.13:
	buffer_load_dword v90, v87, s[0:3], 0 offen
	buffer_load_dword v91, v87, s[0:3], 0 offen offset:4
	s_waitcnt vmcnt(0)
	v_div_scale_f64 v[92:93], s[8:9], v[90:91], v[90:91], 1.0
	v_rcp_f64_e32 v[94:95], v[92:93]
	v_fma_f64 v[96:97], -v[92:93], v[94:95], 1.0
	v_fma_f64 v[94:95], v[94:95], v[96:97], v[94:95]
	v_div_scale_f64 v[96:97], vcc, 1.0, v[90:91], 1.0
	v_fma_f64 v[98:99], -v[92:93], v[94:95], 1.0
	v_fma_f64 v[94:95], v[94:95], v[98:99], v[94:95]
	v_mul_f64 v[98:99], v[96:97], v[94:95]
	v_fma_f64 v[92:93], -v[92:93], v[98:99], v[96:97]
	v_div_fmas_f64 v[92:93], v[92:93], v[94:95], v[98:99]
	v_div_fixup_f64 v[91:92], v[92:93], v[90:91], 1.0
	v_add_u32_e32 v90, 0x160, v89
	buffer_store_dword v92, v87, s[0:3], 0 offen offset:4
	buffer_store_dword v91, v87, s[0:3], 0 offen
	buffer_load_dword v94, off, s[0:3], 0 offset:12
	buffer_load_dword v93, off, s[0:3], 0 offset:8
	v_xor_b32_e32 v92, 0x80000000, v92
	s_waitcnt vmcnt(0)
	ds_write2_b64 v89, v[91:92], v[93:94] offset1:44
	s_waitcnt lgkmcnt(0)
	; wave barrier
	s_and_saveexec_b64 s[8:9], s[4:5]
	s_cbranch_execz .LBB106_15
; %bb.14:
	buffer_load_dword v91, v87, s[0:3], 0 offen
	buffer_load_dword v92, v87, s[0:3], 0 offen offset:4
	ds_read_b64 v[93:94], v90
	v_mov_b32_e32 v88, 0
	ds_read_b64 v[95:96], v88 offset:8
	s_waitcnt vmcnt(0) lgkmcnt(1)
	v_fma_f64 v[91:92], v[91:92], v[93:94], 0
	s_waitcnt lgkmcnt(0)
	v_mul_f64 v[91:92], v[91:92], v[95:96]
	buffer_store_dword v91, off, s[0:3], 0 offset:8
	buffer_store_dword v92, off, s[0:3], 0 offset:12
.LBB106_15:
	s_or_b64 exec, exec, s[8:9]
	; wave barrier
	buffer_load_dword v91, off, s[0:3], 0 offset:16
	buffer_load_dword v92, off, s[0:3], 0 offset:20
	v_cmp_gt_u32_e32 vcc, 2, v0
	s_waitcnt vmcnt(0)
	ds_write_b64 v90, v[91:92]
	s_waitcnt lgkmcnt(0)
	; wave barrier
	s_and_saveexec_b64 s[8:9], vcc
	s_cbranch_execz .LBB106_17
; %bb.16:
	buffer_load_dword v91, v87, s[0:3], 0 offen
	buffer_load_dword v92, v87, s[0:3], 0 offen offset:4
                                        ; kill: killed $vgpr87
	s_nop 0
	buffer_load_dword v87, off, s[0:3], 0 offset:8
	buffer_load_dword v88, off, s[0:3], 0 offset:12
	ds_read_b64 v[93:94], v90
	s_waitcnt vmcnt(2) lgkmcnt(0)
	v_fma_f64 v[95:96], v[91:92], v[93:94], 0
	v_mov_b32_e32 v91, 0
	ds_read2_b64 v[91:94], v91 offset0:2 offset1:45
	s_waitcnt vmcnt(0) lgkmcnt(0)
	v_fma_f64 v[87:88], v[87:88], v[93:94], v[95:96]
	v_cndmask_b32_e64 v88, v96, v88, s[4:5]
	v_cndmask_b32_e64 v87, v95, v87, s[4:5]
	v_mul_f64 v[87:88], v[87:88], v[91:92]
	buffer_store_dword v88, off, s[0:3], 0 offset:20
	buffer_store_dword v87, off, s[0:3], 0 offset:16
.LBB106_17:
	s_or_b64 exec, exec, s[8:9]
	; wave barrier
	buffer_load_dword v87, off, s[0:3], 0 offset:24
	buffer_load_dword v88, off, s[0:3], 0 offset:28
	v_cmp_gt_u32_e32 vcc, 3, v0
	v_add_u32_e32 v91, -1, v0
	s_waitcnt vmcnt(0)
	ds_write_b64 v90, v[87:88]
	s_waitcnt lgkmcnt(0)
	; wave barrier
	s_and_saveexec_b64 s[4:5], vcc
	s_cbranch_execz .LBB106_21
; %bb.18:
	v_mov_b32_e32 v87, 0
	v_add_u32_e32 v92, -1, v0
	v_add_u32_e32 v93, 0x160, v89
	v_mov_b32_e32 v94, v89
	v_mov_b32_e32 v88, 0
	s_mov_b64 s[8:9], 0
.LBB106_19:                             ; =>This Inner Loop Header: Depth=1
	buffer_load_dword v95, v94, s[0:3], 0 offen
	buffer_load_dword v96, v94, s[0:3], 0 offen offset:4
	ds_read_b64 v[97:98], v93
	v_add_u32_e32 v92, 1, v92
	v_cmp_lt_u32_e32 vcc, 1, v92
	v_add_u32_e32 v93, 8, v93
	s_or_b64 s[8:9], vcc, s[8:9]
	v_add_u32_e32 v94, 8, v94
	s_waitcnt vmcnt(0) lgkmcnt(0)
	v_fma_f64 v[87:88], v[95:96], v[97:98], v[87:88]
	s_andn2_b64 exec, exec, s[8:9]
	s_cbranch_execnz .LBB106_19
; %bb.20:
	s_or_b64 exec, exec, s[8:9]
	v_mov_b32_e32 v92, 0
	ds_read_b64 v[92:93], v92 offset:24
	s_waitcnt lgkmcnt(0)
	v_mul_f64 v[87:88], v[87:88], v[92:93]
	buffer_store_dword v88, off, s[0:3], 0 offset:28
	buffer_store_dword v87, off, s[0:3], 0 offset:24
.LBB106_21:
	s_or_b64 exec, exec, s[4:5]
	; wave barrier
	buffer_load_dword v87, off, s[0:3], 0 offset:32
	buffer_load_dword v88, off, s[0:3], 0 offset:36
	v_cmp_gt_u32_e32 vcc, 4, v0
	s_waitcnt vmcnt(0)
	ds_write_b64 v90, v[87:88]
	s_waitcnt lgkmcnt(0)
	; wave barrier
	s_and_saveexec_b64 s[4:5], vcc
	s_cbranch_execz .LBB106_25
; %bb.22:
	v_mov_b32_e32 v87, 0
	v_add_u32_e32 v92, -1, v0
	v_add_u32_e32 v93, 0x160, v89
	v_mov_b32_e32 v94, v89
	v_mov_b32_e32 v88, 0
	s_mov_b64 s[8:9], 0
.LBB106_23:                             ; =>This Inner Loop Header: Depth=1
	buffer_load_dword v95, v94, s[0:3], 0 offen
	buffer_load_dword v96, v94, s[0:3], 0 offen offset:4
	ds_read_b64 v[97:98], v93
	v_add_u32_e32 v92, 1, v92
	v_cmp_lt_u32_e32 vcc, 2, v92
	v_add_u32_e32 v93, 8, v93
	s_or_b64 s[8:9], vcc, s[8:9]
	v_add_u32_e32 v94, 8, v94
	s_waitcnt vmcnt(0) lgkmcnt(0)
	v_fma_f64 v[87:88], v[95:96], v[97:98], v[87:88]
	s_andn2_b64 exec, exec, s[8:9]
	s_cbranch_execnz .LBB106_23
; %bb.24:
	s_or_b64 exec, exec, s[8:9]
	v_mov_b32_e32 v92, 0
	ds_read_b64 v[92:93], v92 offset:32
	s_waitcnt lgkmcnt(0)
	v_mul_f64 v[87:88], v[87:88], v[92:93]
	buffer_store_dword v88, off, s[0:3], 0 offset:36
	buffer_store_dword v87, off, s[0:3], 0 offset:32
.LBB106_25:
	s_or_b64 exec, exec, s[4:5]
	; wave barrier
	buffer_load_dword v87, off, s[0:3], 0 offset:40
	buffer_load_dword v88, off, s[0:3], 0 offset:44
	v_cmp_gt_u32_e32 vcc, 5, v0
	;; [unrolled: 40-line block ×21, first 2 shown]
	s_waitcnt vmcnt(0)
	ds_write_b64 v90, v[87:88]
	s_waitcnt lgkmcnt(0)
	; wave barrier
	s_and_saveexec_b64 s[4:5], vcc
	s_cbranch_execz .LBB106_105
; %bb.102:
	v_mov_b32_e32 v87, 0
	v_add_u32_e32 v92, -1, v0
	v_add_u32_e32 v93, 0x160, v89
	v_mov_b32_e32 v94, v89
	v_mov_b32_e32 v88, 0
	s_mov_b64 s[8:9], 0
.LBB106_103:                            ; =>This Inner Loop Header: Depth=1
	buffer_load_dword v95, v94, s[0:3], 0 offen
	buffer_load_dword v96, v94, s[0:3], 0 offen offset:4
	ds_read_b64 v[97:98], v93
	v_add_u32_e32 v92, 1, v92
	v_cmp_lt_u32_e32 vcc, 22, v92
	v_add_u32_e32 v93, 8, v93
	s_or_b64 s[8:9], vcc, s[8:9]
	v_add_u32_e32 v94, 8, v94
	s_waitcnt vmcnt(0) lgkmcnt(0)
	v_fma_f64 v[87:88], v[95:96], v[97:98], v[87:88]
	s_andn2_b64 exec, exec, s[8:9]
	s_cbranch_execnz .LBB106_103
; %bb.104:
	s_or_b64 exec, exec, s[8:9]
	v_mov_b32_e32 v92, 0
	ds_read_b64 v[92:93], v92 offset:192
	s_waitcnt lgkmcnt(0)
	v_mul_f64 v[87:88], v[87:88], v[92:93]
	buffer_store_dword v88, off, s[0:3], 0 offset:196
	buffer_store_dword v87, off, s[0:3], 0 offset:192
.LBB106_105:
	s_or_b64 exec, exec, s[4:5]
	; wave barrier
	buffer_load_dword v87, off, s[0:3], 0 offset:200
	buffer_load_dword v88, off, s[0:3], 0 offset:204
	v_cmp_gt_u32_e32 vcc, 25, v0
	s_waitcnt vmcnt(0)
	ds_write_b64 v90, v[87:88]
	s_waitcnt lgkmcnt(0)
	; wave barrier
	s_and_saveexec_b64 s[4:5], vcc
	s_cbranch_execz .LBB106_109
; %bb.106:
	v_mov_b32_e32 v87, 0
	v_add_u32_e32 v92, -1, v0
	v_add_u32_e32 v93, 0x160, v89
	v_mov_b32_e32 v94, v89
	v_mov_b32_e32 v88, 0
	s_mov_b64 s[8:9], 0
.LBB106_107:                            ; =>This Inner Loop Header: Depth=1
	buffer_load_dword v95, v94, s[0:3], 0 offen
	buffer_load_dword v96, v94, s[0:3], 0 offen offset:4
	ds_read_b64 v[97:98], v93
	v_add_u32_e32 v92, 1, v92
	v_cmp_lt_u32_e32 vcc, 23, v92
	v_add_u32_e32 v93, 8, v93
	s_or_b64 s[8:9], vcc, s[8:9]
	v_add_u32_e32 v94, 8, v94
	s_waitcnt vmcnt(0) lgkmcnt(0)
	v_fma_f64 v[87:88], v[95:96], v[97:98], v[87:88]
	s_andn2_b64 exec, exec, s[8:9]
	s_cbranch_execnz .LBB106_107
; %bb.108:
	s_or_b64 exec, exec, s[8:9]
	v_mov_b32_e32 v92, 0
	ds_read_b64 v[92:93], v92 offset:200
	s_waitcnt lgkmcnt(0)
	v_mul_f64 v[87:88], v[87:88], v[92:93]
	buffer_store_dword v88, off, s[0:3], 0 offset:204
	buffer_store_dword v87, off, s[0:3], 0 offset:200
.LBB106_109:
	s_or_b64 exec, exec, s[4:5]
	; wave barrier
	buffer_load_dword v87, off, s[0:3], 0 offset:208
	buffer_load_dword v88, off, s[0:3], 0 offset:212
	v_cmp_gt_u32_e32 vcc, 26, v0
	;; [unrolled: 40-line block ×17, first 2 shown]
	s_waitcnt vmcnt(0)
	ds_write_b64 v90, v[87:88]
	s_waitcnt lgkmcnt(0)
	; wave barrier
	s_and_saveexec_b64 s[4:5], vcc
	s_cbranch_execz .LBB106_173
; %bb.170:
	v_mov_b32_e32 v87, 0
	v_add_u32_e32 v92, -1, v0
	v_add_u32_e32 v93, 0x160, v89
	v_mov_b32_e32 v94, v89
	v_mov_b32_e32 v88, 0
	s_mov_b64 s[8:9], 0
.LBB106_171:                            ; =>This Inner Loop Header: Depth=1
	buffer_load_dword v95, v94, s[0:3], 0 offen
	buffer_load_dword v96, v94, s[0:3], 0 offen offset:4
	ds_read_b64 v[97:98], v93
	v_add_u32_e32 v92, 1, v92
	v_cmp_lt_u32_e32 vcc, 39, v92
	v_add_u32_e32 v93, 8, v93
	s_or_b64 s[8:9], vcc, s[8:9]
	v_add_u32_e32 v94, 8, v94
	s_waitcnt vmcnt(0) lgkmcnt(0)
	v_fma_f64 v[87:88], v[95:96], v[97:98], v[87:88]
	s_andn2_b64 exec, exec, s[8:9]
	s_cbranch_execnz .LBB106_171
; %bb.172:
	s_or_b64 exec, exec, s[8:9]
	v_mov_b32_e32 v92, 0
	ds_read_b64 v[92:93], v92 offset:328
	s_waitcnt lgkmcnt(0)
	v_mul_f64 v[87:88], v[87:88], v[92:93]
	buffer_store_dword v88, off, s[0:3], 0 offset:332
	buffer_store_dword v87, off, s[0:3], 0 offset:328
.LBB106_173:
	s_or_b64 exec, exec, s[4:5]
	; wave barrier
	buffer_load_dword v87, off, s[0:3], 0 offset:336
	buffer_load_dword v88, off, s[0:3], 0 offset:340
	v_cmp_ne_u32_e32 vcc, 42, v0
	s_waitcnt vmcnt(0)
	ds_write_b64 v90, v[87:88]
	s_waitcnt lgkmcnt(0)
	; wave barrier
	s_and_saveexec_b64 s[4:5], vcc
	s_cbranch_execz .LBB106_177
; %bb.174:
	v_mov_b32_e32 v87, 0
	v_add_u32_e32 v90, 0x160, v89
	v_mov_b32_e32 v88, 0
	s_mov_b64 s[8:9], 0
.LBB106_175:                            ; =>This Inner Loop Header: Depth=1
	buffer_load_dword v92, v89, s[0:3], 0 offen
	buffer_load_dword v93, v89, s[0:3], 0 offen offset:4
	ds_read_b64 v[94:95], v90
	v_add_u32_e32 v91, 1, v91
	v_cmp_lt_u32_e32 vcc, 40, v91
	v_add_u32_e32 v90, 8, v90
	s_or_b64 s[8:9], vcc, s[8:9]
	v_add_u32_e32 v89, 8, v89
	s_waitcnt vmcnt(0) lgkmcnt(0)
	v_fma_f64 v[87:88], v[92:93], v[94:95], v[87:88]
	s_andn2_b64 exec, exec, s[8:9]
	s_cbranch_execnz .LBB106_175
; %bb.176:
	s_or_b64 exec, exec, s[8:9]
	v_mov_b32_e32 v89, 0
	ds_read_b64 v[89:90], v89 offset:336
	s_waitcnt lgkmcnt(0)
	v_mul_f64 v[87:88], v[87:88], v[89:90]
	buffer_store_dword v88, off, s[0:3], 0 offset:340
	buffer_store_dword v87, off, s[0:3], 0 offset:336
.LBB106_177:
	s_or_b64 exec, exec, s[4:5]
	s_mov_b64 s[8:9], -1
	; wave barrier
.LBB106_178:
	s_and_b64 vcc, exec, s[8:9]
	s_cbranch_vccz .LBB106_180
; %bb.179:
	s_lshl_b64 s[4:5], s[6:7], 2
	s_add_u32 s4, s10, s4
	s_addc_u32 s5, s11, s5
	v_mov_b32_e32 v87, 0
	global_load_dword v87, v87, s[4:5]
	s_waitcnt vmcnt(0)
	v_cmp_ne_u32_e32 vcc, 0, v87
	s_cbranch_vccz .LBB106_181
.LBB106_180:
	s_endpgm
.LBB106_181:
	v_mov_b32_e32 v87, 0x160
	v_lshl_add_u32 v87, v0, 3, v87
	v_cmp_eq_u32_e32 vcc, 42, v0
	s_and_saveexec_b64 s[4:5], vcc
	s_cbranch_execz .LBB106_183
; %bb.182:
	buffer_load_dword v88, off, s[0:3], 0 offset:328
	buffer_load_dword v89, off, s[0:3], 0 offset:332
	v_mov_b32_e32 v90, 0
	buffer_store_dword v90, off, s[0:3], 0 offset:328
	buffer_store_dword v90, off, s[0:3], 0 offset:332
	s_waitcnt vmcnt(2)
	ds_write_b64 v87, v[88:89]
.LBB106_183:
	s_or_b64 exec, exec, s[4:5]
	s_waitcnt lgkmcnt(0)
	; wave barrier
	buffer_load_dword v89, off, s[0:3], 0 offset:336
	buffer_load_dword v90, off, s[0:3], 0 offset:340
	;; [unrolled: 1-line block ×4, first 2 shown]
	v_mov_b32_e32 v88, 0
	ds_read_b64 v[93:94], v88 offset:688
	v_cmp_lt_u32_e32 vcc, 40, v0
	s_waitcnt vmcnt(2) lgkmcnt(0)
	v_fma_f64 v[89:90], v[89:90], v[93:94], 0
	s_waitcnt vmcnt(0)
	v_add_f64 v[89:90], v[91:92], -v[89:90]
	buffer_store_dword v89, off, s[0:3], 0 offset:328
	buffer_store_dword v90, off, s[0:3], 0 offset:332
	s_and_saveexec_b64 s[4:5], vcc
	s_cbranch_execz .LBB106_185
; %bb.184:
	buffer_load_dword v89, off, s[0:3], 0 offset:320
	buffer_load_dword v90, off, s[0:3], 0 offset:324
	s_waitcnt vmcnt(0)
	ds_write_b64 v87, v[89:90]
	buffer_store_dword v88, off, s[0:3], 0 offset:320
	buffer_store_dword v88, off, s[0:3], 0 offset:324
.LBB106_185:
	s_or_b64 exec, exec, s[4:5]
	s_waitcnt lgkmcnt(0)
	; wave barrier
	buffer_load_dword v92, off, s[0:3], 0 offset:328
	buffer_load_dword v93, off, s[0:3], 0 offset:332
	buffer_load_dword v94, off, s[0:3], 0 offset:336
	buffer_load_dword v95, off, s[0:3], 0 offset:340
	buffer_load_dword v96, off, s[0:3], 0 offset:320
	buffer_load_dword v97, off, s[0:3], 0 offset:324
	ds_read2_b64 v[88:91], v88 offset0:85 offset1:86
	v_cmp_lt_u32_e32 vcc, 39, v0
	s_waitcnt vmcnt(4) lgkmcnt(0)
	v_fma_f64 v[88:89], v[92:93], v[88:89], 0
	s_waitcnt vmcnt(2)
	v_fma_f64 v[88:89], v[94:95], v[90:91], v[88:89]
	s_waitcnt vmcnt(0)
	v_add_f64 v[88:89], v[96:97], -v[88:89]
	buffer_store_dword v88, off, s[0:3], 0 offset:320
	buffer_store_dword v89, off, s[0:3], 0 offset:324
	s_and_saveexec_b64 s[4:5], vcc
	s_cbranch_execz .LBB106_187
; %bb.186:
	buffer_load_dword v88, off, s[0:3], 0 offset:312
	buffer_load_dword v89, off, s[0:3], 0 offset:316
	v_mov_b32_e32 v90, 0
	buffer_store_dword v90, off, s[0:3], 0 offset:312
	buffer_store_dword v90, off, s[0:3], 0 offset:316
	s_waitcnt vmcnt(2)
	ds_write_b64 v87, v[88:89]
.LBB106_187:
	s_or_b64 exec, exec, s[4:5]
	s_waitcnt lgkmcnt(0)
	; wave barrier
	buffer_load_dword v93, off, s[0:3], 0 offset:320
	buffer_load_dword v94, off, s[0:3], 0 offset:324
	;; [unrolled: 1-line block ×8, first 2 shown]
	v_mov_b32_e32 v88, 0
	ds_read_b128 v[89:92], v88 offset:672
	ds_read_b64 v[101:102], v88 offset:688
	v_cmp_lt_u32_e32 vcc, 38, v0
	s_waitcnt vmcnt(6) lgkmcnt(1)
	v_fma_f64 v[89:90], v[93:94], v[89:90], 0
	s_waitcnt vmcnt(4)
	v_fma_f64 v[89:90], v[95:96], v[91:92], v[89:90]
	s_waitcnt vmcnt(2) lgkmcnt(0)
	v_fma_f64 v[89:90], v[97:98], v[101:102], v[89:90]
	s_waitcnt vmcnt(0)
	v_add_f64 v[89:90], v[99:100], -v[89:90]
	buffer_store_dword v89, off, s[0:3], 0 offset:312
	buffer_store_dword v90, off, s[0:3], 0 offset:316
	s_and_saveexec_b64 s[4:5], vcc
	s_cbranch_execz .LBB106_189
; %bb.188:
	buffer_load_dword v89, off, s[0:3], 0 offset:304
	buffer_load_dword v90, off, s[0:3], 0 offset:308
	s_waitcnt vmcnt(0)
	ds_write_b64 v87, v[89:90]
	buffer_store_dword v88, off, s[0:3], 0 offset:304
	buffer_store_dword v88, off, s[0:3], 0 offset:308
.LBB106_189:
	s_or_b64 exec, exec, s[4:5]
	s_waitcnt lgkmcnt(0)
	; wave barrier
	buffer_load_dword v97, off, s[0:3], 0 offset:312
	buffer_load_dword v98, off, s[0:3], 0 offset:316
	;; [unrolled: 1-line block ×10, first 2 shown]
	ds_read2_b64 v[89:92], v88 offset0:83 offset1:84
	ds_read2_b64 v[93:96], v88 offset0:85 offset1:86
	v_cmp_lt_u32_e32 vcc, 37, v0
	s_waitcnt vmcnt(8) lgkmcnt(1)
	v_fma_f64 v[88:89], v[97:98], v[89:90], 0
	s_waitcnt vmcnt(6)
	v_fma_f64 v[88:89], v[99:100], v[91:92], v[88:89]
	s_waitcnt vmcnt(4) lgkmcnt(0)
	v_fma_f64 v[88:89], v[101:102], v[93:94], v[88:89]
	s_waitcnt vmcnt(2)
	v_fma_f64 v[88:89], v[103:104], v[95:96], v[88:89]
	s_waitcnt vmcnt(0)
	v_add_f64 v[88:89], v[105:106], -v[88:89]
	buffer_store_dword v88, off, s[0:3], 0 offset:304
	buffer_store_dword v89, off, s[0:3], 0 offset:308
	s_and_saveexec_b64 s[4:5], vcc
	s_cbranch_execz .LBB106_191
; %bb.190:
	buffer_load_dword v88, off, s[0:3], 0 offset:296
	buffer_load_dword v89, off, s[0:3], 0 offset:300
	v_mov_b32_e32 v90, 0
	buffer_store_dword v90, off, s[0:3], 0 offset:296
	buffer_store_dword v90, off, s[0:3], 0 offset:300
	s_waitcnt vmcnt(2)
	ds_write_b64 v87, v[88:89]
.LBB106_191:
	s_or_b64 exec, exec, s[4:5]
	s_waitcnt lgkmcnt(0)
	; wave barrier
	buffer_load_dword v97, off, s[0:3], 0 offset:304
	buffer_load_dword v98, off, s[0:3], 0 offset:308
	;; [unrolled: 1-line block ×12, first 2 shown]
	v_mov_b32_e32 v88, 0
	ds_read_b128 v[89:92], v88 offset:656
	ds_read_b128 v[93:96], v88 offset:672
	v_cmp_lt_u32_e32 vcc, 36, v0
	s_waitcnt vmcnt(10) lgkmcnt(1)
	v_fma_f64 v[89:90], v[97:98], v[89:90], 0
	s_waitcnt vmcnt(8)
	v_fma_f64 v[89:90], v[99:100], v[91:92], v[89:90]
	ds_read_b64 v[91:92], v88 offset:688
	s_waitcnt vmcnt(6) lgkmcnt(1)
	v_fma_f64 v[89:90], v[101:102], v[93:94], v[89:90]
	s_waitcnt vmcnt(4)
	v_fma_f64 v[89:90], v[103:104], v[95:96], v[89:90]
	s_waitcnt vmcnt(2) lgkmcnt(0)
	v_fma_f64 v[89:90], v[105:106], v[91:92], v[89:90]
	s_waitcnt vmcnt(0)
	v_add_f64 v[89:90], v[107:108], -v[89:90]
	buffer_store_dword v89, off, s[0:3], 0 offset:296
	buffer_store_dword v90, off, s[0:3], 0 offset:300
	s_and_saveexec_b64 s[4:5], vcc
	s_cbranch_execz .LBB106_193
; %bb.192:
	buffer_load_dword v89, off, s[0:3], 0 offset:288
	buffer_load_dword v90, off, s[0:3], 0 offset:292
	s_waitcnt vmcnt(0)
	ds_write_b64 v87, v[89:90]
	buffer_store_dword v88, off, s[0:3], 0 offset:288
	buffer_store_dword v88, off, s[0:3], 0 offset:292
.LBB106_193:
	s_or_b64 exec, exec, s[4:5]
	s_waitcnt lgkmcnt(0)
	; wave barrier
	buffer_load_dword v97, off, s[0:3], 0 offset:296
	buffer_load_dword v98, off, s[0:3], 0 offset:300
	;; [unrolled: 1-line block ×14, first 2 shown]
	ds_read2_b64 v[89:92], v88 offset0:81 offset1:82
	ds_read2_b64 v[93:96], v88 offset0:83 offset1:84
	v_cmp_lt_u32_e32 vcc, 35, v0
	s_waitcnt vmcnt(12) lgkmcnt(1)
	v_fma_f64 v[89:90], v[97:98], v[89:90], 0
	s_waitcnt vmcnt(10)
	v_fma_f64 v[89:90], v[99:100], v[91:92], v[89:90]
	s_waitcnt vmcnt(8) lgkmcnt(0)
	v_fma_f64 v[89:90], v[101:102], v[93:94], v[89:90]
	s_waitcnt vmcnt(6)
	v_fma_f64 v[92:93], v[103:104], v[95:96], v[89:90]
	ds_read2_b64 v[88:91], v88 offset0:85 offset1:86
	s_waitcnt vmcnt(4) lgkmcnt(0)
	v_fma_f64 v[88:89], v[105:106], v[88:89], v[92:93]
	s_waitcnt vmcnt(2)
	v_fma_f64 v[88:89], v[107:108], v[90:91], v[88:89]
	s_waitcnt vmcnt(0)
	v_add_f64 v[88:89], v[109:110], -v[88:89]
	buffer_store_dword v88, off, s[0:3], 0 offset:288
	buffer_store_dword v89, off, s[0:3], 0 offset:292
	s_and_saveexec_b64 s[4:5], vcc
	s_cbranch_execz .LBB106_195
; %bb.194:
	buffer_load_dword v88, off, s[0:3], 0 offset:280
	buffer_load_dword v89, off, s[0:3], 0 offset:284
	v_mov_b32_e32 v90, 0
	buffer_store_dword v90, off, s[0:3], 0 offset:280
	buffer_store_dword v90, off, s[0:3], 0 offset:284
	s_waitcnt vmcnt(2)
	ds_write_b64 v87, v[88:89]
.LBB106_195:
	s_or_b64 exec, exec, s[4:5]
	s_waitcnt lgkmcnt(0)
	; wave barrier
	buffer_load_dword v97, off, s[0:3], 0 offset:288
	buffer_load_dword v98, off, s[0:3], 0 offset:292
	;; [unrolled: 1-line block ×16, first 2 shown]
	v_mov_b32_e32 v88, 0
	ds_read_b128 v[89:92], v88 offset:640
	ds_read_b128 v[93:96], v88 offset:656
	v_cmp_lt_u32_e32 vcc, 34, v0
	s_waitcnt vmcnt(14) lgkmcnt(1)
	v_fma_f64 v[89:90], v[97:98], v[89:90], 0
	s_waitcnt vmcnt(12)
	v_fma_f64 v[89:90], v[99:100], v[91:92], v[89:90]
	s_waitcnt vmcnt(10) lgkmcnt(0)
	v_fma_f64 v[89:90], v[101:102], v[93:94], v[89:90]
	s_waitcnt vmcnt(8)
	v_fma_f64 v[93:94], v[103:104], v[95:96], v[89:90]
	ds_read_b128 v[89:92], v88 offset:672
	ds_read_b64 v[95:96], v88 offset:688
	s_waitcnt vmcnt(6) lgkmcnt(1)
	v_fma_f64 v[89:90], v[105:106], v[89:90], v[93:94]
	s_waitcnt vmcnt(4)
	v_fma_f64 v[89:90], v[107:108], v[91:92], v[89:90]
	s_waitcnt vmcnt(2) lgkmcnt(0)
	v_fma_f64 v[89:90], v[109:110], v[95:96], v[89:90]
	s_waitcnt vmcnt(0)
	v_add_f64 v[89:90], v[111:112], -v[89:90]
	buffer_store_dword v89, off, s[0:3], 0 offset:280
	buffer_store_dword v90, off, s[0:3], 0 offset:284
	s_and_saveexec_b64 s[4:5], vcc
	s_cbranch_execz .LBB106_197
; %bb.196:
	buffer_load_dword v89, off, s[0:3], 0 offset:272
	buffer_load_dword v90, off, s[0:3], 0 offset:276
	s_waitcnt vmcnt(0)
	ds_write_b64 v87, v[89:90]
	buffer_store_dword v88, off, s[0:3], 0 offset:272
	buffer_store_dword v88, off, s[0:3], 0 offset:276
.LBB106_197:
	s_or_b64 exec, exec, s[4:5]
	s_waitcnt lgkmcnt(0)
	; wave barrier
	buffer_load_dword v97, off, s[0:3], 0 offset:280
	buffer_load_dword v98, off, s[0:3], 0 offset:284
	;; [unrolled: 1-line block ×18, first 2 shown]
	ds_read2_b64 v[89:92], v88 offset0:79 offset1:80
	ds_read2_b64 v[93:96], v88 offset0:81 offset1:82
	v_cmp_lt_u32_e32 vcc, 33, v0
	s_waitcnt vmcnt(16) lgkmcnt(1)
	v_fma_f64 v[89:90], v[97:98], v[89:90], 0
	s_waitcnt vmcnt(14)
	v_fma_f64 v[89:90], v[99:100], v[91:92], v[89:90]
	s_waitcnt vmcnt(12) lgkmcnt(0)
	v_fma_f64 v[89:90], v[101:102], v[93:94], v[89:90]
	s_waitcnt vmcnt(10)
	v_fma_f64 v[97:98], v[103:104], v[95:96], v[89:90]
	ds_read2_b64 v[89:92], v88 offset0:83 offset1:84
	ds_read2_b64 v[93:96], v88 offset0:85 offset1:86
	s_waitcnt vmcnt(8) lgkmcnt(1)
	v_fma_f64 v[88:89], v[105:106], v[89:90], v[97:98]
	s_waitcnt vmcnt(6)
	v_fma_f64 v[88:89], v[107:108], v[91:92], v[88:89]
	s_waitcnt vmcnt(4) lgkmcnt(0)
	v_fma_f64 v[88:89], v[109:110], v[93:94], v[88:89]
	s_waitcnt vmcnt(2)
	v_fma_f64 v[88:89], v[111:112], v[95:96], v[88:89]
	s_waitcnt vmcnt(0)
	v_add_f64 v[88:89], v[113:114], -v[88:89]
	buffer_store_dword v88, off, s[0:3], 0 offset:272
	buffer_store_dword v89, off, s[0:3], 0 offset:276
	s_and_saveexec_b64 s[4:5], vcc
	s_cbranch_execz .LBB106_199
; %bb.198:
	buffer_load_dword v88, off, s[0:3], 0 offset:264
	buffer_load_dword v89, off, s[0:3], 0 offset:268
	v_mov_b32_e32 v90, 0
	buffer_store_dword v90, off, s[0:3], 0 offset:264
	buffer_store_dword v90, off, s[0:3], 0 offset:268
	s_waitcnt vmcnt(2)
	ds_write_b64 v87, v[88:89]
.LBB106_199:
	s_or_b64 exec, exec, s[4:5]
	s_waitcnt lgkmcnt(0)
	; wave barrier
	buffer_load_dword v97, off, s[0:3], 0 offset:272
	buffer_load_dword v98, off, s[0:3], 0 offset:276
	;; [unrolled: 1-line block ×20, first 2 shown]
	v_mov_b32_e32 v88, 0
	ds_read_b128 v[89:92], v88 offset:624
	ds_read_b128 v[93:96], v88 offset:640
	v_cmp_lt_u32_e32 vcc, 32, v0
	s_waitcnt vmcnt(18) lgkmcnt(1)
	v_fma_f64 v[89:90], v[97:98], v[89:90], 0
	s_waitcnt vmcnt(16)
	v_fma_f64 v[89:90], v[99:100], v[91:92], v[89:90]
	s_waitcnt vmcnt(14) lgkmcnt(0)
	v_fma_f64 v[89:90], v[101:102], v[93:94], v[89:90]
	s_waitcnt vmcnt(12)
	v_fma_f64 v[97:98], v[103:104], v[95:96], v[89:90]
	ds_read_b128 v[89:92], v88 offset:656
	ds_read_b128 v[93:96], v88 offset:672
	s_waitcnt vmcnt(10) lgkmcnt(1)
	v_fma_f64 v[89:90], v[105:106], v[89:90], v[97:98]
	s_waitcnt vmcnt(8)
	v_fma_f64 v[89:90], v[107:108], v[91:92], v[89:90]
	ds_read_b64 v[91:92], v88 offset:688
	s_waitcnt vmcnt(6) lgkmcnt(1)
	v_fma_f64 v[89:90], v[109:110], v[93:94], v[89:90]
	s_waitcnt vmcnt(3)
	v_fma_f64 v[89:90], v[111:112], v[95:96], v[89:90]
	s_waitcnt vmcnt(2) lgkmcnt(0)
	v_fma_f64 v[89:90], v[113:114], v[91:92], v[89:90]
	s_waitcnt vmcnt(0)
	v_add_f64 v[89:90], v[115:116], -v[89:90]
	buffer_store_dword v89, off, s[0:3], 0 offset:264
	buffer_store_dword v90, off, s[0:3], 0 offset:268
	s_and_saveexec_b64 s[4:5], vcc
	s_cbranch_execz .LBB106_201
; %bb.200:
	buffer_load_dword v89, off, s[0:3], 0 offset:256
	buffer_load_dword v90, off, s[0:3], 0 offset:260
	s_waitcnt vmcnt(0)
	ds_write_b64 v87, v[89:90]
	buffer_store_dword v88, off, s[0:3], 0 offset:256
	buffer_store_dword v88, off, s[0:3], 0 offset:260
.LBB106_201:
	s_or_b64 exec, exec, s[4:5]
	s_waitcnt lgkmcnt(0)
	; wave barrier
	buffer_load_dword v97, off, s[0:3], 0 offset:264
	buffer_load_dword v98, off, s[0:3], 0 offset:268
	;; [unrolled: 1-line block ×20, first 2 shown]
	ds_read2_b64 v[89:92], v88 offset0:77 offset1:78
	buffer_load_dword v117, off, s[0:3], 0 offset:256
	buffer_load_dword v118, off, s[0:3], 0 offset:260
	ds_read2_b64 v[93:96], v88 offset0:79 offset1:80
	v_cmp_lt_u32_e32 vcc, 31, v0
	s_waitcnt vmcnt(20) lgkmcnt(1)
	v_fma_f64 v[89:90], v[97:98], v[89:90], 0
	s_waitcnt vmcnt(18)
	v_fma_f64 v[89:90], v[99:100], v[91:92], v[89:90]
	s_waitcnt vmcnt(16) lgkmcnt(0)
	v_fma_f64 v[89:90], v[101:102], v[93:94], v[89:90]
	s_waitcnt vmcnt(14)
	v_fma_f64 v[97:98], v[103:104], v[95:96], v[89:90]
	ds_read2_b64 v[89:92], v88 offset0:81 offset1:82
	ds_read2_b64 v[93:96], v88 offset0:83 offset1:84
	s_waitcnt vmcnt(12) lgkmcnt(1)
	v_fma_f64 v[89:90], v[105:106], v[89:90], v[97:98]
	s_waitcnt vmcnt(10)
	v_fma_f64 v[89:90], v[107:108], v[91:92], v[89:90]
	s_waitcnt vmcnt(8) lgkmcnt(0)
	v_fma_f64 v[89:90], v[109:110], v[93:94], v[89:90]
	s_waitcnt vmcnt(4)
	v_fma_f64 v[92:93], v[111:112], v[95:96], v[89:90]
	ds_read2_b64 v[88:91], v88 offset0:85 offset1:86
	s_waitcnt vmcnt(3) lgkmcnt(0)
	v_fma_f64 v[88:89], v[115:116], v[88:89], v[92:93]
	s_waitcnt vmcnt(2)
	v_fma_f64 v[88:89], v[113:114], v[90:91], v[88:89]
	s_waitcnt vmcnt(0)
	v_add_f64 v[88:89], v[117:118], -v[88:89]
	buffer_store_dword v88, off, s[0:3], 0 offset:256
	buffer_store_dword v89, off, s[0:3], 0 offset:260
	s_and_saveexec_b64 s[4:5], vcc
	s_cbranch_execz .LBB106_203
; %bb.202:
	buffer_load_dword v88, off, s[0:3], 0 offset:248
	buffer_load_dword v89, off, s[0:3], 0 offset:252
	v_mov_b32_e32 v90, 0
	buffer_store_dword v90, off, s[0:3], 0 offset:248
	buffer_store_dword v90, off, s[0:3], 0 offset:252
	s_waitcnt vmcnt(2)
	ds_write_b64 v87, v[88:89]
.LBB106_203:
	s_or_b64 exec, exec, s[4:5]
	s_waitcnt lgkmcnt(0)
	; wave barrier
	buffer_load_dword v97, off, s[0:3], 0 offset:256
	buffer_load_dword v98, off, s[0:3], 0 offset:260
	buffer_load_dword v99, off, s[0:3], 0 offset:264
	buffer_load_dword v100, off, s[0:3], 0 offset:268
	buffer_load_dword v101, off, s[0:3], 0 offset:272
	buffer_load_dword v102, off, s[0:3], 0 offset:276
	buffer_load_dword v103, off, s[0:3], 0 offset:280
	buffer_load_dword v104, off, s[0:3], 0 offset:284
	buffer_load_dword v105, off, s[0:3], 0 offset:288
	buffer_load_dword v106, off, s[0:3], 0 offset:292
	buffer_load_dword v107, off, s[0:3], 0 offset:296
	buffer_load_dword v108, off, s[0:3], 0 offset:300
	buffer_load_dword v109, off, s[0:3], 0 offset:304
	buffer_load_dword v110, off, s[0:3], 0 offset:308
	buffer_load_dword v112, off, s[0:3], 0 offset:316
	buffer_load_dword v113, off, s[0:3], 0 offset:336
	buffer_load_dword v115, off, s[0:3], 0 offset:328
	buffer_load_dword v117, off, s[0:3], 0 offset:320
	buffer_load_dword v111, off, s[0:3], 0 offset:312
	buffer_load_dword v118, off, s[0:3], 0 offset:324
	buffer_load_dword v116, off, s[0:3], 0 offset:332
	v_mov_b32_e32 v88, 0
	ds_read_b128 v[89:92], v88 offset:608
	ds_read_b128 v[93:96], v88 offset:624
	buffer_load_dword v114, off, s[0:3], 0 offset:340
	v_cmp_lt_u32_e32 vcc, 30, v0
	s_waitcnt vmcnt(20) lgkmcnt(1)
	v_fma_f64 v[89:90], v[97:98], v[89:90], 0
	buffer_load_dword v97, off, s[0:3], 0 offset:248
	buffer_load_dword v98, off, s[0:3], 0 offset:252
	s_waitcnt vmcnt(20)
	v_fma_f64 v[89:90], v[99:100], v[91:92], v[89:90]
	s_waitcnt vmcnt(18) lgkmcnt(0)
	v_fma_f64 v[89:90], v[101:102], v[93:94], v[89:90]
	s_waitcnt vmcnt(16)
	v_fma_f64 v[99:100], v[103:104], v[95:96], v[89:90]
	ds_read_b128 v[89:92], v88 offset:640
	ds_read_b128 v[93:96], v88 offset:656
	s_waitcnt vmcnt(14) lgkmcnt(1)
	v_fma_f64 v[89:90], v[105:106], v[89:90], v[99:100]
	s_waitcnt vmcnt(12)
	v_fma_f64 v[89:90], v[107:108], v[91:92], v[89:90]
	s_waitcnt vmcnt(10) lgkmcnt(0)
	v_fma_f64 v[89:90], v[109:110], v[93:94], v[89:90]
	s_waitcnt vmcnt(5)
	v_fma_f64 v[93:94], v[111:112], v[95:96], v[89:90]
	ds_read_b128 v[89:92], v88 offset:672
	ds_read_b64 v[95:96], v88 offset:688
	s_waitcnt vmcnt(4) lgkmcnt(1)
	v_fma_f64 v[89:90], v[117:118], v[89:90], v[93:94]
	s_waitcnt vmcnt(3)
	v_fma_f64 v[89:90], v[115:116], v[91:92], v[89:90]
	s_waitcnt vmcnt(2) lgkmcnt(0)
	v_fma_f64 v[89:90], v[113:114], v[95:96], v[89:90]
	s_waitcnt vmcnt(0)
	v_add_f64 v[89:90], v[97:98], -v[89:90]
	buffer_store_dword v90, off, s[0:3], 0 offset:252
	buffer_store_dword v89, off, s[0:3], 0 offset:248
	s_and_saveexec_b64 s[4:5], vcc
	s_cbranch_execz .LBB106_205
; %bb.204:
	buffer_load_dword v89, off, s[0:3], 0 offset:240
	buffer_load_dword v90, off, s[0:3], 0 offset:244
	s_waitcnt vmcnt(0)
	ds_write_b64 v87, v[89:90]
	buffer_store_dword v88, off, s[0:3], 0 offset:240
	buffer_store_dword v88, off, s[0:3], 0 offset:244
.LBB106_205:
	s_or_b64 exec, exec, s[4:5]
	s_waitcnt lgkmcnt(0)
	; wave barrier
	buffer_load_dword v97, off, s[0:3], 0 offset:248
	buffer_load_dword v98, off, s[0:3], 0 offset:252
	;; [unrolled: 1-line block ×21, first 2 shown]
	ds_read2_b64 v[89:92], v88 offset0:75 offset1:76
	ds_read2_b64 v[93:96], v88 offset0:77 offset1:78
	buffer_load_dword v114, off, s[0:3], 0 offset:332
	v_cmp_lt_u32_e32 vcc, 29, v0
	s_waitcnt vmcnt(20) lgkmcnt(1)
	v_fma_f64 v[89:90], v[97:98], v[89:90], 0
	buffer_load_dword v98, off, s[0:3], 0 offset:340
	buffer_load_dword v97, off, s[0:3], 0 offset:336
	s_waitcnt vmcnt(20)
	v_fma_f64 v[89:90], v[99:100], v[91:92], v[89:90]
	buffer_load_dword v99, off, s[0:3], 0 offset:240
	buffer_load_dword v100, off, s[0:3], 0 offset:244
	s_waitcnt vmcnt(20) lgkmcnt(0)
	v_fma_f64 v[89:90], v[101:102], v[93:94], v[89:90]
	s_waitcnt vmcnt(18)
	v_fma_f64 v[101:102], v[103:104], v[95:96], v[89:90]
	ds_read2_b64 v[89:92], v88 offset0:79 offset1:80
	ds_read2_b64 v[93:96], v88 offset0:81 offset1:82
	s_waitcnt vmcnt(16) lgkmcnt(1)
	v_fma_f64 v[89:90], v[105:106], v[89:90], v[101:102]
	s_waitcnt vmcnt(14)
	v_fma_f64 v[89:90], v[107:108], v[91:92], v[89:90]
	s_waitcnt vmcnt(12) lgkmcnt(0)
	v_fma_f64 v[89:90], v[109:110], v[93:94], v[89:90]
	s_waitcnt vmcnt(7)
	v_fma_f64 v[101:102], v[111:112], v[95:96], v[89:90]
	ds_read2_b64 v[89:92], v88 offset0:83 offset1:84
	ds_read2_b64 v[93:96], v88 offset0:85 offset1:86
	s_waitcnt vmcnt(6) lgkmcnt(1)
	v_fma_f64 v[88:89], v[117:118], v[89:90], v[101:102]
	s_waitcnt vmcnt(5)
	v_fma_f64 v[88:89], v[115:116], v[91:92], v[88:89]
	s_waitcnt vmcnt(4) lgkmcnt(0)
	v_fma_f64 v[88:89], v[113:114], v[93:94], v[88:89]
	s_waitcnt vmcnt(2)
	v_fma_f64 v[88:89], v[97:98], v[95:96], v[88:89]
	s_waitcnt vmcnt(0)
	v_add_f64 v[88:89], v[99:100], -v[88:89]
	buffer_store_dword v89, off, s[0:3], 0 offset:244
	buffer_store_dword v88, off, s[0:3], 0 offset:240
	s_and_saveexec_b64 s[4:5], vcc
	s_cbranch_execz .LBB106_207
; %bb.206:
	buffer_load_dword v88, off, s[0:3], 0 offset:232
	buffer_load_dword v89, off, s[0:3], 0 offset:236
	v_mov_b32_e32 v90, 0
	buffer_store_dword v90, off, s[0:3], 0 offset:232
	buffer_store_dword v90, off, s[0:3], 0 offset:236
	s_waitcnt vmcnt(2)
	ds_write_b64 v87, v[88:89]
.LBB106_207:
	s_or_b64 exec, exec, s[4:5]
	s_waitcnt lgkmcnt(0)
	; wave barrier
	buffer_load_dword v97, off, s[0:3], 0 offset:240
	buffer_load_dword v98, off, s[0:3], 0 offset:244
	;; [unrolled: 1-line block ×21, first 2 shown]
	v_mov_b32_e32 v88, 0
	ds_read_b128 v[89:92], v88 offset:592
	ds_read_b128 v[93:96], v88 offset:608
	buffer_load_dword v114, off, s[0:3], 0 offset:324
	v_cmp_lt_u32_e32 vcc, 28, v0
	s_waitcnt vmcnt(20) lgkmcnt(1)
	v_fma_f64 v[89:90], v[97:98], v[89:90], 0
	s_waitcnt vmcnt(18)
	v_fma_f64 v[89:90], v[99:100], v[91:92], v[89:90]
	buffer_load_dword v98, off, s[0:3], 0 offset:332
	buffer_load_dword v99, off, s[0:3], 0 offset:336
	;; [unrolled: 1-line block ×4, first 2 shown]
	s_waitcnt vmcnt(20) lgkmcnt(0)
	v_fma_f64 v[89:90], v[101:102], v[93:94], v[89:90]
	buffer_load_dword v101, off, s[0:3], 0 offset:232
	buffer_load_dword v102, off, s[0:3], 0 offset:236
	s_waitcnt vmcnt(20)
	v_fma_f64 v[103:104], v[103:104], v[95:96], v[89:90]
	ds_read_b128 v[89:92], v88 offset:624
	ds_read_b128 v[93:96], v88 offset:640
	s_waitcnt vmcnt(18) lgkmcnt(1)
	v_fma_f64 v[89:90], v[105:106], v[89:90], v[103:104]
	s_waitcnt vmcnt(16)
	v_fma_f64 v[89:90], v[107:108], v[91:92], v[89:90]
	s_waitcnt vmcnt(14) lgkmcnt(0)
	v_fma_f64 v[89:90], v[109:110], v[93:94], v[89:90]
	s_waitcnt vmcnt(9)
	v_fma_f64 v[103:104], v[111:112], v[95:96], v[89:90]
	ds_read_b128 v[89:92], v88 offset:656
	ds_read_b128 v[93:96], v88 offset:672
	s_waitcnt vmcnt(8) lgkmcnt(1)
	v_fma_f64 v[89:90], v[117:118], v[89:90], v[103:104]
	s_waitcnt vmcnt(7)
	v_fma_f64 v[89:90], v[115:116], v[91:92], v[89:90]
	ds_read_b64 v[91:92], v88 offset:688
	s_waitcnt vmcnt(6) lgkmcnt(1)
	v_fma_f64 v[89:90], v[113:114], v[93:94], v[89:90]
	s_waitcnt vmcnt(3)
	v_fma_f64 v[89:90], v[97:98], v[95:96], v[89:90]
	s_waitcnt vmcnt(2) lgkmcnt(0)
	v_fma_f64 v[89:90], v[99:100], v[91:92], v[89:90]
	s_waitcnt vmcnt(0)
	v_add_f64 v[89:90], v[101:102], -v[89:90]
	buffer_store_dword v90, off, s[0:3], 0 offset:236
	buffer_store_dword v89, off, s[0:3], 0 offset:232
	s_and_saveexec_b64 s[4:5], vcc
	s_cbranch_execz .LBB106_209
; %bb.208:
	buffer_load_dword v89, off, s[0:3], 0 offset:224
	buffer_load_dword v90, off, s[0:3], 0 offset:228
	s_waitcnt vmcnt(0)
	ds_write_b64 v87, v[89:90]
	buffer_store_dword v88, off, s[0:3], 0 offset:224
	buffer_store_dword v88, off, s[0:3], 0 offset:228
.LBB106_209:
	s_or_b64 exec, exec, s[4:5]
	s_waitcnt lgkmcnt(0)
	; wave barrier
	buffer_load_dword v97, off, s[0:3], 0 offset:232
	buffer_load_dword v98, off, s[0:3], 0 offset:236
	buffer_load_dword v99, off, s[0:3], 0 offset:240
	buffer_load_dword v100, off, s[0:3], 0 offset:244
	buffer_load_dword v101, off, s[0:3], 0 offset:248
	buffer_load_dword v102, off, s[0:3], 0 offset:252
	buffer_load_dword v103, off, s[0:3], 0 offset:256
	buffer_load_dword v104, off, s[0:3], 0 offset:260
	buffer_load_dword v105, off, s[0:3], 0 offset:264
	buffer_load_dword v106, off, s[0:3], 0 offset:268
	buffer_load_dword v107, off, s[0:3], 0 offset:272
	buffer_load_dword v108, off, s[0:3], 0 offset:276
	buffer_load_dword v109, off, s[0:3], 0 offset:280
	buffer_load_dword v110, off, s[0:3], 0 offset:284
	buffer_load_dword v112, off, s[0:3], 0 offset:292
	buffer_load_dword v113, off, s[0:3], 0 offset:312
	buffer_load_dword v115, off, s[0:3], 0 offset:304
	buffer_load_dword v117, off, s[0:3], 0 offset:296
	buffer_load_dword v111, off, s[0:3], 0 offset:288
	buffer_load_dword v118, off, s[0:3], 0 offset:300
	buffer_load_dword v116, off, s[0:3], 0 offset:308
	buffer_load_dword v114, off, s[0:3], 0 offset:316
	ds_read2_b64 v[89:92], v88 offset0:73 offset1:74
	ds_read2_b64 v[93:96], v88 offset0:75 offset1:76
	v_cmp_lt_u32_e32 vcc, 27, v0
	s_waitcnt vmcnt(20) lgkmcnt(1)
	v_fma_f64 v[89:90], v[97:98], v[89:90], 0
	s_waitcnt vmcnt(18)
	v_fma_f64 v[89:90], v[99:100], v[91:92], v[89:90]
	buffer_load_dword v98, off, s[0:3], 0 offset:324
	buffer_load_dword v99, off, s[0:3], 0 offset:336
	;; [unrolled: 1-line block ×6, first 2 shown]
	s_waitcnt vmcnt(22) lgkmcnt(0)
	v_fma_f64 v[89:90], v[101:102], v[93:94], v[89:90]
	s_waitcnt vmcnt(20)
	v_fma_f64 v[101:102], v[103:104], v[95:96], v[89:90]
	ds_read2_b64 v[89:92], v88 offset0:77 offset1:78
	buffer_load_dword v103, off, s[0:3], 0 offset:224
	buffer_load_dword v104, off, s[0:3], 0 offset:228
	ds_read2_b64 v[93:96], v88 offset0:79 offset1:80
	s_waitcnt vmcnt(20) lgkmcnt(1)
	v_fma_f64 v[89:90], v[105:106], v[89:90], v[101:102]
	s_waitcnt vmcnt(18)
	v_fma_f64 v[89:90], v[107:108], v[91:92], v[89:90]
	s_waitcnt vmcnt(16) lgkmcnt(0)
	v_fma_f64 v[89:90], v[109:110], v[93:94], v[89:90]
	s_waitcnt vmcnt(11)
	v_fma_f64 v[101:102], v[111:112], v[95:96], v[89:90]
	ds_read2_b64 v[89:92], v88 offset0:81 offset1:82
	ds_read2_b64 v[93:96], v88 offset0:83 offset1:84
	s_waitcnt vmcnt(10) lgkmcnt(1)
	v_fma_f64 v[89:90], v[117:118], v[89:90], v[101:102]
	s_waitcnt vmcnt(9)
	v_fma_f64 v[89:90], v[115:116], v[91:92], v[89:90]
	s_waitcnt vmcnt(8) lgkmcnt(0)
	v_fma_f64 v[89:90], v[113:114], v[93:94], v[89:90]
	s_waitcnt vmcnt(4)
	v_fma_f64 v[92:93], v[97:98], v[95:96], v[89:90]
	ds_read2_b64 v[88:91], v88 offset0:85 offset1:86
	s_waitcnt vmcnt(3) lgkmcnt(0)
	v_fma_f64 v[88:89], v[119:120], v[88:89], v[92:93]
	s_waitcnt vmcnt(2)
	v_fma_f64 v[88:89], v[99:100], v[90:91], v[88:89]
	s_waitcnt vmcnt(0)
	v_add_f64 v[88:89], v[103:104], -v[88:89]
	buffer_store_dword v89, off, s[0:3], 0 offset:228
	buffer_store_dword v88, off, s[0:3], 0 offset:224
	s_and_saveexec_b64 s[4:5], vcc
	s_cbranch_execz .LBB106_211
; %bb.210:
	buffer_load_dword v88, off, s[0:3], 0 offset:216
	buffer_load_dword v89, off, s[0:3], 0 offset:220
	v_mov_b32_e32 v90, 0
	buffer_store_dword v90, off, s[0:3], 0 offset:216
	buffer_store_dword v90, off, s[0:3], 0 offset:220
	s_waitcnt vmcnt(2)
	ds_write_b64 v87, v[88:89]
.LBB106_211:
	s_or_b64 exec, exec, s[4:5]
	s_waitcnt lgkmcnt(0)
	; wave barrier
	buffer_load_dword v97, off, s[0:3], 0 offset:224
	buffer_load_dword v98, off, s[0:3], 0 offset:228
	;; [unrolled: 1-line block ×22, first 2 shown]
	v_mov_b32_e32 v88, 0
	ds_read_b128 v[89:92], v88 offset:576
	ds_read_b128 v[93:96], v88 offset:592
	v_cmp_lt_u32_e32 vcc, 26, v0
	s_waitcnt vmcnt(20) lgkmcnt(1)
	v_fma_f64 v[89:90], v[97:98], v[89:90], 0
	s_waitcnt vmcnt(18)
	v_fma_f64 v[89:90], v[99:100], v[91:92], v[89:90]
	buffer_load_dword v98, off, s[0:3], 0 offset:316
	buffer_load_dword v99, off, s[0:3], 0 offset:336
	;; [unrolled: 1-line block ×8, first 2 shown]
	s_waitcnt vmcnt(24) lgkmcnt(0)
	v_fma_f64 v[89:90], v[101:102], v[93:94], v[89:90]
	s_waitcnt vmcnt(22)
	v_fma_f64 v[101:102], v[103:104], v[95:96], v[89:90]
	ds_read_b128 v[89:92], v88 offset:608
	ds_read_b128 v[93:96], v88 offset:624
	s_waitcnt vmcnt(20) lgkmcnt(1)
	v_fma_f64 v[89:90], v[105:106], v[89:90], v[101:102]
	buffer_load_dword v101, off, s[0:3], 0 offset:216
	buffer_load_dword v102, off, s[0:3], 0 offset:220
	s_waitcnt vmcnt(20)
	v_fma_f64 v[89:90], v[107:108], v[91:92], v[89:90]
	s_waitcnt vmcnt(18) lgkmcnt(0)
	v_fma_f64 v[89:90], v[109:110], v[93:94], v[89:90]
	s_waitcnt vmcnt(13)
	v_fma_f64 v[103:104], v[111:112], v[95:96], v[89:90]
	ds_read_b128 v[89:92], v88 offset:640
	ds_read_b128 v[93:96], v88 offset:656
	s_waitcnt vmcnt(12) lgkmcnt(1)
	v_fma_f64 v[89:90], v[117:118], v[89:90], v[103:104]
	s_waitcnt vmcnt(11)
	v_fma_f64 v[89:90], v[115:116], v[91:92], v[89:90]
	s_waitcnt vmcnt(10) lgkmcnt(0)
	v_fma_f64 v[89:90], v[113:114], v[93:94], v[89:90]
	s_waitcnt vmcnt(5)
	v_fma_f64 v[93:94], v[97:98], v[95:96], v[89:90]
	ds_read_b128 v[89:92], v88 offset:672
	ds_read_b64 v[95:96], v88 offset:688
	s_waitcnt vmcnt(4) lgkmcnt(1)
	v_fma_f64 v[89:90], v[121:122], v[89:90], v[93:94]
	s_waitcnt vmcnt(3)
	v_fma_f64 v[89:90], v[119:120], v[91:92], v[89:90]
	s_waitcnt vmcnt(2) lgkmcnt(0)
	v_fma_f64 v[89:90], v[99:100], v[95:96], v[89:90]
	s_waitcnt vmcnt(0)
	v_add_f64 v[89:90], v[101:102], -v[89:90]
	buffer_store_dword v90, off, s[0:3], 0 offset:220
	buffer_store_dword v89, off, s[0:3], 0 offset:216
	s_and_saveexec_b64 s[4:5], vcc
	s_cbranch_execz .LBB106_213
; %bb.212:
	buffer_load_dword v89, off, s[0:3], 0 offset:208
	buffer_load_dword v90, off, s[0:3], 0 offset:212
	s_waitcnt vmcnt(0)
	ds_write_b64 v87, v[89:90]
	buffer_store_dword v88, off, s[0:3], 0 offset:208
	buffer_store_dword v88, off, s[0:3], 0 offset:212
.LBB106_213:
	s_or_b64 exec, exec, s[4:5]
	s_waitcnt lgkmcnt(0)
	; wave barrier
	buffer_load_dword v97, off, s[0:3], 0 offset:216
	buffer_load_dword v98, off, s[0:3], 0 offset:220
	;; [unrolled: 1-line block ×22, first 2 shown]
	ds_read2_b64 v[89:92], v88 offset0:71 offset1:72
	ds_read2_b64 v[93:96], v88 offset0:73 offset1:74
	v_cmp_lt_u32_e32 vcc, 25, v0
	s_waitcnt vmcnt(20) lgkmcnt(1)
	v_fma_f64 v[89:90], v[97:98], v[89:90], 0
	s_waitcnt vmcnt(18)
	v_fma_f64 v[89:90], v[99:100], v[91:92], v[89:90]
	buffer_load_dword v98, off, s[0:3], 0 offset:308
	buffer_load_dword v99, off, s[0:3], 0 offset:328
	;; [unrolled: 1-line block ×8, first 2 shown]
	s_waitcnt vmcnt(24) lgkmcnt(0)
	v_fma_f64 v[89:90], v[101:102], v[93:94], v[89:90]
	s_waitcnt vmcnt(22)
	v_fma_f64 v[101:102], v[103:104], v[95:96], v[89:90]
	ds_read2_b64 v[89:92], v88 offset0:75 offset1:76
	ds_read2_b64 v[93:96], v88 offset0:77 offset1:78
	s_waitcnt vmcnt(20) lgkmcnt(1)
	v_fma_f64 v[89:90], v[105:106], v[89:90], v[101:102]
	buffer_load_dword v102, off, s[0:3], 0 offset:340
	buffer_load_dword v101, off, s[0:3], 0 offset:336
	;; [unrolled: 1-line block ×4, first 2 shown]
	s_waitcnt vmcnt(22)
	v_fma_f64 v[89:90], v[107:108], v[91:92], v[89:90]
	s_waitcnt vmcnt(20) lgkmcnt(0)
	v_fma_f64 v[89:90], v[109:110], v[93:94], v[89:90]
	s_waitcnt vmcnt(15)
	v_fma_f64 v[105:106], v[111:112], v[95:96], v[89:90]
	ds_read2_b64 v[89:92], v88 offset0:79 offset1:80
	ds_read2_b64 v[93:96], v88 offset0:81 offset1:82
	s_waitcnt vmcnt(14) lgkmcnt(1)
	v_fma_f64 v[89:90], v[117:118], v[89:90], v[105:106]
	s_waitcnt vmcnt(13)
	v_fma_f64 v[89:90], v[115:116], v[91:92], v[89:90]
	s_waitcnt vmcnt(12) lgkmcnt(0)
	v_fma_f64 v[89:90], v[113:114], v[93:94], v[89:90]
	s_waitcnt vmcnt(7)
	v_fma_f64 v[97:98], v[97:98], v[95:96], v[89:90]
	ds_read2_b64 v[89:92], v88 offset0:83 offset1:84
	ds_read2_b64 v[93:96], v88 offset0:85 offset1:86
	s_waitcnt vmcnt(6) lgkmcnt(1)
	v_fma_f64 v[88:89], v[121:122], v[89:90], v[97:98]
	s_waitcnt vmcnt(5)
	v_fma_f64 v[88:89], v[119:120], v[91:92], v[88:89]
	s_waitcnt vmcnt(4) lgkmcnt(0)
	v_fma_f64 v[88:89], v[99:100], v[93:94], v[88:89]
	s_waitcnt vmcnt(2)
	v_fma_f64 v[88:89], v[101:102], v[95:96], v[88:89]
	s_waitcnt vmcnt(0)
	v_add_f64 v[88:89], v[103:104], -v[88:89]
	buffer_store_dword v89, off, s[0:3], 0 offset:212
	buffer_store_dword v88, off, s[0:3], 0 offset:208
	s_and_saveexec_b64 s[4:5], vcc
	s_cbranch_execz .LBB106_215
; %bb.214:
	buffer_load_dword v88, off, s[0:3], 0 offset:200
	buffer_load_dword v89, off, s[0:3], 0 offset:204
	v_mov_b32_e32 v90, 0
	buffer_store_dword v90, off, s[0:3], 0 offset:200
	buffer_store_dword v90, off, s[0:3], 0 offset:204
	s_waitcnt vmcnt(2)
	ds_write_b64 v87, v[88:89]
.LBB106_215:
	s_or_b64 exec, exec, s[4:5]
	s_waitcnt lgkmcnt(0)
	; wave barrier
	buffer_load_dword v97, off, s[0:3], 0 offset:208
	buffer_load_dword v98, off, s[0:3], 0 offset:212
	;; [unrolled: 1-line block ×22, first 2 shown]
	v_mov_b32_e32 v88, 0
	ds_read_b128 v[89:92], v88 offset:560
	ds_read_b128 v[93:96], v88 offset:576
	v_cmp_lt_u32_e32 vcc, 24, v0
	s_waitcnt vmcnt(20) lgkmcnt(1)
	v_fma_f64 v[89:90], v[97:98], v[89:90], 0
	s_waitcnt vmcnt(18)
	v_fma_f64 v[89:90], v[99:100], v[91:92], v[89:90]
	buffer_load_dword v98, off, s[0:3], 0 offset:300
	buffer_load_dword v99, off, s[0:3], 0 offset:320
	;; [unrolled: 1-line block ×7, first 2 shown]
	s_waitcnt vmcnt(23) lgkmcnt(0)
	v_fma_f64 v[89:90], v[101:102], v[93:94], v[89:90]
	s_waitcnt vmcnt(21)
	v_fma_f64 v[100:101], v[103:104], v[95:96], v[89:90]
	ds_read_b128 v[89:92], v88 offset:592
	ds_read_b128 v[93:96], v88 offset:608
	s_waitcnt vmcnt(19) lgkmcnt(1)
	v_fma_f64 v[89:90], v[105:106], v[89:90], v[100:101]
	buffer_load_dword v100, off, s[0:3], 0 offset:324
	buffer_load_dword v102, off, s[0:3], 0 offset:332
	buffer_load_dword v103, off, s[0:3], 0 offset:336
	buffer_load_dword v101, off, s[0:3], 0 offset:328
	buffer_load_dword v104, off, s[0:3], 0 offset:340
	buffer_load_dword v105, off, s[0:3], 0 offset:200
	buffer_load_dword v106, off, s[0:3], 0 offset:204
	s_waitcnt vmcnt(24)
	v_fma_f64 v[89:90], v[107:108], v[91:92], v[89:90]
	s_waitcnt vmcnt(22) lgkmcnt(0)
	v_fma_f64 v[89:90], v[109:110], v[93:94], v[89:90]
	s_waitcnt vmcnt(17)
	v_fma_f64 v[107:108], v[111:112], v[95:96], v[89:90]
	ds_read_b128 v[89:92], v88 offset:624
	ds_read_b128 v[93:96], v88 offset:640
	s_waitcnt vmcnt(16) lgkmcnt(1)
	v_fma_f64 v[89:90], v[117:118], v[89:90], v[107:108]
	s_waitcnt vmcnt(15)
	v_fma_f64 v[89:90], v[115:116], v[91:92], v[89:90]
	s_waitcnt vmcnt(14) lgkmcnt(0)
	v_fma_f64 v[89:90], v[113:114], v[93:94], v[89:90]
	s_waitcnt vmcnt(9)
	v_fma_f64 v[97:98], v[97:98], v[95:96], v[89:90]
	ds_read_b128 v[89:92], v88 offset:656
	ds_read_b128 v[93:96], v88 offset:672
	s_waitcnt vmcnt(8) lgkmcnt(1)
	v_fma_f64 v[89:90], v[121:122], v[89:90], v[97:98]
	s_waitcnt vmcnt(7)
	v_fma_f64 v[89:90], v[119:120], v[91:92], v[89:90]
	ds_read_b64 v[91:92], v88 offset:688
	s_waitcnt vmcnt(6) lgkmcnt(1)
	v_fma_f64 v[89:90], v[99:100], v[93:94], v[89:90]
	s_waitcnt vmcnt(3)
	v_fma_f64 v[89:90], v[101:102], v[95:96], v[89:90]
	s_waitcnt vmcnt(2) lgkmcnt(0)
	v_fma_f64 v[89:90], v[103:104], v[91:92], v[89:90]
	s_waitcnt vmcnt(0)
	v_add_f64 v[89:90], v[105:106], -v[89:90]
	buffer_store_dword v90, off, s[0:3], 0 offset:204
	buffer_store_dword v89, off, s[0:3], 0 offset:200
	s_and_saveexec_b64 s[4:5], vcc
	s_cbranch_execz .LBB106_217
; %bb.216:
	buffer_load_dword v89, off, s[0:3], 0 offset:192
	buffer_load_dword v90, off, s[0:3], 0 offset:196
	s_waitcnt vmcnt(0)
	ds_write_b64 v87, v[89:90]
	buffer_store_dword v88, off, s[0:3], 0 offset:192
	buffer_store_dword v88, off, s[0:3], 0 offset:196
.LBB106_217:
	s_or_b64 exec, exec, s[4:5]
	s_waitcnt lgkmcnt(0)
	; wave barrier
	buffer_load_dword v97, off, s[0:3], 0 offset:200
	buffer_load_dword v98, off, s[0:3], 0 offset:204
	;; [unrolled: 1-line block ×22, first 2 shown]
	ds_read2_b64 v[89:92], v88 offset0:69 offset1:70
	ds_read2_b64 v[93:96], v88 offset0:71 offset1:72
	v_cmp_lt_u32_e32 vcc, 23, v0
	s_waitcnt vmcnt(20) lgkmcnt(1)
	v_fma_f64 v[89:90], v[97:98], v[89:90], 0
	s_waitcnt vmcnt(18)
	v_fma_f64 v[89:90], v[99:100], v[91:92], v[89:90]
	buffer_load_dword v98, off, s[0:3], 0 offset:292
	buffer_load_dword v99, off, s[0:3], 0 offset:312
	;; [unrolled: 1-line block ×7, first 2 shown]
	s_waitcnt vmcnt(23) lgkmcnt(0)
	v_fma_f64 v[89:90], v[101:102], v[93:94], v[89:90]
	s_waitcnt vmcnt(21)
	v_fma_f64 v[100:101], v[103:104], v[95:96], v[89:90]
	ds_read2_b64 v[89:92], v88 offset0:73 offset1:74
	ds_read2_b64 v[93:96], v88 offset0:75 offset1:76
	s_waitcnt vmcnt(19) lgkmcnt(1)
	v_fma_f64 v[89:90], v[105:106], v[89:90], v[100:101]
	buffer_load_dword v100, off, s[0:3], 0 offset:316
	buffer_load_dword v102, off, s[0:3], 0 offset:324
	;; [unrolled: 1-line block ×7, first 2 shown]
	s_waitcnt vmcnt(24)
	v_fma_f64 v[89:90], v[107:108], v[91:92], v[89:90]
	s_waitcnt vmcnt(22) lgkmcnt(0)
	v_fma_f64 v[89:90], v[109:110], v[93:94], v[89:90]
	s_waitcnt vmcnt(17)
	v_fma_f64 v[107:108], v[111:112], v[95:96], v[89:90]
	ds_read2_b64 v[89:92], v88 offset0:77 offset1:78
	buffer_load_dword v109, off, s[0:3], 0 offset:192
	buffer_load_dword v110, off, s[0:3], 0 offset:196
	ds_read2_b64 v[93:96], v88 offset0:79 offset1:80
	s_waitcnt vmcnt(18) lgkmcnt(1)
	v_fma_f64 v[89:90], v[117:118], v[89:90], v[107:108]
	s_waitcnt vmcnt(17)
	v_fma_f64 v[89:90], v[115:116], v[91:92], v[89:90]
	s_waitcnt vmcnt(16) lgkmcnt(0)
	v_fma_f64 v[89:90], v[113:114], v[93:94], v[89:90]
	s_waitcnt vmcnt(11)
	v_fma_f64 v[97:98], v[97:98], v[95:96], v[89:90]
	ds_read2_b64 v[89:92], v88 offset0:81 offset1:82
	ds_read2_b64 v[93:96], v88 offset0:83 offset1:84
	s_waitcnt vmcnt(10) lgkmcnt(1)
	v_fma_f64 v[89:90], v[121:122], v[89:90], v[97:98]
	s_waitcnt vmcnt(9)
	v_fma_f64 v[89:90], v[119:120], v[91:92], v[89:90]
	s_waitcnt vmcnt(8) lgkmcnt(0)
	v_fma_f64 v[89:90], v[99:100], v[93:94], v[89:90]
	s_waitcnt vmcnt(4)
	v_fma_f64 v[92:93], v[101:102], v[95:96], v[89:90]
	ds_read2_b64 v[88:91], v88 offset0:85 offset1:86
	s_waitcnt vmcnt(3) lgkmcnt(0)
	v_fma_f64 v[88:89], v[105:106], v[88:89], v[92:93]
	s_waitcnt vmcnt(2)
	v_fma_f64 v[88:89], v[103:104], v[90:91], v[88:89]
	s_waitcnt vmcnt(0)
	v_add_f64 v[88:89], v[109:110], -v[88:89]
	buffer_store_dword v89, off, s[0:3], 0 offset:196
	buffer_store_dword v88, off, s[0:3], 0 offset:192
	s_and_saveexec_b64 s[4:5], vcc
	s_cbranch_execz .LBB106_219
; %bb.218:
	buffer_load_dword v88, off, s[0:3], 0 offset:184
	buffer_load_dword v89, off, s[0:3], 0 offset:188
	v_mov_b32_e32 v90, 0
	buffer_store_dword v90, off, s[0:3], 0 offset:184
	buffer_store_dword v90, off, s[0:3], 0 offset:188
	s_waitcnt vmcnt(2)
	ds_write_b64 v87, v[88:89]
.LBB106_219:
	s_or_b64 exec, exec, s[4:5]
	s_waitcnt lgkmcnt(0)
	; wave barrier
	buffer_load_dword v97, off, s[0:3], 0 offset:192
	buffer_load_dword v98, off, s[0:3], 0 offset:196
	;; [unrolled: 1-line block ×22, first 2 shown]
	v_mov_b32_e32 v88, 0
	ds_read_b128 v[89:92], v88 offset:544
	ds_read_b128 v[93:96], v88 offset:560
	v_cmp_lt_u32_e32 vcc, 22, v0
	s_waitcnt vmcnt(20) lgkmcnt(1)
	v_fma_f64 v[89:90], v[97:98], v[89:90], 0
	s_waitcnt vmcnt(18)
	v_fma_f64 v[89:90], v[99:100], v[91:92], v[89:90]
	buffer_load_dword v98, off, s[0:3], 0 offset:284
	buffer_load_dword v99, off, s[0:3], 0 offset:304
	buffer_load_dword v119, off, s[0:3], 0 offset:296
	buffer_load_dword v121, off, s[0:3], 0 offset:288
	buffer_load_dword v97, off, s[0:3], 0 offset:280
	buffer_load_dword v122, off, s[0:3], 0 offset:292
	buffer_load_dword v120, off, s[0:3], 0 offset:300
	s_waitcnt vmcnt(23) lgkmcnt(0)
	v_fma_f64 v[89:90], v[101:102], v[93:94], v[89:90]
	s_waitcnt vmcnt(21)
	v_fma_f64 v[100:101], v[103:104], v[95:96], v[89:90]
	ds_read_b128 v[89:92], v88 offset:576
	ds_read_b128 v[93:96], v88 offset:592
	s_waitcnt vmcnt(19) lgkmcnt(1)
	v_fma_f64 v[89:90], v[105:106], v[89:90], v[100:101]
	buffer_load_dword v100, off, s[0:3], 0 offset:308
	s_waitcnt vmcnt(18)
	v_fma_f64 v[89:90], v[107:108], v[91:92], v[89:90]
	buffer_load_dword v102, off, s[0:3], 0 offset:316
	buffer_load_dword v103, off, s[0:3], 0 offset:336
	;; [unrolled: 1-line block ×8, first 2 shown]
	s_waitcnt vmcnt(24) lgkmcnt(0)
	v_fma_f64 v[89:90], v[109:110], v[93:94], v[89:90]
	s_waitcnt vmcnt(19)
	v_fma_f64 v[109:110], v[111:112], v[95:96], v[89:90]
	ds_read_b128 v[89:92], v88 offset:608
	ds_read_b128 v[93:96], v88 offset:624
	s_waitcnt vmcnt(18) lgkmcnt(1)
	v_fma_f64 v[89:90], v[117:118], v[89:90], v[109:110]
	buffer_load_dword v109, off, s[0:3], 0 offset:184
	buffer_load_dword v110, off, s[0:3], 0 offset:188
	s_waitcnt vmcnt(19)
	v_fma_f64 v[89:90], v[115:116], v[91:92], v[89:90]
	s_waitcnt vmcnt(18) lgkmcnt(0)
	v_fma_f64 v[89:90], v[113:114], v[93:94], v[89:90]
	s_waitcnt vmcnt(13)
	v_fma_f64 v[97:98], v[97:98], v[95:96], v[89:90]
	ds_read_b128 v[89:92], v88 offset:640
	ds_read_b128 v[93:96], v88 offset:656
	s_waitcnt vmcnt(12) lgkmcnt(1)
	v_fma_f64 v[89:90], v[121:122], v[89:90], v[97:98]
	s_waitcnt vmcnt(11)
	v_fma_f64 v[89:90], v[119:120], v[91:92], v[89:90]
	s_waitcnt vmcnt(10) lgkmcnt(0)
	v_fma_f64 v[89:90], v[99:100], v[93:94], v[89:90]
	s_waitcnt vmcnt(5)
	v_fma_f64 v[93:94], v[101:102], v[95:96], v[89:90]
	ds_read_b128 v[89:92], v88 offset:672
	ds_read_b64 v[95:96], v88 offset:688
	s_waitcnt vmcnt(4) lgkmcnt(1)
	v_fma_f64 v[89:90], v[107:108], v[89:90], v[93:94]
	s_waitcnt vmcnt(3)
	v_fma_f64 v[89:90], v[105:106], v[91:92], v[89:90]
	s_waitcnt vmcnt(2) lgkmcnt(0)
	v_fma_f64 v[89:90], v[103:104], v[95:96], v[89:90]
	s_waitcnt vmcnt(0)
	v_add_f64 v[89:90], v[109:110], -v[89:90]
	buffer_store_dword v90, off, s[0:3], 0 offset:188
	buffer_store_dword v89, off, s[0:3], 0 offset:184
	s_and_saveexec_b64 s[4:5], vcc
	s_cbranch_execz .LBB106_221
; %bb.220:
	buffer_load_dword v89, off, s[0:3], 0 offset:176
	buffer_load_dword v90, off, s[0:3], 0 offset:180
	s_waitcnt vmcnt(0)
	ds_write_b64 v87, v[89:90]
	buffer_store_dword v88, off, s[0:3], 0 offset:176
	buffer_store_dword v88, off, s[0:3], 0 offset:180
.LBB106_221:
	s_or_b64 exec, exec, s[4:5]
	s_waitcnt lgkmcnt(0)
	; wave barrier
	buffer_load_dword v97, off, s[0:3], 0 offset:184
	buffer_load_dword v98, off, s[0:3], 0 offset:188
	buffer_load_dword v99, off, s[0:3], 0 offset:192
	buffer_load_dword v100, off, s[0:3], 0 offset:196
	buffer_load_dword v101, off, s[0:3], 0 offset:200
	buffer_load_dword v102, off, s[0:3], 0 offset:204
	buffer_load_dword v103, off, s[0:3], 0 offset:208
	buffer_load_dword v104, off, s[0:3], 0 offset:212
	buffer_load_dword v105, off, s[0:3], 0 offset:216
	buffer_load_dword v106, off, s[0:3], 0 offset:220
	buffer_load_dword v107, off, s[0:3], 0 offset:224
	buffer_load_dword v108, off, s[0:3], 0 offset:228
	buffer_load_dword v109, off, s[0:3], 0 offset:232
	buffer_load_dword v110, off, s[0:3], 0 offset:236
	buffer_load_dword v112, off, s[0:3], 0 offset:244
	buffer_load_dword v113, off, s[0:3], 0 offset:264
	buffer_load_dword v115, off, s[0:3], 0 offset:256
	buffer_load_dword v117, off, s[0:3], 0 offset:248
	buffer_load_dword v111, off, s[0:3], 0 offset:240
	buffer_load_dword v118, off, s[0:3], 0 offset:252
	buffer_load_dword v116, off, s[0:3], 0 offset:260
	buffer_load_dword v114, off, s[0:3], 0 offset:268
	ds_read2_b64 v[89:92], v88 offset0:67 offset1:68
	ds_read2_b64 v[93:96], v88 offset0:69 offset1:70
	v_cmp_lt_u32_e32 vcc, 21, v0
	s_waitcnt vmcnt(20) lgkmcnt(1)
	v_fma_f64 v[89:90], v[97:98], v[89:90], 0
	s_waitcnt vmcnt(18)
	v_fma_f64 v[89:90], v[99:100], v[91:92], v[89:90]
	buffer_load_dword v98, off, s[0:3], 0 offset:276
	buffer_load_dword v99, off, s[0:3], 0 offset:296
	;; [unrolled: 1-line block ×7, first 2 shown]
	s_waitcnt vmcnt(23) lgkmcnt(0)
	v_fma_f64 v[89:90], v[101:102], v[93:94], v[89:90]
	s_waitcnt vmcnt(21)
	v_fma_f64 v[100:101], v[103:104], v[95:96], v[89:90]
	ds_read2_b64 v[89:92], v88 offset0:71 offset1:72
	ds_read2_b64 v[93:96], v88 offset0:73 offset1:74
	s_waitcnt vmcnt(19) lgkmcnt(1)
	v_fma_f64 v[89:90], v[105:106], v[89:90], v[100:101]
	buffer_load_dword v100, off, s[0:3], 0 offset:300
	s_waitcnt vmcnt(18)
	v_fma_f64 v[89:90], v[107:108], v[91:92], v[89:90]
	buffer_load_dword v102, off, s[0:3], 0 offset:308
	buffer_load_dword v103, off, s[0:3], 0 offset:328
	;; [unrolled: 1-line block ×8, first 2 shown]
	s_waitcnt vmcnt(24) lgkmcnt(0)
	v_fma_f64 v[89:90], v[109:110], v[93:94], v[89:90]
	s_waitcnt vmcnt(19)
	v_fma_f64 v[109:110], v[111:112], v[95:96], v[89:90]
	ds_read2_b64 v[89:92], v88 offset0:75 offset1:76
	ds_read2_b64 v[93:96], v88 offset0:77 offset1:78
	s_waitcnt vmcnt(18) lgkmcnt(1)
	v_fma_f64 v[89:90], v[117:118], v[89:90], v[109:110]
	buffer_load_dword v110, off, s[0:3], 0 offset:340
	buffer_load_dword v109, off, s[0:3], 0 offset:336
	buffer_load_dword v111, off, s[0:3], 0 offset:176
	buffer_load_dword v112, off, s[0:3], 0 offset:180
	s_waitcnt vmcnt(21)
	v_fma_f64 v[89:90], v[115:116], v[91:92], v[89:90]
	s_waitcnt vmcnt(20) lgkmcnt(0)
	v_fma_f64 v[89:90], v[113:114], v[93:94], v[89:90]
	s_waitcnt vmcnt(15)
	v_fma_f64 v[97:98], v[97:98], v[95:96], v[89:90]
	ds_read2_b64 v[89:92], v88 offset0:79 offset1:80
	ds_read2_b64 v[93:96], v88 offset0:81 offset1:82
	s_waitcnt vmcnt(14) lgkmcnt(1)
	v_fma_f64 v[89:90], v[121:122], v[89:90], v[97:98]
	s_waitcnt vmcnt(13)
	v_fma_f64 v[89:90], v[119:120], v[91:92], v[89:90]
	s_waitcnt vmcnt(12) lgkmcnt(0)
	v_fma_f64 v[89:90], v[99:100], v[93:94], v[89:90]
	s_waitcnt vmcnt(7)
	v_fma_f64 v[97:98], v[101:102], v[95:96], v[89:90]
	ds_read2_b64 v[89:92], v88 offset0:83 offset1:84
	ds_read2_b64 v[93:96], v88 offset0:85 offset1:86
	s_waitcnt vmcnt(6) lgkmcnt(1)
	v_fma_f64 v[88:89], v[107:108], v[89:90], v[97:98]
	s_waitcnt vmcnt(5)
	v_fma_f64 v[88:89], v[105:106], v[91:92], v[88:89]
	s_waitcnt vmcnt(4) lgkmcnt(0)
	v_fma_f64 v[88:89], v[103:104], v[93:94], v[88:89]
	s_waitcnt vmcnt(2)
	v_fma_f64 v[88:89], v[109:110], v[95:96], v[88:89]
	s_waitcnt vmcnt(0)
	v_add_f64 v[88:89], v[111:112], -v[88:89]
	buffer_store_dword v89, off, s[0:3], 0 offset:180
	buffer_store_dword v88, off, s[0:3], 0 offset:176
	s_and_saveexec_b64 s[4:5], vcc
	s_cbranch_execz .LBB106_223
; %bb.222:
	buffer_load_dword v88, off, s[0:3], 0 offset:168
	buffer_load_dword v89, off, s[0:3], 0 offset:172
	v_mov_b32_e32 v90, 0
	buffer_store_dword v90, off, s[0:3], 0 offset:168
	buffer_store_dword v90, off, s[0:3], 0 offset:172
	s_waitcnt vmcnt(2)
	ds_write_b64 v87, v[88:89]
.LBB106_223:
	s_or_b64 exec, exec, s[4:5]
	s_waitcnt lgkmcnt(0)
	; wave barrier
	buffer_load_dword v97, off, s[0:3], 0 offset:176
	buffer_load_dword v98, off, s[0:3], 0 offset:180
	;; [unrolled: 1-line block ×21, first 2 shown]
	v_mov_b32_e32 v88, 0
	ds_read_b128 v[89:92], v88 offset:528
	ds_read_b128 v[93:96], v88 offset:544
	buffer_load_dword v114, off, s[0:3], 0 offset:260
	v_cmp_lt_u32_e32 vcc, 20, v0
	s_waitcnt vmcnt(20) lgkmcnt(1)
	v_fma_f64 v[89:90], v[97:98], v[89:90], 0
	s_waitcnt vmcnt(18)
	v_fma_f64 v[89:90], v[99:100], v[91:92], v[89:90]
	buffer_load_dword v98, off, s[0:3], 0 offset:268
	buffer_load_dword v99, off, s[0:3], 0 offset:288
	;; [unrolled: 1-line block ×7, first 2 shown]
	s_waitcnt vmcnt(23) lgkmcnt(0)
	v_fma_f64 v[89:90], v[101:102], v[93:94], v[89:90]
	s_waitcnt vmcnt(21)
	v_fma_f64 v[100:101], v[103:104], v[95:96], v[89:90]
	ds_read_b128 v[89:92], v88 offset:560
	ds_read_b128 v[93:96], v88 offset:576
	s_waitcnt vmcnt(19) lgkmcnt(1)
	v_fma_f64 v[89:90], v[105:106], v[89:90], v[100:101]
	buffer_load_dword v100, off, s[0:3], 0 offset:292
	s_waitcnt vmcnt(18)
	v_fma_f64 v[89:90], v[107:108], v[91:92], v[89:90]
	buffer_load_dword v102, off, s[0:3], 0 offset:300
	buffer_load_dword v103, off, s[0:3], 0 offset:320
	;; [unrolled: 1-line block ×7, first 2 shown]
	s_waitcnt vmcnt(23) lgkmcnt(0)
	v_fma_f64 v[89:90], v[109:110], v[93:94], v[89:90]
	s_waitcnt vmcnt(18)
	v_fma_f64 v[109:110], v[111:112], v[95:96], v[89:90]
	ds_read_b128 v[89:92], v88 offset:592
	ds_read_b128 v[93:96], v88 offset:608
	buffer_load_dword v104, off, s[0:3], 0 offset:324
	s_waitcnt vmcnt(18) lgkmcnt(1)
	v_fma_f64 v[89:90], v[117:118], v[89:90], v[109:110]
	buffer_load_dword v110, off, s[0:3], 0 offset:332
	buffer_load_dword v111, off, s[0:3], 0 offset:336
	;; [unrolled: 1-line block ×4, first 2 shown]
	s_waitcnt vmcnt(21)
	v_fma_f64 v[89:90], v[115:116], v[91:92], v[89:90]
	s_waitcnt vmcnt(20) lgkmcnt(0)
	v_fma_f64 v[89:90], v[113:114], v[93:94], v[89:90]
	buffer_load_dword v113, off, s[0:3], 0 offset:168
	buffer_load_dword v114, off, s[0:3], 0 offset:172
	s_waitcnt vmcnt(17)
	v_fma_f64 v[97:98], v[97:98], v[95:96], v[89:90]
	ds_read_b128 v[89:92], v88 offset:624
	ds_read_b128 v[93:96], v88 offset:640
	s_waitcnt vmcnt(16) lgkmcnt(1)
	v_fma_f64 v[89:90], v[121:122], v[89:90], v[97:98]
	s_waitcnt vmcnt(15)
	v_fma_f64 v[89:90], v[119:120], v[91:92], v[89:90]
	s_waitcnt vmcnt(14) lgkmcnt(0)
	v_fma_f64 v[89:90], v[99:100], v[93:94], v[89:90]
	s_waitcnt vmcnt(9)
	v_fma_f64 v[97:98], v[101:102], v[95:96], v[89:90]
	ds_read_b128 v[89:92], v88 offset:656
	ds_read_b128 v[93:96], v88 offset:672
	s_waitcnt vmcnt(8) lgkmcnt(1)
	v_fma_f64 v[89:90], v[107:108], v[89:90], v[97:98]
	s_waitcnt vmcnt(7)
	v_fma_f64 v[89:90], v[105:106], v[91:92], v[89:90]
	ds_read_b64 v[91:92], v88 offset:688
	s_waitcnt vmcnt(6) lgkmcnt(1)
	v_fma_f64 v[89:90], v[103:104], v[93:94], v[89:90]
	s_waitcnt vmcnt(3)
	v_fma_f64 v[89:90], v[109:110], v[95:96], v[89:90]
	s_waitcnt vmcnt(2) lgkmcnt(0)
	v_fma_f64 v[89:90], v[111:112], v[91:92], v[89:90]
	s_waitcnt vmcnt(0)
	v_add_f64 v[89:90], v[113:114], -v[89:90]
	buffer_store_dword v90, off, s[0:3], 0 offset:172
	buffer_store_dword v89, off, s[0:3], 0 offset:168
	s_and_saveexec_b64 s[4:5], vcc
	s_cbranch_execz .LBB106_225
; %bb.224:
	buffer_load_dword v89, off, s[0:3], 0 offset:160
	buffer_load_dword v90, off, s[0:3], 0 offset:164
	s_waitcnt vmcnt(0)
	ds_write_b64 v87, v[89:90]
	buffer_store_dword v88, off, s[0:3], 0 offset:160
	buffer_store_dword v88, off, s[0:3], 0 offset:164
.LBB106_225:
	s_or_b64 exec, exec, s[4:5]
	s_waitcnt lgkmcnt(0)
	; wave barrier
	buffer_load_dword v97, off, s[0:3], 0 offset:168
	buffer_load_dword v98, off, s[0:3], 0 offset:172
	;; [unrolled: 1-line block ×21, first 2 shown]
	ds_read2_b64 v[89:92], v88 offset0:65 offset1:66
	ds_read2_b64 v[93:96], v88 offset0:67 offset1:68
	buffer_load_dword v114, off, s[0:3], 0 offset:252
	v_cmp_lt_u32_e32 vcc, 19, v0
	s_waitcnt vmcnt(20) lgkmcnt(1)
	v_fma_f64 v[89:90], v[97:98], v[89:90], 0
	s_waitcnt vmcnt(18)
	v_fma_f64 v[89:90], v[99:100], v[91:92], v[89:90]
	buffer_load_dword v98, off, s[0:3], 0 offset:260
	buffer_load_dword v99, off, s[0:3], 0 offset:280
	;; [unrolled: 1-line block ×7, first 2 shown]
	s_waitcnt vmcnt(23) lgkmcnt(0)
	v_fma_f64 v[89:90], v[101:102], v[93:94], v[89:90]
	s_waitcnt vmcnt(21)
	v_fma_f64 v[100:101], v[103:104], v[95:96], v[89:90]
	ds_read2_b64 v[89:92], v88 offset0:69 offset1:70
	ds_read2_b64 v[93:96], v88 offset0:71 offset1:72
	s_waitcnt vmcnt(19) lgkmcnt(1)
	v_fma_f64 v[89:90], v[105:106], v[89:90], v[100:101]
	buffer_load_dword v100, off, s[0:3], 0 offset:284
	s_waitcnt vmcnt(18)
	v_fma_f64 v[89:90], v[107:108], v[91:92], v[89:90]
	buffer_load_dword v102, off, s[0:3], 0 offset:292
	buffer_load_dword v103, off, s[0:3], 0 offset:312
	;; [unrolled: 1-line block ×8, first 2 shown]
	s_waitcnt vmcnt(24) lgkmcnt(0)
	v_fma_f64 v[89:90], v[109:110], v[93:94], v[89:90]
	s_waitcnt vmcnt(19)
	v_fma_f64 v[109:110], v[111:112], v[95:96], v[89:90]
	ds_read2_b64 v[89:92], v88 offset0:73 offset1:74
	ds_read2_b64 v[93:96], v88 offset0:75 offset1:76
	s_waitcnt vmcnt(18) lgkmcnt(1)
	v_fma_f64 v[89:90], v[117:118], v[89:90], v[109:110]
	s_waitcnt vmcnt(17)
	v_fma_f64 v[89:90], v[115:116], v[91:92], v[89:90]
	buffer_load_dword v110, off, s[0:3], 0 offset:324
	buffer_load_dword v111, off, s[0:3], 0 offset:336
	;; [unrolled: 1-line block ×6, first 2 shown]
	s_waitcnt vmcnt(22) lgkmcnt(0)
	v_fma_f64 v[89:90], v[113:114], v[93:94], v[89:90]
	s_waitcnt vmcnt(17)
	v_fma_f64 v[97:98], v[97:98], v[95:96], v[89:90]
	ds_read2_b64 v[89:92], v88 offset0:77 offset1:78
	buffer_load_dword v113, off, s[0:3], 0 offset:160
	buffer_load_dword v114, off, s[0:3], 0 offset:164
	ds_read2_b64 v[93:96], v88 offset0:79 offset1:80
	s_waitcnt vmcnt(18) lgkmcnt(1)
	v_fma_f64 v[89:90], v[121:122], v[89:90], v[97:98]
	s_waitcnt vmcnt(17)
	v_fma_f64 v[89:90], v[119:120], v[91:92], v[89:90]
	s_waitcnt vmcnt(16) lgkmcnt(0)
	v_fma_f64 v[89:90], v[99:100], v[93:94], v[89:90]
	s_waitcnt vmcnt(11)
	v_fma_f64 v[97:98], v[101:102], v[95:96], v[89:90]
	ds_read2_b64 v[89:92], v88 offset0:81 offset1:82
	ds_read2_b64 v[93:96], v88 offset0:83 offset1:84
	s_waitcnt vmcnt(10) lgkmcnt(1)
	v_fma_f64 v[89:90], v[107:108], v[89:90], v[97:98]
	s_waitcnt vmcnt(9)
	v_fma_f64 v[89:90], v[105:106], v[91:92], v[89:90]
	s_waitcnt vmcnt(8) lgkmcnt(0)
	v_fma_f64 v[89:90], v[103:104], v[93:94], v[89:90]
	s_waitcnt vmcnt(4)
	v_fma_f64 v[92:93], v[109:110], v[95:96], v[89:90]
	ds_read2_b64 v[88:91], v88 offset0:85 offset1:86
	s_waitcnt vmcnt(3) lgkmcnt(0)
	v_fma_f64 v[88:89], v[115:116], v[88:89], v[92:93]
	s_waitcnt vmcnt(2)
	v_fma_f64 v[88:89], v[111:112], v[90:91], v[88:89]
	s_waitcnt vmcnt(0)
	v_add_f64 v[88:89], v[113:114], -v[88:89]
	buffer_store_dword v89, off, s[0:3], 0 offset:164
	buffer_store_dword v88, off, s[0:3], 0 offset:160
	s_and_saveexec_b64 s[4:5], vcc
	s_cbranch_execz .LBB106_227
; %bb.226:
	buffer_load_dword v88, off, s[0:3], 0 offset:152
	buffer_load_dword v89, off, s[0:3], 0 offset:156
	v_mov_b32_e32 v90, 0
	buffer_store_dword v90, off, s[0:3], 0 offset:152
	buffer_store_dword v90, off, s[0:3], 0 offset:156
	s_waitcnt vmcnt(2)
	ds_write_b64 v87, v[88:89]
.LBB106_227:
	s_or_b64 exec, exec, s[4:5]
	s_waitcnt lgkmcnt(0)
	; wave barrier
	buffer_load_dword v97, off, s[0:3], 0 offset:160
	buffer_load_dword v98, off, s[0:3], 0 offset:164
	;; [unrolled: 1-line block ×21, first 2 shown]
	v_mov_b32_e32 v88, 0
	ds_read_b128 v[89:92], v88 offset:512
	ds_read_b128 v[93:96], v88 offset:528
	buffer_load_dword v114, off, s[0:3], 0 offset:244
	v_cmp_lt_u32_e32 vcc, 18, v0
	s_waitcnt vmcnt(20) lgkmcnt(1)
	v_fma_f64 v[89:90], v[97:98], v[89:90], 0
	s_waitcnt vmcnt(18)
	v_fma_f64 v[89:90], v[99:100], v[91:92], v[89:90]
	buffer_load_dword v98, off, s[0:3], 0 offset:252
	buffer_load_dword v99, off, s[0:3], 0 offset:272
	;; [unrolled: 1-line block ×7, first 2 shown]
	s_waitcnt vmcnt(23) lgkmcnt(0)
	v_fma_f64 v[89:90], v[101:102], v[93:94], v[89:90]
	s_waitcnt vmcnt(21)
	v_fma_f64 v[100:101], v[103:104], v[95:96], v[89:90]
	ds_read_b128 v[89:92], v88 offset:544
	ds_read_b128 v[93:96], v88 offset:560
	s_waitcnt vmcnt(19) lgkmcnt(1)
	v_fma_f64 v[89:90], v[105:106], v[89:90], v[100:101]
	buffer_load_dword v100, off, s[0:3], 0 offset:276
	s_waitcnt vmcnt(18)
	v_fma_f64 v[89:90], v[107:108], v[91:92], v[89:90]
	buffer_load_dword v102, off, s[0:3], 0 offset:284
	buffer_load_dword v103, off, s[0:3], 0 offset:304
	;; [unrolled: 1-line block ×8, first 2 shown]
	s_waitcnt vmcnt(24) lgkmcnt(0)
	v_fma_f64 v[89:90], v[109:110], v[93:94], v[89:90]
	s_waitcnt vmcnt(19)
	v_fma_f64 v[109:110], v[111:112], v[95:96], v[89:90]
	ds_read_b128 v[89:92], v88 offset:576
	ds_read_b128 v[93:96], v88 offset:592
	s_waitcnt vmcnt(18) lgkmcnt(1)
	v_fma_f64 v[89:90], v[117:118], v[89:90], v[109:110]
	s_waitcnt vmcnt(17)
	v_fma_f64 v[89:90], v[115:116], v[91:92], v[89:90]
	buffer_load_dword v110, off, s[0:3], 0 offset:316
	buffer_load_dword v111, off, s[0:3], 0 offset:336
	buffer_load_dword v115, off, s[0:3], 0 offset:328
	buffer_load_dword v117, off, s[0:3], 0 offset:320
	buffer_load_dword v109, off, s[0:3], 0 offset:312
	buffer_load_dword v118, off, s[0:3], 0 offset:324
	buffer_load_dword v116, off, s[0:3], 0 offset:332
	buffer_load_dword v112, off, s[0:3], 0 offset:340
	s_waitcnt vmcnt(24) lgkmcnt(0)
	v_fma_f64 v[89:90], v[113:114], v[93:94], v[89:90]
	s_waitcnt vmcnt(19)
	v_fma_f64 v[97:98], v[97:98], v[95:96], v[89:90]
	ds_read_b128 v[89:92], v88 offset:608
	ds_read_b128 v[93:96], v88 offset:624
	s_waitcnt vmcnt(18) lgkmcnt(1)
	v_fma_f64 v[89:90], v[121:122], v[89:90], v[97:98]
	buffer_load_dword v97, off, s[0:3], 0 offset:152
	buffer_load_dword v98, off, s[0:3], 0 offset:156
	s_waitcnt vmcnt(19)
	v_fma_f64 v[89:90], v[119:120], v[91:92], v[89:90]
	s_waitcnt vmcnt(18) lgkmcnt(0)
	v_fma_f64 v[89:90], v[99:100], v[93:94], v[89:90]
	s_waitcnt vmcnt(13)
	v_fma_f64 v[99:100], v[101:102], v[95:96], v[89:90]
	ds_read_b128 v[89:92], v88 offset:640
	ds_read_b128 v[93:96], v88 offset:656
	s_waitcnt vmcnt(12) lgkmcnt(1)
	v_fma_f64 v[89:90], v[107:108], v[89:90], v[99:100]
	s_waitcnt vmcnt(11)
	v_fma_f64 v[89:90], v[105:106], v[91:92], v[89:90]
	s_waitcnt vmcnt(10) lgkmcnt(0)
	v_fma_f64 v[89:90], v[103:104], v[93:94], v[89:90]
	s_waitcnt vmcnt(5)
	v_fma_f64 v[93:94], v[109:110], v[95:96], v[89:90]
	ds_read_b128 v[89:92], v88 offset:672
	ds_read_b64 v[95:96], v88 offset:688
	s_waitcnt vmcnt(4) lgkmcnt(1)
	v_fma_f64 v[89:90], v[117:118], v[89:90], v[93:94]
	s_waitcnt vmcnt(3)
	v_fma_f64 v[89:90], v[115:116], v[91:92], v[89:90]
	s_waitcnt vmcnt(2) lgkmcnt(0)
	v_fma_f64 v[89:90], v[111:112], v[95:96], v[89:90]
	s_waitcnt vmcnt(0)
	v_add_f64 v[89:90], v[97:98], -v[89:90]
	buffer_store_dword v90, off, s[0:3], 0 offset:156
	buffer_store_dword v89, off, s[0:3], 0 offset:152
	s_and_saveexec_b64 s[4:5], vcc
	s_cbranch_execz .LBB106_229
; %bb.228:
	buffer_load_dword v89, off, s[0:3], 0 offset:144
	buffer_load_dword v90, off, s[0:3], 0 offset:148
	s_waitcnt vmcnt(0)
	ds_write_b64 v87, v[89:90]
	buffer_store_dword v88, off, s[0:3], 0 offset:144
	buffer_store_dword v88, off, s[0:3], 0 offset:148
.LBB106_229:
	s_or_b64 exec, exec, s[4:5]
	s_waitcnt lgkmcnt(0)
	; wave barrier
	buffer_load_dword v97, off, s[0:3], 0 offset:152
	buffer_load_dword v98, off, s[0:3], 0 offset:156
	;; [unrolled: 1-line block ×21, first 2 shown]
	ds_read2_b64 v[89:92], v88 offset0:63 offset1:64
	ds_read2_b64 v[93:96], v88 offset0:65 offset1:66
	buffer_load_dword v114, off, s[0:3], 0 offset:236
	v_cmp_lt_u32_e32 vcc, 17, v0
	s_waitcnt vmcnt(20) lgkmcnt(1)
	v_fma_f64 v[89:90], v[97:98], v[89:90], 0
	s_waitcnt vmcnt(18)
	v_fma_f64 v[89:90], v[99:100], v[91:92], v[89:90]
	buffer_load_dword v98, off, s[0:3], 0 offset:244
	buffer_load_dword v99, off, s[0:3], 0 offset:264
	;; [unrolled: 1-line block ×7, first 2 shown]
	s_waitcnt vmcnt(23) lgkmcnt(0)
	v_fma_f64 v[89:90], v[101:102], v[93:94], v[89:90]
	s_waitcnt vmcnt(21)
	v_fma_f64 v[100:101], v[103:104], v[95:96], v[89:90]
	ds_read2_b64 v[89:92], v88 offset0:67 offset1:68
	ds_read2_b64 v[93:96], v88 offset0:69 offset1:70
	s_waitcnt vmcnt(19) lgkmcnt(1)
	v_fma_f64 v[89:90], v[105:106], v[89:90], v[100:101]
	buffer_load_dword v100, off, s[0:3], 0 offset:268
	s_waitcnt vmcnt(18)
	v_fma_f64 v[89:90], v[107:108], v[91:92], v[89:90]
	buffer_load_dword v102, off, s[0:3], 0 offset:276
	buffer_load_dword v103, off, s[0:3], 0 offset:296
	;; [unrolled: 1-line block ×8, first 2 shown]
	s_waitcnt vmcnt(24) lgkmcnt(0)
	v_fma_f64 v[89:90], v[109:110], v[93:94], v[89:90]
	s_waitcnt vmcnt(19)
	v_fma_f64 v[109:110], v[111:112], v[95:96], v[89:90]
	ds_read2_b64 v[89:92], v88 offset0:71 offset1:72
	ds_read2_b64 v[93:96], v88 offset0:73 offset1:74
	s_waitcnt vmcnt(18) lgkmcnt(1)
	v_fma_f64 v[89:90], v[117:118], v[89:90], v[109:110]
	s_waitcnt vmcnt(17)
	v_fma_f64 v[89:90], v[115:116], v[91:92], v[89:90]
	buffer_load_dword v110, off, s[0:3], 0 offset:308
	buffer_load_dword v111, off, s[0:3], 0 offset:328
	;; [unrolled: 1-line block ×8, first 2 shown]
	s_waitcnt vmcnt(24) lgkmcnt(0)
	v_fma_f64 v[89:90], v[113:114], v[93:94], v[89:90]
	s_waitcnt vmcnt(19)
	v_fma_f64 v[97:98], v[97:98], v[95:96], v[89:90]
	ds_read2_b64 v[89:92], v88 offset0:75 offset1:76
	ds_read2_b64 v[93:96], v88 offset0:77 offset1:78
	s_waitcnt vmcnt(18) lgkmcnt(1)
	v_fma_f64 v[89:90], v[121:122], v[89:90], v[97:98]
	buffer_load_dword v98, off, s[0:3], 0 offset:340
	buffer_load_dword v97, off, s[0:3], 0 offset:336
	;; [unrolled: 1-line block ×4, first 2 shown]
	s_waitcnt vmcnt(21)
	v_fma_f64 v[89:90], v[119:120], v[91:92], v[89:90]
	s_waitcnt vmcnt(20) lgkmcnt(0)
	v_fma_f64 v[89:90], v[99:100], v[93:94], v[89:90]
	s_waitcnt vmcnt(15)
	v_fma_f64 v[99:100], v[101:102], v[95:96], v[89:90]
	ds_read2_b64 v[89:92], v88 offset0:79 offset1:80
	ds_read2_b64 v[93:96], v88 offset0:81 offset1:82
	s_waitcnt vmcnt(14) lgkmcnt(1)
	v_fma_f64 v[89:90], v[107:108], v[89:90], v[99:100]
	s_waitcnt vmcnt(13)
	v_fma_f64 v[89:90], v[105:106], v[91:92], v[89:90]
	s_waitcnt vmcnt(12) lgkmcnt(0)
	v_fma_f64 v[89:90], v[103:104], v[93:94], v[89:90]
	s_waitcnt vmcnt(7)
	v_fma_f64 v[99:100], v[109:110], v[95:96], v[89:90]
	ds_read2_b64 v[89:92], v88 offset0:83 offset1:84
	ds_read2_b64 v[93:96], v88 offset0:85 offset1:86
	s_waitcnt vmcnt(6) lgkmcnt(1)
	v_fma_f64 v[88:89], v[117:118], v[89:90], v[99:100]
	s_waitcnt vmcnt(5)
	v_fma_f64 v[88:89], v[115:116], v[91:92], v[88:89]
	s_waitcnt vmcnt(4) lgkmcnt(0)
	v_fma_f64 v[88:89], v[111:112], v[93:94], v[88:89]
	s_waitcnt vmcnt(2)
	v_fma_f64 v[88:89], v[97:98], v[95:96], v[88:89]
	s_waitcnt vmcnt(0)
	v_add_f64 v[88:89], v[113:114], -v[88:89]
	buffer_store_dword v89, off, s[0:3], 0 offset:148
	buffer_store_dword v88, off, s[0:3], 0 offset:144
	s_and_saveexec_b64 s[4:5], vcc
	s_cbranch_execz .LBB106_231
; %bb.230:
	buffer_load_dword v88, off, s[0:3], 0 offset:136
	buffer_load_dword v89, off, s[0:3], 0 offset:140
	v_mov_b32_e32 v90, 0
	buffer_store_dword v90, off, s[0:3], 0 offset:136
	buffer_store_dword v90, off, s[0:3], 0 offset:140
	s_waitcnt vmcnt(2)
	ds_write_b64 v87, v[88:89]
.LBB106_231:
	s_or_b64 exec, exec, s[4:5]
	s_waitcnt lgkmcnt(0)
	; wave barrier
	buffer_load_dword v97, off, s[0:3], 0 offset:144
	buffer_load_dword v98, off, s[0:3], 0 offset:148
	;; [unrolled: 1-line block ×21, first 2 shown]
	v_mov_b32_e32 v88, 0
	ds_read_b128 v[89:92], v88 offset:496
	ds_read_b128 v[93:96], v88 offset:512
	buffer_load_dword v114, off, s[0:3], 0 offset:228
	v_cmp_lt_u32_e32 vcc, 16, v0
	s_waitcnt vmcnt(20) lgkmcnt(1)
	v_fma_f64 v[89:90], v[97:98], v[89:90], 0
	s_waitcnt vmcnt(18)
	v_fma_f64 v[89:90], v[99:100], v[91:92], v[89:90]
	buffer_load_dword v98, off, s[0:3], 0 offset:236
	buffer_load_dword v99, off, s[0:3], 0 offset:256
	;; [unrolled: 1-line block ×7, first 2 shown]
	s_waitcnt vmcnt(23) lgkmcnt(0)
	v_fma_f64 v[89:90], v[101:102], v[93:94], v[89:90]
	s_waitcnt vmcnt(21)
	v_fma_f64 v[100:101], v[103:104], v[95:96], v[89:90]
	ds_read_b128 v[89:92], v88 offset:528
	ds_read_b128 v[93:96], v88 offset:544
	s_waitcnt vmcnt(19) lgkmcnt(1)
	v_fma_f64 v[89:90], v[105:106], v[89:90], v[100:101]
	buffer_load_dword v100, off, s[0:3], 0 offset:260
	s_waitcnt vmcnt(18)
	v_fma_f64 v[89:90], v[107:108], v[91:92], v[89:90]
	buffer_load_dword v102, off, s[0:3], 0 offset:268
	buffer_load_dword v103, off, s[0:3], 0 offset:288
	;; [unrolled: 1-line block ×8, first 2 shown]
	s_waitcnt vmcnt(24) lgkmcnt(0)
	v_fma_f64 v[89:90], v[109:110], v[93:94], v[89:90]
	s_waitcnt vmcnt(19)
	v_fma_f64 v[109:110], v[111:112], v[95:96], v[89:90]
	ds_read_b128 v[89:92], v88 offset:560
	ds_read_b128 v[93:96], v88 offset:576
	s_waitcnt vmcnt(18) lgkmcnt(1)
	v_fma_f64 v[89:90], v[117:118], v[89:90], v[109:110]
	s_waitcnt vmcnt(17)
	v_fma_f64 v[89:90], v[115:116], v[91:92], v[89:90]
	buffer_load_dword v110, off, s[0:3], 0 offset:300
	buffer_load_dword v111, off, s[0:3], 0 offset:320
	;; [unrolled: 1-line block ×7, first 2 shown]
	s_waitcnt vmcnt(23) lgkmcnt(0)
	v_fma_f64 v[89:90], v[113:114], v[93:94], v[89:90]
	s_waitcnt vmcnt(18)
	v_fma_f64 v[97:98], v[97:98], v[95:96], v[89:90]
	ds_read_b128 v[89:92], v88 offset:592
	ds_read_b128 v[93:96], v88 offset:608
	buffer_load_dword v112, off, s[0:3], 0 offset:324
	s_waitcnt vmcnt(18) lgkmcnt(1)
	v_fma_f64 v[89:90], v[121:122], v[89:90], v[97:98]
	buffer_load_dword v98, off, s[0:3], 0 offset:332
	buffer_load_dword v113, off, s[0:3], 0 offset:336
	;; [unrolled: 1-line block ×4, first 2 shown]
	s_waitcnt vmcnt(21)
	v_fma_f64 v[89:90], v[119:120], v[91:92], v[89:90]
	s_waitcnt vmcnt(20) lgkmcnt(0)
	v_fma_f64 v[89:90], v[99:100], v[93:94], v[89:90]
	buffer_load_dword v99, off, s[0:3], 0 offset:136
	buffer_load_dword v100, off, s[0:3], 0 offset:140
	s_waitcnt vmcnt(17)
	v_fma_f64 v[101:102], v[101:102], v[95:96], v[89:90]
	ds_read_b128 v[89:92], v88 offset:624
	ds_read_b128 v[93:96], v88 offset:640
	s_waitcnt vmcnt(16) lgkmcnt(1)
	v_fma_f64 v[89:90], v[107:108], v[89:90], v[101:102]
	s_waitcnt vmcnt(15)
	v_fma_f64 v[89:90], v[105:106], v[91:92], v[89:90]
	s_waitcnt vmcnt(14) lgkmcnt(0)
	v_fma_f64 v[89:90], v[103:104], v[93:94], v[89:90]
	s_waitcnt vmcnt(9)
	v_fma_f64 v[101:102], v[109:110], v[95:96], v[89:90]
	ds_read_b128 v[89:92], v88 offset:656
	ds_read_b128 v[93:96], v88 offset:672
	s_waitcnt vmcnt(8) lgkmcnt(1)
	v_fma_f64 v[89:90], v[117:118], v[89:90], v[101:102]
	s_waitcnt vmcnt(7)
	v_fma_f64 v[89:90], v[115:116], v[91:92], v[89:90]
	ds_read_b64 v[91:92], v88 offset:688
	s_waitcnt vmcnt(6) lgkmcnt(1)
	v_fma_f64 v[89:90], v[111:112], v[93:94], v[89:90]
	s_waitcnt vmcnt(3)
	v_fma_f64 v[89:90], v[97:98], v[95:96], v[89:90]
	s_waitcnt vmcnt(2) lgkmcnt(0)
	v_fma_f64 v[89:90], v[113:114], v[91:92], v[89:90]
	s_waitcnt vmcnt(0)
	v_add_f64 v[89:90], v[99:100], -v[89:90]
	buffer_store_dword v90, off, s[0:3], 0 offset:140
	buffer_store_dword v89, off, s[0:3], 0 offset:136
	s_and_saveexec_b64 s[4:5], vcc
	s_cbranch_execz .LBB106_233
; %bb.232:
	buffer_load_dword v89, off, s[0:3], 0 offset:128
	buffer_load_dword v90, off, s[0:3], 0 offset:132
	s_waitcnt vmcnt(0)
	ds_write_b64 v87, v[89:90]
	buffer_store_dword v88, off, s[0:3], 0 offset:128
	buffer_store_dword v88, off, s[0:3], 0 offset:132
.LBB106_233:
	s_or_b64 exec, exec, s[4:5]
	s_waitcnt lgkmcnt(0)
	; wave barrier
	buffer_load_dword v97, off, s[0:3], 0 offset:136
	buffer_load_dword v98, off, s[0:3], 0 offset:140
	;; [unrolled: 1-line block ×22, first 2 shown]
	ds_read2_b64 v[89:92], v88 offset0:61 offset1:62
	ds_read2_b64 v[93:96], v88 offset0:63 offset1:64
	v_cmp_lt_u32_e32 vcc, 15, v0
	s_waitcnt vmcnt(20) lgkmcnt(1)
	v_fma_f64 v[89:90], v[97:98], v[89:90], 0
	s_waitcnt vmcnt(18)
	v_fma_f64 v[89:90], v[99:100], v[91:92], v[89:90]
	buffer_load_dword v98, off, s[0:3], 0 offset:228
	buffer_load_dword v99, off, s[0:3], 0 offset:248
	;; [unrolled: 1-line block ×7, first 2 shown]
	s_waitcnt vmcnt(23) lgkmcnt(0)
	v_fma_f64 v[89:90], v[101:102], v[93:94], v[89:90]
	s_waitcnt vmcnt(21)
	v_fma_f64 v[100:101], v[103:104], v[95:96], v[89:90]
	ds_read2_b64 v[89:92], v88 offset0:65 offset1:66
	ds_read2_b64 v[93:96], v88 offset0:67 offset1:68
	s_waitcnt vmcnt(19) lgkmcnt(1)
	v_fma_f64 v[89:90], v[105:106], v[89:90], v[100:101]
	buffer_load_dword v100, off, s[0:3], 0 offset:252
	s_waitcnt vmcnt(18)
	v_fma_f64 v[89:90], v[107:108], v[91:92], v[89:90]
	buffer_load_dword v102, off, s[0:3], 0 offset:260
	buffer_load_dword v103, off, s[0:3], 0 offset:280
	;; [unrolled: 1-line block ×8, first 2 shown]
	s_waitcnt vmcnt(24) lgkmcnt(0)
	v_fma_f64 v[89:90], v[109:110], v[93:94], v[89:90]
	s_waitcnt vmcnt(19)
	v_fma_f64 v[109:110], v[111:112], v[95:96], v[89:90]
	ds_read2_b64 v[89:92], v88 offset0:69 offset1:70
	ds_read2_b64 v[93:96], v88 offset0:71 offset1:72
	s_waitcnt vmcnt(18) lgkmcnt(1)
	v_fma_f64 v[89:90], v[117:118], v[89:90], v[109:110]
	s_waitcnt vmcnt(17)
	v_fma_f64 v[89:90], v[115:116], v[91:92], v[89:90]
	buffer_load_dword v110, off, s[0:3], 0 offset:292
	buffer_load_dword v111, off, s[0:3], 0 offset:312
	;; [unrolled: 1-line block ×8, first 2 shown]
	s_waitcnt vmcnt(24) lgkmcnt(0)
	v_fma_f64 v[89:90], v[113:114], v[93:94], v[89:90]
	s_waitcnt vmcnt(19)
	v_fma_f64 v[97:98], v[97:98], v[95:96], v[89:90]
	ds_read2_b64 v[89:92], v88 offset0:73 offset1:74
	ds_read2_b64 v[93:96], v88 offset0:75 offset1:76
	s_waitcnt vmcnt(18) lgkmcnt(1)
	v_fma_f64 v[89:90], v[121:122], v[89:90], v[97:98]
	s_waitcnt vmcnt(17)
	v_fma_f64 v[89:90], v[119:120], v[91:92], v[89:90]
	buffer_load_dword v98, off, s[0:3], 0 offset:324
	buffer_load_dword v113, off, s[0:3], 0 offset:336
	;; [unrolled: 1-line block ×6, first 2 shown]
	s_waitcnt vmcnt(22) lgkmcnt(0)
	v_fma_f64 v[89:90], v[99:100], v[93:94], v[89:90]
	s_waitcnt vmcnt(17)
	v_fma_f64 v[99:100], v[101:102], v[95:96], v[89:90]
	ds_read2_b64 v[89:92], v88 offset0:77 offset1:78
	buffer_load_dword v101, off, s[0:3], 0 offset:128
	buffer_load_dword v102, off, s[0:3], 0 offset:132
	ds_read2_b64 v[93:96], v88 offset0:79 offset1:80
	s_waitcnt vmcnt(18) lgkmcnt(1)
	v_fma_f64 v[89:90], v[107:108], v[89:90], v[99:100]
	s_waitcnt vmcnt(17)
	v_fma_f64 v[89:90], v[105:106], v[91:92], v[89:90]
	s_waitcnt vmcnt(16) lgkmcnt(0)
	v_fma_f64 v[89:90], v[103:104], v[93:94], v[89:90]
	s_waitcnt vmcnt(11)
	v_fma_f64 v[99:100], v[109:110], v[95:96], v[89:90]
	ds_read2_b64 v[89:92], v88 offset0:81 offset1:82
	ds_read2_b64 v[93:96], v88 offset0:83 offset1:84
	s_waitcnt vmcnt(10) lgkmcnt(1)
	v_fma_f64 v[89:90], v[117:118], v[89:90], v[99:100]
	s_waitcnt vmcnt(9)
	v_fma_f64 v[89:90], v[115:116], v[91:92], v[89:90]
	s_waitcnt vmcnt(8) lgkmcnt(0)
	v_fma_f64 v[89:90], v[111:112], v[93:94], v[89:90]
	s_waitcnt vmcnt(4)
	v_fma_f64 v[92:93], v[97:98], v[95:96], v[89:90]
	ds_read2_b64 v[88:91], v88 offset0:85 offset1:86
	s_waitcnt vmcnt(3) lgkmcnt(0)
	v_fma_f64 v[88:89], v[119:120], v[88:89], v[92:93]
	s_waitcnt vmcnt(2)
	v_fma_f64 v[88:89], v[113:114], v[90:91], v[88:89]
	s_waitcnt vmcnt(0)
	v_add_f64 v[88:89], v[101:102], -v[88:89]
	buffer_store_dword v89, off, s[0:3], 0 offset:132
	buffer_store_dword v88, off, s[0:3], 0 offset:128
	s_and_saveexec_b64 s[4:5], vcc
	s_cbranch_execz .LBB106_235
; %bb.234:
	buffer_load_dword v88, off, s[0:3], 0 offset:120
	buffer_load_dword v89, off, s[0:3], 0 offset:124
	v_mov_b32_e32 v90, 0
	buffer_store_dword v90, off, s[0:3], 0 offset:120
	buffer_store_dword v90, off, s[0:3], 0 offset:124
	s_waitcnt vmcnt(2)
	ds_write_b64 v87, v[88:89]
.LBB106_235:
	s_or_b64 exec, exec, s[4:5]
	s_waitcnt lgkmcnt(0)
	; wave barrier
	buffer_load_dword v97, off, s[0:3], 0 offset:128
	buffer_load_dword v98, off, s[0:3], 0 offset:132
	;; [unrolled: 1-line block ×22, first 2 shown]
	v_mov_b32_e32 v88, 0
	ds_read_b128 v[89:92], v88 offset:480
	ds_read_b128 v[93:96], v88 offset:496
	v_cmp_lt_u32_e32 vcc, 14, v0
	s_waitcnt vmcnt(20) lgkmcnt(1)
	v_fma_f64 v[89:90], v[97:98], v[89:90], 0
	s_waitcnt vmcnt(18)
	v_fma_f64 v[89:90], v[99:100], v[91:92], v[89:90]
	buffer_load_dword v98, off, s[0:3], 0 offset:220
	buffer_load_dword v99, off, s[0:3], 0 offset:240
	;; [unrolled: 1-line block ×7, first 2 shown]
	s_waitcnt vmcnt(23) lgkmcnt(0)
	v_fma_f64 v[89:90], v[101:102], v[93:94], v[89:90]
	s_waitcnt vmcnt(21)
	v_fma_f64 v[100:101], v[103:104], v[95:96], v[89:90]
	ds_read_b128 v[89:92], v88 offset:512
	ds_read_b128 v[93:96], v88 offset:528
	s_waitcnt vmcnt(19) lgkmcnt(1)
	v_fma_f64 v[89:90], v[105:106], v[89:90], v[100:101]
	buffer_load_dword v100, off, s[0:3], 0 offset:244
	s_waitcnt vmcnt(18)
	v_fma_f64 v[89:90], v[107:108], v[91:92], v[89:90]
	buffer_load_dword v102, off, s[0:3], 0 offset:252
	buffer_load_dword v103, off, s[0:3], 0 offset:272
	buffer_load_dword v105, off, s[0:3], 0 offset:264
	buffer_load_dword v107, off, s[0:3], 0 offset:256
	buffer_load_dword v101, off, s[0:3], 0 offset:248
	buffer_load_dword v108, off, s[0:3], 0 offset:260
	buffer_load_dword v106, off, s[0:3], 0 offset:268
	buffer_load_dword v104, off, s[0:3], 0 offset:276
	s_waitcnt vmcnt(24) lgkmcnt(0)
	v_fma_f64 v[89:90], v[109:110], v[93:94], v[89:90]
	s_waitcnt vmcnt(19)
	v_fma_f64 v[109:110], v[111:112], v[95:96], v[89:90]
	ds_read_b128 v[89:92], v88 offset:544
	ds_read_b128 v[93:96], v88 offset:560
	s_waitcnt vmcnt(18) lgkmcnt(1)
	v_fma_f64 v[89:90], v[117:118], v[89:90], v[109:110]
	s_waitcnt vmcnt(17)
	v_fma_f64 v[89:90], v[115:116], v[91:92], v[89:90]
	buffer_load_dword v110, off, s[0:3], 0 offset:284
	buffer_load_dword v111, off, s[0:3], 0 offset:304
	buffer_load_dword v115, off, s[0:3], 0 offset:296
	buffer_load_dword v117, off, s[0:3], 0 offset:288
	buffer_load_dword v109, off, s[0:3], 0 offset:280
	buffer_load_dword v118, off, s[0:3], 0 offset:292
	buffer_load_dword v116, off, s[0:3], 0 offset:300
	buffer_load_dword v112, off, s[0:3], 0 offset:308
	s_waitcnt vmcnt(24) lgkmcnt(0)
	v_fma_f64 v[89:90], v[113:114], v[93:94], v[89:90]
	s_waitcnt vmcnt(19)
	v_fma_f64 v[97:98], v[97:98], v[95:96], v[89:90]
	ds_read_b128 v[89:92], v88 offset:576
	ds_read_b128 v[93:96], v88 offset:592
	s_waitcnt vmcnt(18) lgkmcnt(1)
	v_fma_f64 v[89:90], v[121:122], v[89:90], v[97:98]
	;; [unrolled: 18-line block ×3, first 2 shown]
	buffer_load_dword v99, off, s[0:3], 0 offset:120
	buffer_load_dword v100, off, s[0:3], 0 offset:124
	s_waitcnt vmcnt(19)
	v_fma_f64 v[89:90], v[105:106], v[91:92], v[89:90]
	s_waitcnt vmcnt(18) lgkmcnt(0)
	v_fma_f64 v[89:90], v[103:104], v[93:94], v[89:90]
	s_waitcnt vmcnt(13)
	v_fma_f64 v[101:102], v[109:110], v[95:96], v[89:90]
	ds_read_b128 v[89:92], v88 offset:640
	ds_read_b128 v[93:96], v88 offset:656
	s_waitcnt vmcnt(12) lgkmcnt(1)
	v_fma_f64 v[89:90], v[117:118], v[89:90], v[101:102]
	s_waitcnt vmcnt(11)
	v_fma_f64 v[89:90], v[115:116], v[91:92], v[89:90]
	s_waitcnt vmcnt(10) lgkmcnt(0)
	v_fma_f64 v[89:90], v[111:112], v[93:94], v[89:90]
	s_waitcnt vmcnt(5)
	v_fma_f64 v[93:94], v[97:98], v[95:96], v[89:90]
	ds_read_b128 v[89:92], v88 offset:672
	ds_read_b64 v[95:96], v88 offset:688
	s_waitcnt vmcnt(4) lgkmcnt(1)
	v_fma_f64 v[89:90], v[121:122], v[89:90], v[93:94]
	s_waitcnt vmcnt(3)
	v_fma_f64 v[89:90], v[119:120], v[91:92], v[89:90]
	s_waitcnt vmcnt(2) lgkmcnt(0)
	v_fma_f64 v[89:90], v[113:114], v[95:96], v[89:90]
	s_waitcnt vmcnt(0)
	v_add_f64 v[89:90], v[99:100], -v[89:90]
	buffer_store_dword v90, off, s[0:3], 0 offset:124
	buffer_store_dword v89, off, s[0:3], 0 offset:120
	s_and_saveexec_b64 s[4:5], vcc
	s_cbranch_execz .LBB106_237
; %bb.236:
	buffer_load_dword v89, off, s[0:3], 0 offset:112
	buffer_load_dword v90, off, s[0:3], 0 offset:116
	s_waitcnt vmcnt(0)
	ds_write_b64 v87, v[89:90]
	buffer_store_dword v88, off, s[0:3], 0 offset:112
	buffer_store_dword v88, off, s[0:3], 0 offset:116
.LBB106_237:
	s_or_b64 exec, exec, s[4:5]
	s_waitcnt lgkmcnt(0)
	; wave barrier
	buffer_load_dword v97, off, s[0:3], 0 offset:120
	buffer_load_dword v98, off, s[0:3], 0 offset:124
	;; [unrolled: 1-line block ×22, first 2 shown]
	ds_read2_b64 v[89:92], v88 offset0:59 offset1:60
	ds_read2_b64 v[93:96], v88 offset0:61 offset1:62
	v_cmp_lt_u32_e32 vcc, 13, v0
	s_waitcnt vmcnt(20) lgkmcnt(1)
	v_fma_f64 v[89:90], v[97:98], v[89:90], 0
	s_waitcnt vmcnt(18)
	v_fma_f64 v[89:90], v[99:100], v[91:92], v[89:90]
	buffer_load_dword v98, off, s[0:3], 0 offset:212
	buffer_load_dword v99, off, s[0:3], 0 offset:232
	buffer_load_dword v119, off, s[0:3], 0 offset:224
	buffer_load_dword v121, off, s[0:3], 0 offset:216
	buffer_load_dword v97, off, s[0:3], 0 offset:208
	buffer_load_dword v122, off, s[0:3], 0 offset:220
	buffer_load_dword v120, off, s[0:3], 0 offset:228
	s_waitcnt vmcnt(23) lgkmcnt(0)
	v_fma_f64 v[89:90], v[101:102], v[93:94], v[89:90]
	s_waitcnt vmcnt(21)
	v_fma_f64 v[100:101], v[103:104], v[95:96], v[89:90]
	ds_read2_b64 v[89:92], v88 offset0:63 offset1:64
	ds_read2_b64 v[93:96], v88 offset0:65 offset1:66
	s_waitcnt vmcnt(19) lgkmcnt(1)
	v_fma_f64 v[89:90], v[105:106], v[89:90], v[100:101]
	buffer_load_dword v100, off, s[0:3], 0 offset:236
	s_waitcnt vmcnt(18)
	v_fma_f64 v[89:90], v[107:108], v[91:92], v[89:90]
	buffer_load_dword v102, off, s[0:3], 0 offset:244
	buffer_load_dword v103, off, s[0:3], 0 offset:264
	buffer_load_dword v105, off, s[0:3], 0 offset:256
	buffer_load_dword v107, off, s[0:3], 0 offset:248
	buffer_load_dword v101, off, s[0:3], 0 offset:240
	buffer_load_dword v108, off, s[0:3], 0 offset:252
	buffer_load_dword v106, off, s[0:3], 0 offset:260
	buffer_load_dword v104, off, s[0:3], 0 offset:268
	s_waitcnt vmcnt(24) lgkmcnt(0)
	v_fma_f64 v[89:90], v[109:110], v[93:94], v[89:90]
	s_waitcnt vmcnt(19)
	v_fma_f64 v[109:110], v[111:112], v[95:96], v[89:90]
	ds_read2_b64 v[89:92], v88 offset0:67 offset1:68
	ds_read2_b64 v[93:96], v88 offset0:69 offset1:70
	s_waitcnt vmcnt(18) lgkmcnt(1)
	v_fma_f64 v[89:90], v[117:118], v[89:90], v[109:110]
	s_waitcnt vmcnt(17)
	v_fma_f64 v[89:90], v[115:116], v[91:92], v[89:90]
	buffer_load_dword v110, off, s[0:3], 0 offset:276
	buffer_load_dword v111, off, s[0:3], 0 offset:296
	buffer_load_dword v115, off, s[0:3], 0 offset:288
	buffer_load_dword v117, off, s[0:3], 0 offset:280
	buffer_load_dword v109, off, s[0:3], 0 offset:272
	buffer_load_dword v118, off, s[0:3], 0 offset:284
	buffer_load_dword v116, off, s[0:3], 0 offset:292
	buffer_load_dword v112, off, s[0:3], 0 offset:300
	s_waitcnt vmcnt(24) lgkmcnt(0)
	v_fma_f64 v[89:90], v[113:114], v[93:94], v[89:90]
	s_waitcnt vmcnt(19)
	v_fma_f64 v[97:98], v[97:98], v[95:96], v[89:90]
	ds_read2_b64 v[89:92], v88 offset0:71 offset1:72
	ds_read2_b64 v[93:96], v88 offset0:73 offset1:74
	s_waitcnt vmcnt(18) lgkmcnt(1)
	v_fma_f64 v[89:90], v[121:122], v[89:90], v[97:98]
	;; [unrolled: 18-line block ×3, first 2 shown]
	buffer_load_dword v100, off, s[0:3], 0 offset:340
	buffer_load_dword v99, off, s[0:3], 0 offset:336
	;; [unrolled: 1-line block ×4, first 2 shown]
	s_waitcnt vmcnt(21)
	v_fma_f64 v[89:90], v[105:106], v[91:92], v[89:90]
	s_waitcnt vmcnt(20) lgkmcnt(0)
	v_fma_f64 v[89:90], v[103:104], v[93:94], v[89:90]
	s_waitcnt vmcnt(15)
	v_fma_f64 v[103:104], v[109:110], v[95:96], v[89:90]
	ds_read2_b64 v[89:92], v88 offset0:79 offset1:80
	ds_read2_b64 v[93:96], v88 offset0:81 offset1:82
	s_waitcnt vmcnt(14) lgkmcnt(1)
	v_fma_f64 v[89:90], v[117:118], v[89:90], v[103:104]
	s_waitcnt vmcnt(13)
	v_fma_f64 v[89:90], v[115:116], v[91:92], v[89:90]
	s_waitcnt vmcnt(12) lgkmcnt(0)
	v_fma_f64 v[89:90], v[111:112], v[93:94], v[89:90]
	s_waitcnt vmcnt(7)
	v_fma_f64 v[97:98], v[97:98], v[95:96], v[89:90]
	ds_read2_b64 v[89:92], v88 offset0:83 offset1:84
	ds_read2_b64 v[93:96], v88 offset0:85 offset1:86
	s_waitcnt vmcnt(6) lgkmcnt(1)
	v_fma_f64 v[88:89], v[121:122], v[89:90], v[97:98]
	s_waitcnt vmcnt(5)
	v_fma_f64 v[88:89], v[119:120], v[91:92], v[88:89]
	s_waitcnt vmcnt(4) lgkmcnt(0)
	v_fma_f64 v[88:89], v[113:114], v[93:94], v[88:89]
	s_waitcnt vmcnt(2)
	v_fma_f64 v[88:89], v[99:100], v[95:96], v[88:89]
	s_waitcnt vmcnt(0)
	v_add_f64 v[88:89], v[101:102], -v[88:89]
	buffer_store_dword v89, off, s[0:3], 0 offset:116
	buffer_store_dword v88, off, s[0:3], 0 offset:112
	s_and_saveexec_b64 s[4:5], vcc
	s_cbranch_execz .LBB106_239
; %bb.238:
	buffer_load_dword v88, off, s[0:3], 0 offset:104
	buffer_load_dword v89, off, s[0:3], 0 offset:108
	v_mov_b32_e32 v90, 0
	buffer_store_dword v90, off, s[0:3], 0 offset:104
	buffer_store_dword v90, off, s[0:3], 0 offset:108
	s_waitcnt vmcnt(2)
	ds_write_b64 v87, v[88:89]
.LBB106_239:
	s_or_b64 exec, exec, s[4:5]
	s_waitcnt lgkmcnt(0)
	; wave barrier
	buffer_load_dword v97, off, s[0:3], 0 offset:112
	buffer_load_dword v98, off, s[0:3], 0 offset:116
	;; [unrolled: 1-line block ×22, first 2 shown]
	v_mov_b32_e32 v88, 0
	ds_read_b128 v[89:92], v88 offset:464
	ds_read_b128 v[93:96], v88 offset:480
	v_cmp_lt_u32_e32 vcc, 12, v0
	s_waitcnt vmcnt(20) lgkmcnt(1)
	v_fma_f64 v[89:90], v[97:98], v[89:90], 0
	s_waitcnt vmcnt(18)
	v_fma_f64 v[89:90], v[99:100], v[91:92], v[89:90]
	buffer_load_dword v98, off, s[0:3], 0 offset:204
	buffer_load_dword v99, off, s[0:3], 0 offset:224
	;; [unrolled: 1-line block ×7, first 2 shown]
	s_waitcnt vmcnt(23) lgkmcnt(0)
	v_fma_f64 v[89:90], v[101:102], v[93:94], v[89:90]
	s_waitcnt vmcnt(21)
	v_fma_f64 v[100:101], v[103:104], v[95:96], v[89:90]
	ds_read_b128 v[89:92], v88 offset:496
	ds_read_b128 v[93:96], v88 offset:512
	s_waitcnt vmcnt(19) lgkmcnt(1)
	v_fma_f64 v[89:90], v[105:106], v[89:90], v[100:101]
	buffer_load_dword v100, off, s[0:3], 0 offset:228
	s_waitcnt vmcnt(18)
	v_fma_f64 v[89:90], v[107:108], v[91:92], v[89:90]
	buffer_load_dword v102, off, s[0:3], 0 offset:236
	buffer_load_dword v103, off, s[0:3], 0 offset:256
	;; [unrolled: 1-line block ×7, first 2 shown]
	s_waitcnt vmcnt(23) lgkmcnt(0)
	v_fma_f64 v[89:90], v[109:110], v[93:94], v[89:90]
	s_waitcnt vmcnt(18)
	v_fma_f64 v[109:110], v[111:112], v[95:96], v[89:90]
	ds_read_b128 v[89:92], v88 offset:528
	ds_read_b128 v[93:96], v88 offset:544
	buffer_load_dword v104, off, s[0:3], 0 offset:260
	s_waitcnt vmcnt(18) lgkmcnt(1)
	v_fma_f64 v[89:90], v[117:118], v[89:90], v[109:110]
	s_waitcnt vmcnt(17)
	v_fma_f64 v[89:90], v[115:116], v[91:92], v[89:90]
	buffer_load_dword v110, off, s[0:3], 0 offset:268
	buffer_load_dword v111, off, s[0:3], 0 offset:288
	;; [unrolled: 1-line block ×8, first 2 shown]
	s_waitcnt vmcnt(24) lgkmcnt(0)
	v_fma_f64 v[89:90], v[113:114], v[93:94], v[89:90]
	s_waitcnt vmcnt(19)
	v_fma_f64 v[97:98], v[97:98], v[95:96], v[89:90]
	ds_read_b128 v[89:92], v88 offset:560
	ds_read_b128 v[93:96], v88 offset:576
	s_waitcnt vmcnt(18) lgkmcnt(1)
	v_fma_f64 v[89:90], v[121:122], v[89:90], v[97:98]
	s_waitcnt vmcnt(17)
	v_fma_f64 v[89:90], v[119:120], v[91:92], v[89:90]
	buffer_load_dword v98, off, s[0:3], 0 offset:300
	buffer_load_dword v113, off, s[0:3], 0 offset:320
	;; [unrolled: 1-line block ×7, first 2 shown]
	s_waitcnt vmcnt(23) lgkmcnt(0)
	v_fma_f64 v[89:90], v[99:100], v[93:94], v[89:90]
	s_waitcnt vmcnt(18)
	v_fma_f64 v[99:100], v[101:102], v[95:96], v[89:90]
	ds_read_b128 v[89:92], v88 offset:592
	ds_read_b128 v[93:96], v88 offset:608
	buffer_load_dword v114, off, s[0:3], 0 offset:324
	s_waitcnt vmcnt(18) lgkmcnt(1)
	v_fma_f64 v[89:90], v[107:108], v[89:90], v[99:100]
	buffer_load_dword v100, off, s[0:3], 0 offset:332
	buffer_load_dword v101, off, s[0:3], 0 offset:336
	;; [unrolled: 1-line block ×4, first 2 shown]
	s_waitcnt vmcnt(21)
	v_fma_f64 v[89:90], v[105:106], v[91:92], v[89:90]
	s_waitcnt vmcnt(20) lgkmcnt(0)
	v_fma_f64 v[89:90], v[103:104], v[93:94], v[89:90]
	buffer_load_dword v103, off, s[0:3], 0 offset:104
	buffer_load_dword v104, off, s[0:3], 0 offset:108
	s_waitcnt vmcnt(17)
	v_fma_f64 v[105:106], v[109:110], v[95:96], v[89:90]
	ds_read_b128 v[89:92], v88 offset:624
	ds_read_b128 v[93:96], v88 offset:640
	s_waitcnt vmcnt(16) lgkmcnt(1)
	v_fma_f64 v[89:90], v[117:118], v[89:90], v[105:106]
	s_waitcnt vmcnt(15)
	v_fma_f64 v[89:90], v[115:116], v[91:92], v[89:90]
	s_waitcnt vmcnt(14) lgkmcnt(0)
	v_fma_f64 v[89:90], v[111:112], v[93:94], v[89:90]
	s_waitcnt vmcnt(9)
	v_fma_f64 v[97:98], v[97:98], v[95:96], v[89:90]
	ds_read_b128 v[89:92], v88 offset:656
	ds_read_b128 v[93:96], v88 offset:672
	s_waitcnt vmcnt(8) lgkmcnt(1)
	v_fma_f64 v[89:90], v[121:122], v[89:90], v[97:98]
	s_waitcnt vmcnt(7)
	v_fma_f64 v[89:90], v[119:120], v[91:92], v[89:90]
	ds_read_b64 v[91:92], v88 offset:688
	s_waitcnt vmcnt(6) lgkmcnt(1)
	v_fma_f64 v[89:90], v[113:114], v[93:94], v[89:90]
	s_waitcnt vmcnt(3)
	v_fma_f64 v[89:90], v[99:100], v[95:96], v[89:90]
	s_waitcnt vmcnt(2) lgkmcnt(0)
	v_fma_f64 v[89:90], v[101:102], v[91:92], v[89:90]
	s_waitcnt vmcnt(0)
	v_add_f64 v[89:90], v[103:104], -v[89:90]
	buffer_store_dword v90, off, s[0:3], 0 offset:108
	buffer_store_dword v89, off, s[0:3], 0 offset:104
	s_and_saveexec_b64 s[4:5], vcc
	s_cbranch_execz .LBB106_241
; %bb.240:
	buffer_load_dword v89, off, s[0:3], 0 offset:96
	buffer_load_dword v90, off, s[0:3], 0 offset:100
	s_waitcnt vmcnt(0)
	ds_write_b64 v87, v[89:90]
	buffer_store_dword v88, off, s[0:3], 0 offset:96
	buffer_store_dword v88, off, s[0:3], 0 offset:100
.LBB106_241:
	s_or_b64 exec, exec, s[4:5]
	s_waitcnt lgkmcnt(0)
	; wave barrier
	buffer_load_dword v97, off, s[0:3], 0 offset:104
	buffer_load_dword v98, off, s[0:3], 0 offset:108
	;; [unrolled: 1-line block ×22, first 2 shown]
	ds_read2_b64 v[89:92], v88 offset0:57 offset1:58
	ds_read2_b64 v[93:96], v88 offset0:59 offset1:60
	v_cmp_lt_u32_e32 vcc, 11, v0
	s_waitcnt vmcnt(20) lgkmcnt(1)
	v_fma_f64 v[89:90], v[97:98], v[89:90], 0
	s_waitcnt vmcnt(18)
	v_fma_f64 v[89:90], v[99:100], v[91:92], v[89:90]
	buffer_load_dword v98, off, s[0:3], 0 offset:196
	buffer_load_dword v99, off, s[0:3], 0 offset:216
	;; [unrolled: 1-line block ×7, first 2 shown]
	s_waitcnt vmcnt(23) lgkmcnt(0)
	v_fma_f64 v[89:90], v[101:102], v[93:94], v[89:90]
	s_waitcnt vmcnt(21)
	v_fma_f64 v[100:101], v[103:104], v[95:96], v[89:90]
	ds_read2_b64 v[89:92], v88 offset0:61 offset1:62
	ds_read2_b64 v[93:96], v88 offset0:63 offset1:64
	s_waitcnt vmcnt(19) lgkmcnt(1)
	v_fma_f64 v[89:90], v[105:106], v[89:90], v[100:101]
	buffer_load_dword v100, off, s[0:3], 0 offset:220
	s_waitcnt vmcnt(18)
	v_fma_f64 v[89:90], v[107:108], v[91:92], v[89:90]
	buffer_load_dword v102, off, s[0:3], 0 offset:228
	buffer_load_dword v103, off, s[0:3], 0 offset:248
	;; [unrolled: 1-line block ×7, first 2 shown]
	s_waitcnt vmcnt(23) lgkmcnt(0)
	v_fma_f64 v[89:90], v[109:110], v[93:94], v[89:90]
	s_waitcnt vmcnt(18)
	v_fma_f64 v[109:110], v[111:112], v[95:96], v[89:90]
	ds_read2_b64 v[89:92], v88 offset0:65 offset1:66
	ds_read2_b64 v[93:96], v88 offset0:67 offset1:68
	buffer_load_dword v104, off, s[0:3], 0 offset:252
	s_waitcnt vmcnt(18) lgkmcnt(1)
	v_fma_f64 v[89:90], v[117:118], v[89:90], v[109:110]
	s_waitcnt vmcnt(17)
	v_fma_f64 v[89:90], v[115:116], v[91:92], v[89:90]
	buffer_load_dword v110, off, s[0:3], 0 offset:260
	buffer_load_dword v111, off, s[0:3], 0 offset:280
	;; [unrolled: 1-line block ×8, first 2 shown]
	s_waitcnt vmcnt(24) lgkmcnt(0)
	v_fma_f64 v[89:90], v[113:114], v[93:94], v[89:90]
	s_waitcnt vmcnt(19)
	v_fma_f64 v[97:98], v[97:98], v[95:96], v[89:90]
	ds_read2_b64 v[89:92], v88 offset0:69 offset1:70
	ds_read2_b64 v[93:96], v88 offset0:71 offset1:72
	s_waitcnt vmcnt(18) lgkmcnt(1)
	v_fma_f64 v[89:90], v[121:122], v[89:90], v[97:98]
	s_waitcnt vmcnt(17)
	v_fma_f64 v[89:90], v[119:120], v[91:92], v[89:90]
	buffer_load_dword v98, off, s[0:3], 0 offset:292
	buffer_load_dword v113, off, s[0:3], 0 offset:312
	;; [unrolled: 1-line block ×8, first 2 shown]
	s_waitcnt vmcnt(24) lgkmcnt(0)
	v_fma_f64 v[89:90], v[99:100], v[93:94], v[89:90]
	s_waitcnt vmcnt(19)
	v_fma_f64 v[99:100], v[101:102], v[95:96], v[89:90]
	ds_read2_b64 v[89:92], v88 offset0:73 offset1:74
	ds_read2_b64 v[93:96], v88 offset0:75 offset1:76
	s_waitcnt vmcnt(18) lgkmcnt(1)
	v_fma_f64 v[89:90], v[107:108], v[89:90], v[99:100]
	s_waitcnt vmcnt(17)
	v_fma_f64 v[89:90], v[105:106], v[91:92], v[89:90]
	buffer_load_dword v100, off, s[0:3], 0 offset:324
	buffer_load_dword v101, off, s[0:3], 0 offset:336
	;; [unrolled: 1-line block ×6, first 2 shown]
	s_waitcnt vmcnt(22) lgkmcnt(0)
	v_fma_f64 v[89:90], v[103:104], v[93:94], v[89:90]
	s_waitcnt vmcnt(17)
	v_fma_f64 v[103:104], v[109:110], v[95:96], v[89:90]
	ds_read2_b64 v[89:92], v88 offset0:77 offset1:78
	buffer_load_dword v107, off, s[0:3], 0 offset:96
	buffer_load_dword v108, off, s[0:3], 0 offset:100
	ds_read2_b64 v[93:96], v88 offset0:79 offset1:80
	s_waitcnt vmcnt(18) lgkmcnt(1)
	v_fma_f64 v[89:90], v[117:118], v[89:90], v[103:104]
	s_waitcnt vmcnt(17)
	v_fma_f64 v[89:90], v[115:116], v[91:92], v[89:90]
	s_waitcnt vmcnt(16) lgkmcnt(0)
	v_fma_f64 v[89:90], v[111:112], v[93:94], v[89:90]
	s_waitcnt vmcnt(11)
	v_fma_f64 v[97:98], v[97:98], v[95:96], v[89:90]
	ds_read2_b64 v[89:92], v88 offset0:81 offset1:82
	ds_read2_b64 v[93:96], v88 offset0:83 offset1:84
	s_waitcnt vmcnt(10) lgkmcnt(1)
	v_fma_f64 v[89:90], v[121:122], v[89:90], v[97:98]
	s_waitcnt vmcnt(9)
	v_fma_f64 v[89:90], v[119:120], v[91:92], v[89:90]
	s_waitcnt vmcnt(8) lgkmcnt(0)
	v_fma_f64 v[89:90], v[113:114], v[93:94], v[89:90]
	s_waitcnt vmcnt(4)
	v_fma_f64 v[92:93], v[99:100], v[95:96], v[89:90]
	ds_read2_b64 v[88:91], v88 offset0:85 offset1:86
	s_waitcnt vmcnt(3) lgkmcnt(0)
	v_fma_f64 v[88:89], v[105:106], v[88:89], v[92:93]
	s_waitcnt vmcnt(2)
	v_fma_f64 v[88:89], v[101:102], v[90:91], v[88:89]
	s_waitcnt vmcnt(0)
	v_add_f64 v[88:89], v[107:108], -v[88:89]
	buffer_store_dword v89, off, s[0:3], 0 offset:100
	buffer_store_dword v88, off, s[0:3], 0 offset:96
	s_and_saveexec_b64 s[4:5], vcc
	s_cbranch_execz .LBB106_243
; %bb.242:
	buffer_load_dword v88, off, s[0:3], 0 offset:88
	buffer_load_dword v89, off, s[0:3], 0 offset:92
	v_mov_b32_e32 v90, 0
	buffer_store_dword v90, off, s[0:3], 0 offset:88
	buffer_store_dword v90, off, s[0:3], 0 offset:92
	s_waitcnt vmcnt(2)
	ds_write_b64 v87, v[88:89]
.LBB106_243:
	s_or_b64 exec, exec, s[4:5]
	s_waitcnt lgkmcnt(0)
	; wave barrier
	buffer_load_dword v97, off, s[0:3], 0 offset:96
	buffer_load_dword v98, off, s[0:3], 0 offset:100
	;; [unrolled: 1-line block ×22, first 2 shown]
	v_mov_b32_e32 v88, 0
	ds_read_b128 v[89:92], v88 offset:448
	ds_read_b128 v[93:96], v88 offset:464
	v_cmp_lt_u32_e32 vcc, 10, v0
	s_waitcnt vmcnt(20) lgkmcnt(1)
	v_fma_f64 v[89:90], v[97:98], v[89:90], 0
	s_waitcnt vmcnt(18)
	v_fma_f64 v[89:90], v[99:100], v[91:92], v[89:90]
	buffer_load_dword v98, off, s[0:3], 0 offset:188
	buffer_load_dword v99, off, s[0:3], 0 offset:208
	;; [unrolled: 1-line block ×7, first 2 shown]
	s_waitcnt vmcnt(23) lgkmcnt(0)
	v_fma_f64 v[89:90], v[101:102], v[93:94], v[89:90]
	s_waitcnt vmcnt(21)
	v_fma_f64 v[100:101], v[103:104], v[95:96], v[89:90]
	ds_read_b128 v[89:92], v88 offset:480
	ds_read_b128 v[93:96], v88 offset:496
	s_waitcnt vmcnt(19) lgkmcnt(1)
	v_fma_f64 v[89:90], v[105:106], v[89:90], v[100:101]
	buffer_load_dword v100, off, s[0:3], 0 offset:212
	s_waitcnt vmcnt(18)
	v_fma_f64 v[89:90], v[107:108], v[91:92], v[89:90]
	buffer_load_dword v102, off, s[0:3], 0 offset:220
	buffer_load_dword v103, off, s[0:3], 0 offset:240
	;; [unrolled: 1-line block ×7, first 2 shown]
	s_waitcnt vmcnt(23) lgkmcnt(0)
	v_fma_f64 v[89:90], v[109:110], v[93:94], v[89:90]
	s_waitcnt vmcnt(18)
	v_fma_f64 v[109:110], v[111:112], v[95:96], v[89:90]
	ds_read_b128 v[89:92], v88 offset:512
	ds_read_b128 v[93:96], v88 offset:528
	buffer_load_dword v104, off, s[0:3], 0 offset:244
	s_waitcnt vmcnt(18) lgkmcnt(1)
	v_fma_f64 v[89:90], v[117:118], v[89:90], v[109:110]
	s_waitcnt vmcnt(17)
	v_fma_f64 v[89:90], v[115:116], v[91:92], v[89:90]
	buffer_load_dword v110, off, s[0:3], 0 offset:252
	buffer_load_dword v111, off, s[0:3], 0 offset:272
	buffer_load_dword v115, off, s[0:3], 0 offset:264
	buffer_load_dword v117, off, s[0:3], 0 offset:256
	buffer_load_dword v109, off, s[0:3], 0 offset:248
	buffer_load_dword v118, off, s[0:3], 0 offset:260
	buffer_load_dword v116, off, s[0:3], 0 offset:268
	buffer_load_dword v112, off, s[0:3], 0 offset:276
	s_waitcnt vmcnt(24) lgkmcnt(0)
	v_fma_f64 v[89:90], v[113:114], v[93:94], v[89:90]
	s_waitcnt vmcnt(19)
	v_fma_f64 v[97:98], v[97:98], v[95:96], v[89:90]
	ds_read_b128 v[89:92], v88 offset:544
	ds_read_b128 v[93:96], v88 offset:560
	s_waitcnt vmcnt(18) lgkmcnt(1)
	v_fma_f64 v[89:90], v[121:122], v[89:90], v[97:98]
	s_waitcnt vmcnt(17)
	v_fma_f64 v[89:90], v[119:120], v[91:92], v[89:90]
	buffer_load_dword v98, off, s[0:3], 0 offset:284
	buffer_load_dword v113, off, s[0:3], 0 offset:304
	buffer_load_dword v119, off, s[0:3], 0 offset:296
	buffer_load_dword v121, off, s[0:3], 0 offset:288
	buffer_load_dword v97, off, s[0:3], 0 offset:280
	buffer_load_dword v122, off, s[0:3], 0 offset:292
	buffer_load_dword v120, off, s[0:3], 0 offset:300
	buffer_load_dword v114, off, s[0:3], 0 offset:308
	s_waitcnt vmcnt(24) lgkmcnt(0)
	v_fma_f64 v[89:90], v[99:100], v[93:94], v[89:90]
	s_waitcnt vmcnt(19)
	v_fma_f64 v[99:100], v[101:102], v[95:96], v[89:90]
	ds_read_b128 v[89:92], v88 offset:576
	ds_read_b128 v[93:96], v88 offset:592
	;; [unrolled: 18-line block ×3, first 2 shown]
	s_waitcnt vmcnt(18) lgkmcnt(1)
	v_fma_f64 v[89:90], v[117:118], v[89:90], v[103:104]
	buffer_load_dword v103, off, s[0:3], 0 offset:88
	buffer_load_dword v104, off, s[0:3], 0 offset:92
	s_waitcnt vmcnt(19)
	v_fma_f64 v[89:90], v[115:116], v[91:92], v[89:90]
	s_waitcnt vmcnt(18) lgkmcnt(0)
	v_fma_f64 v[89:90], v[111:112], v[93:94], v[89:90]
	s_waitcnt vmcnt(13)
	v_fma_f64 v[97:98], v[97:98], v[95:96], v[89:90]
	ds_read_b128 v[89:92], v88 offset:640
	ds_read_b128 v[93:96], v88 offset:656
	s_waitcnt vmcnt(12) lgkmcnt(1)
	v_fma_f64 v[89:90], v[121:122], v[89:90], v[97:98]
	s_waitcnt vmcnt(11)
	v_fma_f64 v[89:90], v[119:120], v[91:92], v[89:90]
	s_waitcnt vmcnt(10) lgkmcnt(0)
	v_fma_f64 v[89:90], v[113:114], v[93:94], v[89:90]
	s_waitcnt vmcnt(5)
	v_fma_f64 v[93:94], v[99:100], v[95:96], v[89:90]
	ds_read_b128 v[89:92], v88 offset:672
	ds_read_b64 v[95:96], v88 offset:688
	s_waitcnt vmcnt(4) lgkmcnt(1)
	v_fma_f64 v[89:90], v[107:108], v[89:90], v[93:94]
	s_waitcnt vmcnt(3)
	v_fma_f64 v[89:90], v[105:106], v[91:92], v[89:90]
	s_waitcnt vmcnt(2) lgkmcnt(0)
	v_fma_f64 v[89:90], v[101:102], v[95:96], v[89:90]
	s_waitcnt vmcnt(0)
	v_add_f64 v[89:90], v[103:104], -v[89:90]
	buffer_store_dword v90, off, s[0:3], 0 offset:92
	buffer_store_dword v89, off, s[0:3], 0 offset:88
	s_and_saveexec_b64 s[4:5], vcc
	s_cbranch_execz .LBB106_245
; %bb.244:
	buffer_load_dword v89, off, s[0:3], 0 offset:80
	buffer_load_dword v90, off, s[0:3], 0 offset:84
	s_waitcnt vmcnt(0)
	ds_write_b64 v87, v[89:90]
	buffer_store_dword v88, off, s[0:3], 0 offset:80
	buffer_store_dword v88, off, s[0:3], 0 offset:84
.LBB106_245:
	s_or_b64 exec, exec, s[4:5]
	s_waitcnt lgkmcnt(0)
	; wave barrier
	buffer_load_dword v97, off, s[0:3], 0 offset:88
	buffer_load_dword v98, off, s[0:3], 0 offset:92
	;; [unrolled: 1-line block ×22, first 2 shown]
	ds_read2_b64 v[89:92], v88 offset0:55 offset1:56
	ds_read2_b64 v[93:96], v88 offset0:57 offset1:58
	v_cmp_lt_u32_e32 vcc, 9, v0
	s_waitcnt vmcnt(20) lgkmcnt(1)
	v_fma_f64 v[89:90], v[97:98], v[89:90], 0
	s_waitcnt vmcnt(18)
	v_fma_f64 v[89:90], v[99:100], v[91:92], v[89:90]
	buffer_load_dword v98, off, s[0:3], 0 offset:180
	buffer_load_dword v99, off, s[0:3], 0 offset:200
	;; [unrolled: 1-line block ×7, first 2 shown]
	s_waitcnt vmcnt(23) lgkmcnt(0)
	v_fma_f64 v[89:90], v[101:102], v[93:94], v[89:90]
	s_waitcnt vmcnt(21)
	v_fma_f64 v[100:101], v[103:104], v[95:96], v[89:90]
	ds_read2_b64 v[89:92], v88 offset0:59 offset1:60
	ds_read2_b64 v[93:96], v88 offset0:61 offset1:62
	s_waitcnt vmcnt(19) lgkmcnt(1)
	v_fma_f64 v[89:90], v[105:106], v[89:90], v[100:101]
	buffer_load_dword v100, off, s[0:3], 0 offset:204
	s_waitcnt vmcnt(18)
	v_fma_f64 v[89:90], v[107:108], v[91:92], v[89:90]
	buffer_load_dword v102, off, s[0:3], 0 offset:212
	buffer_load_dword v103, off, s[0:3], 0 offset:232
	;; [unrolled: 1-line block ×7, first 2 shown]
	s_waitcnt vmcnt(23) lgkmcnt(0)
	v_fma_f64 v[89:90], v[109:110], v[93:94], v[89:90]
	s_waitcnt vmcnt(18)
	v_fma_f64 v[109:110], v[111:112], v[95:96], v[89:90]
	ds_read2_b64 v[89:92], v88 offset0:63 offset1:64
	ds_read2_b64 v[93:96], v88 offset0:65 offset1:66
	buffer_load_dword v104, off, s[0:3], 0 offset:236
	s_waitcnt vmcnt(18) lgkmcnt(1)
	v_fma_f64 v[89:90], v[117:118], v[89:90], v[109:110]
	s_waitcnt vmcnt(17)
	v_fma_f64 v[89:90], v[115:116], v[91:92], v[89:90]
	buffer_load_dword v110, off, s[0:3], 0 offset:244
	buffer_load_dword v111, off, s[0:3], 0 offset:264
	buffer_load_dword v115, off, s[0:3], 0 offset:256
	buffer_load_dword v117, off, s[0:3], 0 offset:248
	buffer_load_dword v109, off, s[0:3], 0 offset:240
	buffer_load_dword v118, off, s[0:3], 0 offset:252
	buffer_load_dword v116, off, s[0:3], 0 offset:260
	buffer_load_dword v112, off, s[0:3], 0 offset:268
	s_waitcnt vmcnt(24) lgkmcnt(0)
	v_fma_f64 v[89:90], v[113:114], v[93:94], v[89:90]
	s_waitcnt vmcnt(19)
	v_fma_f64 v[97:98], v[97:98], v[95:96], v[89:90]
	ds_read2_b64 v[89:92], v88 offset0:67 offset1:68
	ds_read2_b64 v[93:96], v88 offset0:69 offset1:70
	s_waitcnt vmcnt(18) lgkmcnt(1)
	v_fma_f64 v[89:90], v[121:122], v[89:90], v[97:98]
	s_waitcnt vmcnt(17)
	v_fma_f64 v[89:90], v[119:120], v[91:92], v[89:90]
	buffer_load_dword v98, off, s[0:3], 0 offset:276
	buffer_load_dword v113, off, s[0:3], 0 offset:296
	buffer_load_dword v119, off, s[0:3], 0 offset:288
	buffer_load_dword v121, off, s[0:3], 0 offset:280
	buffer_load_dword v97, off, s[0:3], 0 offset:272
	buffer_load_dword v122, off, s[0:3], 0 offset:284
	buffer_load_dword v120, off, s[0:3], 0 offset:292
	buffer_load_dword v114, off, s[0:3], 0 offset:300
	s_waitcnt vmcnt(24) lgkmcnt(0)
	v_fma_f64 v[89:90], v[99:100], v[93:94], v[89:90]
	s_waitcnt vmcnt(19)
	v_fma_f64 v[99:100], v[101:102], v[95:96], v[89:90]
	ds_read2_b64 v[89:92], v88 offset0:71 offset1:72
	ds_read2_b64 v[93:96], v88 offset0:73 offset1:74
	s_waitcnt vmcnt(18) lgkmcnt(1)
	v_fma_f64 v[89:90], v[107:108], v[89:90], v[99:100]
	s_waitcnt vmcnt(17)
	v_fma_f64 v[89:90], v[105:106], v[91:92], v[89:90]
	buffer_load_dword v100, off, s[0:3], 0 offset:308
	buffer_load_dword v101, off, s[0:3], 0 offset:328
	buffer_load_dword v105, off, s[0:3], 0 offset:320
	buffer_load_dword v107, off, s[0:3], 0 offset:312
	buffer_load_dword v99, off, s[0:3], 0 offset:304
	buffer_load_dword v108, off, s[0:3], 0 offset:316
	buffer_load_dword v106, off, s[0:3], 0 offset:324
	buffer_load_dword v102, off, s[0:3], 0 offset:332
	s_waitcnt vmcnt(24) lgkmcnt(0)
	v_fma_f64 v[89:90], v[103:104], v[93:94], v[89:90]
	s_waitcnt vmcnt(19)
	v_fma_f64 v[103:104], v[109:110], v[95:96], v[89:90]
	ds_read2_b64 v[89:92], v88 offset0:75 offset1:76
	ds_read2_b64 v[93:96], v88 offset0:77 offset1:78
	s_waitcnt vmcnt(18) lgkmcnt(1)
	v_fma_f64 v[89:90], v[117:118], v[89:90], v[103:104]
	buffer_load_dword v104, off, s[0:3], 0 offset:340
	buffer_load_dword v103, off, s[0:3], 0 offset:336
	;; [unrolled: 1-line block ×4, first 2 shown]
	s_waitcnt vmcnt(21)
	v_fma_f64 v[89:90], v[115:116], v[91:92], v[89:90]
	s_waitcnt vmcnt(20) lgkmcnt(0)
	v_fma_f64 v[89:90], v[111:112], v[93:94], v[89:90]
	s_waitcnt vmcnt(15)
	v_fma_f64 v[97:98], v[97:98], v[95:96], v[89:90]
	ds_read2_b64 v[89:92], v88 offset0:79 offset1:80
	ds_read2_b64 v[93:96], v88 offset0:81 offset1:82
	s_waitcnt vmcnt(14) lgkmcnt(1)
	v_fma_f64 v[89:90], v[121:122], v[89:90], v[97:98]
	s_waitcnt vmcnt(13)
	v_fma_f64 v[89:90], v[119:120], v[91:92], v[89:90]
	s_waitcnt vmcnt(12) lgkmcnt(0)
	v_fma_f64 v[89:90], v[113:114], v[93:94], v[89:90]
	s_waitcnt vmcnt(7)
	v_fma_f64 v[97:98], v[99:100], v[95:96], v[89:90]
	ds_read2_b64 v[89:92], v88 offset0:83 offset1:84
	ds_read2_b64 v[93:96], v88 offset0:85 offset1:86
	s_waitcnt vmcnt(6) lgkmcnt(1)
	v_fma_f64 v[88:89], v[107:108], v[89:90], v[97:98]
	s_waitcnt vmcnt(5)
	v_fma_f64 v[88:89], v[105:106], v[91:92], v[88:89]
	s_waitcnt vmcnt(4) lgkmcnt(0)
	v_fma_f64 v[88:89], v[101:102], v[93:94], v[88:89]
	s_waitcnt vmcnt(2)
	v_fma_f64 v[88:89], v[103:104], v[95:96], v[88:89]
	s_waitcnt vmcnt(0)
	v_add_f64 v[88:89], v[109:110], -v[88:89]
	buffer_store_dword v89, off, s[0:3], 0 offset:84
	buffer_store_dword v88, off, s[0:3], 0 offset:80
	s_and_saveexec_b64 s[4:5], vcc
	s_cbranch_execz .LBB106_247
; %bb.246:
	buffer_load_dword v88, off, s[0:3], 0 offset:72
	buffer_load_dword v89, off, s[0:3], 0 offset:76
	v_mov_b32_e32 v90, 0
	buffer_store_dword v90, off, s[0:3], 0 offset:72
	buffer_store_dword v90, off, s[0:3], 0 offset:76
	s_waitcnt vmcnt(2)
	ds_write_b64 v87, v[88:89]
.LBB106_247:
	s_or_b64 exec, exec, s[4:5]
	s_waitcnt lgkmcnt(0)
	; wave barrier
	buffer_load_dword v97, off, s[0:3], 0 offset:80
	buffer_load_dword v98, off, s[0:3], 0 offset:84
	;; [unrolled: 1-line block ×21, first 2 shown]
	v_mov_b32_e32 v88, 0
	ds_read_b128 v[89:92], v88 offset:432
	ds_read_b128 v[93:96], v88 offset:448
	buffer_load_dword v114, off, s[0:3], 0 offset:164
	v_cmp_lt_u32_e32 vcc, 8, v0
	s_waitcnt vmcnt(20) lgkmcnt(1)
	v_fma_f64 v[89:90], v[97:98], v[89:90], 0
	s_waitcnt vmcnt(18)
	v_fma_f64 v[89:90], v[99:100], v[91:92], v[89:90]
	buffer_load_dword v98, off, s[0:3], 0 offset:172
	buffer_load_dword v99, off, s[0:3], 0 offset:192
	;; [unrolled: 1-line block ×7, first 2 shown]
	s_waitcnt vmcnt(23) lgkmcnt(0)
	v_fma_f64 v[89:90], v[101:102], v[93:94], v[89:90]
	s_waitcnt vmcnt(21)
	v_fma_f64 v[100:101], v[103:104], v[95:96], v[89:90]
	ds_read_b128 v[89:92], v88 offset:464
	ds_read_b128 v[93:96], v88 offset:480
	s_waitcnt vmcnt(19) lgkmcnt(1)
	v_fma_f64 v[89:90], v[105:106], v[89:90], v[100:101]
	buffer_load_dword v100, off, s[0:3], 0 offset:196
	s_waitcnt vmcnt(18)
	v_fma_f64 v[89:90], v[107:108], v[91:92], v[89:90]
	buffer_load_dword v102, off, s[0:3], 0 offset:204
	buffer_load_dword v103, off, s[0:3], 0 offset:224
	;; [unrolled: 1-line block ×7, first 2 shown]
	s_waitcnt vmcnt(23) lgkmcnt(0)
	v_fma_f64 v[89:90], v[109:110], v[93:94], v[89:90]
	s_waitcnt vmcnt(18)
	v_fma_f64 v[109:110], v[111:112], v[95:96], v[89:90]
	ds_read_b128 v[89:92], v88 offset:496
	ds_read_b128 v[93:96], v88 offset:512
	buffer_load_dword v104, off, s[0:3], 0 offset:228
	s_waitcnt vmcnt(18) lgkmcnt(1)
	v_fma_f64 v[89:90], v[117:118], v[89:90], v[109:110]
	s_waitcnt vmcnt(17)
	v_fma_f64 v[89:90], v[115:116], v[91:92], v[89:90]
	buffer_load_dword v110, off, s[0:3], 0 offset:236
	buffer_load_dword v111, off, s[0:3], 0 offset:256
	;; [unrolled: 1-line block ×7, first 2 shown]
	s_waitcnt vmcnt(23) lgkmcnt(0)
	v_fma_f64 v[89:90], v[113:114], v[93:94], v[89:90]
	s_waitcnt vmcnt(18)
	v_fma_f64 v[97:98], v[97:98], v[95:96], v[89:90]
	ds_read_b128 v[89:92], v88 offset:528
	ds_read_b128 v[93:96], v88 offset:544
	buffer_load_dword v112, off, s[0:3], 0 offset:260
	s_waitcnt vmcnt(18) lgkmcnt(1)
	v_fma_f64 v[89:90], v[121:122], v[89:90], v[97:98]
	s_waitcnt vmcnt(17)
	v_fma_f64 v[89:90], v[119:120], v[91:92], v[89:90]
	buffer_load_dword v98, off, s[0:3], 0 offset:268
	buffer_load_dword v113, off, s[0:3], 0 offset:288
	;; [unrolled: 1-line block ×8, first 2 shown]
	s_waitcnt vmcnt(24) lgkmcnt(0)
	v_fma_f64 v[89:90], v[99:100], v[93:94], v[89:90]
	s_waitcnt vmcnt(19)
	v_fma_f64 v[99:100], v[101:102], v[95:96], v[89:90]
	ds_read_b128 v[89:92], v88 offset:560
	ds_read_b128 v[93:96], v88 offset:576
	s_waitcnt vmcnt(18) lgkmcnt(1)
	v_fma_f64 v[89:90], v[107:108], v[89:90], v[99:100]
	s_waitcnt vmcnt(17)
	v_fma_f64 v[89:90], v[105:106], v[91:92], v[89:90]
	buffer_load_dword v100, off, s[0:3], 0 offset:300
	buffer_load_dword v101, off, s[0:3], 0 offset:320
	buffer_load_dword v105, off, s[0:3], 0 offset:312
	buffer_load_dword v107, off, s[0:3], 0 offset:304
	buffer_load_dword v99, off, s[0:3], 0 offset:296
	buffer_load_dword v108, off, s[0:3], 0 offset:308
	buffer_load_dword v106, off, s[0:3], 0 offset:316
	s_waitcnt vmcnt(23) lgkmcnt(0)
	v_fma_f64 v[89:90], v[103:104], v[93:94], v[89:90]
	s_waitcnt vmcnt(18)
	v_fma_f64 v[102:103], v[109:110], v[95:96], v[89:90]
	ds_read_b128 v[89:92], v88 offset:592
	ds_read_b128 v[93:96], v88 offset:608
	s_waitcnt vmcnt(17) lgkmcnt(1)
	v_fma_f64 v[89:90], v[117:118], v[89:90], v[102:103]
	buffer_load_dword v102, off, s[0:3], 0 offset:324
	buffer_load_dword v104, off, s[0:3], 0 offset:332
	;; [unrolled: 1-line block ×5, first 2 shown]
	s_waitcnt vmcnt(21)
	v_fma_f64 v[89:90], v[115:116], v[91:92], v[89:90]
	s_waitcnt vmcnt(20) lgkmcnt(0)
	v_fma_f64 v[89:90], v[111:112], v[93:94], v[89:90]
	buffer_load_dword v111, off, s[0:3], 0 offset:72
	buffer_load_dword v112, off, s[0:3], 0 offset:76
	s_waitcnt vmcnt(17)
	v_fma_f64 v[97:98], v[97:98], v[95:96], v[89:90]
	ds_read_b128 v[89:92], v88 offset:624
	ds_read_b128 v[93:96], v88 offset:640
	s_waitcnt vmcnt(16) lgkmcnt(1)
	v_fma_f64 v[89:90], v[121:122], v[89:90], v[97:98]
	s_waitcnt vmcnt(15)
	v_fma_f64 v[89:90], v[119:120], v[91:92], v[89:90]
	s_waitcnt vmcnt(14) lgkmcnt(0)
	v_fma_f64 v[89:90], v[113:114], v[93:94], v[89:90]
	s_waitcnt vmcnt(9)
	v_fma_f64 v[97:98], v[99:100], v[95:96], v[89:90]
	ds_read_b128 v[89:92], v88 offset:656
	ds_read_b128 v[93:96], v88 offset:672
	s_waitcnt vmcnt(8) lgkmcnt(1)
	v_fma_f64 v[89:90], v[107:108], v[89:90], v[97:98]
	s_waitcnt vmcnt(7)
	v_fma_f64 v[89:90], v[105:106], v[91:92], v[89:90]
	ds_read_b64 v[91:92], v88 offset:688
	s_waitcnt vmcnt(6) lgkmcnt(1)
	v_fma_f64 v[89:90], v[101:102], v[93:94], v[89:90]
	s_waitcnt vmcnt(3)
	v_fma_f64 v[89:90], v[103:104], v[95:96], v[89:90]
	s_waitcnt vmcnt(2) lgkmcnt(0)
	v_fma_f64 v[89:90], v[109:110], v[91:92], v[89:90]
	s_waitcnt vmcnt(0)
	v_add_f64 v[89:90], v[111:112], -v[89:90]
	buffer_store_dword v90, off, s[0:3], 0 offset:76
	buffer_store_dword v89, off, s[0:3], 0 offset:72
	s_and_saveexec_b64 s[4:5], vcc
	s_cbranch_execz .LBB106_249
; %bb.248:
	buffer_load_dword v89, off, s[0:3], 0 offset:64
	buffer_load_dword v90, off, s[0:3], 0 offset:68
	s_waitcnt vmcnt(0)
	ds_write_b64 v87, v[89:90]
	buffer_store_dword v88, off, s[0:3], 0 offset:64
	buffer_store_dword v88, off, s[0:3], 0 offset:68
.LBB106_249:
	s_or_b64 exec, exec, s[4:5]
	s_waitcnt lgkmcnt(0)
	; wave barrier
	buffer_load_dword v97, off, s[0:3], 0 offset:72
	buffer_load_dword v98, off, s[0:3], 0 offset:76
	;; [unrolled: 1-line block ×21, first 2 shown]
	ds_read2_b64 v[89:92], v88 offset0:53 offset1:54
	ds_read2_b64 v[93:96], v88 offset0:55 offset1:56
	buffer_load_dword v114, off, s[0:3], 0 offset:156
	v_cmp_lt_u32_e32 vcc, 7, v0
	s_waitcnt vmcnt(20) lgkmcnt(1)
	v_fma_f64 v[89:90], v[97:98], v[89:90], 0
	s_waitcnt vmcnt(18)
	v_fma_f64 v[89:90], v[99:100], v[91:92], v[89:90]
	buffer_load_dword v98, off, s[0:3], 0 offset:164
	buffer_load_dword v99, off, s[0:3], 0 offset:184
	;; [unrolled: 1-line block ×7, first 2 shown]
	s_waitcnt vmcnt(23) lgkmcnt(0)
	v_fma_f64 v[89:90], v[101:102], v[93:94], v[89:90]
	s_waitcnt vmcnt(21)
	v_fma_f64 v[100:101], v[103:104], v[95:96], v[89:90]
	ds_read2_b64 v[89:92], v88 offset0:57 offset1:58
	ds_read2_b64 v[93:96], v88 offset0:59 offset1:60
	s_waitcnt vmcnt(19) lgkmcnt(1)
	v_fma_f64 v[89:90], v[105:106], v[89:90], v[100:101]
	buffer_load_dword v100, off, s[0:3], 0 offset:188
	s_waitcnt vmcnt(18)
	v_fma_f64 v[89:90], v[107:108], v[91:92], v[89:90]
	buffer_load_dword v102, off, s[0:3], 0 offset:196
	buffer_load_dword v103, off, s[0:3], 0 offset:216
	;; [unrolled: 1-line block ×8, first 2 shown]
	s_waitcnt vmcnt(24) lgkmcnt(0)
	v_fma_f64 v[89:90], v[109:110], v[93:94], v[89:90]
	s_waitcnt vmcnt(19)
	v_fma_f64 v[109:110], v[111:112], v[95:96], v[89:90]
	ds_read2_b64 v[89:92], v88 offset0:61 offset1:62
	ds_read2_b64 v[93:96], v88 offset0:63 offset1:64
	s_waitcnt vmcnt(18) lgkmcnt(1)
	v_fma_f64 v[89:90], v[117:118], v[89:90], v[109:110]
	s_waitcnt vmcnt(17)
	v_fma_f64 v[89:90], v[115:116], v[91:92], v[89:90]
	buffer_load_dword v110, off, s[0:3], 0 offset:228
	buffer_load_dword v111, off, s[0:3], 0 offset:248
	buffer_load_dword v115, off, s[0:3], 0 offset:240
	buffer_load_dword v117, off, s[0:3], 0 offset:232
	buffer_load_dword v109, off, s[0:3], 0 offset:224
	buffer_load_dword v118, off, s[0:3], 0 offset:236
	buffer_load_dword v116, off, s[0:3], 0 offset:244
	s_waitcnt vmcnt(23) lgkmcnt(0)
	v_fma_f64 v[89:90], v[113:114], v[93:94], v[89:90]
	s_waitcnt vmcnt(18)
	v_fma_f64 v[97:98], v[97:98], v[95:96], v[89:90]
	ds_read2_b64 v[89:92], v88 offset0:65 offset1:66
	ds_read2_b64 v[93:96], v88 offset0:67 offset1:68
	buffer_load_dword v112, off, s[0:3], 0 offset:252
	s_waitcnt vmcnt(18) lgkmcnt(1)
	v_fma_f64 v[89:90], v[121:122], v[89:90], v[97:98]
	s_waitcnt vmcnt(17)
	v_fma_f64 v[89:90], v[119:120], v[91:92], v[89:90]
	buffer_load_dword v98, off, s[0:3], 0 offset:260
	buffer_load_dword v113, off, s[0:3], 0 offset:280
	;; [unrolled: 1-line block ×8, first 2 shown]
	s_waitcnt vmcnt(24) lgkmcnt(0)
	v_fma_f64 v[89:90], v[99:100], v[93:94], v[89:90]
	s_waitcnt vmcnt(19)
	v_fma_f64 v[99:100], v[101:102], v[95:96], v[89:90]
	ds_read2_b64 v[89:92], v88 offset0:69 offset1:70
	ds_read2_b64 v[93:96], v88 offset0:71 offset1:72
	s_waitcnt vmcnt(18) lgkmcnt(1)
	v_fma_f64 v[89:90], v[107:108], v[89:90], v[99:100]
	s_waitcnt vmcnt(17)
	v_fma_f64 v[89:90], v[105:106], v[91:92], v[89:90]
	buffer_load_dword v100, off, s[0:3], 0 offset:292
	buffer_load_dword v101, off, s[0:3], 0 offset:312
	buffer_load_dword v105, off, s[0:3], 0 offset:304
	buffer_load_dword v107, off, s[0:3], 0 offset:296
	buffer_load_dword v99, off, s[0:3], 0 offset:288
	buffer_load_dword v108, off, s[0:3], 0 offset:300
	buffer_load_dword v106, off, s[0:3], 0 offset:308
	s_waitcnt vmcnt(23) lgkmcnt(0)
	v_fma_f64 v[89:90], v[103:104], v[93:94], v[89:90]
	s_waitcnt vmcnt(18)
	v_fma_f64 v[102:103], v[109:110], v[95:96], v[89:90]
	ds_read2_b64 v[89:92], v88 offset0:73 offset1:74
	ds_read2_b64 v[93:96], v88 offset0:75 offset1:76
	s_waitcnt vmcnt(17) lgkmcnt(1)
	v_fma_f64 v[89:90], v[117:118], v[89:90], v[102:103]
	buffer_load_dword v102, off, s[0:3], 0 offset:316
	s_waitcnt vmcnt(17)
	v_fma_f64 v[89:90], v[115:116], v[91:92], v[89:90]
	buffer_load_dword v104, off, s[0:3], 0 offset:324
	buffer_load_dword v109, off, s[0:3], 0 offset:336
	;; [unrolled: 1-line block ×6, first 2 shown]
	s_waitcnt vmcnt(22) lgkmcnt(0)
	v_fma_f64 v[89:90], v[111:112], v[93:94], v[89:90]
	s_waitcnt vmcnt(17)
	v_fma_f64 v[97:98], v[97:98], v[95:96], v[89:90]
	ds_read2_b64 v[89:92], v88 offset0:77 offset1:78
	buffer_load_dword v111, off, s[0:3], 0 offset:64
	buffer_load_dword v112, off, s[0:3], 0 offset:68
	ds_read2_b64 v[93:96], v88 offset0:79 offset1:80
	s_waitcnt vmcnt(18) lgkmcnt(1)
	v_fma_f64 v[89:90], v[121:122], v[89:90], v[97:98]
	s_waitcnt vmcnt(17)
	v_fma_f64 v[89:90], v[119:120], v[91:92], v[89:90]
	s_waitcnt vmcnt(16) lgkmcnt(0)
	v_fma_f64 v[89:90], v[113:114], v[93:94], v[89:90]
	s_waitcnt vmcnt(11)
	v_fma_f64 v[97:98], v[99:100], v[95:96], v[89:90]
	ds_read2_b64 v[89:92], v88 offset0:81 offset1:82
	ds_read2_b64 v[93:96], v88 offset0:83 offset1:84
	s_waitcnt vmcnt(10) lgkmcnt(1)
	v_fma_f64 v[89:90], v[107:108], v[89:90], v[97:98]
	s_waitcnt vmcnt(9)
	v_fma_f64 v[89:90], v[105:106], v[91:92], v[89:90]
	s_waitcnt vmcnt(8) lgkmcnt(0)
	v_fma_f64 v[89:90], v[101:102], v[93:94], v[89:90]
	s_waitcnt vmcnt(4)
	v_fma_f64 v[92:93], v[103:104], v[95:96], v[89:90]
	ds_read2_b64 v[88:91], v88 offset0:85 offset1:86
	s_waitcnt vmcnt(3) lgkmcnt(0)
	v_fma_f64 v[88:89], v[115:116], v[88:89], v[92:93]
	s_waitcnt vmcnt(2)
	v_fma_f64 v[88:89], v[109:110], v[90:91], v[88:89]
	s_waitcnt vmcnt(0)
	v_add_f64 v[88:89], v[111:112], -v[88:89]
	buffer_store_dword v89, off, s[0:3], 0 offset:68
	buffer_store_dword v88, off, s[0:3], 0 offset:64
	s_and_saveexec_b64 s[4:5], vcc
	s_cbranch_execz .LBB106_251
; %bb.250:
	buffer_load_dword v88, off, s[0:3], 0 offset:56
	buffer_load_dword v89, off, s[0:3], 0 offset:60
	v_mov_b32_e32 v90, 0
	buffer_store_dword v90, off, s[0:3], 0 offset:56
	buffer_store_dword v90, off, s[0:3], 0 offset:60
	s_waitcnt vmcnt(2)
	ds_write_b64 v87, v[88:89]
.LBB106_251:
	s_or_b64 exec, exec, s[4:5]
	s_waitcnt lgkmcnt(0)
	; wave barrier
	buffer_load_dword v97, off, s[0:3], 0 offset:64
	buffer_load_dword v98, off, s[0:3], 0 offset:68
	;; [unrolled: 1-line block ×21, first 2 shown]
	v_mov_b32_e32 v88, 0
	ds_read_b128 v[89:92], v88 offset:416
	ds_read_b128 v[93:96], v88 offset:432
	buffer_load_dword v114, off, s[0:3], 0 offset:148
	v_cmp_lt_u32_e32 vcc, 6, v0
	s_waitcnt vmcnt(20) lgkmcnt(1)
	v_fma_f64 v[89:90], v[97:98], v[89:90], 0
	s_waitcnt vmcnt(18)
	v_fma_f64 v[89:90], v[99:100], v[91:92], v[89:90]
	buffer_load_dword v98, off, s[0:3], 0 offset:156
	buffer_load_dword v99, off, s[0:3], 0 offset:176
	;; [unrolled: 1-line block ×7, first 2 shown]
	s_waitcnt vmcnt(23) lgkmcnt(0)
	v_fma_f64 v[89:90], v[101:102], v[93:94], v[89:90]
	s_waitcnt vmcnt(21)
	v_fma_f64 v[100:101], v[103:104], v[95:96], v[89:90]
	ds_read_b128 v[89:92], v88 offset:448
	ds_read_b128 v[93:96], v88 offset:464
	s_waitcnt vmcnt(19) lgkmcnt(1)
	v_fma_f64 v[89:90], v[105:106], v[89:90], v[100:101]
	buffer_load_dword v100, off, s[0:3], 0 offset:180
	s_waitcnt vmcnt(18)
	v_fma_f64 v[89:90], v[107:108], v[91:92], v[89:90]
	buffer_load_dword v102, off, s[0:3], 0 offset:188
	buffer_load_dword v103, off, s[0:3], 0 offset:208
	;; [unrolled: 1-line block ×8, first 2 shown]
	s_waitcnt vmcnt(24) lgkmcnt(0)
	v_fma_f64 v[89:90], v[109:110], v[93:94], v[89:90]
	s_waitcnt vmcnt(19)
	v_fma_f64 v[109:110], v[111:112], v[95:96], v[89:90]
	ds_read_b128 v[89:92], v88 offset:480
	ds_read_b128 v[93:96], v88 offset:496
	s_waitcnt vmcnt(18) lgkmcnt(1)
	v_fma_f64 v[89:90], v[117:118], v[89:90], v[109:110]
	s_waitcnt vmcnt(17)
	v_fma_f64 v[89:90], v[115:116], v[91:92], v[89:90]
	buffer_load_dword v110, off, s[0:3], 0 offset:220
	buffer_load_dword v111, off, s[0:3], 0 offset:240
	;; [unrolled: 1-line block ×7, first 2 shown]
	s_waitcnt vmcnt(23) lgkmcnt(0)
	v_fma_f64 v[89:90], v[113:114], v[93:94], v[89:90]
	s_waitcnt vmcnt(18)
	v_fma_f64 v[97:98], v[97:98], v[95:96], v[89:90]
	ds_read_b128 v[89:92], v88 offset:512
	ds_read_b128 v[93:96], v88 offset:528
	buffer_load_dword v112, off, s[0:3], 0 offset:244
	s_waitcnt vmcnt(18) lgkmcnt(1)
	v_fma_f64 v[89:90], v[121:122], v[89:90], v[97:98]
	s_waitcnt vmcnt(17)
	v_fma_f64 v[89:90], v[119:120], v[91:92], v[89:90]
	buffer_load_dword v98, off, s[0:3], 0 offset:252
	buffer_load_dword v113, off, s[0:3], 0 offset:272
	;; [unrolled: 1-line block ×8, first 2 shown]
	s_waitcnt vmcnt(24) lgkmcnt(0)
	v_fma_f64 v[89:90], v[99:100], v[93:94], v[89:90]
	s_waitcnt vmcnt(19)
	v_fma_f64 v[99:100], v[101:102], v[95:96], v[89:90]
	ds_read_b128 v[89:92], v88 offset:544
	ds_read_b128 v[93:96], v88 offset:560
	s_waitcnt vmcnt(18) lgkmcnt(1)
	v_fma_f64 v[89:90], v[107:108], v[89:90], v[99:100]
	s_waitcnt vmcnt(17)
	v_fma_f64 v[89:90], v[105:106], v[91:92], v[89:90]
	buffer_load_dword v100, off, s[0:3], 0 offset:284
	buffer_load_dword v101, off, s[0:3], 0 offset:304
	;; [unrolled: 1-line block ×7, first 2 shown]
	s_waitcnt vmcnt(23) lgkmcnt(0)
	v_fma_f64 v[89:90], v[103:104], v[93:94], v[89:90]
	s_waitcnt vmcnt(18)
	v_fma_f64 v[102:103], v[109:110], v[95:96], v[89:90]
	ds_read_b128 v[89:92], v88 offset:576
	ds_read_b128 v[93:96], v88 offset:592
	s_waitcnt vmcnt(17) lgkmcnt(1)
	v_fma_f64 v[89:90], v[117:118], v[89:90], v[102:103]
	buffer_load_dword v102, off, s[0:3], 0 offset:308
	s_waitcnt vmcnt(17)
	v_fma_f64 v[89:90], v[115:116], v[91:92], v[89:90]
	buffer_load_dword v104, off, s[0:3], 0 offset:316
	buffer_load_dword v109, off, s[0:3], 0 offset:336
	;; [unrolled: 1-line block ×8, first 2 shown]
	s_waitcnt vmcnt(24) lgkmcnt(0)
	v_fma_f64 v[89:90], v[111:112], v[93:94], v[89:90]
	s_waitcnt vmcnt(19)
	v_fma_f64 v[97:98], v[97:98], v[95:96], v[89:90]
	ds_read_b128 v[89:92], v88 offset:608
	ds_read_b128 v[93:96], v88 offset:624
	s_waitcnt vmcnt(18) lgkmcnt(1)
	v_fma_f64 v[89:90], v[121:122], v[89:90], v[97:98]
	buffer_load_dword v97, off, s[0:3], 0 offset:56
	buffer_load_dword v98, off, s[0:3], 0 offset:60
	s_waitcnt vmcnt(19)
	v_fma_f64 v[89:90], v[119:120], v[91:92], v[89:90]
	s_waitcnt vmcnt(18) lgkmcnt(0)
	v_fma_f64 v[89:90], v[113:114], v[93:94], v[89:90]
	s_waitcnt vmcnt(13)
	v_fma_f64 v[99:100], v[99:100], v[95:96], v[89:90]
	ds_read_b128 v[89:92], v88 offset:640
	ds_read_b128 v[93:96], v88 offset:656
	s_waitcnt vmcnt(12) lgkmcnt(1)
	v_fma_f64 v[89:90], v[107:108], v[89:90], v[99:100]
	s_waitcnt vmcnt(11)
	v_fma_f64 v[89:90], v[105:106], v[91:92], v[89:90]
	s_waitcnt vmcnt(10) lgkmcnt(0)
	v_fma_f64 v[89:90], v[101:102], v[93:94], v[89:90]
	s_waitcnt vmcnt(5)
	v_fma_f64 v[93:94], v[103:104], v[95:96], v[89:90]
	ds_read_b128 v[89:92], v88 offset:672
	ds_read_b64 v[95:96], v88 offset:688
	s_waitcnt vmcnt(4) lgkmcnt(1)
	v_fma_f64 v[89:90], v[117:118], v[89:90], v[93:94]
	s_waitcnt vmcnt(3)
	v_fma_f64 v[89:90], v[115:116], v[91:92], v[89:90]
	s_waitcnt vmcnt(2) lgkmcnt(0)
	v_fma_f64 v[89:90], v[109:110], v[95:96], v[89:90]
	s_waitcnt vmcnt(0)
	v_add_f64 v[89:90], v[97:98], -v[89:90]
	buffer_store_dword v90, off, s[0:3], 0 offset:60
	buffer_store_dword v89, off, s[0:3], 0 offset:56
	s_and_saveexec_b64 s[4:5], vcc
	s_cbranch_execz .LBB106_253
; %bb.252:
	buffer_load_dword v89, off, s[0:3], 0 offset:48
	buffer_load_dword v90, off, s[0:3], 0 offset:52
	s_waitcnt vmcnt(0)
	ds_write_b64 v87, v[89:90]
	buffer_store_dword v88, off, s[0:3], 0 offset:48
	buffer_store_dword v88, off, s[0:3], 0 offset:52
.LBB106_253:
	s_or_b64 exec, exec, s[4:5]
	s_waitcnt lgkmcnt(0)
	; wave barrier
	buffer_load_dword v97, off, s[0:3], 0 offset:56
	buffer_load_dword v98, off, s[0:3], 0 offset:60
	;; [unrolled: 1-line block ×21, first 2 shown]
	ds_read2_b64 v[89:92], v88 offset0:51 offset1:52
	ds_read2_b64 v[93:96], v88 offset0:53 offset1:54
	buffer_load_dword v114, off, s[0:3], 0 offset:140
	v_cmp_lt_u32_e32 vcc, 5, v0
	s_waitcnt vmcnt(20) lgkmcnt(1)
	v_fma_f64 v[89:90], v[97:98], v[89:90], 0
	s_waitcnt vmcnt(18)
	v_fma_f64 v[89:90], v[99:100], v[91:92], v[89:90]
	buffer_load_dword v98, off, s[0:3], 0 offset:148
	buffer_load_dword v99, off, s[0:3], 0 offset:168
	;; [unrolled: 1-line block ×7, first 2 shown]
	s_waitcnt vmcnt(23) lgkmcnt(0)
	v_fma_f64 v[89:90], v[101:102], v[93:94], v[89:90]
	s_waitcnt vmcnt(21)
	v_fma_f64 v[100:101], v[103:104], v[95:96], v[89:90]
	ds_read2_b64 v[89:92], v88 offset0:55 offset1:56
	ds_read2_b64 v[93:96], v88 offset0:57 offset1:58
	s_waitcnt vmcnt(19) lgkmcnt(1)
	v_fma_f64 v[89:90], v[105:106], v[89:90], v[100:101]
	buffer_load_dword v100, off, s[0:3], 0 offset:172
	s_waitcnt vmcnt(18)
	v_fma_f64 v[89:90], v[107:108], v[91:92], v[89:90]
	buffer_load_dword v102, off, s[0:3], 0 offset:180
	buffer_load_dword v103, off, s[0:3], 0 offset:200
	;; [unrolled: 1-line block ×8, first 2 shown]
	s_waitcnt vmcnt(24) lgkmcnt(0)
	v_fma_f64 v[89:90], v[109:110], v[93:94], v[89:90]
	s_waitcnt vmcnt(19)
	v_fma_f64 v[109:110], v[111:112], v[95:96], v[89:90]
	ds_read2_b64 v[89:92], v88 offset0:59 offset1:60
	ds_read2_b64 v[93:96], v88 offset0:61 offset1:62
	s_waitcnt vmcnt(18) lgkmcnt(1)
	v_fma_f64 v[89:90], v[117:118], v[89:90], v[109:110]
	s_waitcnt vmcnt(17)
	v_fma_f64 v[89:90], v[115:116], v[91:92], v[89:90]
	buffer_load_dword v110, off, s[0:3], 0 offset:212
	buffer_load_dword v111, off, s[0:3], 0 offset:232
	;; [unrolled: 1-line block ×7, first 2 shown]
	s_waitcnt vmcnt(23) lgkmcnt(0)
	v_fma_f64 v[89:90], v[113:114], v[93:94], v[89:90]
	s_waitcnt vmcnt(18)
	v_fma_f64 v[97:98], v[97:98], v[95:96], v[89:90]
	ds_read2_b64 v[89:92], v88 offset0:63 offset1:64
	ds_read2_b64 v[93:96], v88 offset0:65 offset1:66
	buffer_load_dword v112, off, s[0:3], 0 offset:236
	s_waitcnt vmcnt(18) lgkmcnt(1)
	v_fma_f64 v[89:90], v[121:122], v[89:90], v[97:98]
	s_waitcnt vmcnt(17)
	v_fma_f64 v[89:90], v[119:120], v[91:92], v[89:90]
	buffer_load_dword v98, off, s[0:3], 0 offset:244
	buffer_load_dword v113, off, s[0:3], 0 offset:264
	;; [unrolled: 1-line block ×8, first 2 shown]
	s_waitcnt vmcnt(24) lgkmcnt(0)
	v_fma_f64 v[89:90], v[99:100], v[93:94], v[89:90]
	s_waitcnt vmcnt(19)
	v_fma_f64 v[99:100], v[101:102], v[95:96], v[89:90]
	ds_read2_b64 v[89:92], v88 offset0:67 offset1:68
	ds_read2_b64 v[93:96], v88 offset0:69 offset1:70
	s_waitcnt vmcnt(18) lgkmcnt(1)
	v_fma_f64 v[89:90], v[107:108], v[89:90], v[99:100]
	s_waitcnt vmcnt(17)
	v_fma_f64 v[89:90], v[105:106], v[91:92], v[89:90]
	buffer_load_dword v100, off, s[0:3], 0 offset:276
	buffer_load_dword v101, off, s[0:3], 0 offset:296
	;; [unrolled: 1-line block ×7, first 2 shown]
	s_waitcnt vmcnt(23) lgkmcnt(0)
	v_fma_f64 v[89:90], v[103:104], v[93:94], v[89:90]
	s_waitcnt vmcnt(18)
	v_fma_f64 v[102:103], v[109:110], v[95:96], v[89:90]
	ds_read2_b64 v[89:92], v88 offset0:71 offset1:72
	ds_read2_b64 v[93:96], v88 offset0:73 offset1:74
	s_waitcnt vmcnt(17) lgkmcnt(1)
	v_fma_f64 v[89:90], v[117:118], v[89:90], v[102:103]
	buffer_load_dword v102, off, s[0:3], 0 offset:300
	s_waitcnt vmcnt(17)
	v_fma_f64 v[89:90], v[115:116], v[91:92], v[89:90]
	buffer_load_dword v104, off, s[0:3], 0 offset:308
	buffer_load_dword v109, off, s[0:3], 0 offset:328
	;; [unrolled: 1-line block ×8, first 2 shown]
	s_waitcnt vmcnt(24) lgkmcnt(0)
	v_fma_f64 v[89:90], v[111:112], v[93:94], v[89:90]
	s_waitcnt vmcnt(19)
	v_fma_f64 v[97:98], v[97:98], v[95:96], v[89:90]
	ds_read2_b64 v[89:92], v88 offset0:75 offset1:76
	ds_read2_b64 v[93:96], v88 offset0:77 offset1:78
	s_waitcnt vmcnt(18) lgkmcnt(1)
	v_fma_f64 v[89:90], v[121:122], v[89:90], v[97:98]
	buffer_load_dword v98, off, s[0:3], 0 offset:340
	buffer_load_dword v97, off, s[0:3], 0 offset:336
	;; [unrolled: 1-line block ×4, first 2 shown]
	s_waitcnt vmcnt(21)
	v_fma_f64 v[89:90], v[119:120], v[91:92], v[89:90]
	s_waitcnt vmcnt(20) lgkmcnt(0)
	v_fma_f64 v[89:90], v[113:114], v[93:94], v[89:90]
	s_waitcnt vmcnt(15)
	v_fma_f64 v[99:100], v[99:100], v[95:96], v[89:90]
	ds_read2_b64 v[89:92], v88 offset0:79 offset1:80
	ds_read2_b64 v[93:96], v88 offset0:81 offset1:82
	s_waitcnt vmcnt(14) lgkmcnt(1)
	v_fma_f64 v[89:90], v[107:108], v[89:90], v[99:100]
	s_waitcnt vmcnt(13)
	v_fma_f64 v[89:90], v[105:106], v[91:92], v[89:90]
	s_waitcnt vmcnt(12) lgkmcnt(0)
	v_fma_f64 v[89:90], v[101:102], v[93:94], v[89:90]
	s_waitcnt vmcnt(7)
	v_fma_f64 v[99:100], v[103:104], v[95:96], v[89:90]
	ds_read2_b64 v[89:92], v88 offset0:83 offset1:84
	ds_read2_b64 v[93:96], v88 offset0:85 offset1:86
	s_waitcnt vmcnt(6) lgkmcnt(1)
	v_fma_f64 v[88:89], v[117:118], v[89:90], v[99:100]
	s_waitcnt vmcnt(5)
	v_fma_f64 v[88:89], v[115:116], v[91:92], v[88:89]
	s_waitcnt vmcnt(4) lgkmcnt(0)
	v_fma_f64 v[88:89], v[109:110], v[93:94], v[88:89]
	s_waitcnt vmcnt(2)
	v_fma_f64 v[88:89], v[97:98], v[95:96], v[88:89]
	s_waitcnt vmcnt(0)
	v_add_f64 v[88:89], v[111:112], -v[88:89]
	buffer_store_dword v89, off, s[0:3], 0 offset:52
	buffer_store_dword v88, off, s[0:3], 0 offset:48
	s_and_saveexec_b64 s[4:5], vcc
	s_cbranch_execz .LBB106_255
; %bb.254:
	buffer_load_dword v88, off, s[0:3], 0 offset:40
	buffer_load_dword v89, off, s[0:3], 0 offset:44
	v_mov_b32_e32 v90, 0
	buffer_store_dword v90, off, s[0:3], 0 offset:40
	buffer_store_dword v90, off, s[0:3], 0 offset:44
	s_waitcnt vmcnt(2)
	ds_write_b64 v87, v[88:89]
.LBB106_255:
	s_or_b64 exec, exec, s[4:5]
	s_waitcnt lgkmcnt(0)
	; wave barrier
	buffer_load_dword v97, off, s[0:3], 0 offset:48
	buffer_load_dword v98, off, s[0:3], 0 offset:52
	;; [unrolled: 1-line block ×21, first 2 shown]
	v_mov_b32_e32 v88, 0
	ds_read_b128 v[89:92], v88 offset:400
	ds_read_b128 v[93:96], v88 offset:416
	buffer_load_dword v114, off, s[0:3], 0 offset:132
	v_cmp_lt_u32_e32 vcc, 4, v0
	s_waitcnt vmcnt(20) lgkmcnt(1)
	v_fma_f64 v[89:90], v[97:98], v[89:90], 0
	s_waitcnt vmcnt(18)
	v_fma_f64 v[89:90], v[99:100], v[91:92], v[89:90]
	buffer_load_dword v98, off, s[0:3], 0 offset:140
	buffer_load_dword v99, off, s[0:3], 0 offset:160
	;; [unrolled: 1-line block ×7, first 2 shown]
	s_waitcnt vmcnt(23) lgkmcnt(0)
	v_fma_f64 v[89:90], v[101:102], v[93:94], v[89:90]
	s_waitcnt vmcnt(21)
	v_fma_f64 v[100:101], v[103:104], v[95:96], v[89:90]
	ds_read_b128 v[89:92], v88 offset:432
	ds_read_b128 v[93:96], v88 offset:448
	s_waitcnt vmcnt(19) lgkmcnt(1)
	v_fma_f64 v[89:90], v[105:106], v[89:90], v[100:101]
	buffer_load_dword v100, off, s[0:3], 0 offset:164
	s_waitcnt vmcnt(18)
	v_fma_f64 v[89:90], v[107:108], v[91:92], v[89:90]
	buffer_load_dword v102, off, s[0:3], 0 offset:172
	buffer_load_dword v103, off, s[0:3], 0 offset:192
	;; [unrolled: 1-line block ×8, first 2 shown]
	s_waitcnt vmcnt(24) lgkmcnt(0)
	v_fma_f64 v[89:90], v[109:110], v[93:94], v[89:90]
	s_waitcnt vmcnt(19)
	v_fma_f64 v[109:110], v[111:112], v[95:96], v[89:90]
	ds_read_b128 v[89:92], v88 offset:464
	ds_read_b128 v[93:96], v88 offset:480
	s_waitcnt vmcnt(18) lgkmcnt(1)
	v_fma_f64 v[89:90], v[117:118], v[89:90], v[109:110]
	s_waitcnt vmcnt(17)
	v_fma_f64 v[89:90], v[115:116], v[91:92], v[89:90]
	buffer_load_dword v110, off, s[0:3], 0 offset:204
	buffer_load_dword v111, off, s[0:3], 0 offset:224
	;; [unrolled: 1-line block ×7, first 2 shown]
	s_waitcnt vmcnt(23) lgkmcnt(0)
	v_fma_f64 v[89:90], v[113:114], v[93:94], v[89:90]
	s_waitcnt vmcnt(18)
	v_fma_f64 v[97:98], v[97:98], v[95:96], v[89:90]
	ds_read_b128 v[89:92], v88 offset:496
	ds_read_b128 v[93:96], v88 offset:512
	buffer_load_dword v112, off, s[0:3], 0 offset:228
	s_waitcnt vmcnt(18) lgkmcnt(1)
	v_fma_f64 v[89:90], v[121:122], v[89:90], v[97:98]
	s_waitcnt vmcnt(17)
	v_fma_f64 v[89:90], v[119:120], v[91:92], v[89:90]
	buffer_load_dword v98, off, s[0:3], 0 offset:236
	buffer_load_dword v113, off, s[0:3], 0 offset:256
	;; [unrolled: 1-line block ×7, first 2 shown]
	s_waitcnt vmcnt(23) lgkmcnt(0)
	v_fma_f64 v[89:90], v[99:100], v[93:94], v[89:90]
	s_waitcnt vmcnt(18)
	v_fma_f64 v[99:100], v[101:102], v[95:96], v[89:90]
	ds_read_b128 v[89:92], v88 offset:528
	ds_read_b128 v[93:96], v88 offset:544
	buffer_load_dword v114, off, s[0:3], 0 offset:260
	s_waitcnt vmcnt(18) lgkmcnt(1)
	v_fma_f64 v[89:90], v[107:108], v[89:90], v[99:100]
	s_waitcnt vmcnt(17)
	v_fma_f64 v[89:90], v[105:106], v[91:92], v[89:90]
	buffer_load_dword v100, off, s[0:3], 0 offset:268
	buffer_load_dword v101, off, s[0:3], 0 offset:288
	buffer_load_dword v105, off, s[0:3], 0 offset:280
	buffer_load_dword v107, off, s[0:3], 0 offset:272
	buffer_load_dword v99, off, s[0:3], 0 offset:264
	buffer_load_dword v108, off, s[0:3], 0 offset:276
	buffer_load_dword v106, off, s[0:3], 0 offset:284
	s_waitcnt vmcnt(23) lgkmcnt(0)
	v_fma_f64 v[89:90], v[103:104], v[93:94], v[89:90]
	s_waitcnt vmcnt(18)
	v_fma_f64 v[102:103], v[109:110], v[95:96], v[89:90]
	ds_read_b128 v[89:92], v88 offset:560
	ds_read_b128 v[93:96], v88 offset:576
	s_waitcnt vmcnt(17) lgkmcnt(1)
	v_fma_f64 v[89:90], v[117:118], v[89:90], v[102:103]
	buffer_load_dword v102, off, s[0:3], 0 offset:292
	s_waitcnt vmcnt(17)
	v_fma_f64 v[89:90], v[115:116], v[91:92], v[89:90]
	buffer_load_dword v104, off, s[0:3], 0 offset:300
	buffer_load_dword v109, off, s[0:3], 0 offset:320
	;; [unrolled: 1-line block ×7, first 2 shown]
	s_waitcnt vmcnt(23) lgkmcnt(0)
	v_fma_f64 v[89:90], v[111:112], v[93:94], v[89:90]
	s_waitcnt vmcnt(18)
	v_fma_f64 v[97:98], v[97:98], v[95:96], v[89:90]
	ds_read_b128 v[89:92], v88 offset:592
	ds_read_b128 v[93:96], v88 offset:608
	buffer_load_dword v110, off, s[0:3], 0 offset:324
	s_waitcnt vmcnt(18) lgkmcnt(1)
	v_fma_f64 v[89:90], v[121:122], v[89:90], v[97:98]
	buffer_load_dword v98, off, s[0:3], 0 offset:332
	buffer_load_dword v111, off, s[0:3], 0 offset:336
	;; [unrolled: 1-line block ×4, first 2 shown]
	s_waitcnt vmcnt(21)
	v_fma_f64 v[89:90], v[119:120], v[91:92], v[89:90]
	s_waitcnt vmcnt(20) lgkmcnt(0)
	v_fma_f64 v[89:90], v[113:114], v[93:94], v[89:90]
	buffer_load_dword v113, off, s[0:3], 0 offset:40
	buffer_load_dword v114, off, s[0:3], 0 offset:44
	s_waitcnt vmcnt(17)
	v_fma_f64 v[99:100], v[99:100], v[95:96], v[89:90]
	ds_read_b128 v[89:92], v88 offset:624
	ds_read_b128 v[93:96], v88 offset:640
	s_waitcnt vmcnt(16) lgkmcnt(1)
	v_fma_f64 v[89:90], v[107:108], v[89:90], v[99:100]
	s_waitcnt vmcnt(15)
	v_fma_f64 v[89:90], v[105:106], v[91:92], v[89:90]
	s_waitcnt vmcnt(14) lgkmcnt(0)
	v_fma_f64 v[89:90], v[101:102], v[93:94], v[89:90]
	s_waitcnt vmcnt(9)
	v_fma_f64 v[99:100], v[103:104], v[95:96], v[89:90]
	ds_read_b128 v[89:92], v88 offset:656
	ds_read_b128 v[93:96], v88 offset:672
	s_waitcnt vmcnt(8) lgkmcnt(1)
	v_fma_f64 v[89:90], v[117:118], v[89:90], v[99:100]
	s_waitcnt vmcnt(7)
	v_fma_f64 v[89:90], v[115:116], v[91:92], v[89:90]
	ds_read_b64 v[91:92], v88 offset:688
	s_waitcnt vmcnt(6) lgkmcnt(1)
	v_fma_f64 v[89:90], v[109:110], v[93:94], v[89:90]
	s_waitcnt vmcnt(3)
	v_fma_f64 v[89:90], v[97:98], v[95:96], v[89:90]
	s_waitcnt vmcnt(2) lgkmcnt(0)
	v_fma_f64 v[89:90], v[111:112], v[91:92], v[89:90]
	s_waitcnt vmcnt(0)
	v_add_f64 v[89:90], v[113:114], -v[89:90]
	buffer_store_dword v90, off, s[0:3], 0 offset:44
	buffer_store_dword v89, off, s[0:3], 0 offset:40
	s_and_saveexec_b64 s[4:5], vcc
	s_cbranch_execz .LBB106_257
; %bb.256:
	buffer_load_dword v89, off, s[0:3], 0 offset:32
	buffer_load_dword v90, off, s[0:3], 0 offset:36
	s_waitcnt vmcnt(0)
	ds_write_b64 v87, v[89:90]
	buffer_store_dword v88, off, s[0:3], 0 offset:32
	buffer_store_dword v88, off, s[0:3], 0 offset:36
.LBB106_257:
	s_or_b64 exec, exec, s[4:5]
	s_waitcnt lgkmcnt(0)
	; wave barrier
	buffer_load_dword v97, off, s[0:3], 0 offset:40
	buffer_load_dword v98, off, s[0:3], 0 offset:44
	;; [unrolled: 1-line block ×22, first 2 shown]
	ds_read2_b64 v[89:92], v88 offset0:49 offset1:50
	ds_read2_b64 v[93:96], v88 offset0:51 offset1:52
	v_cmp_lt_u32_e32 vcc, 3, v0
	s_waitcnt vmcnt(20) lgkmcnt(1)
	v_fma_f64 v[89:90], v[97:98], v[89:90], 0
	s_waitcnt vmcnt(18)
	v_fma_f64 v[89:90], v[99:100], v[91:92], v[89:90]
	buffer_load_dword v98, off, s[0:3], 0 offset:132
	buffer_load_dword v99, off, s[0:3], 0 offset:152
	;; [unrolled: 1-line block ×7, first 2 shown]
	s_waitcnt vmcnt(23) lgkmcnt(0)
	v_fma_f64 v[89:90], v[101:102], v[93:94], v[89:90]
	s_waitcnt vmcnt(21)
	v_fma_f64 v[100:101], v[103:104], v[95:96], v[89:90]
	ds_read2_b64 v[89:92], v88 offset0:53 offset1:54
	ds_read2_b64 v[93:96], v88 offset0:55 offset1:56
	s_waitcnt vmcnt(19) lgkmcnt(1)
	v_fma_f64 v[89:90], v[105:106], v[89:90], v[100:101]
	buffer_load_dword v100, off, s[0:3], 0 offset:156
	s_waitcnt vmcnt(18)
	v_fma_f64 v[89:90], v[107:108], v[91:92], v[89:90]
	buffer_load_dword v102, off, s[0:3], 0 offset:164
	buffer_load_dword v103, off, s[0:3], 0 offset:184
	;; [unrolled: 1-line block ×8, first 2 shown]
	s_waitcnt vmcnt(24) lgkmcnt(0)
	v_fma_f64 v[89:90], v[109:110], v[93:94], v[89:90]
	s_waitcnt vmcnt(19)
	v_fma_f64 v[109:110], v[111:112], v[95:96], v[89:90]
	ds_read2_b64 v[89:92], v88 offset0:57 offset1:58
	ds_read2_b64 v[93:96], v88 offset0:59 offset1:60
	s_waitcnt vmcnt(18) lgkmcnt(1)
	v_fma_f64 v[89:90], v[117:118], v[89:90], v[109:110]
	s_waitcnt vmcnt(17)
	v_fma_f64 v[89:90], v[115:116], v[91:92], v[89:90]
	buffer_load_dword v110, off, s[0:3], 0 offset:196
	buffer_load_dword v111, off, s[0:3], 0 offset:216
	;; [unrolled: 1-line block ×8, first 2 shown]
	s_waitcnt vmcnt(24) lgkmcnt(0)
	v_fma_f64 v[89:90], v[113:114], v[93:94], v[89:90]
	s_waitcnt vmcnt(19)
	v_fma_f64 v[97:98], v[97:98], v[95:96], v[89:90]
	ds_read2_b64 v[89:92], v88 offset0:61 offset1:62
	ds_read2_b64 v[93:96], v88 offset0:63 offset1:64
	s_waitcnt vmcnt(18) lgkmcnt(1)
	v_fma_f64 v[89:90], v[121:122], v[89:90], v[97:98]
	s_waitcnt vmcnt(17)
	v_fma_f64 v[89:90], v[119:120], v[91:92], v[89:90]
	buffer_load_dword v98, off, s[0:3], 0 offset:228
	buffer_load_dword v113, off, s[0:3], 0 offset:248
	;; [unrolled: 1-line block ×7, first 2 shown]
	s_waitcnt vmcnt(23) lgkmcnt(0)
	v_fma_f64 v[89:90], v[99:100], v[93:94], v[89:90]
	s_waitcnt vmcnt(18)
	v_fma_f64 v[99:100], v[101:102], v[95:96], v[89:90]
	ds_read2_b64 v[89:92], v88 offset0:65 offset1:66
	ds_read2_b64 v[93:96], v88 offset0:67 offset1:68
	buffer_load_dword v114, off, s[0:3], 0 offset:252
	s_waitcnt vmcnt(18) lgkmcnt(1)
	v_fma_f64 v[89:90], v[107:108], v[89:90], v[99:100]
	s_waitcnt vmcnt(17)
	v_fma_f64 v[89:90], v[105:106], v[91:92], v[89:90]
	buffer_load_dword v100, off, s[0:3], 0 offset:260
	buffer_load_dword v101, off, s[0:3], 0 offset:280
	;; [unrolled: 1-line block ×7, first 2 shown]
	s_waitcnt vmcnt(23) lgkmcnt(0)
	v_fma_f64 v[89:90], v[103:104], v[93:94], v[89:90]
	s_waitcnt vmcnt(18)
	v_fma_f64 v[102:103], v[109:110], v[95:96], v[89:90]
	ds_read2_b64 v[89:92], v88 offset0:69 offset1:70
	ds_read2_b64 v[93:96], v88 offset0:71 offset1:72
	s_waitcnt vmcnt(17) lgkmcnt(1)
	v_fma_f64 v[89:90], v[117:118], v[89:90], v[102:103]
	buffer_load_dword v102, off, s[0:3], 0 offset:284
	s_waitcnt vmcnt(17)
	v_fma_f64 v[89:90], v[115:116], v[91:92], v[89:90]
	buffer_load_dword v104, off, s[0:3], 0 offset:292
	buffer_load_dword v109, off, s[0:3], 0 offset:312
	;; [unrolled: 1-line block ×8, first 2 shown]
	s_waitcnt vmcnt(24) lgkmcnt(0)
	v_fma_f64 v[89:90], v[111:112], v[93:94], v[89:90]
	s_waitcnt vmcnt(19)
	v_fma_f64 v[97:98], v[97:98], v[95:96], v[89:90]
	ds_read2_b64 v[89:92], v88 offset0:73 offset1:74
	ds_read2_b64 v[93:96], v88 offset0:75 offset1:76
	s_waitcnt vmcnt(18) lgkmcnt(1)
	v_fma_f64 v[89:90], v[121:122], v[89:90], v[97:98]
	s_waitcnt vmcnt(17)
	v_fma_f64 v[89:90], v[119:120], v[91:92], v[89:90]
	buffer_load_dword v98, off, s[0:3], 0 offset:324
	buffer_load_dword v111, off, s[0:3], 0 offset:336
	buffer_load_dword v119, off, s[0:3], 0 offset:328
	buffer_load_dword v97, off, s[0:3], 0 offset:320
	buffer_load_dword v120, off, s[0:3], 0 offset:332
	buffer_load_dword v112, off, s[0:3], 0 offset:340
	s_waitcnt vmcnt(22) lgkmcnt(0)
	v_fma_f64 v[89:90], v[113:114], v[93:94], v[89:90]
	s_waitcnt vmcnt(17)
	v_fma_f64 v[99:100], v[99:100], v[95:96], v[89:90]
	ds_read2_b64 v[89:92], v88 offset0:77 offset1:78
	buffer_load_dword v113, off, s[0:3], 0 offset:32
	buffer_load_dword v114, off, s[0:3], 0 offset:36
	ds_read2_b64 v[93:96], v88 offset0:79 offset1:80
	s_waitcnt vmcnt(18) lgkmcnt(1)
	v_fma_f64 v[89:90], v[107:108], v[89:90], v[99:100]
	s_waitcnt vmcnt(17)
	v_fma_f64 v[89:90], v[105:106], v[91:92], v[89:90]
	s_waitcnt vmcnt(16) lgkmcnt(0)
	v_fma_f64 v[89:90], v[101:102], v[93:94], v[89:90]
	s_waitcnt vmcnt(11)
	v_fma_f64 v[99:100], v[103:104], v[95:96], v[89:90]
	ds_read2_b64 v[89:92], v88 offset0:81 offset1:82
	ds_read2_b64 v[93:96], v88 offset0:83 offset1:84
	s_waitcnt vmcnt(10) lgkmcnt(1)
	v_fma_f64 v[89:90], v[117:118], v[89:90], v[99:100]
	s_waitcnt vmcnt(9)
	v_fma_f64 v[89:90], v[115:116], v[91:92], v[89:90]
	s_waitcnt vmcnt(8) lgkmcnt(0)
	v_fma_f64 v[89:90], v[109:110], v[93:94], v[89:90]
	s_waitcnt vmcnt(4)
	v_fma_f64 v[92:93], v[97:98], v[95:96], v[89:90]
	ds_read2_b64 v[88:91], v88 offset0:85 offset1:86
	s_waitcnt vmcnt(3) lgkmcnt(0)
	v_fma_f64 v[88:89], v[119:120], v[88:89], v[92:93]
	s_waitcnt vmcnt(2)
	v_fma_f64 v[88:89], v[111:112], v[90:91], v[88:89]
	s_waitcnt vmcnt(0)
	v_add_f64 v[88:89], v[113:114], -v[88:89]
	buffer_store_dword v89, off, s[0:3], 0 offset:36
	buffer_store_dword v88, off, s[0:3], 0 offset:32
	s_and_saveexec_b64 s[4:5], vcc
	s_cbranch_execz .LBB106_259
; %bb.258:
	buffer_load_dword v88, off, s[0:3], 0 offset:24
	buffer_load_dword v89, off, s[0:3], 0 offset:28
	v_mov_b32_e32 v90, 0
	buffer_store_dword v90, off, s[0:3], 0 offset:24
	buffer_store_dword v90, off, s[0:3], 0 offset:28
	s_waitcnt vmcnt(2)
	ds_write_b64 v87, v[88:89]
.LBB106_259:
	s_or_b64 exec, exec, s[4:5]
	s_waitcnt lgkmcnt(0)
	; wave barrier
	buffer_load_dword v97, off, s[0:3], 0 offset:32
	buffer_load_dword v98, off, s[0:3], 0 offset:36
	;; [unrolled: 1-line block ×22, first 2 shown]
	v_mov_b32_e32 v88, 0
	ds_read_b128 v[89:92], v88 offset:384
	ds_read_b128 v[93:96], v88 offset:400
	v_cmp_lt_u32_e32 vcc, 2, v0
	s_waitcnt vmcnt(20) lgkmcnt(1)
	v_fma_f64 v[89:90], v[97:98], v[89:90], 0
	s_waitcnt vmcnt(18)
	v_fma_f64 v[89:90], v[99:100], v[91:92], v[89:90]
	buffer_load_dword v98, off, s[0:3], 0 offset:124
	buffer_load_dword v99, off, s[0:3], 0 offset:144
	;; [unrolled: 1-line block ×7, first 2 shown]
	s_waitcnt vmcnt(23) lgkmcnt(0)
	v_fma_f64 v[89:90], v[101:102], v[93:94], v[89:90]
	s_waitcnt vmcnt(21)
	v_fma_f64 v[100:101], v[103:104], v[95:96], v[89:90]
	ds_read_b128 v[89:92], v88 offset:416
	ds_read_b128 v[93:96], v88 offset:432
	s_waitcnt vmcnt(19) lgkmcnt(1)
	v_fma_f64 v[89:90], v[105:106], v[89:90], v[100:101]
	buffer_load_dword v100, off, s[0:3], 0 offset:148
	s_waitcnt vmcnt(18)
	v_fma_f64 v[89:90], v[107:108], v[91:92], v[89:90]
	buffer_load_dword v102, off, s[0:3], 0 offset:156
	buffer_load_dword v103, off, s[0:3], 0 offset:176
	;; [unrolled: 1-line block ×8, first 2 shown]
	s_waitcnt vmcnt(24) lgkmcnt(0)
	v_fma_f64 v[89:90], v[109:110], v[93:94], v[89:90]
	s_waitcnt vmcnt(19)
	v_fma_f64 v[109:110], v[111:112], v[95:96], v[89:90]
	ds_read_b128 v[89:92], v88 offset:448
	ds_read_b128 v[93:96], v88 offset:464
	s_waitcnt vmcnt(18) lgkmcnt(1)
	v_fma_f64 v[89:90], v[117:118], v[89:90], v[109:110]
	s_waitcnt vmcnt(17)
	v_fma_f64 v[89:90], v[115:116], v[91:92], v[89:90]
	buffer_load_dword v110, off, s[0:3], 0 offset:188
	buffer_load_dword v111, off, s[0:3], 0 offset:208
	;; [unrolled: 1-line block ×8, first 2 shown]
	s_waitcnt vmcnt(24) lgkmcnt(0)
	v_fma_f64 v[89:90], v[113:114], v[93:94], v[89:90]
	s_waitcnt vmcnt(19)
	v_fma_f64 v[97:98], v[97:98], v[95:96], v[89:90]
	ds_read_b128 v[89:92], v88 offset:480
	ds_read_b128 v[93:96], v88 offset:496
	s_waitcnt vmcnt(18) lgkmcnt(1)
	v_fma_f64 v[89:90], v[121:122], v[89:90], v[97:98]
	s_waitcnt vmcnt(17)
	v_fma_f64 v[89:90], v[119:120], v[91:92], v[89:90]
	buffer_load_dword v98, off, s[0:3], 0 offset:220
	buffer_load_dword v113, off, s[0:3], 0 offset:240
	;; [unrolled: 1-line block ×7, first 2 shown]
	s_waitcnt vmcnt(23) lgkmcnt(0)
	v_fma_f64 v[89:90], v[99:100], v[93:94], v[89:90]
	s_waitcnt vmcnt(18)
	v_fma_f64 v[99:100], v[101:102], v[95:96], v[89:90]
	ds_read_b128 v[89:92], v88 offset:512
	ds_read_b128 v[93:96], v88 offset:528
	buffer_load_dword v114, off, s[0:3], 0 offset:244
	s_waitcnt vmcnt(18) lgkmcnt(1)
	v_fma_f64 v[89:90], v[107:108], v[89:90], v[99:100]
	s_waitcnt vmcnt(17)
	v_fma_f64 v[89:90], v[105:106], v[91:92], v[89:90]
	buffer_load_dword v100, off, s[0:3], 0 offset:252
	buffer_load_dword v101, off, s[0:3], 0 offset:272
	;; [unrolled: 1-line block ×7, first 2 shown]
	s_waitcnt vmcnt(23) lgkmcnt(0)
	v_fma_f64 v[89:90], v[103:104], v[93:94], v[89:90]
	s_waitcnt vmcnt(18)
	v_fma_f64 v[102:103], v[109:110], v[95:96], v[89:90]
	ds_read_b128 v[89:92], v88 offset:544
	ds_read_b128 v[93:96], v88 offset:560
	s_waitcnt vmcnt(17) lgkmcnt(1)
	v_fma_f64 v[89:90], v[117:118], v[89:90], v[102:103]
	buffer_load_dword v102, off, s[0:3], 0 offset:276
	s_waitcnt vmcnt(17)
	v_fma_f64 v[89:90], v[115:116], v[91:92], v[89:90]
	buffer_load_dword v104, off, s[0:3], 0 offset:284
	buffer_load_dword v109, off, s[0:3], 0 offset:304
	;; [unrolled: 1-line block ×8, first 2 shown]
	s_waitcnt vmcnt(24) lgkmcnt(0)
	v_fma_f64 v[89:90], v[111:112], v[93:94], v[89:90]
	s_waitcnt vmcnt(19)
	v_fma_f64 v[97:98], v[97:98], v[95:96], v[89:90]
	ds_read_b128 v[89:92], v88 offset:576
	ds_read_b128 v[93:96], v88 offset:592
	s_waitcnt vmcnt(18) lgkmcnt(1)
	v_fma_f64 v[89:90], v[121:122], v[89:90], v[97:98]
	s_waitcnt vmcnt(17)
	v_fma_f64 v[89:90], v[119:120], v[91:92], v[89:90]
	buffer_load_dword v98, off, s[0:3], 0 offset:316
	buffer_load_dword v111, off, s[0:3], 0 offset:336
	;; [unrolled: 1-line block ×8, first 2 shown]
	s_waitcnt vmcnt(24) lgkmcnt(0)
	v_fma_f64 v[89:90], v[113:114], v[93:94], v[89:90]
	s_waitcnt vmcnt(19)
	v_fma_f64 v[99:100], v[99:100], v[95:96], v[89:90]
	ds_read_b128 v[89:92], v88 offset:608
	ds_read_b128 v[93:96], v88 offset:624
	s_waitcnt vmcnt(18) lgkmcnt(1)
	v_fma_f64 v[89:90], v[107:108], v[89:90], v[99:100]
	buffer_load_dword v99, off, s[0:3], 0 offset:24
	buffer_load_dword v100, off, s[0:3], 0 offset:28
	s_waitcnt vmcnt(19)
	v_fma_f64 v[89:90], v[105:106], v[91:92], v[89:90]
	s_waitcnt vmcnt(18) lgkmcnt(0)
	v_fma_f64 v[89:90], v[101:102], v[93:94], v[89:90]
	s_waitcnt vmcnt(13)
	v_fma_f64 v[101:102], v[103:104], v[95:96], v[89:90]
	ds_read_b128 v[89:92], v88 offset:640
	ds_read_b128 v[93:96], v88 offset:656
	s_waitcnt vmcnt(12) lgkmcnt(1)
	v_fma_f64 v[89:90], v[117:118], v[89:90], v[101:102]
	s_waitcnt vmcnt(11)
	v_fma_f64 v[89:90], v[115:116], v[91:92], v[89:90]
	s_waitcnt vmcnt(10) lgkmcnt(0)
	v_fma_f64 v[89:90], v[109:110], v[93:94], v[89:90]
	s_waitcnt vmcnt(5)
	v_fma_f64 v[93:94], v[97:98], v[95:96], v[89:90]
	ds_read_b128 v[89:92], v88 offset:672
	ds_read_b64 v[95:96], v88 offset:688
	s_waitcnt vmcnt(4) lgkmcnt(1)
	v_fma_f64 v[89:90], v[121:122], v[89:90], v[93:94]
	s_waitcnt vmcnt(3)
	v_fma_f64 v[89:90], v[119:120], v[91:92], v[89:90]
	s_waitcnt vmcnt(2) lgkmcnt(0)
	v_fma_f64 v[89:90], v[111:112], v[95:96], v[89:90]
	s_waitcnt vmcnt(0)
	v_add_f64 v[89:90], v[99:100], -v[89:90]
	buffer_store_dword v90, off, s[0:3], 0 offset:28
	buffer_store_dword v89, off, s[0:3], 0 offset:24
	s_and_saveexec_b64 s[4:5], vcc
	s_cbranch_execz .LBB106_261
; %bb.260:
	buffer_load_dword v89, off, s[0:3], 0 offset:16
	buffer_load_dword v90, off, s[0:3], 0 offset:20
	s_waitcnt vmcnt(0)
	ds_write_b64 v87, v[89:90]
	buffer_store_dword v88, off, s[0:3], 0 offset:16
	buffer_store_dword v88, off, s[0:3], 0 offset:20
.LBB106_261:
	s_or_b64 exec, exec, s[4:5]
	s_waitcnt lgkmcnt(0)
	; wave barrier
	buffer_load_dword v97, off, s[0:3], 0 offset:24
	buffer_load_dword v98, off, s[0:3], 0 offset:28
	buffer_load_dword v99, off, s[0:3], 0 offset:32
	buffer_load_dword v100, off, s[0:3], 0 offset:36
	buffer_load_dword v101, off, s[0:3], 0 offset:40
	buffer_load_dword v102, off, s[0:3], 0 offset:44
	buffer_load_dword v103, off, s[0:3], 0 offset:48
	buffer_load_dword v104, off, s[0:3], 0 offset:52
	buffer_load_dword v105, off, s[0:3], 0 offset:56
	buffer_load_dword v106, off, s[0:3], 0 offset:60
	buffer_load_dword v107, off, s[0:3], 0 offset:64
	buffer_load_dword v108, off, s[0:3], 0 offset:68
	buffer_load_dword v109, off, s[0:3], 0 offset:72
	buffer_load_dword v110, off, s[0:3], 0 offset:76
	buffer_load_dword v112, off, s[0:3], 0 offset:84
	buffer_load_dword v113, off, s[0:3], 0 offset:104
	buffer_load_dword v115, off, s[0:3], 0 offset:96
	buffer_load_dword v117, off, s[0:3], 0 offset:88
	buffer_load_dword v111, off, s[0:3], 0 offset:80
	buffer_load_dword v118, off, s[0:3], 0 offset:92
	buffer_load_dword v116, off, s[0:3], 0 offset:100
	buffer_load_dword v114, off, s[0:3], 0 offset:108
	ds_read2_b64 v[89:92], v88 offset0:47 offset1:48
	ds_read2_b64 v[93:96], v88 offset0:49 offset1:50
	v_cmp_lt_u32_e32 vcc, 1, v0
	s_waitcnt vmcnt(20) lgkmcnt(1)
	v_fma_f64 v[89:90], v[97:98], v[89:90], 0
	s_waitcnt vmcnt(18)
	v_fma_f64 v[89:90], v[99:100], v[91:92], v[89:90]
	buffer_load_dword v98, off, s[0:3], 0 offset:116
	buffer_load_dword v99, off, s[0:3], 0 offset:136
	;; [unrolled: 1-line block ×7, first 2 shown]
	s_waitcnt vmcnt(23) lgkmcnt(0)
	v_fma_f64 v[89:90], v[101:102], v[93:94], v[89:90]
	s_waitcnt vmcnt(21)
	v_fma_f64 v[100:101], v[103:104], v[95:96], v[89:90]
	ds_read2_b64 v[89:92], v88 offset0:51 offset1:52
	ds_read2_b64 v[93:96], v88 offset0:53 offset1:54
	s_waitcnt vmcnt(19) lgkmcnt(1)
	v_fma_f64 v[89:90], v[105:106], v[89:90], v[100:101]
	buffer_load_dword v100, off, s[0:3], 0 offset:140
	s_waitcnt vmcnt(18)
	v_fma_f64 v[89:90], v[107:108], v[91:92], v[89:90]
	buffer_load_dword v102, off, s[0:3], 0 offset:148
	buffer_load_dword v103, off, s[0:3], 0 offset:168
	;; [unrolled: 1-line block ×8, first 2 shown]
	s_waitcnt vmcnt(24) lgkmcnt(0)
	v_fma_f64 v[89:90], v[109:110], v[93:94], v[89:90]
	s_waitcnt vmcnt(19)
	v_fma_f64 v[109:110], v[111:112], v[95:96], v[89:90]
	ds_read2_b64 v[89:92], v88 offset0:55 offset1:56
	ds_read2_b64 v[93:96], v88 offset0:57 offset1:58
	s_waitcnt vmcnt(18) lgkmcnt(1)
	v_fma_f64 v[89:90], v[117:118], v[89:90], v[109:110]
	s_waitcnt vmcnt(17)
	v_fma_f64 v[89:90], v[115:116], v[91:92], v[89:90]
	buffer_load_dword v110, off, s[0:3], 0 offset:180
	buffer_load_dword v111, off, s[0:3], 0 offset:200
	;; [unrolled: 1-line block ×8, first 2 shown]
	s_waitcnt vmcnt(24) lgkmcnt(0)
	v_fma_f64 v[89:90], v[113:114], v[93:94], v[89:90]
	s_waitcnt vmcnt(19)
	v_fma_f64 v[97:98], v[97:98], v[95:96], v[89:90]
	ds_read2_b64 v[89:92], v88 offset0:59 offset1:60
	ds_read2_b64 v[93:96], v88 offset0:61 offset1:62
	s_waitcnt vmcnt(18) lgkmcnt(1)
	v_fma_f64 v[89:90], v[121:122], v[89:90], v[97:98]
	s_waitcnt vmcnt(17)
	v_fma_f64 v[89:90], v[119:120], v[91:92], v[89:90]
	buffer_load_dword v98, off, s[0:3], 0 offset:212
	buffer_load_dword v113, off, s[0:3], 0 offset:232
	;; [unrolled: 1-line block ×7, first 2 shown]
	s_waitcnt vmcnt(23) lgkmcnt(0)
	v_fma_f64 v[89:90], v[99:100], v[93:94], v[89:90]
	s_waitcnt vmcnt(18)
	v_fma_f64 v[99:100], v[101:102], v[95:96], v[89:90]
	ds_read2_b64 v[89:92], v88 offset0:63 offset1:64
	ds_read2_b64 v[93:96], v88 offset0:65 offset1:66
	buffer_load_dword v114, off, s[0:3], 0 offset:236
	s_waitcnt vmcnt(18) lgkmcnt(1)
	v_fma_f64 v[89:90], v[107:108], v[89:90], v[99:100]
	s_waitcnt vmcnt(17)
	v_fma_f64 v[89:90], v[105:106], v[91:92], v[89:90]
	buffer_load_dword v100, off, s[0:3], 0 offset:244
	buffer_load_dword v101, off, s[0:3], 0 offset:264
	;; [unrolled: 1-line block ×7, first 2 shown]
	s_waitcnt vmcnt(23) lgkmcnt(0)
	v_fma_f64 v[89:90], v[103:104], v[93:94], v[89:90]
	s_waitcnt vmcnt(18)
	v_fma_f64 v[102:103], v[109:110], v[95:96], v[89:90]
	ds_read2_b64 v[89:92], v88 offset0:67 offset1:68
	ds_read2_b64 v[93:96], v88 offset0:69 offset1:70
	s_waitcnt vmcnt(17) lgkmcnt(1)
	v_fma_f64 v[89:90], v[117:118], v[89:90], v[102:103]
	buffer_load_dword v102, off, s[0:3], 0 offset:268
	s_waitcnt vmcnt(17)
	v_fma_f64 v[89:90], v[115:116], v[91:92], v[89:90]
	buffer_load_dword v104, off, s[0:3], 0 offset:276
	buffer_load_dword v109, off, s[0:3], 0 offset:296
	;; [unrolled: 1-line block ×8, first 2 shown]
	s_waitcnt vmcnt(24) lgkmcnt(0)
	v_fma_f64 v[89:90], v[111:112], v[93:94], v[89:90]
	s_waitcnt vmcnt(19)
	v_fma_f64 v[97:98], v[97:98], v[95:96], v[89:90]
	ds_read2_b64 v[89:92], v88 offset0:71 offset1:72
	ds_read2_b64 v[93:96], v88 offset0:73 offset1:74
	s_waitcnt vmcnt(18) lgkmcnt(1)
	v_fma_f64 v[89:90], v[121:122], v[89:90], v[97:98]
	s_waitcnt vmcnt(17)
	v_fma_f64 v[89:90], v[119:120], v[91:92], v[89:90]
	buffer_load_dword v98, off, s[0:3], 0 offset:308
	buffer_load_dword v111, off, s[0:3], 0 offset:328
	;; [unrolled: 1-line block ×8, first 2 shown]
	s_waitcnt vmcnt(24) lgkmcnt(0)
	v_fma_f64 v[89:90], v[113:114], v[93:94], v[89:90]
	s_waitcnt vmcnt(19)
	v_fma_f64 v[99:100], v[99:100], v[95:96], v[89:90]
	ds_read2_b64 v[89:92], v88 offset0:75 offset1:76
	ds_read2_b64 v[93:96], v88 offset0:77 offset1:78
	s_waitcnt vmcnt(18) lgkmcnt(1)
	v_fma_f64 v[89:90], v[107:108], v[89:90], v[99:100]
	buffer_load_dword v100, off, s[0:3], 0 offset:340
	buffer_load_dword v99, off, s[0:3], 0 offset:336
	s_waitcnt vmcnt(19)
	v_fma_f64 v[89:90], v[105:106], v[91:92], v[89:90]
	buffer_load_dword v105, off, s[0:3], 0 offset:16
	buffer_load_dword v106, off, s[0:3], 0 offset:20
	s_waitcnt vmcnt(20) lgkmcnt(0)
	v_fma_f64 v[89:90], v[101:102], v[93:94], v[89:90]
	s_waitcnt vmcnt(15)
	v_fma_f64 v[101:102], v[103:104], v[95:96], v[89:90]
	ds_read2_b64 v[89:92], v88 offset0:79 offset1:80
	ds_read2_b64 v[93:96], v88 offset0:81 offset1:82
	s_waitcnt vmcnt(14) lgkmcnt(1)
	v_fma_f64 v[89:90], v[117:118], v[89:90], v[101:102]
	s_waitcnt vmcnt(13)
	v_fma_f64 v[89:90], v[115:116], v[91:92], v[89:90]
	s_waitcnt vmcnt(12) lgkmcnt(0)
	v_fma_f64 v[89:90], v[109:110], v[93:94], v[89:90]
	s_waitcnt vmcnt(7)
	v_fma_f64 v[97:98], v[97:98], v[95:96], v[89:90]
	ds_read2_b64 v[89:92], v88 offset0:83 offset1:84
	ds_read2_b64 v[93:96], v88 offset0:85 offset1:86
	s_waitcnt vmcnt(6) lgkmcnt(1)
	v_fma_f64 v[88:89], v[121:122], v[89:90], v[97:98]
	s_waitcnt vmcnt(5)
	v_fma_f64 v[88:89], v[119:120], v[91:92], v[88:89]
	s_waitcnt vmcnt(4) lgkmcnt(0)
	v_fma_f64 v[88:89], v[111:112], v[93:94], v[88:89]
	s_waitcnt vmcnt(2)
	v_fma_f64 v[88:89], v[99:100], v[95:96], v[88:89]
	s_waitcnt vmcnt(0)
	v_add_f64 v[88:89], v[105:106], -v[88:89]
	buffer_store_dword v89, off, s[0:3], 0 offset:20
	buffer_store_dword v88, off, s[0:3], 0 offset:16
	s_and_saveexec_b64 s[4:5], vcc
	s_cbranch_execz .LBB106_263
; %bb.262:
	buffer_load_dword v88, off, s[0:3], 0 offset:8
	buffer_load_dword v89, off, s[0:3], 0 offset:12
	v_mov_b32_e32 v90, 0
	buffer_store_dword v90, off, s[0:3], 0 offset:8
	buffer_store_dword v90, off, s[0:3], 0 offset:12
	s_waitcnt vmcnt(2)
	ds_write_b64 v87, v[88:89]
.LBB106_263:
	s_or_b64 exec, exec, s[4:5]
	s_waitcnt lgkmcnt(0)
	; wave barrier
	buffer_load_dword v98, off, s[0:3], 0 offset:16
	buffer_load_dword v99, off, s[0:3], 0 offset:20
	buffer_load_dword v100, off, s[0:3], 0 offset:24
	buffer_load_dword v101, off, s[0:3], 0 offset:28
	buffer_load_dword v102, off, s[0:3], 0 offset:32
	buffer_load_dword v103, off, s[0:3], 0 offset:36
	buffer_load_dword v104, off, s[0:3], 0 offset:40
	buffer_load_dword v105, off, s[0:3], 0 offset:44
	buffer_load_dword v106, off, s[0:3], 0 offset:48
	buffer_load_dword v107, off, s[0:3], 0 offset:52
	buffer_load_dword v108, off, s[0:3], 0 offset:56
	buffer_load_dword v109, off, s[0:3], 0 offset:60
	buffer_load_dword v110, off, s[0:3], 0 offset:64
	buffer_load_dword v111, off, s[0:3], 0 offset:68
	buffer_load_dword v113, off, s[0:3], 0 offset:76
	buffer_load_dword v114, off, s[0:3], 0 offset:96
	buffer_load_dword v116, off, s[0:3], 0 offset:88
	buffer_load_dword v118, off, s[0:3], 0 offset:80
	buffer_load_dword v112, off, s[0:3], 0 offset:72
	buffer_load_dword v119, off, s[0:3], 0 offset:84
	buffer_load_dword v117, off, s[0:3], 0 offset:92
	buffer_load_dword v115, off, s[0:3], 0 offset:100
	v_mov_b32_e32 v89, 0
	ds_read_b128 v[90:93], v89 offset:368
	ds_read_b128 v[94:97], v89 offset:384
	v_cmp_ne_u32_e32 vcc, 0, v0
	s_waitcnt vmcnt(20) lgkmcnt(1)
	v_fma_f64 v[90:91], v[98:99], v[90:91], 0
	s_waitcnt vmcnt(18)
	v_fma_f64 v[90:91], v[100:101], v[92:93], v[90:91]
	buffer_load_dword v99, off, s[0:3], 0 offset:108
	buffer_load_dword v100, off, s[0:3], 0 offset:128
	;; [unrolled: 1-line block ×7, first 2 shown]
	s_waitcnt vmcnt(23) lgkmcnt(0)
	v_fma_f64 v[90:91], v[102:103], v[94:95], v[90:91]
	s_waitcnt vmcnt(21)
	v_fma_f64 v[101:102], v[104:105], v[96:97], v[90:91]
	ds_read_b128 v[90:93], v89 offset:400
	ds_read_b128 v[94:97], v89 offset:416
	s_waitcnt vmcnt(19) lgkmcnt(1)
	v_fma_f64 v[90:91], v[106:107], v[90:91], v[101:102]
	buffer_load_dword v101, off, s[0:3], 0 offset:132
	s_waitcnt vmcnt(18)
	v_fma_f64 v[90:91], v[108:109], v[92:93], v[90:91]
	buffer_load_dword v103, off, s[0:3], 0 offset:140
	buffer_load_dword v104, off, s[0:3], 0 offset:160
	;; [unrolled: 1-line block ×7, first 2 shown]
	s_waitcnt vmcnt(23) lgkmcnt(0)
	v_fma_f64 v[90:91], v[110:111], v[94:95], v[90:91]
	s_waitcnt vmcnt(18)
	v_fma_f64 v[110:111], v[112:113], v[96:97], v[90:91]
	ds_read_b128 v[90:93], v89 offset:432
	ds_read_b128 v[94:97], v89 offset:448
	buffer_load_dword v105, off, s[0:3], 0 offset:164
	s_waitcnt vmcnt(18) lgkmcnt(1)
	v_fma_f64 v[90:91], v[118:119], v[90:91], v[110:111]
	s_waitcnt vmcnt(17)
	v_fma_f64 v[90:91], v[116:117], v[92:93], v[90:91]
	buffer_load_dword v111, off, s[0:3], 0 offset:172
	buffer_load_dword v112, off, s[0:3], 0 offset:192
	;; [unrolled: 1-line block ×8, first 2 shown]
	s_waitcnt vmcnt(24) lgkmcnt(0)
	v_fma_f64 v[90:91], v[114:115], v[94:95], v[90:91]
	s_waitcnt vmcnt(19)
	v_fma_f64 v[98:99], v[98:99], v[96:97], v[90:91]
	ds_read_b128 v[90:93], v89 offset:464
	ds_read_b128 v[94:97], v89 offset:480
	s_waitcnt vmcnt(18) lgkmcnt(1)
	v_fma_f64 v[90:91], v[122:123], v[90:91], v[98:99]
	s_waitcnt vmcnt(17)
	v_fma_f64 v[90:91], v[120:121], v[92:93], v[90:91]
	buffer_load_dword v99, off, s[0:3], 0 offset:204
	buffer_load_dword v114, off, s[0:3], 0 offset:224
	;; [unrolled: 1-line block ×7, first 2 shown]
	s_waitcnt vmcnt(23) lgkmcnt(0)
	v_fma_f64 v[90:91], v[100:101], v[94:95], v[90:91]
	s_waitcnt vmcnt(18)
	v_fma_f64 v[100:101], v[102:103], v[96:97], v[90:91]
	ds_read_b128 v[90:93], v89 offset:496
	ds_read_b128 v[94:97], v89 offset:512
	buffer_load_dword v115, off, s[0:3], 0 offset:228
	s_waitcnt vmcnt(18) lgkmcnt(1)
	v_fma_f64 v[90:91], v[108:109], v[90:91], v[100:101]
	s_waitcnt vmcnt(17)
	v_fma_f64 v[90:91], v[106:107], v[92:93], v[90:91]
	buffer_load_dword v101, off, s[0:3], 0 offset:236
	buffer_load_dword v102, off, s[0:3], 0 offset:256
	;; [unrolled: 1-line block ×7, first 2 shown]
	s_waitcnt vmcnt(23) lgkmcnt(0)
	v_fma_f64 v[90:91], v[104:105], v[94:95], v[90:91]
	s_waitcnt vmcnt(18)
	v_fma_f64 v[103:104], v[110:111], v[96:97], v[90:91]
	ds_read_b128 v[90:93], v89 offset:528
	ds_read_b128 v[94:97], v89 offset:544
	s_waitcnt vmcnt(17) lgkmcnt(1)
	v_fma_f64 v[90:91], v[118:119], v[90:91], v[103:104]
	buffer_load_dword v103, off, s[0:3], 0 offset:260
	s_waitcnt vmcnt(17)
	v_fma_f64 v[90:91], v[116:117], v[92:93], v[90:91]
	buffer_load_dword v105, off, s[0:3], 0 offset:268
	buffer_load_dword v110, off, s[0:3], 0 offset:288
	;; [unrolled: 1-line block ×8, first 2 shown]
	s_waitcnt vmcnt(24) lgkmcnt(0)
	v_fma_f64 v[90:91], v[112:113], v[94:95], v[90:91]
	s_waitcnt vmcnt(19)
	v_fma_f64 v[98:99], v[98:99], v[96:97], v[90:91]
	ds_read_b128 v[90:93], v89 offset:560
	ds_read_b128 v[94:97], v89 offset:576
	s_waitcnt vmcnt(18) lgkmcnt(1)
	v_fma_f64 v[90:91], v[122:123], v[90:91], v[98:99]
	s_waitcnt vmcnt(17)
	v_fma_f64 v[90:91], v[120:121], v[92:93], v[90:91]
	buffer_load_dword v99, off, s[0:3], 0 offset:300
	buffer_load_dword v112, off, s[0:3], 0 offset:320
	;; [unrolled: 1-line block ×7, first 2 shown]
	s_waitcnt vmcnt(23) lgkmcnt(0)
	v_fma_f64 v[90:91], v[114:115], v[94:95], v[90:91]
	s_waitcnt vmcnt(18)
	v_fma_f64 v[100:101], v[100:101], v[96:97], v[90:91]
	ds_read_b128 v[90:93], v89 offset:592
	ds_read_b128 v[94:97], v89 offset:608
	buffer_load_dword v113, off, s[0:3], 0 offset:324
	s_waitcnt vmcnt(18) lgkmcnt(1)
	v_fma_f64 v[90:91], v[108:109], v[90:91], v[100:101]
	s_waitcnt vmcnt(17)
	v_fma_f64 v[90:91], v[106:107], v[92:93], v[90:91]
	buffer_load_dword v101, off, s[0:3], 0 offset:332
	buffer_load_dword v106, off, s[0:3], 0 offset:336
	;; [unrolled: 1-line block ×4, first 2 shown]
	s_waitcnt vmcnt(20) lgkmcnt(0)
	v_fma_f64 v[90:91], v[102:103], v[94:95], v[90:91]
	buffer_load_dword v102, off, s[0:3], 0 offset:8
	buffer_load_dword v103, off, s[0:3], 0 offset:12
	s_waitcnt vmcnt(17)
	v_fma_f64 v[104:105], v[104:105], v[96:97], v[90:91]
	ds_read_b128 v[90:93], v89 offset:624
	ds_read_b128 v[94:97], v89 offset:640
	s_waitcnt vmcnt(16) lgkmcnt(1)
	v_fma_f64 v[90:91], v[118:119], v[90:91], v[104:105]
	s_waitcnt vmcnt(15)
	v_fma_f64 v[90:91], v[116:117], v[92:93], v[90:91]
	s_waitcnt vmcnt(14) lgkmcnt(0)
	v_fma_f64 v[90:91], v[110:111], v[94:95], v[90:91]
	s_waitcnt vmcnt(9)
	v_fma_f64 v[98:99], v[98:99], v[96:97], v[90:91]
	ds_read_b128 v[90:93], v89 offset:656
	ds_read_b128 v[94:97], v89 offset:672
	s_waitcnt vmcnt(8) lgkmcnt(1)
	v_fma_f64 v[90:91], v[122:123], v[90:91], v[98:99]
	s_waitcnt vmcnt(7)
	v_fma_f64 v[90:91], v[120:121], v[92:93], v[90:91]
	ds_read_b64 v[92:93], v89 offset:688
	s_waitcnt vmcnt(6) lgkmcnt(1)
	v_fma_f64 v[90:91], v[112:113], v[94:95], v[90:91]
	s_waitcnt vmcnt(3)
	v_fma_f64 v[90:91], v[100:101], v[96:97], v[90:91]
	s_waitcnt vmcnt(2) lgkmcnt(0)
	v_fma_f64 v[90:91], v[106:107], v[92:93], v[90:91]
	s_waitcnt vmcnt(0)
	v_add_f64 v[90:91], v[102:103], -v[90:91]
	buffer_store_dword v91, off, s[0:3], 0 offset:12
	buffer_store_dword v90, off, s[0:3], 0 offset:8
	s_and_saveexec_b64 s[4:5], vcc
	s_cbranch_execz .LBB106_265
; %bb.264:
	buffer_load_dword v90, off, s[0:3], 0
	buffer_load_dword v91, off, s[0:3], 0 offset:4
	s_waitcnt vmcnt(0)
	ds_write_b64 v87, v[90:91]
	buffer_store_dword v89, off, s[0:3], 0
	buffer_store_dword v89, off, s[0:3], 0 offset:4
.LBB106_265:
	s_or_b64 exec, exec, s[4:5]
	s_waitcnt lgkmcnt(0)
	; wave barrier
	buffer_load_dword v87, off, s[0:3], 0 offset:8
	buffer_load_dword v88, off, s[0:3], 0 offset:12
	;; [unrolled: 1-line block ×22, first 2 shown]
	ds_read2_b64 v[90:93], v89 offset0:45 offset1:46
	ds_read2_b64 v[94:97], v89 offset0:47 offset1:48
	s_and_b64 vcc, exec, s[14:15]
	s_waitcnt vmcnt(20) lgkmcnt(1)
	v_fma_f64 v[87:88], v[87:88], v[90:91], 0
	s_waitcnt vmcnt(18)
	v_fma_f64 v[87:88], v[98:99], v[92:93], v[87:88]
	buffer_load_dword v99, off, s[0:3], 0 offset:100
	buffer_load_dword v118, off, s[0:3], 0 offset:120
	;; [unrolled: 1-line block ×8, first 2 shown]
	ds_read2_b64 v[90:93], v89 offset0:49 offset1:50
	s_waitcnt vmcnt(24) lgkmcnt(1)
	v_fma_f64 v[87:88], v[100:101], v[94:95], v[87:88]
	s_waitcnt vmcnt(22)
	v_fma_f64 v[87:88], v[102:103], v[96:97], v[87:88]
	ds_read2_b64 v[94:97], v89 offset0:51 offset1:52
	s_waitcnt vmcnt(20) lgkmcnt(1)
	v_fma_f64 v[87:88], v[104:105], v[90:91], v[87:88]
	s_waitcnt vmcnt(18)
	v_fma_f64 v[87:88], v[106:107], v[92:93], v[87:88]
	buffer_load_dword v101, off, s[0:3], 0 offset:132
	buffer_load_dword v102, off, s[0:3], 0 offset:152
	;; [unrolled: 1-line block ×7, first 2 shown]
	s_waitcnt vmcnt(23) lgkmcnt(0)
	v_fma_f64 v[87:88], v[108:109], v[94:95], v[87:88]
	s_waitcnt vmcnt(18)
	v_fma_f64 v[87:88], v[110:111], v[96:97], v[87:88]
	ds_read2_b64 v[90:93], v89 offset0:53 offset1:54
	ds_read2_b64 v[94:97], v89 offset0:55 offset1:56
	buffer_load_dword v103, off, s[0:3], 0 offset:156
	s_waitcnt vmcnt(18) lgkmcnt(1)
	v_fma_f64 v[87:88], v[116:117], v[90:91], v[87:88]
	s_waitcnt vmcnt(17)
	v_fma_f64 v[87:88], v[114:115], v[92:93], v[87:88]
	buffer_load_dword v109, off, s[0:3], 0 offset:164
	buffer_load_dword v110, off, s[0:3], 0 offset:184
	;; [unrolled: 1-line block ×8, first 2 shown]
	ds_read2_b64 v[90:93], v89 offset0:57 offset1:58
	s_waitcnt vmcnt(24) lgkmcnt(1)
	v_fma_f64 v[87:88], v[112:113], v[94:95], v[87:88]
	s_waitcnt vmcnt(19)
	v_fma_f64 v[87:88], v[98:99], v[96:97], v[87:88]
	ds_read2_b64 v[94:97], v89 offset0:59 offset1:60
	s_waitcnt vmcnt(18) lgkmcnt(1)
	v_fma_f64 v[87:88], v[122:123], v[90:91], v[87:88]
	s_waitcnt vmcnt(17)
	v_fma_f64 v[87:88], v[120:121], v[92:93], v[87:88]
	buffer_load_dword v99, off, s[0:3], 0 offset:196
	buffer_load_dword v112, off, s[0:3], 0 offset:216
	;; [unrolled: 1-line block ×8, first 2 shown]
	ds_read2_b64 v[90:93], v89 offset0:61 offset1:62
	s_waitcnt vmcnt(24) lgkmcnt(1)
	v_fma_f64 v[87:88], v[118:119], v[94:95], v[87:88]
	s_waitcnt vmcnt(19)
	v_fma_f64 v[87:88], v[100:101], v[96:97], v[87:88]
	ds_read2_b64 v[94:97], v89 offset0:63 offset1:64
	s_waitcnt vmcnt(18) lgkmcnt(1)
	v_fma_f64 v[87:88], v[106:107], v[90:91], v[87:88]
	s_waitcnt vmcnt(17)
	v_fma_f64 v[87:88], v[104:105], v[92:93], v[87:88]
	buffer_load_dword v101, off, s[0:3], 0 offset:228
	buffer_load_dword v104, off, s[0:3], 0 offset:248
	;; [unrolled: 1-line block ×7, first 2 shown]
	s_waitcnt vmcnt(23) lgkmcnt(0)
	v_fma_f64 v[87:88], v[102:103], v[94:95], v[87:88]
	s_waitcnt vmcnt(18)
	v_fma_f64 v[87:88], v[108:109], v[96:97], v[87:88]
	ds_read2_b64 v[90:93], v89 offset0:65 offset1:66
	ds_read2_b64 v[94:97], v89 offset0:67 offset1:68
	buffer_load_dword v105, off, s[0:3], 0 offset:252
	s_waitcnt vmcnt(18) lgkmcnt(1)
	v_fma_f64 v[87:88], v[116:117], v[90:91], v[87:88]
	s_waitcnt vmcnt(17)
	v_fma_f64 v[87:88], v[114:115], v[92:93], v[87:88]
	buffer_load_dword v103, off, s[0:3], 0 offset:260
	buffer_load_dword v108, off, s[0:3], 0 offset:280
	;; [unrolled: 1-line block ×8, first 2 shown]
	ds_read2_b64 v[90:93], v89 offset0:69 offset1:70
	s_waitcnt vmcnt(24) lgkmcnt(1)
	v_fma_f64 v[87:88], v[110:111], v[94:95], v[87:88]
	s_waitcnt vmcnt(19)
	v_fma_f64 v[87:88], v[98:99], v[96:97], v[87:88]
	ds_read2_b64 v[94:97], v89 offset0:71 offset1:72
	s_waitcnt vmcnt(18) lgkmcnt(1)
	v_fma_f64 v[87:88], v[122:123], v[90:91], v[87:88]
	s_waitcnt vmcnt(17)
	v_fma_f64 v[87:88], v[120:121], v[92:93], v[87:88]
	buffer_load_dword v99, off, s[0:3], 0 offset:292
	buffer_load_dword v110, off, s[0:3], 0 offset:312
	;; [unrolled: 1-line block ×8, first 2 shown]
	ds_read2_b64 v[90:93], v89 offset0:73 offset1:74
	s_waitcnt vmcnt(24) lgkmcnt(1)
	v_fma_f64 v[87:88], v[112:113], v[94:95], v[87:88]
	s_waitcnt vmcnt(19)
	v_fma_f64 v[87:88], v[100:101], v[96:97], v[87:88]
	ds_read2_b64 v[94:97], v89 offset0:75 offset1:76
	s_waitcnt vmcnt(18) lgkmcnt(1)
	v_fma_f64 v[87:88], v[118:119], v[90:91], v[87:88]
	s_waitcnt vmcnt(17)
	v_fma_f64 v[90:91], v[106:107], v[92:93], v[87:88]
	buffer_load_dword v101, off, s[0:3], 0 offset:324
	buffer_load_dword v106, off, s[0:3], 0 offset:336
	buffer_load_dword v87, off, s[0:3], 0 offset:328
	buffer_load_dword v100, off, s[0:3], 0 offset:320
	buffer_load_dword v88, off, s[0:3], 0 offset:332
	buffer_load_dword v107, off, s[0:3], 0 offset:340
	s_waitcnt vmcnt(22) lgkmcnt(0)
	v_fma_f64 v[90:91], v[104:105], v[94:95], v[90:91]
	s_waitcnt vmcnt(17)
	v_fma_f64 v[102:103], v[102:103], v[96:97], v[90:91]
	ds_read2_b64 v[90:93], v89 offset0:77 offset1:78
	buffer_load_dword v104, off, s[0:3], 0
	buffer_load_dword v105, off, s[0:3], 0 offset:4
	ds_read2_b64 v[94:97], v89 offset0:79 offset1:80
	s_waitcnt vmcnt(18) lgkmcnt(1)
	v_fma_f64 v[90:91], v[116:117], v[90:91], v[102:103]
	s_waitcnt vmcnt(17)
	v_fma_f64 v[90:91], v[114:115], v[92:93], v[90:91]
	s_waitcnt vmcnt(16) lgkmcnt(0)
	v_fma_f64 v[90:91], v[108:109], v[94:95], v[90:91]
	s_waitcnt vmcnt(11)
	v_fma_f64 v[98:99], v[98:99], v[96:97], v[90:91]
	ds_read2_b64 v[90:93], v89 offset0:81 offset1:82
	ds_read2_b64 v[94:97], v89 offset0:83 offset1:84
	s_waitcnt vmcnt(10) lgkmcnt(1)
	v_fma_f64 v[90:91], v[122:123], v[90:91], v[98:99]
	s_waitcnt vmcnt(9)
	v_fma_f64 v[90:91], v[120:121], v[92:93], v[90:91]
	s_waitcnt vmcnt(8) lgkmcnt(0)
	v_fma_f64 v[90:91], v[110:111], v[94:95], v[90:91]
	s_waitcnt vmcnt(4)
	v_fma_f64 v[93:94], v[100:101], v[96:97], v[90:91]
	ds_read2_b64 v[89:92], v89 offset0:85 offset1:86
	s_waitcnt vmcnt(3) lgkmcnt(0)
	v_fma_f64 v[89:90], v[87:88], v[89:90], v[93:94]
	s_waitcnt vmcnt(2)
	v_fma_f64 v[89:90], v[106:107], v[91:92], v[89:90]
	s_waitcnt vmcnt(0)
	v_add_f64 v[89:90], v[104:105], -v[89:90]
	buffer_store_dword v90, off, s[0:3], 0 offset:4
	buffer_store_dword v89, off, s[0:3], 0
	s_cbranch_vccz .LBB106_350
; %bb.266:
	v_mov_b32_e32 v0, 0
	global_load_dword v89, v0, s[12:13] offset:164
	s_waitcnt vmcnt(0)
	v_add_u32_e32 v89, -1, v89
	v_cmp_ne_u32_e32 vcc, 41, v89
	s_cbranch_vccz .LBB106_268
; %bb.267:
	v_lshlrev_b32_e32 v89, 3, v89
	buffer_load_dword v90, v89, s[0:3], 0 offen
	buffer_load_dword v91, v89, s[0:3], 0 offen offset:4
	s_waitcnt vmcnt(1)
	buffer_store_dword v90, off, s[0:3], 0 offset:328
	s_waitcnt vmcnt(1)
	buffer_store_dword v91, off, s[0:3], 0 offset:332
	buffer_store_dword v87, v89, s[0:3], 0 offen
	buffer_store_dword v88, v89, s[0:3], 0 offen offset:4
.LBB106_268:
	global_load_dword v0, v0, s[12:13] offset:160
	s_waitcnt vmcnt(0)
	v_add_u32_e32 v0, -1, v0
	v_cmp_eq_u32_e32 vcc, 40, v0
	s_cbranch_vccnz .LBB106_270
; %bb.269:
	v_lshlrev_b32_e32 v0, 3, v0
	buffer_load_dword v87, v0, s[0:3], 0 offen
	buffer_load_dword v88, v0, s[0:3], 0 offen offset:4
	buffer_load_dword v89, off, s[0:3], 0 offset:324
	buffer_load_dword v90, off, s[0:3], 0 offset:320
	s_waitcnt vmcnt(3)
	buffer_store_dword v87, off, s[0:3], 0 offset:320
	s_waitcnt vmcnt(3)
	buffer_store_dword v88, off, s[0:3], 0 offset:324
	s_waitcnt vmcnt(3)
	buffer_store_dword v89, v0, s[0:3], 0 offen offset:4
	s_waitcnt vmcnt(3)
	buffer_store_dword v90, v0, s[0:3], 0 offen
.LBB106_270:
	v_mov_b32_e32 v0, 0
	global_load_dword v87, v0, s[12:13] offset:156
	s_waitcnt vmcnt(0)
	v_add_u32_e32 v87, -1, v87
	v_cmp_eq_u32_e32 vcc, 39, v87
	s_cbranch_vccnz .LBB106_272
; %bb.271:
	v_lshlrev_b32_e32 v87, 3, v87
	buffer_load_dword v88, v87, s[0:3], 0 offen
	buffer_load_dword v89, v87, s[0:3], 0 offen offset:4
	buffer_load_dword v90, off, s[0:3], 0 offset:312
	buffer_load_dword v91, off, s[0:3], 0 offset:316
	s_waitcnt vmcnt(3)
	buffer_store_dword v88, off, s[0:3], 0 offset:312
	s_waitcnt vmcnt(3)
	buffer_store_dword v89, off, s[0:3], 0 offset:316
	s_waitcnt vmcnt(3)
	buffer_store_dword v90, v87, s[0:3], 0 offen
	s_waitcnt vmcnt(3)
	buffer_store_dword v91, v87, s[0:3], 0 offen offset:4
.LBB106_272:
	global_load_dword v0, v0, s[12:13] offset:152
	s_waitcnt vmcnt(0)
	v_add_u32_e32 v0, -1, v0
	v_cmp_eq_u32_e32 vcc, 38, v0
	s_cbranch_vccnz .LBB106_274
; %bb.273:
	v_lshlrev_b32_e32 v0, 3, v0
	buffer_load_dword v87, v0, s[0:3], 0 offen
	buffer_load_dword v88, v0, s[0:3], 0 offen offset:4
	buffer_load_dword v89, off, s[0:3], 0 offset:308
	buffer_load_dword v90, off, s[0:3], 0 offset:304
	s_waitcnt vmcnt(3)
	buffer_store_dword v87, off, s[0:3], 0 offset:304
	s_waitcnt vmcnt(3)
	buffer_store_dword v88, off, s[0:3], 0 offset:308
	s_waitcnt vmcnt(3)
	buffer_store_dword v89, v0, s[0:3], 0 offen offset:4
	s_waitcnt vmcnt(3)
	buffer_store_dword v90, v0, s[0:3], 0 offen
.LBB106_274:
	v_mov_b32_e32 v0, 0
	global_load_dword v87, v0, s[12:13] offset:148
	s_waitcnt vmcnt(0)
	v_add_u32_e32 v87, -1, v87
	v_cmp_eq_u32_e32 vcc, 37, v87
	s_cbranch_vccnz .LBB106_276
; %bb.275:
	v_lshlrev_b32_e32 v87, 3, v87
	buffer_load_dword v88, v87, s[0:3], 0 offen
	buffer_load_dword v89, v87, s[0:3], 0 offen offset:4
	buffer_load_dword v90, off, s[0:3], 0 offset:296
	buffer_load_dword v91, off, s[0:3], 0 offset:300
	s_waitcnt vmcnt(3)
	buffer_store_dword v88, off, s[0:3], 0 offset:296
	s_waitcnt vmcnt(3)
	buffer_store_dword v89, off, s[0:3], 0 offset:300
	s_waitcnt vmcnt(3)
	buffer_store_dword v90, v87, s[0:3], 0 offen
	s_waitcnt vmcnt(3)
	buffer_store_dword v91, v87, s[0:3], 0 offen offset:4
.LBB106_276:
	;; [unrolled: 41-line block ×20, first 2 shown]
	global_load_dword v0, v0, s[12:13]
	s_nop 0
	buffer_load_dword v89, off, s[0:3], 0
	buffer_load_dword v90, off, s[0:3], 0 offset:4
	s_waitcnt vmcnt(2)
	v_add_u32_e32 v0, -1, v0
	v_cmp_eq_u32_e32 vcc, 0, v0
	s_cbranch_vccnz .LBB106_350
; %bb.349:
	v_lshlrev_b32_e32 v0, 3, v0
	buffer_load_dword v87, v0, s[0:3], 0 offen offset:4
	buffer_load_dword v88, v0, s[0:3], 0 offen
	s_waitcnt vmcnt(1)
	buffer_store_dword v87, off, s[0:3], 0 offset:4
	s_waitcnt vmcnt(1)
	buffer_store_dword v88, off, s[0:3], 0
	buffer_store_dword v90, v0, s[0:3], 0 offen offset:4
	buffer_store_dword v89, v0, s[0:3], 0 offen
	buffer_load_dword v89, off, s[0:3], 0
	s_nop 0
	buffer_load_dword v90, off, s[0:3], 0 offset:4
.LBB106_350:
	s_waitcnt vmcnt(0)
	flat_store_dwordx2 v[1:2], v[89:90]
	buffer_load_dword v0, off, s[0:3], 0 offset:8
	s_nop 0
	buffer_load_dword v1, off, s[0:3], 0 offset:12
	s_waitcnt vmcnt(0)
	flat_store_dwordx2 v[3:4], v[0:1]
	buffer_load_dword v0, off, s[0:3], 0 offset:16
	s_nop 0
	buffer_load_dword v1, off, s[0:3], 0 offset:20
	;; [unrolled: 5-line block ×42, first 2 shown]
	s_waitcnt vmcnt(0)
	flat_store_dwordx2 v[85:86], v[0:1]
	s_endpgm
	.section	.rodata,"a",@progbits
	.p2align	6, 0x0
	.amdhsa_kernel _ZN9rocsolver6v33100L18getri_kernel_smallILi43EdPKPdEEvT1_iilPiilS6_bb
		.amdhsa_group_segment_fixed_size 696
		.amdhsa_private_segment_fixed_size 352
		.amdhsa_kernarg_size 60
		.amdhsa_user_sgpr_count 6
		.amdhsa_user_sgpr_private_segment_buffer 1
		.amdhsa_user_sgpr_dispatch_ptr 0
		.amdhsa_user_sgpr_queue_ptr 0
		.amdhsa_user_sgpr_kernarg_segment_ptr 1
		.amdhsa_user_sgpr_dispatch_id 0
		.amdhsa_user_sgpr_flat_scratch_init 0
		.amdhsa_user_sgpr_private_segment_size 0
		.amdhsa_uses_dynamic_stack 0
		.amdhsa_system_sgpr_private_segment_wavefront_offset 1
		.amdhsa_system_sgpr_workgroup_id_x 1
		.amdhsa_system_sgpr_workgroup_id_y 0
		.amdhsa_system_sgpr_workgroup_id_z 0
		.amdhsa_system_sgpr_workgroup_info 0
		.amdhsa_system_vgpr_workitem_id 0
		.amdhsa_next_free_vgpr 124
		.amdhsa_next_free_sgpr 21
		.amdhsa_reserve_vcc 1
		.amdhsa_reserve_flat_scratch 0
		.amdhsa_float_round_mode_32 0
		.amdhsa_float_round_mode_16_64 0
		.amdhsa_float_denorm_mode_32 3
		.amdhsa_float_denorm_mode_16_64 3
		.amdhsa_dx10_clamp 1
		.amdhsa_ieee_mode 1
		.amdhsa_fp16_overflow 0
		.amdhsa_exception_fp_ieee_invalid_op 0
		.amdhsa_exception_fp_denorm_src 0
		.amdhsa_exception_fp_ieee_div_zero 0
		.amdhsa_exception_fp_ieee_overflow 0
		.amdhsa_exception_fp_ieee_underflow 0
		.amdhsa_exception_fp_ieee_inexact 0
		.amdhsa_exception_int_div_zero 0
	.end_amdhsa_kernel
	.section	.text._ZN9rocsolver6v33100L18getri_kernel_smallILi43EdPKPdEEvT1_iilPiilS6_bb,"axG",@progbits,_ZN9rocsolver6v33100L18getri_kernel_smallILi43EdPKPdEEvT1_iilPiilS6_bb,comdat
.Lfunc_end106:
	.size	_ZN9rocsolver6v33100L18getri_kernel_smallILi43EdPKPdEEvT1_iilPiilS6_bb, .Lfunc_end106-_ZN9rocsolver6v33100L18getri_kernel_smallILi43EdPKPdEEvT1_iilPiilS6_bb
                                        ; -- End function
	.set _ZN9rocsolver6v33100L18getri_kernel_smallILi43EdPKPdEEvT1_iilPiilS6_bb.num_vgpr, 124
	.set _ZN9rocsolver6v33100L18getri_kernel_smallILi43EdPKPdEEvT1_iilPiilS6_bb.num_agpr, 0
	.set _ZN9rocsolver6v33100L18getri_kernel_smallILi43EdPKPdEEvT1_iilPiilS6_bb.numbered_sgpr, 21
	.set _ZN9rocsolver6v33100L18getri_kernel_smallILi43EdPKPdEEvT1_iilPiilS6_bb.num_named_barrier, 0
	.set _ZN9rocsolver6v33100L18getri_kernel_smallILi43EdPKPdEEvT1_iilPiilS6_bb.private_seg_size, 352
	.set _ZN9rocsolver6v33100L18getri_kernel_smallILi43EdPKPdEEvT1_iilPiilS6_bb.uses_vcc, 1
	.set _ZN9rocsolver6v33100L18getri_kernel_smallILi43EdPKPdEEvT1_iilPiilS6_bb.uses_flat_scratch, 0
	.set _ZN9rocsolver6v33100L18getri_kernel_smallILi43EdPKPdEEvT1_iilPiilS6_bb.has_dyn_sized_stack, 0
	.set _ZN9rocsolver6v33100L18getri_kernel_smallILi43EdPKPdEEvT1_iilPiilS6_bb.has_recursion, 0
	.set _ZN9rocsolver6v33100L18getri_kernel_smallILi43EdPKPdEEvT1_iilPiilS6_bb.has_indirect_call, 0
	.section	.AMDGPU.csdata,"",@progbits
; Kernel info:
; codeLenInByte = 50372
; TotalNumSgprs: 25
; NumVgprs: 124
; ScratchSize: 352
; MemoryBound: 1
; FloatMode: 240
; IeeeMode: 1
; LDSByteSize: 696 bytes/workgroup (compile time only)
; SGPRBlocks: 3
; VGPRBlocks: 30
; NumSGPRsForWavesPerEU: 25
; NumVGPRsForWavesPerEU: 124
; Occupancy: 2
; WaveLimiterHint : 1
; COMPUTE_PGM_RSRC2:SCRATCH_EN: 1
; COMPUTE_PGM_RSRC2:USER_SGPR: 6
; COMPUTE_PGM_RSRC2:TRAP_HANDLER: 0
; COMPUTE_PGM_RSRC2:TGID_X_EN: 1
; COMPUTE_PGM_RSRC2:TGID_Y_EN: 0
; COMPUTE_PGM_RSRC2:TGID_Z_EN: 0
; COMPUTE_PGM_RSRC2:TIDIG_COMP_CNT: 0
	.section	.text._ZN9rocsolver6v33100L18getri_kernel_smallILi44EdPKPdEEvT1_iilPiilS6_bb,"axG",@progbits,_ZN9rocsolver6v33100L18getri_kernel_smallILi44EdPKPdEEvT1_iilPiilS6_bb,comdat
	.globl	_ZN9rocsolver6v33100L18getri_kernel_smallILi44EdPKPdEEvT1_iilPiilS6_bb ; -- Begin function _ZN9rocsolver6v33100L18getri_kernel_smallILi44EdPKPdEEvT1_iilPiilS6_bb
	.p2align	8
	.type	_ZN9rocsolver6v33100L18getri_kernel_smallILi44EdPKPdEEvT1_iilPiilS6_bb,@function
_ZN9rocsolver6v33100L18getri_kernel_smallILi44EdPKPdEEvT1_iilPiilS6_bb: ; @_ZN9rocsolver6v33100L18getri_kernel_smallILi44EdPKPdEEvT1_iilPiilS6_bb
; %bb.0:
	s_add_u32 s0, s0, s7
	s_addc_u32 s1, s1, 0
	v_cmp_gt_u32_e32 vcc, 44, v0
	s_and_saveexec_b64 s[8:9], vcc
	s_cbranch_execz .LBB107_184
; %bb.1:
	s_load_dword s18, s[4:5], 0x38
	s_load_dwordx2 s[12:13], s[4:5], 0x0
	s_load_dwordx4 s[8:11], s[4:5], 0x28
	s_waitcnt lgkmcnt(0)
	s_bitcmp1_b32 s18, 8
	s_cselect_b64 s[14:15], -1, 0
	s_ashr_i32 s7, s6, 31
	s_lshl_b64 s[16:17], s[6:7], 3
	s_add_u32 s12, s12, s16
	s_addc_u32 s13, s13, s17
	s_load_dwordx2 s[16:17], s[12:13], 0x0
	s_bfe_u32 s12, s18, 0x10008
	s_cmp_eq_u32 s12, 0
                                        ; implicit-def: $sgpr12_sgpr13
	s_cbranch_scc1 .LBB107_3
; %bb.2:
	s_load_dword s12, s[4:5], 0x20
	s_load_dwordx2 s[18:19], s[4:5], 0x18
	s_mul_i32 s13, s8, s7
	s_mul_hi_u32 s20, s8, s6
	s_add_i32 s20, s20, s13
	s_mul_i32 s9, s9, s6
	s_add_i32 s9, s20, s9
	s_mul_i32 s8, s8, s6
	s_waitcnt lgkmcnt(0)
	s_ashr_i32 s13, s12, 31
	s_lshl_b64 s[8:9], s[8:9], 2
	s_add_u32 s18, s18, s8
	s_addc_u32 s19, s19, s9
	s_lshl_b64 s[8:9], s[12:13], 2
	s_add_u32 s12, s18, s8
	s_addc_u32 s13, s19, s9
.LBB107_3:
	s_load_dwordx2 s[8:9], s[4:5], 0x8
	v_lshlrev_b32_e32 v91, 3, v0
	s_load_dword s4, s[4:5], 0x38
	s_waitcnt lgkmcnt(0)
	s_ashr_i32 s19, s8, 31
	s_mov_b32 s18, s8
	s_lshl_b64 s[18:19], s[18:19], 3
	s_add_u32 s5, s16, s18
	s_addc_u32 s8, s17, s19
	v_mov_b32_e32 v2, s8
	v_add_co_u32_e32 v1, vcc, s5, v91
	v_addc_co_u32_e32 v2, vcc, 0, v2, vcc
	flat_load_dwordx2 v[5:6], v[1:2]
	s_mov_b32 s16, s9
	s_ashr_i32 s17, s9, 31
	s_lshl_b64 s[16:17], s[16:17], 3
	v_mov_b32_e32 v4, s17
	v_add_co_u32_e32 v3, vcc, s16, v1
	v_addc_co_u32_e32 v4, vcc, v2, v4, vcc
	s_add_i32 s16, s9, s9
	v_add_u32_e32 v9, s16, v0
	v_ashrrev_i32_e32 v10, 31, v9
	v_mov_b32_e32 v11, s8
	v_add_u32_e32 v12, s9, v9
	v_ashrrev_i32_e32 v13, 31, v12
	v_mov_b32_e32 v14, s8
	v_mov_b32_e32 v15, s8
	;; [unrolled: 1-line block ×40, first 2 shown]
	s_bitcmp0_b32 s4, 0
	s_waitcnt vmcnt(0) lgkmcnt(0)
	buffer_store_dword v6, off, s[0:3], 0 offset:4
	buffer_store_dword v5, off, s[0:3], 0
	flat_load_dwordx2 v[7:8], v[3:4]
	v_lshlrev_b64 v[5:6], 3, v[9:10]
	s_waitcnt vmcnt(0) lgkmcnt(0)
	buffer_store_dword v8, off, s[0:3], 0 offset:12
	buffer_store_dword v7, off, s[0:3], 0 offset:8
	v_add_co_u32_e32 v5, vcc, s5, v5
	v_addc_co_u32_e32 v6, vcc, v11, v6, vcc
	flat_load_dwordx2 v[10:11], v[5:6]
	v_lshlrev_b64 v[7:8], 3, v[12:13]
	s_waitcnt vmcnt(0) lgkmcnt(0)
	buffer_store_dword v11, off, s[0:3], 0 offset:20
	buffer_store_dword v10, off, s[0:3], 0 offset:16
	v_add_co_u32_e32 v7, vcc, s5, v7
	v_addc_co_u32_e32 v8, vcc, v14, v8, vcc
	flat_load_dwordx2 v[13:14], v[7:8]
	v_add_u32_e32 v11, s9, v12
	v_ashrrev_i32_e32 v12, 31, v11
	v_lshlrev_b64 v[9:10], 3, v[11:12]
	s_waitcnt vmcnt(0) lgkmcnt(0)
	buffer_store_dword v14, off, s[0:3], 0 offset:28
	buffer_store_dword v13, off, s[0:3], 0 offset:24
	v_add_co_u32_e32 v9, vcc, s5, v9
	v_addc_co_u32_e32 v10, vcc, v15, v10, vcc
	flat_load_dwordx2 v[13:14], v[9:10]
	v_add_u32_e32 v15, s9, v11
	v_ashrrev_i32_e32 v16, 31, v15
	v_lshlrev_b64 v[11:12], 3, v[15:16]
	v_add_u32_e32 v18, s9, v15
	v_add_co_u32_e32 v11, vcc, s5, v11
	v_addc_co_u32_e32 v12, vcc, v17, v12, vcc
	v_ashrrev_i32_e32 v19, 31, v18
	s_waitcnt vmcnt(0) lgkmcnt(0)
	buffer_store_dword v14, off, s[0:3], 0 offset:36
	buffer_store_dword v13, off, s[0:3], 0 offset:32
	flat_load_dwordx2 v[16:17], v[11:12]
	v_lshlrev_b64 v[13:14], 3, v[18:19]
	s_waitcnt vmcnt(0) lgkmcnt(0)
	buffer_store_dword v17, off, s[0:3], 0 offset:44
	buffer_store_dword v16, off, s[0:3], 0 offset:40
	v_add_co_u32_e32 v13, vcc, s5, v13
	v_addc_co_u32_e32 v14, vcc, v20, v14, vcc
	flat_load_dwordx2 v[19:20], v[13:14]
	v_add_u32_e32 v17, s9, v18
	v_ashrrev_i32_e32 v18, 31, v17
	v_lshlrev_b64 v[15:16], 3, v[17:18]
	s_waitcnt vmcnt(0) lgkmcnt(0)
	buffer_store_dword v20, off, s[0:3], 0 offset:52
	buffer_store_dword v19, off, s[0:3], 0 offset:48
	v_add_co_u32_e32 v15, vcc, s5, v15
	v_addc_co_u32_e32 v16, vcc, v21, v16, vcc
	flat_load_dwordx2 v[19:20], v[15:16]
	v_add_u32_e32 v21, s9, v17
	v_ashrrev_i32_e32 v22, 31, v21
	v_lshlrev_b64 v[17:18], 3, v[21:22]
	v_add_u32_e32 v24, s9, v21
	v_add_co_u32_e32 v17, vcc, s5, v17
	v_addc_co_u32_e32 v18, vcc, v23, v18, vcc
	v_ashrrev_i32_e32 v25, 31, v24
	s_waitcnt vmcnt(0) lgkmcnt(0)
	buffer_store_dword v20, off, s[0:3], 0 offset:60
	buffer_store_dword v19, off, s[0:3], 0 offset:56
	;; [unrolled: 27-line block ×7, first 2 shown]
	flat_load_dwordx2 v[52:53], v[47:48]
	v_lshlrev_b64 v[49:50], 3, v[54:55]
	s_waitcnt vmcnt(0) lgkmcnt(0)
	buffer_store_dword v53, off, s[0:3], 0 offset:188
	buffer_store_dword v52, off, s[0:3], 0 offset:184
	v_add_co_u32_e32 v49, vcc, s5, v49
	v_addc_co_u32_e32 v50, vcc, v56, v50, vcc
	flat_load_dwordx2 v[55:56], v[49:50]
	v_add_u32_e32 v53, s9, v54
	v_ashrrev_i32_e32 v54, 31, v53
	v_lshlrev_b64 v[51:52], 3, v[53:54]
	s_waitcnt vmcnt(0) lgkmcnt(0)
	buffer_store_dword v56, off, s[0:3], 0 offset:196
	buffer_store_dword v55, off, s[0:3], 0 offset:192
	v_add_co_u32_e32 v51, vcc, s5, v51
	v_addc_co_u32_e32 v52, vcc, v57, v52, vcc
	flat_load_dwordx2 v[55:56], v[51:52]
	v_add_u32_e32 v57, s9, v53
	v_ashrrev_i32_e32 v58, 31, v57
	v_lshlrev_b64 v[53:54], 3, v[57:58]
	v_add_u32_e32 v60, s9, v57
	v_add_co_u32_e32 v53, vcc, s5, v53
	v_addc_co_u32_e32 v54, vcc, v59, v54, vcc
	s_waitcnt vmcnt(0) lgkmcnt(0)
	buffer_store_dword v56, off, s[0:3], 0 offset:204
	buffer_store_dword v55, off, s[0:3], 0 offset:200
	flat_load_dwordx2 v[58:59], v[53:54]
	v_ashrrev_i32_e32 v61, 31, v60
	v_lshlrev_b64 v[55:56], 3, v[60:61]
	s_waitcnt vmcnt(0) lgkmcnt(0)
	buffer_store_dword v59, off, s[0:3], 0 offset:212
	buffer_store_dword v58, off, s[0:3], 0 offset:208
	v_add_co_u32_e32 v55, vcc, s5, v55
	v_addc_co_u32_e32 v56, vcc, v62, v56, vcc
	flat_load_dwordx2 v[61:62], v[55:56]
	v_add_u32_e32 v59, s9, v60
	v_ashrrev_i32_e32 v60, 31, v59
	v_lshlrev_b64 v[57:58], 3, v[59:60]
	s_waitcnt vmcnt(0) lgkmcnt(0)
	buffer_store_dword v62, off, s[0:3], 0 offset:220
	buffer_store_dword v61, off, s[0:3], 0 offset:216
	v_add_co_u32_e32 v57, vcc, s5, v57
	v_addc_co_u32_e32 v58, vcc, v63, v58, vcc
	flat_load_dwordx2 v[61:62], v[57:58]
	v_add_u32_e32 v63, s9, v59
	;; [unrolled: 9-line block ×16, first 2 shown]
	v_ashrrev_i32_e32 v88, 31, v87
	v_lshlrev_b64 v[87:88], 3, v[87:88]
	v_mov_b32_e32 v93, s8
	v_add_co_u32_e32 v87, vcc, s5, v87
	v_addc_co_u32_e32 v88, vcc, v93, v88, vcc
	s_waitcnt vmcnt(0) lgkmcnt(0)
	buffer_store_dword v90, off, s[0:3], 0 offset:340
	buffer_store_dword v89, off, s[0:3], 0 offset:336
	flat_load_dwordx2 v[89:90], v[87:88]
	s_mov_b64 s[8:9], -1
	s_waitcnt vmcnt(0) lgkmcnt(0)
	buffer_store_dword v90, off, s[0:3], 0 offset:348
	buffer_store_dword v89, off, s[0:3], 0 offset:344
	s_cbranch_scc1 .LBB107_182
; %bb.4:
	v_cmp_eq_u32_e64 s[4:5], 0, v0
	s_and_saveexec_b64 s[8:9], s[4:5]
; %bb.5:
	v_mov_b32_e32 v89, 0
	ds_write_b32 v89, v89 offset:704
; %bb.6:
	s_or_b64 exec, exec, s[8:9]
	v_mov_b32_e32 v89, 0
	v_lshl_add_u32 v89, v0, 3, v89
	s_waitcnt lgkmcnt(0)
	; wave barrier
	buffer_load_dword v92, v89, s[0:3], 0 offen
	buffer_load_dword v93, v89, s[0:3], 0 offen offset:4
	s_waitcnt vmcnt(0)
	v_cmp_eq_f64_e32 vcc, 0, v[92:93]
	s_and_saveexec_b64 s[16:17], vcc
	s_cbranch_execz .LBB107_10
; %bb.7:
	v_mov_b32_e32 v90, 0
	ds_read_b32 v93, v90 offset:704
	v_add_u32_e32 v92, 1, v0
	s_waitcnt lgkmcnt(0)
	v_readfirstlane_b32 s8, v93
	s_cmp_eq_u32 s8, 0
	s_cselect_b64 s[18:19], -1, 0
	v_cmp_gt_i32_e32 vcc, s8, v92
	s_or_b64 s[18:19], s[18:19], vcc
	s_and_b64 exec, exec, s[18:19]
	s_cbranch_execz .LBB107_10
; %bb.8:
	s_mov_b64 s[18:19], 0
	v_mov_b32_e32 v93, s8
.LBB107_9:                              ; =>This Inner Loop Header: Depth=1
	ds_cmpst_rtn_b32 v93, v90, v93, v92 offset:704
	s_waitcnt lgkmcnt(0)
	v_cmp_ne_u32_e32 vcc, 0, v93
	v_cmp_le_i32_e64 s[8:9], v93, v92
	s_and_b64 s[8:9], vcc, s[8:9]
	s_and_b64 s[8:9], exec, s[8:9]
	s_or_b64 s[18:19], s[8:9], s[18:19]
	s_andn2_b64 exec, exec, s[18:19]
	s_cbranch_execnz .LBB107_9
.LBB107_10:
	s_or_b64 exec, exec, s[16:17]
	v_mov_b32_e32 v92, 0
	; wave barrier
	ds_read_b32 v90, v92 offset:704
	s_and_saveexec_b64 s[8:9], s[4:5]
	s_cbranch_execz .LBB107_12
; %bb.11:
	s_lshl_b64 s[16:17], s[6:7], 2
	s_add_u32 s16, s10, s16
	s_addc_u32 s17, s11, s17
	s_waitcnt lgkmcnt(0)
	global_store_dword v92, v90, s[16:17]
.LBB107_12:
	s_or_b64 exec, exec, s[8:9]
	s_waitcnt lgkmcnt(0)
	v_cmp_ne_u32_e32 vcc, 0, v90
	s_mov_b64 s[8:9], 0
	s_cbranch_vccnz .LBB107_182
; %bb.13:
	buffer_load_dword v92, v89, s[0:3], 0 offen
	buffer_load_dword v93, v89, s[0:3], 0 offen offset:4
	s_waitcnt vmcnt(0)
	v_div_scale_f64 v[94:95], s[8:9], v[92:93], v[92:93], 1.0
	v_rcp_f64_e32 v[96:97], v[94:95]
	v_fma_f64 v[98:99], -v[94:95], v[96:97], 1.0
	v_fma_f64 v[96:97], v[96:97], v[98:99], v[96:97]
	v_div_scale_f64 v[98:99], vcc, 1.0, v[92:93], 1.0
	v_fma_f64 v[100:101], -v[94:95], v[96:97], 1.0
	v_fma_f64 v[96:97], v[96:97], v[100:101], v[96:97]
	v_mul_f64 v[100:101], v[98:99], v[96:97]
	v_fma_f64 v[94:95], -v[94:95], v[100:101], v[98:99]
	v_div_fmas_f64 v[94:95], v[94:95], v[96:97], v[100:101]
	v_div_fixup_f64 v[93:94], v[94:95], v[92:93], 1.0
	v_add_u32_e32 v92, 0x160, v91
	buffer_store_dword v94, v89, s[0:3], 0 offen offset:4
	buffer_store_dword v93, v89, s[0:3], 0 offen
	buffer_load_dword v96, off, s[0:3], 0 offset:12
	buffer_load_dword v95, off, s[0:3], 0 offset:8
	v_xor_b32_e32 v94, 0x80000000, v94
	s_waitcnt vmcnt(0)
	ds_write2_b64 v91, v[93:94], v[95:96] offset1:44
	s_waitcnt lgkmcnt(0)
	; wave barrier
	s_and_saveexec_b64 s[8:9], s[4:5]
	s_cbranch_execz .LBB107_15
; %bb.14:
	buffer_load_dword v93, v89, s[0:3], 0 offen
	buffer_load_dword v94, v89, s[0:3], 0 offen offset:4
	ds_read_b64 v[95:96], v92
	v_mov_b32_e32 v90, 0
	ds_read_b64 v[97:98], v90 offset:8
	s_waitcnt vmcnt(0) lgkmcnt(1)
	v_fma_f64 v[93:94], v[93:94], v[95:96], 0
	s_waitcnt lgkmcnt(0)
	v_mul_f64 v[93:94], v[93:94], v[97:98]
	buffer_store_dword v93, off, s[0:3], 0 offset:8
	buffer_store_dword v94, off, s[0:3], 0 offset:12
.LBB107_15:
	s_or_b64 exec, exec, s[8:9]
	; wave barrier
	buffer_load_dword v93, off, s[0:3], 0 offset:16
	buffer_load_dword v94, off, s[0:3], 0 offset:20
	v_cmp_gt_u32_e32 vcc, 2, v0
	s_waitcnt vmcnt(0)
	ds_write_b64 v92, v[93:94]
	s_waitcnt lgkmcnt(0)
	; wave barrier
	s_and_saveexec_b64 s[8:9], vcc
	s_cbranch_execz .LBB107_17
; %bb.16:
	buffer_load_dword v93, v89, s[0:3], 0 offen
	buffer_load_dword v94, v89, s[0:3], 0 offen offset:4
                                        ; kill: killed $vgpr89
	s_nop 0
	buffer_load_dword v89, off, s[0:3], 0 offset:8
	buffer_load_dword v90, off, s[0:3], 0 offset:12
	ds_read_b64 v[95:96], v92
	s_waitcnt vmcnt(2) lgkmcnt(0)
	v_fma_f64 v[97:98], v[93:94], v[95:96], 0
	v_mov_b32_e32 v93, 0
	ds_read2_b64 v[93:96], v93 offset0:2 offset1:45
	s_waitcnt vmcnt(0) lgkmcnt(0)
	v_fma_f64 v[89:90], v[89:90], v[95:96], v[97:98]
	v_cndmask_b32_e64 v90, v98, v90, s[4:5]
	v_cndmask_b32_e64 v89, v97, v89, s[4:5]
	v_mul_f64 v[89:90], v[89:90], v[93:94]
	buffer_store_dword v90, off, s[0:3], 0 offset:20
	buffer_store_dword v89, off, s[0:3], 0 offset:16
.LBB107_17:
	s_or_b64 exec, exec, s[8:9]
	; wave barrier
	buffer_load_dword v89, off, s[0:3], 0 offset:24
	buffer_load_dword v90, off, s[0:3], 0 offset:28
	v_cmp_gt_u32_e32 vcc, 3, v0
	v_add_u32_e32 v93, -1, v0
	s_waitcnt vmcnt(0)
	ds_write_b64 v92, v[89:90]
	s_waitcnt lgkmcnt(0)
	; wave barrier
	s_and_saveexec_b64 s[4:5], vcc
	s_cbranch_execz .LBB107_21
; %bb.18:
	v_mov_b32_e32 v89, 0
	v_add_u32_e32 v94, -1, v0
	v_add_u32_e32 v95, 0x160, v91
	v_mov_b32_e32 v96, v91
	v_mov_b32_e32 v90, 0
	s_mov_b64 s[8:9], 0
.LBB107_19:                             ; =>This Inner Loop Header: Depth=1
	buffer_load_dword v97, v96, s[0:3], 0 offen
	buffer_load_dword v98, v96, s[0:3], 0 offen offset:4
	ds_read_b64 v[99:100], v95
	v_add_u32_e32 v94, 1, v94
	v_cmp_lt_u32_e32 vcc, 1, v94
	v_add_u32_e32 v95, 8, v95
	s_or_b64 s[8:9], vcc, s[8:9]
	v_add_u32_e32 v96, 8, v96
	s_waitcnt vmcnt(0) lgkmcnt(0)
	v_fma_f64 v[89:90], v[97:98], v[99:100], v[89:90]
	s_andn2_b64 exec, exec, s[8:9]
	s_cbranch_execnz .LBB107_19
; %bb.20:
	s_or_b64 exec, exec, s[8:9]
	v_mov_b32_e32 v94, 0
	ds_read_b64 v[94:95], v94 offset:24
	s_waitcnt lgkmcnt(0)
	v_mul_f64 v[89:90], v[89:90], v[94:95]
	buffer_store_dword v90, off, s[0:3], 0 offset:28
	buffer_store_dword v89, off, s[0:3], 0 offset:24
.LBB107_21:
	s_or_b64 exec, exec, s[4:5]
	; wave barrier
	buffer_load_dword v89, off, s[0:3], 0 offset:32
	buffer_load_dword v90, off, s[0:3], 0 offset:36
	v_cmp_gt_u32_e32 vcc, 4, v0
	s_waitcnt vmcnt(0)
	ds_write_b64 v92, v[89:90]
	s_waitcnt lgkmcnt(0)
	; wave barrier
	s_and_saveexec_b64 s[4:5], vcc
	s_cbranch_execz .LBB107_25
; %bb.22:
	v_mov_b32_e32 v89, 0
	v_add_u32_e32 v94, -1, v0
	v_add_u32_e32 v95, 0x160, v91
	v_mov_b32_e32 v96, v91
	v_mov_b32_e32 v90, 0
	s_mov_b64 s[8:9], 0
.LBB107_23:                             ; =>This Inner Loop Header: Depth=1
	buffer_load_dword v97, v96, s[0:3], 0 offen
	buffer_load_dword v98, v96, s[0:3], 0 offen offset:4
	ds_read_b64 v[99:100], v95
	v_add_u32_e32 v94, 1, v94
	v_cmp_lt_u32_e32 vcc, 2, v94
	v_add_u32_e32 v95, 8, v95
	s_or_b64 s[8:9], vcc, s[8:9]
	v_add_u32_e32 v96, 8, v96
	s_waitcnt vmcnt(0) lgkmcnt(0)
	v_fma_f64 v[89:90], v[97:98], v[99:100], v[89:90]
	s_andn2_b64 exec, exec, s[8:9]
	s_cbranch_execnz .LBB107_23
; %bb.24:
	s_or_b64 exec, exec, s[8:9]
	v_mov_b32_e32 v94, 0
	ds_read_b64 v[94:95], v94 offset:32
	s_waitcnt lgkmcnt(0)
	v_mul_f64 v[89:90], v[89:90], v[94:95]
	buffer_store_dword v90, off, s[0:3], 0 offset:36
	buffer_store_dword v89, off, s[0:3], 0 offset:32
.LBB107_25:
	s_or_b64 exec, exec, s[4:5]
	; wave barrier
	buffer_load_dword v89, off, s[0:3], 0 offset:40
	buffer_load_dword v90, off, s[0:3], 0 offset:44
	v_cmp_gt_u32_e32 vcc, 5, v0
	s_waitcnt vmcnt(0)
	ds_write_b64 v92, v[89:90]
	s_waitcnt lgkmcnt(0)
	; wave barrier
	s_and_saveexec_b64 s[4:5], vcc
	s_cbranch_execz .LBB107_29
; %bb.26:
	v_mov_b32_e32 v89, 0
	v_add_u32_e32 v94, -1, v0
	v_add_u32_e32 v95, 0x160, v91
	v_mov_b32_e32 v96, v91
	v_mov_b32_e32 v90, 0
	s_mov_b64 s[8:9], 0
.LBB107_27:                             ; =>This Inner Loop Header: Depth=1
	buffer_load_dword v97, v96, s[0:3], 0 offen
	buffer_load_dword v98, v96, s[0:3], 0 offen offset:4
	ds_read_b64 v[99:100], v95
	v_add_u32_e32 v94, 1, v94
	v_cmp_lt_u32_e32 vcc, 3, v94
	v_add_u32_e32 v95, 8, v95
	s_or_b64 s[8:9], vcc, s[8:9]
	v_add_u32_e32 v96, 8, v96
	s_waitcnt vmcnt(0) lgkmcnt(0)
	v_fma_f64 v[89:90], v[97:98], v[99:100], v[89:90]
	s_andn2_b64 exec, exec, s[8:9]
	s_cbranch_execnz .LBB107_27
; %bb.28:
	s_or_b64 exec, exec, s[8:9]
	v_mov_b32_e32 v94, 0
	ds_read_b64 v[94:95], v94 offset:40
	s_waitcnt lgkmcnt(0)
	v_mul_f64 v[89:90], v[89:90], v[94:95]
	buffer_store_dword v90, off, s[0:3], 0 offset:44
	buffer_store_dword v89, off, s[0:3], 0 offset:40
.LBB107_29:
	s_or_b64 exec, exec, s[4:5]
	; wave barrier
	buffer_load_dword v89, off, s[0:3], 0 offset:48
	buffer_load_dword v90, off, s[0:3], 0 offset:52
	v_cmp_gt_u32_e32 vcc, 6, v0
	s_waitcnt vmcnt(0)
	ds_write_b64 v92, v[89:90]
	s_waitcnt lgkmcnt(0)
	; wave barrier
	s_and_saveexec_b64 s[4:5], vcc
	s_cbranch_execz .LBB107_33
; %bb.30:
	v_mov_b32_e32 v89, 0
	v_add_u32_e32 v94, -1, v0
	v_add_u32_e32 v95, 0x160, v91
	v_mov_b32_e32 v96, v91
	v_mov_b32_e32 v90, 0
	s_mov_b64 s[8:9], 0
.LBB107_31:                             ; =>This Inner Loop Header: Depth=1
	buffer_load_dword v97, v96, s[0:3], 0 offen
	buffer_load_dword v98, v96, s[0:3], 0 offen offset:4
	ds_read_b64 v[99:100], v95
	v_add_u32_e32 v94, 1, v94
	v_cmp_lt_u32_e32 vcc, 4, v94
	v_add_u32_e32 v95, 8, v95
	s_or_b64 s[8:9], vcc, s[8:9]
	v_add_u32_e32 v96, 8, v96
	s_waitcnt vmcnt(0) lgkmcnt(0)
	v_fma_f64 v[89:90], v[97:98], v[99:100], v[89:90]
	s_andn2_b64 exec, exec, s[8:9]
	s_cbranch_execnz .LBB107_31
; %bb.32:
	s_or_b64 exec, exec, s[8:9]
	v_mov_b32_e32 v94, 0
	ds_read_b64 v[94:95], v94 offset:48
	s_waitcnt lgkmcnt(0)
	v_mul_f64 v[89:90], v[89:90], v[94:95]
	buffer_store_dword v90, off, s[0:3], 0 offset:52
	buffer_store_dword v89, off, s[0:3], 0 offset:48
.LBB107_33:
	s_or_b64 exec, exec, s[4:5]
	; wave barrier
	buffer_load_dword v89, off, s[0:3], 0 offset:56
	buffer_load_dword v90, off, s[0:3], 0 offset:60
	v_cmp_gt_u32_e32 vcc, 7, v0
	s_waitcnt vmcnt(0)
	ds_write_b64 v92, v[89:90]
	s_waitcnt lgkmcnt(0)
	; wave barrier
	s_and_saveexec_b64 s[4:5], vcc
	s_cbranch_execz .LBB107_37
; %bb.34:
	v_mov_b32_e32 v89, 0
	v_add_u32_e32 v94, -1, v0
	v_add_u32_e32 v95, 0x160, v91
	v_mov_b32_e32 v96, v91
	v_mov_b32_e32 v90, 0
	s_mov_b64 s[8:9], 0
.LBB107_35:                             ; =>This Inner Loop Header: Depth=1
	buffer_load_dword v97, v96, s[0:3], 0 offen
	buffer_load_dword v98, v96, s[0:3], 0 offen offset:4
	ds_read_b64 v[99:100], v95
	v_add_u32_e32 v94, 1, v94
	v_cmp_lt_u32_e32 vcc, 5, v94
	v_add_u32_e32 v95, 8, v95
	s_or_b64 s[8:9], vcc, s[8:9]
	v_add_u32_e32 v96, 8, v96
	s_waitcnt vmcnt(0) lgkmcnt(0)
	v_fma_f64 v[89:90], v[97:98], v[99:100], v[89:90]
	s_andn2_b64 exec, exec, s[8:9]
	s_cbranch_execnz .LBB107_35
; %bb.36:
	s_or_b64 exec, exec, s[8:9]
	v_mov_b32_e32 v94, 0
	ds_read_b64 v[94:95], v94 offset:56
	s_waitcnt lgkmcnt(0)
	v_mul_f64 v[89:90], v[89:90], v[94:95]
	buffer_store_dword v90, off, s[0:3], 0 offset:60
	buffer_store_dword v89, off, s[0:3], 0 offset:56
.LBB107_37:
	s_or_b64 exec, exec, s[4:5]
	; wave barrier
	buffer_load_dword v89, off, s[0:3], 0 offset:64
	buffer_load_dword v90, off, s[0:3], 0 offset:68
	v_cmp_gt_u32_e32 vcc, 8, v0
	s_waitcnt vmcnt(0)
	ds_write_b64 v92, v[89:90]
	s_waitcnt lgkmcnt(0)
	; wave barrier
	s_and_saveexec_b64 s[4:5], vcc
	s_cbranch_execz .LBB107_41
; %bb.38:
	v_mov_b32_e32 v89, 0
	v_add_u32_e32 v94, -1, v0
	v_add_u32_e32 v95, 0x160, v91
	v_mov_b32_e32 v96, v91
	v_mov_b32_e32 v90, 0
	s_mov_b64 s[8:9], 0
.LBB107_39:                             ; =>This Inner Loop Header: Depth=1
	buffer_load_dword v97, v96, s[0:3], 0 offen
	buffer_load_dword v98, v96, s[0:3], 0 offen offset:4
	ds_read_b64 v[99:100], v95
	v_add_u32_e32 v94, 1, v94
	v_cmp_lt_u32_e32 vcc, 6, v94
	v_add_u32_e32 v95, 8, v95
	s_or_b64 s[8:9], vcc, s[8:9]
	v_add_u32_e32 v96, 8, v96
	s_waitcnt vmcnt(0) lgkmcnt(0)
	v_fma_f64 v[89:90], v[97:98], v[99:100], v[89:90]
	s_andn2_b64 exec, exec, s[8:9]
	s_cbranch_execnz .LBB107_39
; %bb.40:
	s_or_b64 exec, exec, s[8:9]
	v_mov_b32_e32 v94, 0
	ds_read_b64 v[94:95], v94 offset:64
	s_waitcnt lgkmcnt(0)
	v_mul_f64 v[89:90], v[89:90], v[94:95]
	buffer_store_dword v90, off, s[0:3], 0 offset:68
	buffer_store_dword v89, off, s[0:3], 0 offset:64
.LBB107_41:
	s_or_b64 exec, exec, s[4:5]
	; wave barrier
	buffer_load_dword v89, off, s[0:3], 0 offset:72
	buffer_load_dword v90, off, s[0:3], 0 offset:76
	v_cmp_gt_u32_e32 vcc, 9, v0
	s_waitcnt vmcnt(0)
	ds_write_b64 v92, v[89:90]
	s_waitcnt lgkmcnt(0)
	; wave barrier
	s_and_saveexec_b64 s[4:5], vcc
	s_cbranch_execz .LBB107_45
; %bb.42:
	v_mov_b32_e32 v89, 0
	v_add_u32_e32 v94, -1, v0
	v_add_u32_e32 v95, 0x160, v91
	v_mov_b32_e32 v96, v91
	v_mov_b32_e32 v90, 0
	s_mov_b64 s[8:9], 0
.LBB107_43:                             ; =>This Inner Loop Header: Depth=1
	buffer_load_dword v97, v96, s[0:3], 0 offen
	buffer_load_dword v98, v96, s[0:3], 0 offen offset:4
	ds_read_b64 v[99:100], v95
	v_add_u32_e32 v94, 1, v94
	v_cmp_lt_u32_e32 vcc, 7, v94
	v_add_u32_e32 v95, 8, v95
	s_or_b64 s[8:9], vcc, s[8:9]
	v_add_u32_e32 v96, 8, v96
	s_waitcnt vmcnt(0) lgkmcnt(0)
	v_fma_f64 v[89:90], v[97:98], v[99:100], v[89:90]
	s_andn2_b64 exec, exec, s[8:9]
	s_cbranch_execnz .LBB107_43
; %bb.44:
	s_or_b64 exec, exec, s[8:9]
	v_mov_b32_e32 v94, 0
	ds_read_b64 v[94:95], v94 offset:72
	s_waitcnt lgkmcnt(0)
	v_mul_f64 v[89:90], v[89:90], v[94:95]
	buffer_store_dword v90, off, s[0:3], 0 offset:76
	buffer_store_dword v89, off, s[0:3], 0 offset:72
.LBB107_45:
	s_or_b64 exec, exec, s[4:5]
	; wave barrier
	buffer_load_dword v89, off, s[0:3], 0 offset:80
	buffer_load_dword v90, off, s[0:3], 0 offset:84
	v_cmp_gt_u32_e32 vcc, 10, v0
	s_waitcnt vmcnt(0)
	ds_write_b64 v92, v[89:90]
	s_waitcnt lgkmcnt(0)
	; wave barrier
	s_and_saveexec_b64 s[4:5], vcc
	s_cbranch_execz .LBB107_49
; %bb.46:
	v_mov_b32_e32 v89, 0
	v_add_u32_e32 v94, -1, v0
	v_add_u32_e32 v95, 0x160, v91
	v_mov_b32_e32 v96, v91
	v_mov_b32_e32 v90, 0
	s_mov_b64 s[8:9], 0
.LBB107_47:                             ; =>This Inner Loop Header: Depth=1
	buffer_load_dword v97, v96, s[0:3], 0 offen
	buffer_load_dword v98, v96, s[0:3], 0 offen offset:4
	ds_read_b64 v[99:100], v95
	v_add_u32_e32 v94, 1, v94
	v_cmp_lt_u32_e32 vcc, 8, v94
	v_add_u32_e32 v95, 8, v95
	s_or_b64 s[8:9], vcc, s[8:9]
	v_add_u32_e32 v96, 8, v96
	s_waitcnt vmcnt(0) lgkmcnt(0)
	v_fma_f64 v[89:90], v[97:98], v[99:100], v[89:90]
	s_andn2_b64 exec, exec, s[8:9]
	s_cbranch_execnz .LBB107_47
; %bb.48:
	s_or_b64 exec, exec, s[8:9]
	v_mov_b32_e32 v94, 0
	ds_read_b64 v[94:95], v94 offset:80
	s_waitcnt lgkmcnt(0)
	v_mul_f64 v[89:90], v[89:90], v[94:95]
	buffer_store_dword v90, off, s[0:3], 0 offset:84
	buffer_store_dword v89, off, s[0:3], 0 offset:80
.LBB107_49:
	s_or_b64 exec, exec, s[4:5]
	; wave barrier
	buffer_load_dword v89, off, s[0:3], 0 offset:88
	buffer_load_dword v90, off, s[0:3], 0 offset:92
	v_cmp_gt_u32_e32 vcc, 11, v0
	s_waitcnt vmcnt(0)
	ds_write_b64 v92, v[89:90]
	s_waitcnt lgkmcnt(0)
	; wave barrier
	s_and_saveexec_b64 s[4:5], vcc
	s_cbranch_execz .LBB107_53
; %bb.50:
	v_mov_b32_e32 v89, 0
	v_add_u32_e32 v94, -1, v0
	v_add_u32_e32 v95, 0x160, v91
	v_mov_b32_e32 v96, v91
	v_mov_b32_e32 v90, 0
	s_mov_b64 s[8:9], 0
.LBB107_51:                             ; =>This Inner Loop Header: Depth=1
	buffer_load_dword v97, v96, s[0:3], 0 offen
	buffer_load_dword v98, v96, s[0:3], 0 offen offset:4
	ds_read_b64 v[99:100], v95
	v_add_u32_e32 v94, 1, v94
	v_cmp_lt_u32_e32 vcc, 9, v94
	v_add_u32_e32 v95, 8, v95
	s_or_b64 s[8:9], vcc, s[8:9]
	v_add_u32_e32 v96, 8, v96
	s_waitcnt vmcnt(0) lgkmcnt(0)
	v_fma_f64 v[89:90], v[97:98], v[99:100], v[89:90]
	s_andn2_b64 exec, exec, s[8:9]
	s_cbranch_execnz .LBB107_51
; %bb.52:
	s_or_b64 exec, exec, s[8:9]
	v_mov_b32_e32 v94, 0
	ds_read_b64 v[94:95], v94 offset:88
	s_waitcnt lgkmcnt(0)
	v_mul_f64 v[89:90], v[89:90], v[94:95]
	buffer_store_dword v90, off, s[0:3], 0 offset:92
	buffer_store_dword v89, off, s[0:3], 0 offset:88
.LBB107_53:
	s_or_b64 exec, exec, s[4:5]
	; wave barrier
	buffer_load_dword v89, off, s[0:3], 0 offset:96
	buffer_load_dword v90, off, s[0:3], 0 offset:100
	v_cmp_gt_u32_e32 vcc, 12, v0
	s_waitcnt vmcnt(0)
	ds_write_b64 v92, v[89:90]
	s_waitcnt lgkmcnt(0)
	; wave barrier
	s_and_saveexec_b64 s[4:5], vcc
	s_cbranch_execz .LBB107_57
; %bb.54:
	v_mov_b32_e32 v89, 0
	v_add_u32_e32 v94, -1, v0
	v_add_u32_e32 v95, 0x160, v91
	v_mov_b32_e32 v96, v91
	v_mov_b32_e32 v90, 0
	s_mov_b64 s[8:9], 0
.LBB107_55:                             ; =>This Inner Loop Header: Depth=1
	buffer_load_dword v97, v96, s[0:3], 0 offen
	buffer_load_dword v98, v96, s[0:3], 0 offen offset:4
	ds_read_b64 v[99:100], v95
	v_add_u32_e32 v94, 1, v94
	v_cmp_lt_u32_e32 vcc, 10, v94
	v_add_u32_e32 v95, 8, v95
	s_or_b64 s[8:9], vcc, s[8:9]
	v_add_u32_e32 v96, 8, v96
	s_waitcnt vmcnt(0) lgkmcnt(0)
	v_fma_f64 v[89:90], v[97:98], v[99:100], v[89:90]
	s_andn2_b64 exec, exec, s[8:9]
	s_cbranch_execnz .LBB107_55
; %bb.56:
	s_or_b64 exec, exec, s[8:9]
	v_mov_b32_e32 v94, 0
	ds_read_b64 v[94:95], v94 offset:96
	s_waitcnt lgkmcnt(0)
	v_mul_f64 v[89:90], v[89:90], v[94:95]
	buffer_store_dword v90, off, s[0:3], 0 offset:100
	buffer_store_dword v89, off, s[0:3], 0 offset:96
.LBB107_57:
	s_or_b64 exec, exec, s[4:5]
	; wave barrier
	buffer_load_dword v89, off, s[0:3], 0 offset:104
	buffer_load_dword v90, off, s[0:3], 0 offset:108
	v_cmp_gt_u32_e32 vcc, 13, v0
	s_waitcnt vmcnt(0)
	ds_write_b64 v92, v[89:90]
	s_waitcnt lgkmcnt(0)
	; wave barrier
	s_and_saveexec_b64 s[4:5], vcc
	s_cbranch_execz .LBB107_61
; %bb.58:
	v_mov_b32_e32 v89, 0
	v_add_u32_e32 v94, -1, v0
	v_add_u32_e32 v95, 0x160, v91
	v_mov_b32_e32 v96, v91
	v_mov_b32_e32 v90, 0
	s_mov_b64 s[8:9], 0
.LBB107_59:                             ; =>This Inner Loop Header: Depth=1
	buffer_load_dword v97, v96, s[0:3], 0 offen
	buffer_load_dword v98, v96, s[0:3], 0 offen offset:4
	ds_read_b64 v[99:100], v95
	v_add_u32_e32 v94, 1, v94
	v_cmp_lt_u32_e32 vcc, 11, v94
	v_add_u32_e32 v95, 8, v95
	s_or_b64 s[8:9], vcc, s[8:9]
	v_add_u32_e32 v96, 8, v96
	s_waitcnt vmcnt(0) lgkmcnt(0)
	v_fma_f64 v[89:90], v[97:98], v[99:100], v[89:90]
	s_andn2_b64 exec, exec, s[8:9]
	s_cbranch_execnz .LBB107_59
; %bb.60:
	s_or_b64 exec, exec, s[8:9]
	v_mov_b32_e32 v94, 0
	ds_read_b64 v[94:95], v94 offset:104
	s_waitcnt lgkmcnt(0)
	v_mul_f64 v[89:90], v[89:90], v[94:95]
	buffer_store_dword v90, off, s[0:3], 0 offset:108
	buffer_store_dword v89, off, s[0:3], 0 offset:104
.LBB107_61:
	s_or_b64 exec, exec, s[4:5]
	; wave barrier
	buffer_load_dword v89, off, s[0:3], 0 offset:112
	buffer_load_dword v90, off, s[0:3], 0 offset:116
	v_cmp_gt_u32_e32 vcc, 14, v0
	s_waitcnt vmcnt(0)
	ds_write_b64 v92, v[89:90]
	s_waitcnt lgkmcnt(0)
	; wave barrier
	s_and_saveexec_b64 s[4:5], vcc
	s_cbranch_execz .LBB107_65
; %bb.62:
	v_mov_b32_e32 v89, 0
	v_add_u32_e32 v94, -1, v0
	v_add_u32_e32 v95, 0x160, v91
	v_mov_b32_e32 v96, v91
	v_mov_b32_e32 v90, 0
	s_mov_b64 s[8:9], 0
.LBB107_63:                             ; =>This Inner Loop Header: Depth=1
	buffer_load_dword v97, v96, s[0:3], 0 offen
	buffer_load_dword v98, v96, s[0:3], 0 offen offset:4
	ds_read_b64 v[99:100], v95
	v_add_u32_e32 v94, 1, v94
	v_cmp_lt_u32_e32 vcc, 12, v94
	v_add_u32_e32 v95, 8, v95
	s_or_b64 s[8:9], vcc, s[8:9]
	v_add_u32_e32 v96, 8, v96
	s_waitcnt vmcnt(0) lgkmcnt(0)
	v_fma_f64 v[89:90], v[97:98], v[99:100], v[89:90]
	s_andn2_b64 exec, exec, s[8:9]
	s_cbranch_execnz .LBB107_63
; %bb.64:
	s_or_b64 exec, exec, s[8:9]
	v_mov_b32_e32 v94, 0
	ds_read_b64 v[94:95], v94 offset:112
	s_waitcnt lgkmcnt(0)
	v_mul_f64 v[89:90], v[89:90], v[94:95]
	buffer_store_dword v90, off, s[0:3], 0 offset:116
	buffer_store_dword v89, off, s[0:3], 0 offset:112
.LBB107_65:
	s_or_b64 exec, exec, s[4:5]
	; wave barrier
	buffer_load_dword v89, off, s[0:3], 0 offset:120
	buffer_load_dword v90, off, s[0:3], 0 offset:124
	v_cmp_gt_u32_e32 vcc, 15, v0
	s_waitcnt vmcnt(0)
	ds_write_b64 v92, v[89:90]
	s_waitcnt lgkmcnt(0)
	; wave barrier
	s_and_saveexec_b64 s[4:5], vcc
	s_cbranch_execz .LBB107_69
; %bb.66:
	v_mov_b32_e32 v89, 0
	v_add_u32_e32 v94, -1, v0
	v_add_u32_e32 v95, 0x160, v91
	v_mov_b32_e32 v96, v91
	v_mov_b32_e32 v90, 0
	s_mov_b64 s[8:9], 0
.LBB107_67:                             ; =>This Inner Loop Header: Depth=1
	buffer_load_dword v97, v96, s[0:3], 0 offen
	buffer_load_dword v98, v96, s[0:3], 0 offen offset:4
	ds_read_b64 v[99:100], v95
	v_add_u32_e32 v94, 1, v94
	v_cmp_lt_u32_e32 vcc, 13, v94
	v_add_u32_e32 v95, 8, v95
	s_or_b64 s[8:9], vcc, s[8:9]
	v_add_u32_e32 v96, 8, v96
	s_waitcnt vmcnt(0) lgkmcnt(0)
	v_fma_f64 v[89:90], v[97:98], v[99:100], v[89:90]
	s_andn2_b64 exec, exec, s[8:9]
	s_cbranch_execnz .LBB107_67
; %bb.68:
	s_or_b64 exec, exec, s[8:9]
	v_mov_b32_e32 v94, 0
	ds_read_b64 v[94:95], v94 offset:120
	s_waitcnt lgkmcnt(0)
	v_mul_f64 v[89:90], v[89:90], v[94:95]
	buffer_store_dword v90, off, s[0:3], 0 offset:124
	buffer_store_dword v89, off, s[0:3], 0 offset:120
.LBB107_69:
	s_or_b64 exec, exec, s[4:5]
	; wave barrier
	buffer_load_dword v89, off, s[0:3], 0 offset:128
	buffer_load_dword v90, off, s[0:3], 0 offset:132
	v_cmp_gt_u32_e32 vcc, 16, v0
	s_waitcnt vmcnt(0)
	ds_write_b64 v92, v[89:90]
	s_waitcnt lgkmcnt(0)
	; wave barrier
	s_and_saveexec_b64 s[4:5], vcc
	s_cbranch_execz .LBB107_73
; %bb.70:
	v_mov_b32_e32 v89, 0
	v_add_u32_e32 v94, -1, v0
	v_add_u32_e32 v95, 0x160, v91
	v_mov_b32_e32 v96, v91
	v_mov_b32_e32 v90, 0
	s_mov_b64 s[8:9], 0
.LBB107_71:                             ; =>This Inner Loop Header: Depth=1
	buffer_load_dword v97, v96, s[0:3], 0 offen
	buffer_load_dword v98, v96, s[0:3], 0 offen offset:4
	ds_read_b64 v[99:100], v95
	v_add_u32_e32 v94, 1, v94
	v_cmp_lt_u32_e32 vcc, 14, v94
	v_add_u32_e32 v95, 8, v95
	s_or_b64 s[8:9], vcc, s[8:9]
	v_add_u32_e32 v96, 8, v96
	s_waitcnt vmcnt(0) lgkmcnt(0)
	v_fma_f64 v[89:90], v[97:98], v[99:100], v[89:90]
	s_andn2_b64 exec, exec, s[8:9]
	s_cbranch_execnz .LBB107_71
; %bb.72:
	s_or_b64 exec, exec, s[8:9]
	v_mov_b32_e32 v94, 0
	ds_read_b64 v[94:95], v94 offset:128
	s_waitcnt lgkmcnt(0)
	v_mul_f64 v[89:90], v[89:90], v[94:95]
	buffer_store_dword v90, off, s[0:3], 0 offset:132
	buffer_store_dword v89, off, s[0:3], 0 offset:128
.LBB107_73:
	s_or_b64 exec, exec, s[4:5]
	; wave barrier
	buffer_load_dword v89, off, s[0:3], 0 offset:136
	buffer_load_dword v90, off, s[0:3], 0 offset:140
	v_cmp_gt_u32_e32 vcc, 17, v0
	s_waitcnt vmcnt(0)
	ds_write_b64 v92, v[89:90]
	s_waitcnt lgkmcnt(0)
	; wave barrier
	s_and_saveexec_b64 s[4:5], vcc
	s_cbranch_execz .LBB107_77
; %bb.74:
	v_mov_b32_e32 v89, 0
	v_add_u32_e32 v94, -1, v0
	v_add_u32_e32 v95, 0x160, v91
	v_mov_b32_e32 v96, v91
	v_mov_b32_e32 v90, 0
	s_mov_b64 s[8:9], 0
.LBB107_75:                             ; =>This Inner Loop Header: Depth=1
	buffer_load_dword v97, v96, s[0:3], 0 offen
	buffer_load_dword v98, v96, s[0:3], 0 offen offset:4
	ds_read_b64 v[99:100], v95
	v_add_u32_e32 v94, 1, v94
	v_cmp_lt_u32_e32 vcc, 15, v94
	v_add_u32_e32 v95, 8, v95
	s_or_b64 s[8:9], vcc, s[8:9]
	v_add_u32_e32 v96, 8, v96
	s_waitcnt vmcnt(0) lgkmcnt(0)
	v_fma_f64 v[89:90], v[97:98], v[99:100], v[89:90]
	s_andn2_b64 exec, exec, s[8:9]
	s_cbranch_execnz .LBB107_75
; %bb.76:
	s_or_b64 exec, exec, s[8:9]
	v_mov_b32_e32 v94, 0
	ds_read_b64 v[94:95], v94 offset:136
	s_waitcnt lgkmcnt(0)
	v_mul_f64 v[89:90], v[89:90], v[94:95]
	buffer_store_dword v90, off, s[0:3], 0 offset:140
	buffer_store_dword v89, off, s[0:3], 0 offset:136
.LBB107_77:
	s_or_b64 exec, exec, s[4:5]
	; wave barrier
	buffer_load_dword v89, off, s[0:3], 0 offset:144
	buffer_load_dword v90, off, s[0:3], 0 offset:148
	v_cmp_gt_u32_e32 vcc, 18, v0
	s_waitcnt vmcnt(0)
	ds_write_b64 v92, v[89:90]
	s_waitcnt lgkmcnt(0)
	; wave barrier
	s_and_saveexec_b64 s[4:5], vcc
	s_cbranch_execz .LBB107_81
; %bb.78:
	v_mov_b32_e32 v89, 0
	v_add_u32_e32 v94, -1, v0
	v_add_u32_e32 v95, 0x160, v91
	v_mov_b32_e32 v96, v91
	v_mov_b32_e32 v90, 0
	s_mov_b64 s[8:9], 0
.LBB107_79:                             ; =>This Inner Loop Header: Depth=1
	buffer_load_dword v97, v96, s[0:3], 0 offen
	buffer_load_dword v98, v96, s[0:3], 0 offen offset:4
	ds_read_b64 v[99:100], v95
	v_add_u32_e32 v94, 1, v94
	v_cmp_lt_u32_e32 vcc, 16, v94
	v_add_u32_e32 v95, 8, v95
	s_or_b64 s[8:9], vcc, s[8:9]
	v_add_u32_e32 v96, 8, v96
	s_waitcnt vmcnt(0) lgkmcnt(0)
	v_fma_f64 v[89:90], v[97:98], v[99:100], v[89:90]
	s_andn2_b64 exec, exec, s[8:9]
	s_cbranch_execnz .LBB107_79
; %bb.80:
	s_or_b64 exec, exec, s[8:9]
	v_mov_b32_e32 v94, 0
	ds_read_b64 v[94:95], v94 offset:144
	s_waitcnt lgkmcnt(0)
	v_mul_f64 v[89:90], v[89:90], v[94:95]
	buffer_store_dword v90, off, s[0:3], 0 offset:148
	buffer_store_dword v89, off, s[0:3], 0 offset:144
.LBB107_81:
	s_or_b64 exec, exec, s[4:5]
	; wave barrier
	buffer_load_dword v89, off, s[0:3], 0 offset:152
	buffer_load_dword v90, off, s[0:3], 0 offset:156
	v_cmp_gt_u32_e32 vcc, 19, v0
	s_waitcnt vmcnt(0)
	ds_write_b64 v92, v[89:90]
	s_waitcnt lgkmcnt(0)
	; wave barrier
	s_and_saveexec_b64 s[4:5], vcc
	s_cbranch_execz .LBB107_85
; %bb.82:
	v_mov_b32_e32 v89, 0
	v_add_u32_e32 v94, -1, v0
	v_add_u32_e32 v95, 0x160, v91
	v_mov_b32_e32 v96, v91
	v_mov_b32_e32 v90, 0
	s_mov_b64 s[8:9], 0
.LBB107_83:                             ; =>This Inner Loop Header: Depth=1
	buffer_load_dword v97, v96, s[0:3], 0 offen
	buffer_load_dword v98, v96, s[0:3], 0 offen offset:4
	ds_read_b64 v[99:100], v95
	v_add_u32_e32 v94, 1, v94
	v_cmp_lt_u32_e32 vcc, 17, v94
	v_add_u32_e32 v95, 8, v95
	s_or_b64 s[8:9], vcc, s[8:9]
	v_add_u32_e32 v96, 8, v96
	s_waitcnt vmcnt(0) lgkmcnt(0)
	v_fma_f64 v[89:90], v[97:98], v[99:100], v[89:90]
	s_andn2_b64 exec, exec, s[8:9]
	s_cbranch_execnz .LBB107_83
; %bb.84:
	s_or_b64 exec, exec, s[8:9]
	v_mov_b32_e32 v94, 0
	ds_read_b64 v[94:95], v94 offset:152
	s_waitcnt lgkmcnt(0)
	v_mul_f64 v[89:90], v[89:90], v[94:95]
	buffer_store_dword v90, off, s[0:3], 0 offset:156
	buffer_store_dword v89, off, s[0:3], 0 offset:152
.LBB107_85:
	s_or_b64 exec, exec, s[4:5]
	; wave barrier
	buffer_load_dword v89, off, s[0:3], 0 offset:160
	buffer_load_dword v90, off, s[0:3], 0 offset:164
	v_cmp_gt_u32_e32 vcc, 20, v0
	s_waitcnt vmcnt(0)
	ds_write_b64 v92, v[89:90]
	s_waitcnt lgkmcnt(0)
	; wave barrier
	s_and_saveexec_b64 s[4:5], vcc
	s_cbranch_execz .LBB107_89
; %bb.86:
	v_mov_b32_e32 v89, 0
	v_add_u32_e32 v94, -1, v0
	v_add_u32_e32 v95, 0x160, v91
	v_mov_b32_e32 v96, v91
	v_mov_b32_e32 v90, 0
	s_mov_b64 s[8:9], 0
.LBB107_87:                             ; =>This Inner Loop Header: Depth=1
	buffer_load_dword v97, v96, s[0:3], 0 offen
	buffer_load_dword v98, v96, s[0:3], 0 offen offset:4
	ds_read_b64 v[99:100], v95
	v_add_u32_e32 v94, 1, v94
	v_cmp_lt_u32_e32 vcc, 18, v94
	v_add_u32_e32 v95, 8, v95
	s_or_b64 s[8:9], vcc, s[8:9]
	v_add_u32_e32 v96, 8, v96
	s_waitcnt vmcnt(0) lgkmcnt(0)
	v_fma_f64 v[89:90], v[97:98], v[99:100], v[89:90]
	s_andn2_b64 exec, exec, s[8:9]
	s_cbranch_execnz .LBB107_87
; %bb.88:
	s_or_b64 exec, exec, s[8:9]
	v_mov_b32_e32 v94, 0
	ds_read_b64 v[94:95], v94 offset:160
	s_waitcnt lgkmcnt(0)
	v_mul_f64 v[89:90], v[89:90], v[94:95]
	buffer_store_dword v90, off, s[0:3], 0 offset:164
	buffer_store_dword v89, off, s[0:3], 0 offset:160
.LBB107_89:
	s_or_b64 exec, exec, s[4:5]
	; wave barrier
	buffer_load_dword v89, off, s[0:3], 0 offset:168
	buffer_load_dword v90, off, s[0:3], 0 offset:172
	v_cmp_gt_u32_e32 vcc, 21, v0
	s_waitcnt vmcnt(0)
	ds_write_b64 v92, v[89:90]
	s_waitcnt lgkmcnt(0)
	; wave barrier
	s_and_saveexec_b64 s[4:5], vcc
	s_cbranch_execz .LBB107_93
; %bb.90:
	v_mov_b32_e32 v89, 0
	v_add_u32_e32 v94, -1, v0
	v_add_u32_e32 v95, 0x160, v91
	v_mov_b32_e32 v96, v91
	v_mov_b32_e32 v90, 0
	s_mov_b64 s[8:9], 0
.LBB107_91:                             ; =>This Inner Loop Header: Depth=1
	buffer_load_dword v97, v96, s[0:3], 0 offen
	buffer_load_dword v98, v96, s[0:3], 0 offen offset:4
	ds_read_b64 v[99:100], v95
	v_add_u32_e32 v94, 1, v94
	v_cmp_lt_u32_e32 vcc, 19, v94
	v_add_u32_e32 v95, 8, v95
	s_or_b64 s[8:9], vcc, s[8:9]
	v_add_u32_e32 v96, 8, v96
	s_waitcnt vmcnt(0) lgkmcnt(0)
	v_fma_f64 v[89:90], v[97:98], v[99:100], v[89:90]
	s_andn2_b64 exec, exec, s[8:9]
	s_cbranch_execnz .LBB107_91
; %bb.92:
	s_or_b64 exec, exec, s[8:9]
	v_mov_b32_e32 v94, 0
	ds_read_b64 v[94:95], v94 offset:168
	s_waitcnt lgkmcnt(0)
	v_mul_f64 v[89:90], v[89:90], v[94:95]
	buffer_store_dword v90, off, s[0:3], 0 offset:172
	buffer_store_dword v89, off, s[0:3], 0 offset:168
.LBB107_93:
	s_or_b64 exec, exec, s[4:5]
	; wave barrier
	buffer_load_dword v89, off, s[0:3], 0 offset:176
	buffer_load_dword v90, off, s[0:3], 0 offset:180
	v_cmp_gt_u32_e32 vcc, 22, v0
	s_waitcnt vmcnt(0)
	ds_write_b64 v92, v[89:90]
	s_waitcnt lgkmcnt(0)
	; wave barrier
	s_and_saveexec_b64 s[4:5], vcc
	s_cbranch_execz .LBB107_97
; %bb.94:
	v_mov_b32_e32 v89, 0
	v_add_u32_e32 v94, -1, v0
	v_add_u32_e32 v95, 0x160, v91
	v_mov_b32_e32 v96, v91
	v_mov_b32_e32 v90, 0
	s_mov_b64 s[8:9], 0
.LBB107_95:                             ; =>This Inner Loop Header: Depth=1
	buffer_load_dword v97, v96, s[0:3], 0 offen
	buffer_load_dword v98, v96, s[0:3], 0 offen offset:4
	ds_read_b64 v[99:100], v95
	v_add_u32_e32 v94, 1, v94
	v_cmp_lt_u32_e32 vcc, 20, v94
	v_add_u32_e32 v95, 8, v95
	s_or_b64 s[8:9], vcc, s[8:9]
	v_add_u32_e32 v96, 8, v96
	s_waitcnt vmcnt(0) lgkmcnt(0)
	v_fma_f64 v[89:90], v[97:98], v[99:100], v[89:90]
	s_andn2_b64 exec, exec, s[8:9]
	s_cbranch_execnz .LBB107_95
; %bb.96:
	s_or_b64 exec, exec, s[8:9]
	v_mov_b32_e32 v94, 0
	ds_read_b64 v[94:95], v94 offset:176
	s_waitcnt lgkmcnt(0)
	v_mul_f64 v[89:90], v[89:90], v[94:95]
	buffer_store_dword v90, off, s[0:3], 0 offset:180
	buffer_store_dword v89, off, s[0:3], 0 offset:176
.LBB107_97:
	s_or_b64 exec, exec, s[4:5]
	; wave barrier
	buffer_load_dword v89, off, s[0:3], 0 offset:184
	buffer_load_dword v90, off, s[0:3], 0 offset:188
	v_cmp_gt_u32_e32 vcc, 23, v0
	s_waitcnt vmcnt(0)
	ds_write_b64 v92, v[89:90]
	s_waitcnt lgkmcnt(0)
	; wave barrier
	s_and_saveexec_b64 s[4:5], vcc
	s_cbranch_execz .LBB107_101
; %bb.98:
	v_mov_b32_e32 v89, 0
	v_add_u32_e32 v94, -1, v0
	v_add_u32_e32 v95, 0x160, v91
	v_mov_b32_e32 v96, v91
	v_mov_b32_e32 v90, 0
	s_mov_b64 s[8:9], 0
.LBB107_99:                             ; =>This Inner Loop Header: Depth=1
	buffer_load_dword v97, v96, s[0:3], 0 offen
	buffer_load_dword v98, v96, s[0:3], 0 offen offset:4
	ds_read_b64 v[99:100], v95
	v_add_u32_e32 v94, 1, v94
	v_cmp_lt_u32_e32 vcc, 21, v94
	v_add_u32_e32 v95, 8, v95
	s_or_b64 s[8:9], vcc, s[8:9]
	v_add_u32_e32 v96, 8, v96
	s_waitcnt vmcnt(0) lgkmcnt(0)
	v_fma_f64 v[89:90], v[97:98], v[99:100], v[89:90]
	s_andn2_b64 exec, exec, s[8:9]
	s_cbranch_execnz .LBB107_99
; %bb.100:
	s_or_b64 exec, exec, s[8:9]
	v_mov_b32_e32 v94, 0
	ds_read_b64 v[94:95], v94 offset:184
	s_waitcnt lgkmcnt(0)
	v_mul_f64 v[89:90], v[89:90], v[94:95]
	buffer_store_dword v90, off, s[0:3], 0 offset:188
	buffer_store_dword v89, off, s[0:3], 0 offset:184
.LBB107_101:
	s_or_b64 exec, exec, s[4:5]
	; wave barrier
	buffer_load_dword v89, off, s[0:3], 0 offset:192
	buffer_load_dword v90, off, s[0:3], 0 offset:196
	v_cmp_gt_u32_e32 vcc, 24, v0
	s_waitcnt vmcnt(0)
	ds_write_b64 v92, v[89:90]
	s_waitcnt lgkmcnt(0)
	; wave barrier
	s_and_saveexec_b64 s[4:5], vcc
	s_cbranch_execz .LBB107_105
; %bb.102:
	v_mov_b32_e32 v89, 0
	v_add_u32_e32 v94, -1, v0
	v_add_u32_e32 v95, 0x160, v91
	v_mov_b32_e32 v96, v91
	v_mov_b32_e32 v90, 0
	s_mov_b64 s[8:9], 0
.LBB107_103:                            ; =>This Inner Loop Header: Depth=1
	buffer_load_dword v97, v96, s[0:3], 0 offen
	buffer_load_dword v98, v96, s[0:3], 0 offen offset:4
	ds_read_b64 v[99:100], v95
	v_add_u32_e32 v94, 1, v94
	v_cmp_lt_u32_e32 vcc, 22, v94
	v_add_u32_e32 v95, 8, v95
	s_or_b64 s[8:9], vcc, s[8:9]
	v_add_u32_e32 v96, 8, v96
	s_waitcnt vmcnt(0) lgkmcnt(0)
	v_fma_f64 v[89:90], v[97:98], v[99:100], v[89:90]
	s_andn2_b64 exec, exec, s[8:9]
	s_cbranch_execnz .LBB107_103
; %bb.104:
	s_or_b64 exec, exec, s[8:9]
	v_mov_b32_e32 v94, 0
	ds_read_b64 v[94:95], v94 offset:192
	s_waitcnt lgkmcnt(0)
	v_mul_f64 v[89:90], v[89:90], v[94:95]
	buffer_store_dword v90, off, s[0:3], 0 offset:196
	buffer_store_dword v89, off, s[0:3], 0 offset:192
.LBB107_105:
	s_or_b64 exec, exec, s[4:5]
	; wave barrier
	buffer_load_dword v89, off, s[0:3], 0 offset:200
	buffer_load_dword v90, off, s[0:3], 0 offset:204
	v_cmp_gt_u32_e32 vcc, 25, v0
	s_waitcnt vmcnt(0)
	ds_write_b64 v92, v[89:90]
	s_waitcnt lgkmcnt(0)
	; wave barrier
	s_and_saveexec_b64 s[4:5], vcc
	s_cbranch_execz .LBB107_109
; %bb.106:
	v_mov_b32_e32 v89, 0
	v_add_u32_e32 v94, -1, v0
	v_add_u32_e32 v95, 0x160, v91
	v_mov_b32_e32 v96, v91
	v_mov_b32_e32 v90, 0
	s_mov_b64 s[8:9], 0
.LBB107_107:                            ; =>This Inner Loop Header: Depth=1
	buffer_load_dword v97, v96, s[0:3], 0 offen
	buffer_load_dword v98, v96, s[0:3], 0 offen offset:4
	ds_read_b64 v[99:100], v95
	v_add_u32_e32 v94, 1, v94
	v_cmp_lt_u32_e32 vcc, 23, v94
	v_add_u32_e32 v95, 8, v95
	s_or_b64 s[8:9], vcc, s[8:9]
	v_add_u32_e32 v96, 8, v96
	s_waitcnt vmcnt(0) lgkmcnt(0)
	v_fma_f64 v[89:90], v[97:98], v[99:100], v[89:90]
	s_andn2_b64 exec, exec, s[8:9]
	s_cbranch_execnz .LBB107_107
; %bb.108:
	s_or_b64 exec, exec, s[8:9]
	v_mov_b32_e32 v94, 0
	ds_read_b64 v[94:95], v94 offset:200
	s_waitcnt lgkmcnt(0)
	v_mul_f64 v[89:90], v[89:90], v[94:95]
	buffer_store_dword v90, off, s[0:3], 0 offset:204
	buffer_store_dword v89, off, s[0:3], 0 offset:200
.LBB107_109:
	s_or_b64 exec, exec, s[4:5]
	; wave barrier
	buffer_load_dword v89, off, s[0:3], 0 offset:208
	buffer_load_dword v90, off, s[0:3], 0 offset:212
	v_cmp_gt_u32_e32 vcc, 26, v0
	;; [unrolled: 40-line block ×18, first 2 shown]
	s_waitcnt vmcnt(0)
	ds_write_b64 v92, v[89:90]
	s_waitcnt lgkmcnt(0)
	; wave barrier
	s_and_saveexec_b64 s[4:5], vcc
	s_cbranch_execz .LBB107_177
; %bb.174:
	v_mov_b32_e32 v89, 0
	v_add_u32_e32 v94, -1, v0
	v_add_u32_e32 v95, 0x160, v91
	v_mov_b32_e32 v96, v91
	v_mov_b32_e32 v90, 0
	s_mov_b64 s[8:9], 0
.LBB107_175:                            ; =>This Inner Loop Header: Depth=1
	buffer_load_dword v97, v96, s[0:3], 0 offen
	buffer_load_dword v98, v96, s[0:3], 0 offen offset:4
	ds_read_b64 v[99:100], v95
	v_add_u32_e32 v94, 1, v94
	v_cmp_lt_u32_e32 vcc, 40, v94
	v_add_u32_e32 v95, 8, v95
	s_or_b64 s[8:9], vcc, s[8:9]
	v_add_u32_e32 v96, 8, v96
	s_waitcnt vmcnt(0) lgkmcnt(0)
	v_fma_f64 v[89:90], v[97:98], v[99:100], v[89:90]
	s_andn2_b64 exec, exec, s[8:9]
	s_cbranch_execnz .LBB107_175
; %bb.176:
	s_or_b64 exec, exec, s[8:9]
	v_mov_b32_e32 v94, 0
	ds_read_b64 v[94:95], v94 offset:336
	s_waitcnt lgkmcnt(0)
	v_mul_f64 v[89:90], v[89:90], v[94:95]
	buffer_store_dword v90, off, s[0:3], 0 offset:340
	buffer_store_dword v89, off, s[0:3], 0 offset:336
.LBB107_177:
	s_or_b64 exec, exec, s[4:5]
	; wave barrier
	buffer_load_dword v89, off, s[0:3], 0 offset:344
	buffer_load_dword v90, off, s[0:3], 0 offset:348
	v_cmp_ne_u32_e32 vcc, 43, v0
	s_waitcnt vmcnt(0)
	ds_write_b64 v92, v[89:90]
	s_waitcnt lgkmcnt(0)
	; wave barrier
	s_and_saveexec_b64 s[4:5], vcc
	s_cbranch_execz .LBB107_181
; %bb.178:
	v_mov_b32_e32 v89, 0
	v_add_u32_e32 v92, 0x160, v91
	v_mov_b32_e32 v90, 0
	s_mov_b64 s[8:9], 0
.LBB107_179:                            ; =>This Inner Loop Header: Depth=1
	buffer_load_dword v94, v91, s[0:3], 0 offen
	buffer_load_dword v95, v91, s[0:3], 0 offen offset:4
	ds_read_b64 v[96:97], v92
	v_add_u32_e32 v93, 1, v93
	v_cmp_lt_u32_e32 vcc, 41, v93
	v_add_u32_e32 v92, 8, v92
	s_or_b64 s[8:9], vcc, s[8:9]
	v_add_u32_e32 v91, 8, v91
	s_waitcnt vmcnt(0) lgkmcnt(0)
	v_fma_f64 v[89:90], v[94:95], v[96:97], v[89:90]
	s_andn2_b64 exec, exec, s[8:9]
	s_cbranch_execnz .LBB107_179
; %bb.180:
	s_or_b64 exec, exec, s[8:9]
	v_mov_b32_e32 v91, 0
	ds_read_b64 v[91:92], v91 offset:344
	s_waitcnt lgkmcnt(0)
	v_mul_f64 v[89:90], v[89:90], v[91:92]
	buffer_store_dword v90, off, s[0:3], 0 offset:348
	buffer_store_dword v89, off, s[0:3], 0 offset:344
.LBB107_181:
	s_or_b64 exec, exec, s[4:5]
	s_mov_b64 s[8:9], -1
	; wave barrier
.LBB107_182:
	s_and_b64 vcc, exec, s[8:9]
	s_cbranch_vccz .LBB107_184
; %bb.183:
	s_lshl_b64 s[4:5], s[6:7], 2
	s_add_u32 s4, s10, s4
	s_addc_u32 s5, s11, s5
	v_mov_b32_e32 v89, 0
	global_load_dword v89, v89, s[4:5]
	s_waitcnt vmcnt(0)
	v_cmp_ne_u32_e32 vcc, 0, v89
	s_cbranch_vccz .LBB107_185
.LBB107_184:
	s_endpgm
.LBB107_185:
	v_mov_b32_e32 v89, 0x160
	v_lshl_add_u32 v89, v0, 3, v89
	v_cmp_eq_u32_e32 vcc, 43, v0
	s_and_saveexec_b64 s[4:5], vcc
	s_cbranch_execz .LBB107_187
; %bb.186:
	buffer_load_dword v90, off, s[0:3], 0 offset:336
	buffer_load_dword v91, off, s[0:3], 0 offset:340
	v_mov_b32_e32 v92, 0
	buffer_store_dword v92, off, s[0:3], 0 offset:336
	buffer_store_dword v92, off, s[0:3], 0 offset:340
	s_waitcnt vmcnt(2)
	ds_write_b64 v89, v[90:91]
.LBB107_187:
	s_or_b64 exec, exec, s[4:5]
	s_waitcnt lgkmcnt(0)
	; wave barrier
	buffer_load_dword v91, off, s[0:3], 0 offset:344
	buffer_load_dword v92, off, s[0:3], 0 offset:348
	;; [unrolled: 1-line block ×4, first 2 shown]
	v_mov_b32_e32 v90, 0
	ds_read_b64 v[95:96], v90 offset:696
	v_cmp_lt_u32_e32 vcc, 41, v0
	s_waitcnt vmcnt(2) lgkmcnt(0)
	v_fma_f64 v[91:92], v[91:92], v[95:96], 0
	s_waitcnt vmcnt(0)
	v_add_f64 v[91:92], v[93:94], -v[91:92]
	buffer_store_dword v91, off, s[0:3], 0 offset:336
	buffer_store_dword v92, off, s[0:3], 0 offset:340
	s_and_saveexec_b64 s[4:5], vcc
	s_cbranch_execz .LBB107_189
; %bb.188:
	buffer_load_dword v91, off, s[0:3], 0 offset:328
	buffer_load_dword v92, off, s[0:3], 0 offset:332
	s_waitcnt vmcnt(0)
	ds_write_b64 v89, v[91:92]
	buffer_store_dword v90, off, s[0:3], 0 offset:328
	buffer_store_dword v90, off, s[0:3], 0 offset:332
.LBB107_189:
	s_or_b64 exec, exec, s[4:5]
	s_waitcnt lgkmcnt(0)
	; wave barrier
	buffer_load_dword v94, off, s[0:3], 0 offset:336
	buffer_load_dword v95, off, s[0:3], 0 offset:340
	;; [unrolled: 1-line block ×6, first 2 shown]
	ds_read_b128 v[90:93], v90 offset:688
	v_cmp_lt_u32_e32 vcc, 40, v0
	s_waitcnt vmcnt(4) lgkmcnt(0)
	v_fma_f64 v[90:91], v[94:95], v[90:91], 0
	s_waitcnt vmcnt(2)
	v_fma_f64 v[90:91], v[96:97], v[92:93], v[90:91]
	s_waitcnt vmcnt(0)
	v_add_f64 v[90:91], v[98:99], -v[90:91]
	buffer_store_dword v90, off, s[0:3], 0 offset:328
	buffer_store_dword v91, off, s[0:3], 0 offset:332
	s_and_saveexec_b64 s[4:5], vcc
	s_cbranch_execz .LBB107_191
; %bb.190:
	buffer_load_dword v90, off, s[0:3], 0 offset:320
	buffer_load_dword v91, off, s[0:3], 0 offset:324
	v_mov_b32_e32 v92, 0
	buffer_store_dword v92, off, s[0:3], 0 offset:320
	buffer_store_dword v92, off, s[0:3], 0 offset:324
	s_waitcnt vmcnt(2)
	ds_write_b64 v89, v[90:91]
.LBB107_191:
	s_or_b64 exec, exec, s[4:5]
	s_waitcnt lgkmcnt(0)
	; wave barrier
	buffer_load_dword v95, off, s[0:3], 0 offset:328
	buffer_load_dword v96, off, s[0:3], 0 offset:332
	;; [unrolled: 1-line block ×8, first 2 shown]
	v_mov_b32_e32 v90, 0
	ds_read2_b64 v[91:94], v90 offset0:85 offset1:86
	ds_read_b64 v[103:104], v90 offset:696
	v_cmp_lt_u32_e32 vcc, 39, v0
	s_waitcnt vmcnt(6) lgkmcnt(1)
	v_fma_f64 v[91:92], v[95:96], v[91:92], 0
	s_waitcnt vmcnt(4)
	v_fma_f64 v[91:92], v[97:98], v[93:94], v[91:92]
	s_waitcnt vmcnt(2) lgkmcnt(0)
	v_fma_f64 v[91:92], v[99:100], v[103:104], v[91:92]
	s_waitcnt vmcnt(0)
	v_add_f64 v[91:92], v[101:102], -v[91:92]
	buffer_store_dword v91, off, s[0:3], 0 offset:320
	buffer_store_dword v92, off, s[0:3], 0 offset:324
	s_and_saveexec_b64 s[4:5], vcc
	s_cbranch_execz .LBB107_193
; %bb.192:
	buffer_load_dword v91, off, s[0:3], 0 offset:312
	buffer_load_dword v92, off, s[0:3], 0 offset:316
	s_waitcnt vmcnt(0)
	ds_write_b64 v89, v[91:92]
	buffer_store_dword v90, off, s[0:3], 0 offset:312
	buffer_store_dword v90, off, s[0:3], 0 offset:316
.LBB107_193:
	s_or_b64 exec, exec, s[4:5]
	s_waitcnt lgkmcnt(0)
	; wave barrier
	buffer_load_dword v99, off, s[0:3], 0 offset:320
	buffer_load_dword v100, off, s[0:3], 0 offset:324
	;; [unrolled: 1-line block ×10, first 2 shown]
	ds_read_b128 v[91:94], v90 offset:672
	ds_read_b128 v[95:98], v90 offset:688
	v_cmp_lt_u32_e32 vcc, 38, v0
	s_waitcnt vmcnt(8) lgkmcnt(1)
	v_fma_f64 v[90:91], v[99:100], v[91:92], 0
	s_waitcnt vmcnt(6)
	v_fma_f64 v[90:91], v[101:102], v[93:94], v[90:91]
	s_waitcnt vmcnt(4) lgkmcnt(0)
	v_fma_f64 v[90:91], v[103:104], v[95:96], v[90:91]
	s_waitcnt vmcnt(2)
	v_fma_f64 v[90:91], v[105:106], v[97:98], v[90:91]
	s_waitcnt vmcnt(0)
	v_add_f64 v[90:91], v[107:108], -v[90:91]
	buffer_store_dword v90, off, s[0:3], 0 offset:312
	buffer_store_dword v91, off, s[0:3], 0 offset:316
	s_and_saveexec_b64 s[4:5], vcc
	s_cbranch_execz .LBB107_195
; %bb.194:
	buffer_load_dword v90, off, s[0:3], 0 offset:304
	buffer_load_dword v91, off, s[0:3], 0 offset:308
	v_mov_b32_e32 v92, 0
	buffer_store_dword v92, off, s[0:3], 0 offset:304
	buffer_store_dword v92, off, s[0:3], 0 offset:308
	s_waitcnt vmcnt(2)
	ds_write_b64 v89, v[90:91]
.LBB107_195:
	s_or_b64 exec, exec, s[4:5]
	s_waitcnt lgkmcnt(0)
	; wave barrier
	buffer_load_dword v99, off, s[0:3], 0 offset:312
	buffer_load_dword v100, off, s[0:3], 0 offset:316
	;; [unrolled: 1-line block ×12, first 2 shown]
	v_mov_b32_e32 v90, 0
	ds_read2_b64 v[91:94], v90 offset0:83 offset1:84
	ds_read2_b64 v[95:98], v90 offset0:85 offset1:86
	v_cmp_lt_u32_e32 vcc, 37, v0
	s_waitcnt vmcnt(10) lgkmcnt(1)
	v_fma_f64 v[91:92], v[99:100], v[91:92], 0
	s_waitcnt vmcnt(8)
	v_fma_f64 v[91:92], v[101:102], v[93:94], v[91:92]
	ds_read_b64 v[93:94], v90 offset:696
	s_waitcnt vmcnt(6) lgkmcnt(1)
	v_fma_f64 v[91:92], v[103:104], v[95:96], v[91:92]
	s_waitcnt vmcnt(4)
	v_fma_f64 v[91:92], v[105:106], v[97:98], v[91:92]
	s_waitcnt vmcnt(2) lgkmcnt(0)
	v_fma_f64 v[91:92], v[107:108], v[93:94], v[91:92]
	s_waitcnt vmcnt(0)
	v_add_f64 v[91:92], v[109:110], -v[91:92]
	buffer_store_dword v91, off, s[0:3], 0 offset:304
	buffer_store_dword v92, off, s[0:3], 0 offset:308
	s_and_saveexec_b64 s[4:5], vcc
	s_cbranch_execz .LBB107_197
; %bb.196:
	buffer_load_dword v91, off, s[0:3], 0 offset:296
	buffer_load_dword v92, off, s[0:3], 0 offset:300
	s_waitcnt vmcnt(0)
	ds_write_b64 v89, v[91:92]
	buffer_store_dword v90, off, s[0:3], 0 offset:296
	buffer_store_dword v90, off, s[0:3], 0 offset:300
.LBB107_197:
	s_or_b64 exec, exec, s[4:5]
	s_waitcnt lgkmcnt(0)
	; wave barrier
	buffer_load_dword v99, off, s[0:3], 0 offset:304
	buffer_load_dword v100, off, s[0:3], 0 offset:308
	;; [unrolled: 1-line block ×14, first 2 shown]
	ds_read_b128 v[91:94], v90 offset:656
	ds_read_b128 v[95:98], v90 offset:672
	v_cmp_lt_u32_e32 vcc, 36, v0
	s_waitcnt vmcnt(12) lgkmcnt(1)
	v_fma_f64 v[91:92], v[99:100], v[91:92], 0
	s_waitcnt vmcnt(10)
	v_fma_f64 v[91:92], v[101:102], v[93:94], v[91:92]
	s_waitcnt vmcnt(8) lgkmcnt(0)
	v_fma_f64 v[91:92], v[103:104], v[95:96], v[91:92]
	s_waitcnt vmcnt(6)
	v_fma_f64 v[94:95], v[105:106], v[97:98], v[91:92]
	ds_read_b128 v[90:93], v90 offset:688
	s_waitcnt vmcnt(4) lgkmcnt(0)
	v_fma_f64 v[90:91], v[107:108], v[90:91], v[94:95]
	s_waitcnt vmcnt(2)
	v_fma_f64 v[90:91], v[109:110], v[92:93], v[90:91]
	s_waitcnt vmcnt(0)
	v_add_f64 v[90:91], v[111:112], -v[90:91]
	buffer_store_dword v90, off, s[0:3], 0 offset:296
	buffer_store_dword v91, off, s[0:3], 0 offset:300
	s_and_saveexec_b64 s[4:5], vcc
	s_cbranch_execz .LBB107_199
; %bb.198:
	buffer_load_dword v90, off, s[0:3], 0 offset:288
	buffer_load_dword v91, off, s[0:3], 0 offset:292
	v_mov_b32_e32 v92, 0
	buffer_store_dword v92, off, s[0:3], 0 offset:288
	buffer_store_dword v92, off, s[0:3], 0 offset:292
	s_waitcnt vmcnt(2)
	ds_write_b64 v89, v[90:91]
.LBB107_199:
	s_or_b64 exec, exec, s[4:5]
	s_waitcnt lgkmcnt(0)
	; wave barrier
	buffer_load_dword v99, off, s[0:3], 0 offset:296
	buffer_load_dword v100, off, s[0:3], 0 offset:300
	;; [unrolled: 1-line block ×16, first 2 shown]
	v_mov_b32_e32 v90, 0
	ds_read2_b64 v[91:94], v90 offset0:81 offset1:82
	ds_read2_b64 v[95:98], v90 offset0:83 offset1:84
	v_cmp_lt_u32_e32 vcc, 35, v0
	s_waitcnt vmcnt(14) lgkmcnt(1)
	v_fma_f64 v[91:92], v[99:100], v[91:92], 0
	s_waitcnt vmcnt(12)
	v_fma_f64 v[91:92], v[101:102], v[93:94], v[91:92]
	s_waitcnt vmcnt(10) lgkmcnt(0)
	v_fma_f64 v[91:92], v[103:104], v[95:96], v[91:92]
	s_waitcnt vmcnt(8)
	v_fma_f64 v[95:96], v[105:106], v[97:98], v[91:92]
	ds_read2_b64 v[91:94], v90 offset0:85 offset1:86
	ds_read_b64 v[97:98], v90 offset:696
	s_waitcnt vmcnt(6) lgkmcnt(1)
	v_fma_f64 v[91:92], v[107:108], v[91:92], v[95:96]
	s_waitcnt vmcnt(4)
	v_fma_f64 v[91:92], v[109:110], v[93:94], v[91:92]
	s_waitcnt vmcnt(2) lgkmcnt(0)
	v_fma_f64 v[91:92], v[111:112], v[97:98], v[91:92]
	s_waitcnt vmcnt(0)
	v_add_f64 v[91:92], v[113:114], -v[91:92]
	buffer_store_dword v91, off, s[0:3], 0 offset:288
	buffer_store_dword v92, off, s[0:3], 0 offset:292
	s_and_saveexec_b64 s[4:5], vcc
	s_cbranch_execz .LBB107_201
; %bb.200:
	buffer_load_dword v91, off, s[0:3], 0 offset:280
	buffer_load_dword v92, off, s[0:3], 0 offset:284
	s_waitcnt vmcnt(0)
	ds_write_b64 v89, v[91:92]
	buffer_store_dword v90, off, s[0:3], 0 offset:280
	buffer_store_dword v90, off, s[0:3], 0 offset:284
.LBB107_201:
	s_or_b64 exec, exec, s[4:5]
	s_waitcnt lgkmcnt(0)
	; wave barrier
	buffer_load_dword v99, off, s[0:3], 0 offset:288
	buffer_load_dword v100, off, s[0:3], 0 offset:292
	;; [unrolled: 1-line block ×18, first 2 shown]
	ds_read_b128 v[91:94], v90 offset:640
	ds_read_b128 v[95:98], v90 offset:656
	v_cmp_lt_u32_e32 vcc, 34, v0
	s_waitcnt vmcnt(16) lgkmcnt(1)
	v_fma_f64 v[91:92], v[99:100], v[91:92], 0
	s_waitcnt vmcnt(14)
	v_fma_f64 v[91:92], v[101:102], v[93:94], v[91:92]
	s_waitcnt vmcnt(12) lgkmcnt(0)
	v_fma_f64 v[91:92], v[103:104], v[95:96], v[91:92]
	s_waitcnt vmcnt(10)
	v_fma_f64 v[99:100], v[105:106], v[97:98], v[91:92]
	ds_read_b128 v[91:94], v90 offset:672
	ds_read_b128 v[95:98], v90 offset:688
	s_waitcnt vmcnt(8) lgkmcnt(1)
	v_fma_f64 v[90:91], v[107:108], v[91:92], v[99:100]
	s_waitcnt vmcnt(6)
	v_fma_f64 v[90:91], v[109:110], v[93:94], v[90:91]
	s_waitcnt vmcnt(4) lgkmcnt(0)
	v_fma_f64 v[90:91], v[111:112], v[95:96], v[90:91]
	s_waitcnt vmcnt(2)
	v_fma_f64 v[90:91], v[113:114], v[97:98], v[90:91]
	s_waitcnt vmcnt(0)
	v_add_f64 v[90:91], v[115:116], -v[90:91]
	buffer_store_dword v90, off, s[0:3], 0 offset:280
	buffer_store_dword v91, off, s[0:3], 0 offset:284
	s_and_saveexec_b64 s[4:5], vcc
	s_cbranch_execz .LBB107_203
; %bb.202:
	buffer_load_dword v90, off, s[0:3], 0 offset:272
	buffer_load_dword v91, off, s[0:3], 0 offset:276
	v_mov_b32_e32 v92, 0
	buffer_store_dword v92, off, s[0:3], 0 offset:272
	buffer_store_dword v92, off, s[0:3], 0 offset:276
	s_waitcnt vmcnt(2)
	ds_write_b64 v89, v[90:91]
.LBB107_203:
	s_or_b64 exec, exec, s[4:5]
	s_waitcnt lgkmcnt(0)
	; wave barrier
	buffer_load_dword v99, off, s[0:3], 0 offset:280
	buffer_load_dword v100, off, s[0:3], 0 offset:284
	;; [unrolled: 1-line block ×20, first 2 shown]
	v_mov_b32_e32 v90, 0
	ds_read2_b64 v[91:94], v90 offset0:79 offset1:80
	ds_read2_b64 v[95:98], v90 offset0:81 offset1:82
	v_cmp_lt_u32_e32 vcc, 33, v0
	s_waitcnt vmcnt(18) lgkmcnt(1)
	v_fma_f64 v[91:92], v[99:100], v[91:92], 0
	s_waitcnt vmcnt(16)
	v_fma_f64 v[91:92], v[101:102], v[93:94], v[91:92]
	s_waitcnt vmcnt(14) lgkmcnt(0)
	v_fma_f64 v[91:92], v[103:104], v[95:96], v[91:92]
	s_waitcnt vmcnt(12)
	v_fma_f64 v[99:100], v[105:106], v[97:98], v[91:92]
	ds_read2_b64 v[91:94], v90 offset0:83 offset1:84
	ds_read2_b64 v[95:98], v90 offset0:85 offset1:86
	s_waitcnt vmcnt(10) lgkmcnt(1)
	v_fma_f64 v[91:92], v[107:108], v[91:92], v[99:100]
	s_waitcnt vmcnt(8)
	v_fma_f64 v[91:92], v[109:110], v[93:94], v[91:92]
	ds_read_b64 v[93:94], v90 offset:696
	s_waitcnt vmcnt(6) lgkmcnt(1)
	v_fma_f64 v[91:92], v[111:112], v[95:96], v[91:92]
	s_waitcnt vmcnt(3)
	v_fma_f64 v[91:92], v[113:114], v[97:98], v[91:92]
	s_waitcnt vmcnt(2) lgkmcnt(0)
	v_fma_f64 v[91:92], v[115:116], v[93:94], v[91:92]
	s_waitcnt vmcnt(0)
	v_add_f64 v[91:92], v[117:118], -v[91:92]
	buffer_store_dword v91, off, s[0:3], 0 offset:272
	buffer_store_dword v92, off, s[0:3], 0 offset:276
	s_and_saveexec_b64 s[4:5], vcc
	s_cbranch_execz .LBB107_205
; %bb.204:
	buffer_load_dword v91, off, s[0:3], 0 offset:264
	buffer_load_dword v92, off, s[0:3], 0 offset:268
	s_waitcnt vmcnt(0)
	ds_write_b64 v89, v[91:92]
	buffer_store_dword v90, off, s[0:3], 0 offset:264
	buffer_store_dword v90, off, s[0:3], 0 offset:268
.LBB107_205:
	s_or_b64 exec, exec, s[4:5]
	s_waitcnt lgkmcnt(0)
	; wave barrier
	buffer_load_dword v99, off, s[0:3], 0 offset:272
	buffer_load_dword v100, off, s[0:3], 0 offset:276
	;; [unrolled: 1-line block ×20, first 2 shown]
	ds_read_b128 v[91:94], v90 offset:624
	buffer_load_dword v119, off, s[0:3], 0 offset:264
	buffer_load_dword v120, off, s[0:3], 0 offset:268
	ds_read_b128 v[95:98], v90 offset:640
	v_cmp_lt_u32_e32 vcc, 32, v0
	s_waitcnt vmcnt(20) lgkmcnt(1)
	v_fma_f64 v[91:92], v[99:100], v[91:92], 0
	s_waitcnt vmcnt(18)
	v_fma_f64 v[91:92], v[101:102], v[93:94], v[91:92]
	s_waitcnt vmcnt(16) lgkmcnt(0)
	v_fma_f64 v[91:92], v[103:104], v[95:96], v[91:92]
	s_waitcnt vmcnt(14)
	v_fma_f64 v[99:100], v[105:106], v[97:98], v[91:92]
	ds_read_b128 v[91:94], v90 offset:656
	ds_read_b128 v[95:98], v90 offset:672
	s_waitcnt vmcnt(12) lgkmcnt(1)
	v_fma_f64 v[91:92], v[107:108], v[91:92], v[99:100]
	s_waitcnt vmcnt(10)
	v_fma_f64 v[91:92], v[109:110], v[93:94], v[91:92]
	s_waitcnt vmcnt(8) lgkmcnt(0)
	v_fma_f64 v[91:92], v[111:112], v[95:96], v[91:92]
	s_waitcnt vmcnt(4)
	v_fma_f64 v[94:95], v[113:114], v[97:98], v[91:92]
	ds_read_b128 v[90:93], v90 offset:688
	s_waitcnt vmcnt(3) lgkmcnt(0)
	v_fma_f64 v[90:91], v[117:118], v[90:91], v[94:95]
	s_waitcnt vmcnt(2)
	v_fma_f64 v[90:91], v[115:116], v[92:93], v[90:91]
	s_waitcnt vmcnt(0)
	v_add_f64 v[90:91], v[119:120], -v[90:91]
	buffer_store_dword v90, off, s[0:3], 0 offset:264
	buffer_store_dword v91, off, s[0:3], 0 offset:268
	s_and_saveexec_b64 s[4:5], vcc
	s_cbranch_execz .LBB107_207
; %bb.206:
	buffer_load_dword v90, off, s[0:3], 0 offset:256
	buffer_load_dword v91, off, s[0:3], 0 offset:260
	v_mov_b32_e32 v92, 0
	buffer_store_dword v92, off, s[0:3], 0 offset:256
	buffer_store_dword v92, off, s[0:3], 0 offset:260
	s_waitcnt vmcnt(2)
	ds_write_b64 v89, v[90:91]
.LBB107_207:
	s_or_b64 exec, exec, s[4:5]
	s_waitcnt lgkmcnt(0)
	; wave barrier
	buffer_load_dword v99, off, s[0:3], 0 offset:264
	buffer_load_dword v100, off, s[0:3], 0 offset:268
	;; [unrolled: 1-line block ×21, first 2 shown]
	v_mov_b32_e32 v90, 0
	ds_read2_b64 v[91:94], v90 offset0:77 offset1:78
	ds_read2_b64 v[95:98], v90 offset0:79 offset1:80
	buffer_load_dword v116, off, s[0:3], 0 offset:348
	v_cmp_lt_u32_e32 vcc, 31, v0
	s_waitcnt vmcnt(20) lgkmcnt(1)
	v_fma_f64 v[91:92], v[99:100], v[91:92], 0
	buffer_load_dword v99, off, s[0:3], 0 offset:256
	buffer_load_dword v100, off, s[0:3], 0 offset:260
	s_waitcnt vmcnt(20)
	v_fma_f64 v[91:92], v[101:102], v[93:94], v[91:92]
	s_waitcnt vmcnt(18) lgkmcnt(0)
	v_fma_f64 v[91:92], v[103:104], v[95:96], v[91:92]
	s_waitcnt vmcnt(16)
	v_fma_f64 v[101:102], v[105:106], v[97:98], v[91:92]
	ds_read2_b64 v[91:94], v90 offset0:81 offset1:82
	ds_read2_b64 v[95:98], v90 offset0:83 offset1:84
	s_waitcnt vmcnt(14) lgkmcnt(1)
	v_fma_f64 v[91:92], v[107:108], v[91:92], v[101:102]
	s_waitcnt vmcnt(12)
	v_fma_f64 v[91:92], v[109:110], v[93:94], v[91:92]
	s_waitcnt vmcnt(10) lgkmcnt(0)
	v_fma_f64 v[91:92], v[111:112], v[95:96], v[91:92]
	s_waitcnt vmcnt(5)
	v_fma_f64 v[95:96], v[113:114], v[97:98], v[91:92]
	ds_read2_b64 v[91:94], v90 offset0:85 offset1:86
	ds_read_b64 v[97:98], v90 offset:696
	s_waitcnt vmcnt(4) lgkmcnt(1)
	v_fma_f64 v[91:92], v[119:120], v[91:92], v[95:96]
	s_waitcnt vmcnt(3)
	v_fma_f64 v[91:92], v[117:118], v[93:94], v[91:92]
	s_waitcnt vmcnt(2) lgkmcnt(0)
	v_fma_f64 v[91:92], v[115:116], v[97:98], v[91:92]
	s_waitcnt vmcnt(0)
	v_add_f64 v[91:92], v[99:100], -v[91:92]
	buffer_store_dword v92, off, s[0:3], 0 offset:260
	buffer_store_dword v91, off, s[0:3], 0 offset:256
	s_and_saveexec_b64 s[4:5], vcc
	s_cbranch_execz .LBB107_209
; %bb.208:
	buffer_load_dword v91, off, s[0:3], 0 offset:248
	buffer_load_dword v92, off, s[0:3], 0 offset:252
	s_waitcnt vmcnt(0)
	ds_write_b64 v89, v[91:92]
	buffer_store_dword v90, off, s[0:3], 0 offset:248
	buffer_store_dword v90, off, s[0:3], 0 offset:252
.LBB107_209:
	s_or_b64 exec, exec, s[4:5]
	s_waitcnt lgkmcnt(0)
	; wave barrier
	buffer_load_dword v99, off, s[0:3], 0 offset:256
	buffer_load_dword v100, off, s[0:3], 0 offset:260
	;; [unrolled: 1-line block ×21, first 2 shown]
	ds_read_b128 v[91:94], v90 offset:608
	ds_read_b128 v[95:98], v90 offset:624
	buffer_load_dword v116, off, s[0:3], 0 offset:340
	v_cmp_lt_u32_e32 vcc, 30, v0
	s_waitcnt vmcnt(20) lgkmcnt(1)
	v_fma_f64 v[91:92], v[99:100], v[91:92], 0
	buffer_load_dword v100, off, s[0:3], 0 offset:348
	buffer_load_dword v99, off, s[0:3], 0 offset:344
	s_waitcnt vmcnt(20)
	v_fma_f64 v[91:92], v[101:102], v[93:94], v[91:92]
	buffer_load_dword v101, off, s[0:3], 0 offset:248
	buffer_load_dword v102, off, s[0:3], 0 offset:252
	s_waitcnt vmcnt(20) lgkmcnt(0)
	v_fma_f64 v[91:92], v[103:104], v[95:96], v[91:92]
	s_waitcnt vmcnt(18)
	v_fma_f64 v[103:104], v[105:106], v[97:98], v[91:92]
	ds_read_b128 v[91:94], v90 offset:640
	ds_read_b128 v[95:98], v90 offset:656
	s_waitcnt vmcnt(16) lgkmcnt(1)
	v_fma_f64 v[91:92], v[107:108], v[91:92], v[103:104]
	s_waitcnt vmcnt(14)
	v_fma_f64 v[91:92], v[109:110], v[93:94], v[91:92]
	s_waitcnt vmcnt(12) lgkmcnt(0)
	v_fma_f64 v[91:92], v[111:112], v[95:96], v[91:92]
	s_waitcnt vmcnt(7)
	v_fma_f64 v[103:104], v[113:114], v[97:98], v[91:92]
	ds_read_b128 v[91:94], v90 offset:672
	ds_read_b128 v[95:98], v90 offset:688
	s_waitcnt vmcnt(6) lgkmcnt(1)
	v_fma_f64 v[90:91], v[119:120], v[91:92], v[103:104]
	s_waitcnt vmcnt(5)
	v_fma_f64 v[90:91], v[117:118], v[93:94], v[90:91]
	s_waitcnt vmcnt(4) lgkmcnt(0)
	v_fma_f64 v[90:91], v[115:116], v[95:96], v[90:91]
	s_waitcnt vmcnt(2)
	v_fma_f64 v[90:91], v[99:100], v[97:98], v[90:91]
	s_waitcnt vmcnt(0)
	v_add_f64 v[90:91], v[101:102], -v[90:91]
	buffer_store_dword v91, off, s[0:3], 0 offset:252
	buffer_store_dword v90, off, s[0:3], 0 offset:248
	s_and_saveexec_b64 s[4:5], vcc
	s_cbranch_execz .LBB107_211
; %bb.210:
	buffer_load_dword v90, off, s[0:3], 0 offset:240
	buffer_load_dword v91, off, s[0:3], 0 offset:244
	v_mov_b32_e32 v92, 0
	buffer_store_dword v92, off, s[0:3], 0 offset:240
	buffer_store_dword v92, off, s[0:3], 0 offset:244
	s_waitcnt vmcnt(2)
	ds_write_b64 v89, v[90:91]
.LBB107_211:
	s_or_b64 exec, exec, s[4:5]
	s_waitcnt lgkmcnt(0)
	; wave barrier
	buffer_load_dword v99, off, s[0:3], 0 offset:248
	buffer_load_dword v100, off, s[0:3], 0 offset:252
	;; [unrolled: 1-line block ×21, first 2 shown]
	v_mov_b32_e32 v90, 0
	ds_read2_b64 v[91:94], v90 offset0:75 offset1:76
	ds_read2_b64 v[95:98], v90 offset0:77 offset1:78
	buffer_load_dword v116, off, s[0:3], 0 offset:332
	v_cmp_lt_u32_e32 vcc, 29, v0
	s_waitcnt vmcnt(20) lgkmcnt(1)
	v_fma_f64 v[91:92], v[99:100], v[91:92], 0
	s_waitcnt vmcnt(18)
	v_fma_f64 v[91:92], v[101:102], v[93:94], v[91:92]
	buffer_load_dword v100, off, s[0:3], 0 offset:340
	buffer_load_dword v101, off, s[0:3], 0 offset:344
	;; [unrolled: 1-line block ×4, first 2 shown]
	s_waitcnt vmcnt(20) lgkmcnt(0)
	v_fma_f64 v[91:92], v[103:104], v[95:96], v[91:92]
	buffer_load_dword v103, off, s[0:3], 0 offset:240
	buffer_load_dword v104, off, s[0:3], 0 offset:244
	s_waitcnt vmcnt(20)
	v_fma_f64 v[105:106], v[105:106], v[97:98], v[91:92]
	ds_read2_b64 v[91:94], v90 offset0:79 offset1:80
	ds_read2_b64 v[95:98], v90 offset0:81 offset1:82
	s_waitcnt vmcnt(18) lgkmcnt(1)
	v_fma_f64 v[91:92], v[107:108], v[91:92], v[105:106]
	s_waitcnt vmcnt(16)
	v_fma_f64 v[91:92], v[109:110], v[93:94], v[91:92]
	s_waitcnt vmcnt(14) lgkmcnt(0)
	v_fma_f64 v[91:92], v[111:112], v[95:96], v[91:92]
	s_waitcnt vmcnt(9)
	v_fma_f64 v[105:106], v[113:114], v[97:98], v[91:92]
	ds_read2_b64 v[91:94], v90 offset0:83 offset1:84
	ds_read2_b64 v[95:98], v90 offset0:85 offset1:86
	s_waitcnt vmcnt(8) lgkmcnt(1)
	v_fma_f64 v[91:92], v[119:120], v[91:92], v[105:106]
	s_waitcnt vmcnt(7)
	v_fma_f64 v[91:92], v[117:118], v[93:94], v[91:92]
	ds_read_b64 v[93:94], v90 offset:696
	s_waitcnt vmcnt(6) lgkmcnt(1)
	v_fma_f64 v[91:92], v[115:116], v[95:96], v[91:92]
	s_waitcnt vmcnt(3)
	v_fma_f64 v[91:92], v[99:100], v[97:98], v[91:92]
	s_waitcnt vmcnt(2) lgkmcnt(0)
	v_fma_f64 v[91:92], v[101:102], v[93:94], v[91:92]
	s_waitcnt vmcnt(0)
	v_add_f64 v[91:92], v[103:104], -v[91:92]
	buffer_store_dword v92, off, s[0:3], 0 offset:244
	buffer_store_dword v91, off, s[0:3], 0 offset:240
	s_and_saveexec_b64 s[4:5], vcc
	s_cbranch_execz .LBB107_213
; %bb.212:
	buffer_load_dword v91, off, s[0:3], 0 offset:232
	buffer_load_dword v92, off, s[0:3], 0 offset:236
	s_waitcnt vmcnt(0)
	ds_write_b64 v89, v[91:92]
	buffer_store_dword v90, off, s[0:3], 0 offset:232
	buffer_store_dword v90, off, s[0:3], 0 offset:236
.LBB107_213:
	s_or_b64 exec, exec, s[4:5]
	s_waitcnt lgkmcnt(0)
	; wave barrier
	buffer_load_dword v99, off, s[0:3], 0 offset:240
	buffer_load_dword v100, off, s[0:3], 0 offset:244
	;; [unrolled: 1-line block ×22, first 2 shown]
	ds_read_b128 v[91:94], v90 offset:592
	ds_read_b128 v[95:98], v90 offset:608
	v_cmp_lt_u32_e32 vcc, 28, v0
	s_waitcnt vmcnt(20) lgkmcnt(1)
	v_fma_f64 v[91:92], v[99:100], v[91:92], 0
	s_waitcnt vmcnt(18)
	v_fma_f64 v[91:92], v[101:102], v[93:94], v[91:92]
	buffer_load_dword v100, off, s[0:3], 0 offset:332
	buffer_load_dword v101, off, s[0:3], 0 offset:344
	;; [unrolled: 1-line block ×6, first 2 shown]
	s_waitcnt vmcnt(22) lgkmcnt(0)
	v_fma_f64 v[91:92], v[103:104], v[95:96], v[91:92]
	s_waitcnt vmcnt(20)
	v_fma_f64 v[103:104], v[105:106], v[97:98], v[91:92]
	ds_read_b128 v[91:94], v90 offset:624
	buffer_load_dword v105, off, s[0:3], 0 offset:232
	buffer_load_dword v106, off, s[0:3], 0 offset:236
	ds_read_b128 v[95:98], v90 offset:640
	s_waitcnt vmcnt(20) lgkmcnt(1)
	v_fma_f64 v[91:92], v[107:108], v[91:92], v[103:104]
	s_waitcnt vmcnt(18)
	v_fma_f64 v[91:92], v[109:110], v[93:94], v[91:92]
	s_waitcnt vmcnt(16) lgkmcnt(0)
	v_fma_f64 v[91:92], v[111:112], v[95:96], v[91:92]
	s_waitcnt vmcnt(11)
	v_fma_f64 v[103:104], v[113:114], v[97:98], v[91:92]
	ds_read_b128 v[91:94], v90 offset:656
	ds_read_b128 v[95:98], v90 offset:672
	s_waitcnt vmcnt(10) lgkmcnt(1)
	v_fma_f64 v[91:92], v[119:120], v[91:92], v[103:104]
	s_waitcnt vmcnt(9)
	v_fma_f64 v[91:92], v[117:118], v[93:94], v[91:92]
	s_waitcnt vmcnt(8) lgkmcnt(0)
	v_fma_f64 v[91:92], v[115:116], v[95:96], v[91:92]
	s_waitcnt vmcnt(4)
	v_fma_f64 v[94:95], v[99:100], v[97:98], v[91:92]
	ds_read_b128 v[90:93], v90 offset:688
	s_waitcnt vmcnt(3) lgkmcnt(0)
	v_fma_f64 v[90:91], v[121:122], v[90:91], v[94:95]
	s_waitcnt vmcnt(2)
	v_fma_f64 v[90:91], v[101:102], v[92:93], v[90:91]
	s_waitcnt vmcnt(0)
	v_add_f64 v[90:91], v[105:106], -v[90:91]
	buffer_store_dword v91, off, s[0:3], 0 offset:236
	buffer_store_dword v90, off, s[0:3], 0 offset:232
	s_and_saveexec_b64 s[4:5], vcc
	s_cbranch_execz .LBB107_215
; %bb.214:
	buffer_load_dword v90, off, s[0:3], 0 offset:224
	buffer_load_dword v91, off, s[0:3], 0 offset:228
	v_mov_b32_e32 v92, 0
	buffer_store_dword v92, off, s[0:3], 0 offset:224
	buffer_store_dword v92, off, s[0:3], 0 offset:228
	s_waitcnt vmcnt(2)
	ds_write_b64 v89, v[90:91]
.LBB107_215:
	s_or_b64 exec, exec, s[4:5]
	s_waitcnt lgkmcnt(0)
	; wave barrier
	buffer_load_dword v99, off, s[0:3], 0 offset:232
	buffer_load_dword v100, off, s[0:3], 0 offset:236
	;; [unrolled: 1-line block ×22, first 2 shown]
	v_mov_b32_e32 v90, 0
	ds_read2_b64 v[91:94], v90 offset0:73 offset1:74
	ds_read2_b64 v[95:98], v90 offset0:75 offset1:76
	v_cmp_lt_u32_e32 vcc, 27, v0
	s_waitcnt vmcnt(20) lgkmcnt(1)
	v_fma_f64 v[91:92], v[99:100], v[91:92], 0
	s_waitcnt vmcnt(18)
	v_fma_f64 v[91:92], v[101:102], v[93:94], v[91:92]
	buffer_load_dword v100, off, s[0:3], 0 offset:324
	buffer_load_dword v101, off, s[0:3], 0 offset:344
	;; [unrolled: 1-line block ×8, first 2 shown]
	s_waitcnt vmcnt(24) lgkmcnt(0)
	v_fma_f64 v[91:92], v[103:104], v[95:96], v[91:92]
	s_waitcnt vmcnt(22)
	v_fma_f64 v[103:104], v[105:106], v[97:98], v[91:92]
	ds_read2_b64 v[91:94], v90 offset0:77 offset1:78
	ds_read2_b64 v[95:98], v90 offset0:79 offset1:80
	s_waitcnt vmcnt(20) lgkmcnt(1)
	v_fma_f64 v[91:92], v[107:108], v[91:92], v[103:104]
	buffer_load_dword v103, off, s[0:3], 0 offset:224
	buffer_load_dword v104, off, s[0:3], 0 offset:228
	s_waitcnt vmcnt(20)
	v_fma_f64 v[91:92], v[109:110], v[93:94], v[91:92]
	s_waitcnt vmcnt(18) lgkmcnt(0)
	v_fma_f64 v[91:92], v[111:112], v[95:96], v[91:92]
	s_waitcnt vmcnt(13)
	v_fma_f64 v[105:106], v[113:114], v[97:98], v[91:92]
	ds_read2_b64 v[91:94], v90 offset0:81 offset1:82
	ds_read2_b64 v[95:98], v90 offset0:83 offset1:84
	s_waitcnt vmcnt(12) lgkmcnt(1)
	v_fma_f64 v[91:92], v[119:120], v[91:92], v[105:106]
	s_waitcnt vmcnt(11)
	v_fma_f64 v[91:92], v[117:118], v[93:94], v[91:92]
	s_waitcnt vmcnt(10) lgkmcnt(0)
	v_fma_f64 v[91:92], v[115:116], v[95:96], v[91:92]
	s_waitcnt vmcnt(5)
	v_fma_f64 v[95:96], v[99:100], v[97:98], v[91:92]
	ds_read2_b64 v[91:94], v90 offset0:85 offset1:86
	ds_read_b64 v[97:98], v90 offset:696
	s_waitcnt vmcnt(4) lgkmcnt(1)
	v_fma_f64 v[91:92], v[123:124], v[91:92], v[95:96]
	s_waitcnt vmcnt(3)
	v_fma_f64 v[91:92], v[121:122], v[93:94], v[91:92]
	s_waitcnt vmcnt(2) lgkmcnt(0)
	v_fma_f64 v[91:92], v[101:102], v[97:98], v[91:92]
	s_waitcnt vmcnt(0)
	v_add_f64 v[91:92], v[103:104], -v[91:92]
	buffer_store_dword v92, off, s[0:3], 0 offset:228
	buffer_store_dword v91, off, s[0:3], 0 offset:224
	s_and_saveexec_b64 s[4:5], vcc
	s_cbranch_execz .LBB107_217
; %bb.216:
	buffer_load_dword v91, off, s[0:3], 0 offset:216
	buffer_load_dword v92, off, s[0:3], 0 offset:220
	s_waitcnt vmcnt(0)
	ds_write_b64 v89, v[91:92]
	buffer_store_dword v90, off, s[0:3], 0 offset:216
	buffer_store_dword v90, off, s[0:3], 0 offset:220
.LBB107_217:
	s_or_b64 exec, exec, s[4:5]
	s_waitcnt lgkmcnt(0)
	; wave barrier
	buffer_load_dword v99, off, s[0:3], 0 offset:224
	buffer_load_dword v100, off, s[0:3], 0 offset:228
	;; [unrolled: 1-line block ×22, first 2 shown]
	ds_read_b128 v[91:94], v90 offset:576
	ds_read_b128 v[95:98], v90 offset:592
	v_cmp_lt_u32_e32 vcc, 26, v0
	s_waitcnt vmcnt(20) lgkmcnt(1)
	v_fma_f64 v[91:92], v[99:100], v[91:92], 0
	s_waitcnt vmcnt(18)
	v_fma_f64 v[91:92], v[101:102], v[93:94], v[91:92]
	buffer_load_dword v100, off, s[0:3], 0 offset:316
	buffer_load_dword v101, off, s[0:3], 0 offset:336
	;; [unrolled: 1-line block ×8, first 2 shown]
	s_waitcnt vmcnt(24) lgkmcnt(0)
	v_fma_f64 v[91:92], v[103:104], v[95:96], v[91:92]
	s_waitcnt vmcnt(22)
	v_fma_f64 v[103:104], v[105:106], v[97:98], v[91:92]
	ds_read_b128 v[91:94], v90 offset:608
	ds_read_b128 v[95:98], v90 offset:624
	s_waitcnt vmcnt(20) lgkmcnt(1)
	v_fma_f64 v[91:92], v[107:108], v[91:92], v[103:104]
	buffer_load_dword v104, off, s[0:3], 0 offset:348
	buffer_load_dword v103, off, s[0:3], 0 offset:344
	;; [unrolled: 1-line block ×4, first 2 shown]
	s_waitcnt vmcnt(22)
	v_fma_f64 v[91:92], v[109:110], v[93:94], v[91:92]
	s_waitcnt vmcnt(20) lgkmcnt(0)
	v_fma_f64 v[91:92], v[111:112], v[95:96], v[91:92]
	s_waitcnt vmcnt(15)
	v_fma_f64 v[107:108], v[113:114], v[97:98], v[91:92]
	ds_read_b128 v[91:94], v90 offset:640
	ds_read_b128 v[95:98], v90 offset:656
	s_waitcnt vmcnt(14) lgkmcnt(1)
	v_fma_f64 v[91:92], v[119:120], v[91:92], v[107:108]
	s_waitcnt vmcnt(13)
	v_fma_f64 v[91:92], v[117:118], v[93:94], v[91:92]
	s_waitcnt vmcnt(12) lgkmcnt(0)
	v_fma_f64 v[91:92], v[115:116], v[95:96], v[91:92]
	s_waitcnt vmcnt(7)
	v_fma_f64 v[99:100], v[99:100], v[97:98], v[91:92]
	ds_read_b128 v[91:94], v90 offset:672
	ds_read_b128 v[95:98], v90 offset:688
	s_waitcnt vmcnt(6) lgkmcnt(1)
	v_fma_f64 v[90:91], v[123:124], v[91:92], v[99:100]
	s_waitcnt vmcnt(5)
	v_fma_f64 v[90:91], v[121:122], v[93:94], v[90:91]
	s_waitcnt vmcnt(4) lgkmcnt(0)
	v_fma_f64 v[90:91], v[101:102], v[95:96], v[90:91]
	s_waitcnt vmcnt(2)
	v_fma_f64 v[90:91], v[103:104], v[97:98], v[90:91]
	s_waitcnt vmcnt(0)
	v_add_f64 v[90:91], v[105:106], -v[90:91]
	buffer_store_dword v91, off, s[0:3], 0 offset:220
	buffer_store_dword v90, off, s[0:3], 0 offset:216
	s_and_saveexec_b64 s[4:5], vcc
	s_cbranch_execz .LBB107_219
; %bb.218:
	buffer_load_dword v90, off, s[0:3], 0 offset:208
	buffer_load_dword v91, off, s[0:3], 0 offset:212
	v_mov_b32_e32 v92, 0
	buffer_store_dword v92, off, s[0:3], 0 offset:208
	buffer_store_dword v92, off, s[0:3], 0 offset:212
	s_waitcnt vmcnt(2)
	ds_write_b64 v89, v[90:91]
.LBB107_219:
	s_or_b64 exec, exec, s[4:5]
	s_waitcnt lgkmcnt(0)
	; wave barrier
	buffer_load_dword v99, off, s[0:3], 0 offset:216
	buffer_load_dword v100, off, s[0:3], 0 offset:220
	;; [unrolled: 1-line block ×22, first 2 shown]
	v_mov_b32_e32 v90, 0
	ds_read2_b64 v[91:94], v90 offset0:71 offset1:72
	ds_read2_b64 v[95:98], v90 offset0:73 offset1:74
	v_cmp_lt_u32_e32 vcc, 25, v0
	s_waitcnt vmcnt(20) lgkmcnt(1)
	v_fma_f64 v[91:92], v[99:100], v[91:92], 0
	s_waitcnt vmcnt(18)
	v_fma_f64 v[91:92], v[101:102], v[93:94], v[91:92]
	buffer_load_dword v100, off, s[0:3], 0 offset:308
	buffer_load_dword v101, off, s[0:3], 0 offset:328
	;; [unrolled: 1-line block ×7, first 2 shown]
	s_waitcnt vmcnt(23) lgkmcnt(0)
	v_fma_f64 v[91:92], v[103:104], v[95:96], v[91:92]
	s_waitcnt vmcnt(21)
	v_fma_f64 v[102:103], v[105:106], v[97:98], v[91:92]
	ds_read2_b64 v[91:94], v90 offset0:75 offset1:76
	ds_read2_b64 v[95:98], v90 offset0:77 offset1:78
	s_waitcnt vmcnt(19) lgkmcnt(1)
	v_fma_f64 v[91:92], v[107:108], v[91:92], v[102:103]
	buffer_load_dword v102, off, s[0:3], 0 offset:332
	buffer_load_dword v104, off, s[0:3], 0 offset:340
	;; [unrolled: 1-line block ×7, first 2 shown]
	s_waitcnt vmcnt(24)
	v_fma_f64 v[91:92], v[109:110], v[93:94], v[91:92]
	s_waitcnt vmcnt(22) lgkmcnt(0)
	v_fma_f64 v[91:92], v[111:112], v[95:96], v[91:92]
	s_waitcnt vmcnt(17)
	v_fma_f64 v[109:110], v[113:114], v[97:98], v[91:92]
	ds_read2_b64 v[91:94], v90 offset0:79 offset1:80
	ds_read2_b64 v[95:98], v90 offset0:81 offset1:82
	s_waitcnt vmcnt(16) lgkmcnt(1)
	v_fma_f64 v[91:92], v[119:120], v[91:92], v[109:110]
	s_waitcnt vmcnt(15)
	v_fma_f64 v[91:92], v[117:118], v[93:94], v[91:92]
	s_waitcnt vmcnt(14) lgkmcnt(0)
	v_fma_f64 v[91:92], v[115:116], v[95:96], v[91:92]
	s_waitcnt vmcnt(9)
	v_fma_f64 v[99:100], v[99:100], v[97:98], v[91:92]
	ds_read2_b64 v[91:94], v90 offset0:83 offset1:84
	ds_read2_b64 v[95:98], v90 offset0:85 offset1:86
	s_waitcnt vmcnt(8) lgkmcnt(1)
	v_fma_f64 v[91:92], v[123:124], v[91:92], v[99:100]
	s_waitcnt vmcnt(7)
	v_fma_f64 v[91:92], v[121:122], v[93:94], v[91:92]
	ds_read_b64 v[93:94], v90 offset:696
	s_waitcnt vmcnt(6) lgkmcnt(1)
	v_fma_f64 v[91:92], v[101:102], v[95:96], v[91:92]
	s_waitcnt vmcnt(3)
	v_fma_f64 v[91:92], v[103:104], v[97:98], v[91:92]
	s_waitcnt vmcnt(2) lgkmcnt(0)
	v_fma_f64 v[91:92], v[105:106], v[93:94], v[91:92]
	s_waitcnt vmcnt(0)
	v_add_f64 v[91:92], v[107:108], -v[91:92]
	buffer_store_dword v92, off, s[0:3], 0 offset:212
	buffer_store_dword v91, off, s[0:3], 0 offset:208
	s_and_saveexec_b64 s[4:5], vcc
	s_cbranch_execz .LBB107_221
; %bb.220:
	buffer_load_dword v91, off, s[0:3], 0 offset:200
	buffer_load_dword v92, off, s[0:3], 0 offset:204
	s_waitcnt vmcnt(0)
	ds_write_b64 v89, v[91:92]
	buffer_store_dword v90, off, s[0:3], 0 offset:200
	buffer_store_dword v90, off, s[0:3], 0 offset:204
.LBB107_221:
	s_or_b64 exec, exec, s[4:5]
	s_waitcnt lgkmcnt(0)
	; wave barrier
	buffer_load_dword v99, off, s[0:3], 0 offset:208
	buffer_load_dword v100, off, s[0:3], 0 offset:212
	;; [unrolled: 1-line block ×22, first 2 shown]
	ds_read_b128 v[91:94], v90 offset:560
	ds_read_b128 v[95:98], v90 offset:576
	v_cmp_lt_u32_e32 vcc, 24, v0
	s_waitcnt vmcnt(20) lgkmcnt(1)
	v_fma_f64 v[91:92], v[99:100], v[91:92], 0
	s_waitcnt vmcnt(18)
	v_fma_f64 v[91:92], v[101:102], v[93:94], v[91:92]
	buffer_load_dword v100, off, s[0:3], 0 offset:300
	buffer_load_dword v101, off, s[0:3], 0 offset:320
	;; [unrolled: 1-line block ×7, first 2 shown]
	s_waitcnt vmcnt(23) lgkmcnt(0)
	v_fma_f64 v[91:92], v[103:104], v[95:96], v[91:92]
	s_waitcnt vmcnt(21)
	v_fma_f64 v[102:103], v[105:106], v[97:98], v[91:92]
	ds_read_b128 v[91:94], v90 offset:592
	ds_read_b128 v[95:98], v90 offset:608
	s_waitcnt vmcnt(19) lgkmcnt(1)
	v_fma_f64 v[91:92], v[107:108], v[91:92], v[102:103]
	buffer_load_dword v102, off, s[0:3], 0 offset:324
	buffer_load_dword v104, off, s[0:3], 0 offset:332
	;; [unrolled: 1-line block ×7, first 2 shown]
	s_waitcnt vmcnt(24)
	v_fma_f64 v[91:92], v[109:110], v[93:94], v[91:92]
	s_waitcnt vmcnt(22) lgkmcnt(0)
	v_fma_f64 v[91:92], v[111:112], v[95:96], v[91:92]
	s_waitcnt vmcnt(17)
	v_fma_f64 v[109:110], v[113:114], v[97:98], v[91:92]
	ds_read_b128 v[91:94], v90 offset:624
	buffer_load_dword v111, off, s[0:3], 0 offset:200
	buffer_load_dword v112, off, s[0:3], 0 offset:204
	ds_read_b128 v[95:98], v90 offset:640
	s_waitcnt vmcnt(18) lgkmcnt(1)
	v_fma_f64 v[91:92], v[119:120], v[91:92], v[109:110]
	s_waitcnt vmcnt(17)
	v_fma_f64 v[91:92], v[117:118], v[93:94], v[91:92]
	s_waitcnt vmcnt(16) lgkmcnt(0)
	v_fma_f64 v[91:92], v[115:116], v[95:96], v[91:92]
	s_waitcnt vmcnt(11)
	v_fma_f64 v[99:100], v[99:100], v[97:98], v[91:92]
	ds_read_b128 v[91:94], v90 offset:656
	ds_read_b128 v[95:98], v90 offset:672
	s_waitcnt vmcnt(10) lgkmcnt(1)
	v_fma_f64 v[91:92], v[123:124], v[91:92], v[99:100]
	s_waitcnt vmcnt(9)
	v_fma_f64 v[91:92], v[121:122], v[93:94], v[91:92]
	s_waitcnt vmcnt(8) lgkmcnt(0)
	v_fma_f64 v[91:92], v[101:102], v[95:96], v[91:92]
	s_waitcnt vmcnt(4)
	v_fma_f64 v[94:95], v[103:104], v[97:98], v[91:92]
	ds_read_b128 v[90:93], v90 offset:688
	s_waitcnt vmcnt(3) lgkmcnt(0)
	v_fma_f64 v[90:91], v[107:108], v[90:91], v[94:95]
	s_waitcnt vmcnt(2)
	v_fma_f64 v[90:91], v[105:106], v[92:93], v[90:91]
	s_waitcnt vmcnt(0)
	v_add_f64 v[90:91], v[111:112], -v[90:91]
	buffer_store_dword v91, off, s[0:3], 0 offset:204
	buffer_store_dword v90, off, s[0:3], 0 offset:200
	s_and_saveexec_b64 s[4:5], vcc
	s_cbranch_execz .LBB107_223
; %bb.222:
	buffer_load_dword v90, off, s[0:3], 0 offset:192
	buffer_load_dword v91, off, s[0:3], 0 offset:196
	v_mov_b32_e32 v92, 0
	buffer_store_dword v92, off, s[0:3], 0 offset:192
	buffer_store_dword v92, off, s[0:3], 0 offset:196
	s_waitcnt vmcnt(2)
	ds_write_b64 v89, v[90:91]
.LBB107_223:
	s_or_b64 exec, exec, s[4:5]
	s_waitcnt lgkmcnt(0)
	; wave barrier
	buffer_load_dword v99, off, s[0:3], 0 offset:200
	buffer_load_dword v100, off, s[0:3], 0 offset:204
	;; [unrolled: 1-line block ×22, first 2 shown]
	v_mov_b32_e32 v90, 0
	ds_read2_b64 v[91:94], v90 offset0:69 offset1:70
	ds_read2_b64 v[95:98], v90 offset0:71 offset1:72
	v_cmp_lt_u32_e32 vcc, 23, v0
	s_waitcnt vmcnt(20) lgkmcnt(1)
	v_fma_f64 v[91:92], v[99:100], v[91:92], 0
	s_waitcnt vmcnt(18)
	v_fma_f64 v[91:92], v[101:102], v[93:94], v[91:92]
	buffer_load_dword v100, off, s[0:3], 0 offset:292
	buffer_load_dword v101, off, s[0:3], 0 offset:312
	;; [unrolled: 1-line block ×7, first 2 shown]
	s_waitcnt vmcnt(23) lgkmcnt(0)
	v_fma_f64 v[91:92], v[103:104], v[95:96], v[91:92]
	s_waitcnt vmcnt(21)
	v_fma_f64 v[102:103], v[105:106], v[97:98], v[91:92]
	ds_read2_b64 v[91:94], v90 offset0:73 offset1:74
	ds_read2_b64 v[95:98], v90 offset0:75 offset1:76
	s_waitcnt vmcnt(19) lgkmcnt(1)
	v_fma_f64 v[91:92], v[107:108], v[91:92], v[102:103]
	buffer_load_dword v102, off, s[0:3], 0 offset:316
	s_waitcnt vmcnt(18)
	v_fma_f64 v[91:92], v[109:110], v[93:94], v[91:92]
	buffer_load_dword v104, off, s[0:3], 0 offset:324
	buffer_load_dword v105, off, s[0:3], 0 offset:344
	;; [unrolled: 1-line block ×8, first 2 shown]
	s_waitcnt vmcnt(24) lgkmcnt(0)
	v_fma_f64 v[91:92], v[111:112], v[95:96], v[91:92]
	s_waitcnt vmcnt(19)
	v_fma_f64 v[111:112], v[113:114], v[97:98], v[91:92]
	ds_read2_b64 v[91:94], v90 offset0:77 offset1:78
	ds_read2_b64 v[95:98], v90 offset0:79 offset1:80
	s_waitcnt vmcnt(18) lgkmcnt(1)
	v_fma_f64 v[91:92], v[119:120], v[91:92], v[111:112]
	buffer_load_dword v111, off, s[0:3], 0 offset:192
	buffer_load_dword v112, off, s[0:3], 0 offset:196
	s_waitcnt vmcnt(19)
	v_fma_f64 v[91:92], v[117:118], v[93:94], v[91:92]
	s_waitcnt vmcnt(18) lgkmcnt(0)
	v_fma_f64 v[91:92], v[115:116], v[95:96], v[91:92]
	s_waitcnt vmcnt(13)
	v_fma_f64 v[99:100], v[99:100], v[97:98], v[91:92]
	ds_read2_b64 v[91:94], v90 offset0:81 offset1:82
	ds_read2_b64 v[95:98], v90 offset0:83 offset1:84
	s_waitcnt vmcnt(12) lgkmcnt(1)
	v_fma_f64 v[91:92], v[123:124], v[91:92], v[99:100]
	s_waitcnt vmcnt(11)
	v_fma_f64 v[91:92], v[121:122], v[93:94], v[91:92]
	s_waitcnt vmcnt(10) lgkmcnt(0)
	v_fma_f64 v[91:92], v[101:102], v[95:96], v[91:92]
	s_waitcnt vmcnt(5)
	v_fma_f64 v[95:96], v[103:104], v[97:98], v[91:92]
	ds_read2_b64 v[91:94], v90 offset0:85 offset1:86
	ds_read_b64 v[97:98], v90 offset:696
	s_waitcnt vmcnt(4) lgkmcnt(1)
	v_fma_f64 v[91:92], v[109:110], v[91:92], v[95:96]
	s_waitcnt vmcnt(3)
	v_fma_f64 v[91:92], v[107:108], v[93:94], v[91:92]
	s_waitcnt vmcnt(2) lgkmcnt(0)
	v_fma_f64 v[91:92], v[105:106], v[97:98], v[91:92]
	s_waitcnt vmcnt(0)
	v_add_f64 v[91:92], v[111:112], -v[91:92]
	buffer_store_dword v92, off, s[0:3], 0 offset:196
	buffer_store_dword v91, off, s[0:3], 0 offset:192
	s_and_saveexec_b64 s[4:5], vcc
	s_cbranch_execz .LBB107_225
; %bb.224:
	buffer_load_dword v91, off, s[0:3], 0 offset:184
	buffer_load_dword v92, off, s[0:3], 0 offset:188
	s_waitcnt vmcnt(0)
	ds_write_b64 v89, v[91:92]
	buffer_store_dword v90, off, s[0:3], 0 offset:184
	buffer_store_dword v90, off, s[0:3], 0 offset:188
.LBB107_225:
	s_or_b64 exec, exec, s[4:5]
	s_waitcnt lgkmcnt(0)
	; wave barrier
	buffer_load_dword v99, off, s[0:3], 0 offset:192
	buffer_load_dword v100, off, s[0:3], 0 offset:196
	;; [unrolled: 1-line block ×22, first 2 shown]
	ds_read_b128 v[91:94], v90 offset:544
	ds_read_b128 v[95:98], v90 offset:560
	v_cmp_lt_u32_e32 vcc, 22, v0
	s_waitcnt vmcnt(20) lgkmcnt(1)
	v_fma_f64 v[91:92], v[99:100], v[91:92], 0
	s_waitcnt vmcnt(18)
	v_fma_f64 v[91:92], v[101:102], v[93:94], v[91:92]
	buffer_load_dword v100, off, s[0:3], 0 offset:284
	buffer_load_dword v101, off, s[0:3], 0 offset:304
	;; [unrolled: 1-line block ×7, first 2 shown]
	s_waitcnt vmcnt(23) lgkmcnt(0)
	v_fma_f64 v[91:92], v[103:104], v[95:96], v[91:92]
	s_waitcnt vmcnt(21)
	v_fma_f64 v[102:103], v[105:106], v[97:98], v[91:92]
	ds_read_b128 v[91:94], v90 offset:576
	ds_read_b128 v[95:98], v90 offset:592
	s_waitcnt vmcnt(19) lgkmcnt(1)
	v_fma_f64 v[91:92], v[107:108], v[91:92], v[102:103]
	buffer_load_dword v102, off, s[0:3], 0 offset:308
	s_waitcnt vmcnt(18)
	v_fma_f64 v[91:92], v[109:110], v[93:94], v[91:92]
	buffer_load_dword v104, off, s[0:3], 0 offset:316
	buffer_load_dword v105, off, s[0:3], 0 offset:336
	;; [unrolled: 1-line block ×8, first 2 shown]
	s_waitcnt vmcnt(24) lgkmcnt(0)
	v_fma_f64 v[91:92], v[111:112], v[95:96], v[91:92]
	s_waitcnt vmcnt(19)
	v_fma_f64 v[111:112], v[113:114], v[97:98], v[91:92]
	ds_read_b128 v[91:94], v90 offset:608
	ds_read_b128 v[95:98], v90 offset:624
	s_waitcnt vmcnt(18) lgkmcnt(1)
	v_fma_f64 v[91:92], v[119:120], v[91:92], v[111:112]
	buffer_load_dword v112, off, s[0:3], 0 offset:348
	buffer_load_dword v111, off, s[0:3], 0 offset:344
	;; [unrolled: 1-line block ×4, first 2 shown]
	s_waitcnt vmcnt(21)
	v_fma_f64 v[91:92], v[117:118], v[93:94], v[91:92]
	s_waitcnt vmcnt(20) lgkmcnt(0)
	v_fma_f64 v[91:92], v[115:116], v[95:96], v[91:92]
	s_waitcnt vmcnt(15)
	v_fma_f64 v[99:100], v[99:100], v[97:98], v[91:92]
	ds_read_b128 v[91:94], v90 offset:640
	ds_read_b128 v[95:98], v90 offset:656
	s_waitcnt vmcnt(14) lgkmcnt(1)
	v_fma_f64 v[91:92], v[123:124], v[91:92], v[99:100]
	s_waitcnt vmcnt(13)
	v_fma_f64 v[91:92], v[121:122], v[93:94], v[91:92]
	s_waitcnt vmcnt(12) lgkmcnt(0)
	v_fma_f64 v[91:92], v[101:102], v[95:96], v[91:92]
	s_waitcnt vmcnt(7)
	v_fma_f64 v[99:100], v[103:104], v[97:98], v[91:92]
	ds_read_b128 v[91:94], v90 offset:672
	ds_read_b128 v[95:98], v90 offset:688
	s_waitcnt vmcnt(6) lgkmcnt(1)
	v_fma_f64 v[90:91], v[109:110], v[91:92], v[99:100]
	s_waitcnt vmcnt(5)
	v_fma_f64 v[90:91], v[107:108], v[93:94], v[90:91]
	s_waitcnt vmcnt(4) lgkmcnt(0)
	v_fma_f64 v[90:91], v[105:106], v[95:96], v[90:91]
	s_waitcnt vmcnt(2)
	v_fma_f64 v[90:91], v[111:112], v[97:98], v[90:91]
	s_waitcnt vmcnt(0)
	v_add_f64 v[90:91], v[113:114], -v[90:91]
	buffer_store_dword v91, off, s[0:3], 0 offset:188
	buffer_store_dword v90, off, s[0:3], 0 offset:184
	s_and_saveexec_b64 s[4:5], vcc
	s_cbranch_execz .LBB107_227
; %bb.226:
	buffer_load_dword v90, off, s[0:3], 0 offset:176
	buffer_load_dword v91, off, s[0:3], 0 offset:180
	v_mov_b32_e32 v92, 0
	buffer_store_dword v92, off, s[0:3], 0 offset:176
	buffer_store_dword v92, off, s[0:3], 0 offset:180
	s_waitcnt vmcnt(2)
	ds_write_b64 v89, v[90:91]
.LBB107_227:
	s_or_b64 exec, exec, s[4:5]
	s_waitcnt lgkmcnt(0)
	; wave barrier
	buffer_load_dword v99, off, s[0:3], 0 offset:184
	buffer_load_dword v100, off, s[0:3], 0 offset:188
	buffer_load_dword v101, off, s[0:3], 0 offset:192
	buffer_load_dword v102, off, s[0:3], 0 offset:196
	buffer_load_dword v103, off, s[0:3], 0 offset:200
	buffer_load_dword v104, off, s[0:3], 0 offset:204
	buffer_load_dword v105, off, s[0:3], 0 offset:208
	buffer_load_dword v106, off, s[0:3], 0 offset:212
	buffer_load_dword v107, off, s[0:3], 0 offset:216
	buffer_load_dword v108, off, s[0:3], 0 offset:220
	buffer_load_dword v109, off, s[0:3], 0 offset:224
	buffer_load_dword v110, off, s[0:3], 0 offset:228
	buffer_load_dword v111, off, s[0:3], 0 offset:232
	buffer_load_dword v112, off, s[0:3], 0 offset:236
	buffer_load_dword v114, off, s[0:3], 0 offset:244
	buffer_load_dword v115, off, s[0:3], 0 offset:264
	buffer_load_dword v117, off, s[0:3], 0 offset:256
	buffer_load_dword v119, off, s[0:3], 0 offset:248
	buffer_load_dword v113, off, s[0:3], 0 offset:240
	buffer_load_dword v120, off, s[0:3], 0 offset:252
	buffer_load_dword v118, off, s[0:3], 0 offset:260
	v_mov_b32_e32 v90, 0
	ds_read2_b64 v[91:94], v90 offset0:67 offset1:68
	ds_read2_b64 v[95:98], v90 offset0:69 offset1:70
	buffer_load_dword v116, off, s[0:3], 0 offset:268
	v_cmp_lt_u32_e32 vcc, 21, v0
	s_waitcnt vmcnt(20) lgkmcnt(1)
	v_fma_f64 v[91:92], v[99:100], v[91:92], 0
	s_waitcnt vmcnt(18)
	v_fma_f64 v[91:92], v[101:102], v[93:94], v[91:92]
	buffer_load_dword v100, off, s[0:3], 0 offset:276
	buffer_load_dword v101, off, s[0:3], 0 offset:296
	;; [unrolled: 1-line block ×7, first 2 shown]
	s_waitcnt vmcnt(23) lgkmcnt(0)
	v_fma_f64 v[91:92], v[103:104], v[95:96], v[91:92]
	s_waitcnt vmcnt(21)
	v_fma_f64 v[102:103], v[105:106], v[97:98], v[91:92]
	ds_read2_b64 v[91:94], v90 offset0:71 offset1:72
	ds_read2_b64 v[95:98], v90 offset0:73 offset1:74
	s_waitcnt vmcnt(19) lgkmcnt(1)
	v_fma_f64 v[91:92], v[107:108], v[91:92], v[102:103]
	buffer_load_dword v102, off, s[0:3], 0 offset:300
	s_waitcnt vmcnt(18)
	v_fma_f64 v[91:92], v[109:110], v[93:94], v[91:92]
	buffer_load_dword v104, off, s[0:3], 0 offset:308
	buffer_load_dword v105, off, s[0:3], 0 offset:328
	;; [unrolled: 1-line block ×7, first 2 shown]
	s_waitcnt vmcnt(23) lgkmcnt(0)
	v_fma_f64 v[91:92], v[111:112], v[95:96], v[91:92]
	s_waitcnt vmcnt(18)
	v_fma_f64 v[111:112], v[113:114], v[97:98], v[91:92]
	ds_read2_b64 v[91:94], v90 offset0:75 offset1:76
	ds_read2_b64 v[95:98], v90 offset0:77 offset1:78
	buffer_load_dword v106, off, s[0:3], 0 offset:332
	s_waitcnt vmcnt(18) lgkmcnt(1)
	v_fma_f64 v[91:92], v[119:120], v[91:92], v[111:112]
	buffer_load_dword v112, off, s[0:3], 0 offset:340
	buffer_load_dword v113, off, s[0:3], 0 offset:344
	;; [unrolled: 1-line block ×4, first 2 shown]
	s_waitcnt vmcnt(21)
	v_fma_f64 v[91:92], v[117:118], v[93:94], v[91:92]
	s_waitcnt vmcnt(20) lgkmcnt(0)
	v_fma_f64 v[91:92], v[115:116], v[95:96], v[91:92]
	buffer_load_dword v115, off, s[0:3], 0 offset:176
	buffer_load_dword v116, off, s[0:3], 0 offset:180
	s_waitcnt vmcnt(17)
	v_fma_f64 v[99:100], v[99:100], v[97:98], v[91:92]
	ds_read2_b64 v[91:94], v90 offset0:79 offset1:80
	ds_read2_b64 v[95:98], v90 offset0:81 offset1:82
	s_waitcnt vmcnt(16) lgkmcnt(1)
	v_fma_f64 v[91:92], v[123:124], v[91:92], v[99:100]
	s_waitcnt vmcnt(15)
	v_fma_f64 v[91:92], v[121:122], v[93:94], v[91:92]
	s_waitcnt vmcnt(14) lgkmcnt(0)
	v_fma_f64 v[91:92], v[101:102], v[95:96], v[91:92]
	s_waitcnt vmcnt(9)
	v_fma_f64 v[99:100], v[103:104], v[97:98], v[91:92]
	ds_read2_b64 v[91:94], v90 offset0:83 offset1:84
	ds_read2_b64 v[95:98], v90 offset0:85 offset1:86
	s_waitcnt vmcnt(8) lgkmcnt(1)
	v_fma_f64 v[91:92], v[109:110], v[91:92], v[99:100]
	s_waitcnt vmcnt(7)
	v_fma_f64 v[91:92], v[107:108], v[93:94], v[91:92]
	ds_read_b64 v[93:94], v90 offset:696
	s_waitcnt vmcnt(6) lgkmcnt(1)
	v_fma_f64 v[91:92], v[105:106], v[95:96], v[91:92]
	s_waitcnt vmcnt(3)
	v_fma_f64 v[91:92], v[111:112], v[97:98], v[91:92]
	s_waitcnt vmcnt(2) lgkmcnt(0)
	v_fma_f64 v[91:92], v[113:114], v[93:94], v[91:92]
	s_waitcnt vmcnt(0)
	v_add_f64 v[91:92], v[115:116], -v[91:92]
	buffer_store_dword v92, off, s[0:3], 0 offset:180
	buffer_store_dword v91, off, s[0:3], 0 offset:176
	s_and_saveexec_b64 s[4:5], vcc
	s_cbranch_execz .LBB107_229
; %bb.228:
	buffer_load_dword v91, off, s[0:3], 0 offset:168
	buffer_load_dword v92, off, s[0:3], 0 offset:172
	s_waitcnt vmcnt(0)
	ds_write_b64 v89, v[91:92]
	buffer_store_dword v90, off, s[0:3], 0 offset:168
	buffer_store_dword v90, off, s[0:3], 0 offset:172
.LBB107_229:
	s_or_b64 exec, exec, s[4:5]
	s_waitcnt lgkmcnt(0)
	; wave barrier
	buffer_load_dword v99, off, s[0:3], 0 offset:176
	buffer_load_dword v100, off, s[0:3], 0 offset:180
	;; [unrolled: 1-line block ×21, first 2 shown]
	ds_read_b128 v[91:94], v90 offset:528
	ds_read_b128 v[95:98], v90 offset:544
	buffer_load_dword v116, off, s[0:3], 0 offset:260
	v_cmp_lt_u32_e32 vcc, 20, v0
	s_waitcnt vmcnt(20) lgkmcnt(1)
	v_fma_f64 v[91:92], v[99:100], v[91:92], 0
	s_waitcnt vmcnt(18)
	v_fma_f64 v[91:92], v[101:102], v[93:94], v[91:92]
	buffer_load_dword v100, off, s[0:3], 0 offset:268
	buffer_load_dword v101, off, s[0:3], 0 offset:288
	;; [unrolled: 1-line block ×7, first 2 shown]
	s_waitcnt vmcnt(23) lgkmcnt(0)
	v_fma_f64 v[91:92], v[103:104], v[95:96], v[91:92]
	s_waitcnt vmcnt(21)
	v_fma_f64 v[102:103], v[105:106], v[97:98], v[91:92]
	ds_read_b128 v[91:94], v90 offset:560
	ds_read_b128 v[95:98], v90 offset:576
	s_waitcnt vmcnt(19) lgkmcnt(1)
	v_fma_f64 v[91:92], v[107:108], v[91:92], v[102:103]
	buffer_load_dword v102, off, s[0:3], 0 offset:292
	s_waitcnt vmcnt(18)
	v_fma_f64 v[91:92], v[109:110], v[93:94], v[91:92]
	buffer_load_dword v104, off, s[0:3], 0 offset:300
	buffer_load_dword v105, off, s[0:3], 0 offset:320
	;; [unrolled: 1-line block ×8, first 2 shown]
	s_waitcnt vmcnt(24) lgkmcnt(0)
	v_fma_f64 v[91:92], v[111:112], v[95:96], v[91:92]
	s_waitcnt vmcnt(19)
	v_fma_f64 v[111:112], v[113:114], v[97:98], v[91:92]
	ds_read_b128 v[91:94], v90 offset:592
	ds_read_b128 v[95:98], v90 offset:608
	s_waitcnt vmcnt(18) lgkmcnt(1)
	v_fma_f64 v[91:92], v[119:120], v[91:92], v[111:112]
	s_waitcnt vmcnt(17)
	v_fma_f64 v[91:92], v[117:118], v[93:94], v[91:92]
	buffer_load_dword v112, off, s[0:3], 0 offset:332
	buffer_load_dword v113, off, s[0:3], 0 offset:344
	;; [unrolled: 1-line block ×6, first 2 shown]
	s_waitcnt vmcnt(22) lgkmcnt(0)
	v_fma_f64 v[91:92], v[115:116], v[95:96], v[91:92]
	s_waitcnt vmcnt(17)
	v_fma_f64 v[99:100], v[99:100], v[97:98], v[91:92]
	ds_read_b128 v[91:94], v90 offset:624
	buffer_load_dword v115, off, s[0:3], 0 offset:168
	buffer_load_dword v116, off, s[0:3], 0 offset:172
	ds_read_b128 v[95:98], v90 offset:640
	s_waitcnt vmcnt(18) lgkmcnt(1)
	v_fma_f64 v[91:92], v[123:124], v[91:92], v[99:100]
	s_waitcnt vmcnt(17)
	v_fma_f64 v[91:92], v[121:122], v[93:94], v[91:92]
	s_waitcnt vmcnt(16) lgkmcnt(0)
	v_fma_f64 v[91:92], v[101:102], v[95:96], v[91:92]
	s_waitcnt vmcnt(11)
	v_fma_f64 v[99:100], v[103:104], v[97:98], v[91:92]
	ds_read_b128 v[91:94], v90 offset:656
	ds_read_b128 v[95:98], v90 offset:672
	s_waitcnt vmcnt(10) lgkmcnt(1)
	v_fma_f64 v[91:92], v[109:110], v[91:92], v[99:100]
	s_waitcnt vmcnt(9)
	v_fma_f64 v[91:92], v[107:108], v[93:94], v[91:92]
	s_waitcnt vmcnt(8) lgkmcnt(0)
	v_fma_f64 v[91:92], v[105:106], v[95:96], v[91:92]
	s_waitcnt vmcnt(4)
	v_fma_f64 v[94:95], v[111:112], v[97:98], v[91:92]
	ds_read_b128 v[90:93], v90 offset:688
	s_waitcnt vmcnt(3) lgkmcnt(0)
	v_fma_f64 v[90:91], v[117:118], v[90:91], v[94:95]
	s_waitcnt vmcnt(2)
	v_fma_f64 v[90:91], v[113:114], v[92:93], v[90:91]
	s_waitcnt vmcnt(0)
	v_add_f64 v[90:91], v[115:116], -v[90:91]
	buffer_store_dword v91, off, s[0:3], 0 offset:172
	buffer_store_dword v90, off, s[0:3], 0 offset:168
	s_and_saveexec_b64 s[4:5], vcc
	s_cbranch_execz .LBB107_231
; %bb.230:
	buffer_load_dword v90, off, s[0:3], 0 offset:160
	buffer_load_dword v91, off, s[0:3], 0 offset:164
	v_mov_b32_e32 v92, 0
	buffer_store_dword v92, off, s[0:3], 0 offset:160
	buffer_store_dword v92, off, s[0:3], 0 offset:164
	s_waitcnt vmcnt(2)
	ds_write_b64 v89, v[90:91]
.LBB107_231:
	s_or_b64 exec, exec, s[4:5]
	s_waitcnt lgkmcnt(0)
	; wave barrier
	buffer_load_dword v99, off, s[0:3], 0 offset:168
	buffer_load_dword v100, off, s[0:3], 0 offset:172
	;; [unrolled: 1-line block ×21, first 2 shown]
	v_mov_b32_e32 v90, 0
	ds_read2_b64 v[91:94], v90 offset0:65 offset1:66
	ds_read2_b64 v[95:98], v90 offset0:67 offset1:68
	buffer_load_dword v116, off, s[0:3], 0 offset:252
	v_cmp_lt_u32_e32 vcc, 19, v0
	s_waitcnt vmcnt(20) lgkmcnt(1)
	v_fma_f64 v[91:92], v[99:100], v[91:92], 0
	s_waitcnt vmcnt(18)
	v_fma_f64 v[91:92], v[101:102], v[93:94], v[91:92]
	buffer_load_dword v100, off, s[0:3], 0 offset:260
	buffer_load_dword v101, off, s[0:3], 0 offset:280
	;; [unrolled: 1-line block ×7, first 2 shown]
	s_waitcnt vmcnt(23) lgkmcnt(0)
	v_fma_f64 v[91:92], v[103:104], v[95:96], v[91:92]
	s_waitcnt vmcnt(21)
	v_fma_f64 v[102:103], v[105:106], v[97:98], v[91:92]
	ds_read2_b64 v[91:94], v90 offset0:69 offset1:70
	ds_read2_b64 v[95:98], v90 offset0:71 offset1:72
	s_waitcnt vmcnt(19) lgkmcnt(1)
	v_fma_f64 v[91:92], v[107:108], v[91:92], v[102:103]
	buffer_load_dword v102, off, s[0:3], 0 offset:284
	s_waitcnt vmcnt(18)
	v_fma_f64 v[91:92], v[109:110], v[93:94], v[91:92]
	buffer_load_dword v104, off, s[0:3], 0 offset:292
	buffer_load_dword v105, off, s[0:3], 0 offset:312
	buffer_load_dword v107, off, s[0:3], 0 offset:304
	buffer_load_dword v109, off, s[0:3], 0 offset:296
	buffer_load_dword v103, off, s[0:3], 0 offset:288
	buffer_load_dword v110, off, s[0:3], 0 offset:300
	buffer_load_dword v108, off, s[0:3], 0 offset:308
	buffer_load_dword v106, off, s[0:3], 0 offset:316
	s_waitcnt vmcnt(24) lgkmcnt(0)
	v_fma_f64 v[91:92], v[111:112], v[95:96], v[91:92]
	s_waitcnt vmcnt(19)
	v_fma_f64 v[111:112], v[113:114], v[97:98], v[91:92]
	ds_read2_b64 v[91:94], v90 offset0:73 offset1:74
	ds_read2_b64 v[95:98], v90 offset0:75 offset1:76
	s_waitcnt vmcnt(18) lgkmcnt(1)
	v_fma_f64 v[91:92], v[119:120], v[91:92], v[111:112]
	s_waitcnt vmcnt(17)
	v_fma_f64 v[91:92], v[117:118], v[93:94], v[91:92]
	buffer_load_dword v112, off, s[0:3], 0 offset:324
	buffer_load_dword v113, off, s[0:3], 0 offset:344
	;; [unrolled: 1-line block ×8, first 2 shown]
	s_waitcnt vmcnt(24) lgkmcnt(0)
	v_fma_f64 v[91:92], v[115:116], v[95:96], v[91:92]
	s_waitcnt vmcnt(19)
	v_fma_f64 v[99:100], v[99:100], v[97:98], v[91:92]
	ds_read2_b64 v[91:94], v90 offset0:77 offset1:78
	ds_read2_b64 v[95:98], v90 offset0:79 offset1:80
	s_waitcnt vmcnt(18) lgkmcnt(1)
	v_fma_f64 v[91:92], v[123:124], v[91:92], v[99:100]
	buffer_load_dword v99, off, s[0:3], 0 offset:160
	buffer_load_dword v100, off, s[0:3], 0 offset:164
	s_waitcnt vmcnt(19)
	v_fma_f64 v[91:92], v[121:122], v[93:94], v[91:92]
	s_waitcnt vmcnt(18) lgkmcnt(0)
	v_fma_f64 v[91:92], v[101:102], v[95:96], v[91:92]
	s_waitcnt vmcnt(13)
	v_fma_f64 v[101:102], v[103:104], v[97:98], v[91:92]
	ds_read2_b64 v[91:94], v90 offset0:81 offset1:82
	ds_read2_b64 v[95:98], v90 offset0:83 offset1:84
	s_waitcnt vmcnt(12) lgkmcnt(1)
	v_fma_f64 v[91:92], v[109:110], v[91:92], v[101:102]
	s_waitcnt vmcnt(11)
	v_fma_f64 v[91:92], v[107:108], v[93:94], v[91:92]
	s_waitcnt vmcnt(10) lgkmcnt(0)
	v_fma_f64 v[91:92], v[105:106], v[95:96], v[91:92]
	s_waitcnt vmcnt(5)
	v_fma_f64 v[95:96], v[111:112], v[97:98], v[91:92]
	ds_read2_b64 v[91:94], v90 offset0:85 offset1:86
	ds_read_b64 v[97:98], v90 offset:696
	s_waitcnt vmcnt(4) lgkmcnt(1)
	v_fma_f64 v[91:92], v[119:120], v[91:92], v[95:96]
	s_waitcnt vmcnt(3)
	v_fma_f64 v[91:92], v[117:118], v[93:94], v[91:92]
	s_waitcnt vmcnt(2) lgkmcnt(0)
	v_fma_f64 v[91:92], v[113:114], v[97:98], v[91:92]
	s_waitcnt vmcnt(0)
	v_add_f64 v[91:92], v[99:100], -v[91:92]
	buffer_store_dword v92, off, s[0:3], 0 offset:164
	buffer_store_dword v91, off, s[0:3], 0 offset:160
	s_and_saveexec_b64 s[4:5], vcc
	s_cbranch_execz .LBB107_233
; %bb.232:
	buffer_load_dword v91, off, s[0:3], 0 offset:152
	buffer_load_dword v92, off, s[0:3], 0 offset:156
	s_waitcnt vmcnt(0)
	ds_write_b64 v89, v[91:92]
	buffer_store_dword v90, off, s[0:3], 0 offset:152
	buffer_store_dword v90, off, s[0:3], 0 offset:156
.LBB107_233:
	s_or_b64 exec, exec, s[4:5]
	s_waitcnt lgkmcnt(0)
	; wave barrier
	buffer_load_dword v99, off, s[0:3], 0 offset:160
	buffer_load_dword v100, off, s[0:3], 0 offset:164
	;; [unrolled: 1-line block ×21, first 2 shown]
	ds_read_b128 v[91:94], v90 offset:512
	ds_read_b128 v[95:98], v90 offset:528
	buffer_load_dword v116, off, s[0:3], 0 offset:244
	v_cmp_lt_u32_e32 vcc, 18, v0
	s_waitcnt vmcnt(20) lgkmcnt(1)
	v_fma_f64 v[91:92], v[99:100], v[91:92], 0
	s_waitcnt vmcnt(18)
	v_fma_f64 v[91:92], v[101:102], v[93:94], v[91:92]
	buffer_load_dword v100, off, s[0:3], 0 offset:252
	buffer_load_dword v101, off, s[0:3], 0 offset:272
	;; [unrolled: 1-line block ×7, first 2 shown]
	s_waitcnt vmcnt(23) lgkmcnt(0)
	v_fma_f64 v[91:92], v[103:104], v[95:96], v[91:92]
	s_waitcnt vmcnt(21)
	v_fma_f64 v[102:103], v[105:106], v[97:98], v[91:92]
	ds_read_b128 v[91:94], v90 offset:544
	ds_read_b128 v[95:98], v90 offset:560
	s_waitcnt vmcnt(19) lgkmcnt(1)
	v_fma_f64 v[91:92], v[107:108], v[91:92], v[102:103]
	buffer_load_dword v102, off, s[0:3], 0 offset:276
	s_waitcnt vmcnt(18)
	v_fma_f64 v[91:92], v[109:110], v[93:94], v[91:92]
	buffer_load_dword v104, off, s[0:3], 0 offset:284
	buffer_load_dword v105, off, s[0:3], 0 offset:304
	;; [unrolled: 1-line block ×8, first 2 shown]
	s_waitcnt vmcnt(24) lgkmcnt(0)
	v_fma_f64 v[91:92], v[111:112], v[95:96], v[91:92]
	s_waitcnt vmcnt(19)
	v_fma_f64 v[111:112], v[113:114], v[97:98], v[91:92]
	ds_read_b128 v[91:94], v90 offset:576
	ds_read_b128 v[95:98], v90 offset:592
	s_waitcnt vmcnt(18) lgkmcnt(1)
	v_fma_f64 v[91:92], v[119:120], v[91:92], v[111:112]
	s_waitcnt vmcnt(17)
	v_fma_f64 v[91:92], v[117:118], v[93:94], v[91:92]
	buffer_load_dword v112, off, s[0:3], 0 offset:316
	buffer_load_dword v113, off, s[0:3], 0 offset:336
	;; [unrolled: 1-line block ×8, first 2 shown]
	s_waitcnt vmcnt(24) lgkmcnt(0)
	v_fma_f64 v[91:92], v[115:116], v[95:96], v[91:92]
	s_waitcnt vmcnt(19)
	v_fma_f64 v[99:100], v[99:100], v[97:98], v[91:92]
	ds_read_b128 v[91:94], v90 offset:608
	ds_read_b128 v[95:98], v90 offset:624
	s_waitcnt vmcnt(18) lgkmcnt(1)
	v_fma_f64 v[91:92], v[123:124], v[91:92], v[99:100]
	buffer_load_dword v100, off, s[0:3], 0 offset:348
	buffer_load_dword v99, off, s[0:3], 0 offset:344
	;; [unrolled: 1-line block ×4, first 2 shown]
	s_waitcnt vmcnt(21)
	v_fma_f64 v[91:92], v[121:122], v[93:94], v[91:92]
	s_waitcnt vmcnt(20) lgkmcnt(0)
	v_fma_f64 v[91:92], v[101:102], v[95:96], v[91:92]
	s_waitcnt vmcnt(15)
	v_fma_f64 v[101:102], v[103:104], v[97:98], v[91:92]
	ds_read_b128 v[91:94], v90 offset:640
	ds_read_b128 v[95:98], v90 offset:656
	s_waitcnt vmcnt(14) lgkmcnt(1)
	v_fma_f64 v[91:92], v[109:110], v[91:92], v[101:102]
	s_waitcnt vmcnt(13)
	v_fma_f64 v[91:92], v[107:108], v[93:94], v[91:92]
	s_waitcnt vmcnt(12) lgkmcnt(0)
	v_fma_f64 v[91:92], v[105:106], v[95:96], v[91:92]
	s_waitcnt vmcnt(7)
	v_fma_f64 v[101:102], v[111:112], v[97:98], v[91:92]
	ds_read_b128 v[91:94], v90 offset:672
	ds_read_b128 v[95:98], v90 offset:688
	s_waitcnt vmcnt(6) lgkmcnt(1)
	v_fma_f64 v[90:91], v[119:120], v[91:92], v[101:102]
	s_waitcnt vmcnt(5)
	v_fma_f64 v[90:91], v[117:118], v[93:94], v[90:91]
	s_waitcnt vmcnt(4) lgkmcnt(0)
	v_fma_f64 v[90:91], v[113:114], v[95:96], v[90:91]
	s_waitcnt vmcnt(2)
	v_fma_f64 v[90:91], v[99:100], v[97:98], v[90:91]
	s_waitcnt vmcnt(0)
	v_add_f64 v[90:91], v[115:116], -v[90:91]
	buffer_store_dword v91, off, s[0:3], 0 offset:156
	buffer_store_dword v90, off, s[0:3], 0 offset:152
	s_and_saveexec_b64 s[4:5], vcc
	s_cbranch_execz .LBB107_235
; %bb.234:
	buffer_load_dword v90, off, s[0:3], 0 offset:144
	buffer_load_dword v91, off, s[0:3], 0 offset:148
	v_mov_b32_e32 v92, 0
	buffer_store_dword v92, off, s[0:3], 0 offset:144
	buffer_store_dword v92, off, s[0:3], 0 offset:148
	s_waitcnt vmcnt(2)
	ds_write_b64 v89, v[90:91]
.LBB107_235:
	s_or_b64 exec, exec, s[4:5]
	s_waitcnt lgkmcnt(0)
	; wave barrier
	buffer_load_dword v99, off, s[0:3], 0 offset:152
	buffer_load_dword v100, off, s[0:3], 0 offset:156
	;; [unrolled: 1-line block ×21, first 2 shown]
	v_mov_b32_e32 v90, 0
	ds_read2_b64 v[91:94], v90 offset0:63 offset1:64
	ds_read2_b64 v[95:98], v90 offset0:65 offset1:66
	buffer_load_dword v116, off, s[0:3], 0 offset:236
	v_cmp_lt_u32_e32 vcc, 17, v0
	s_waitcnt vmcnt(20) lgkmcnt(1)
	v_fma_f64 v[91:92], v[99:100], v[91:92], 0
	s_waitcnt vmcnt(18)
	v_fma_f64 v[91:92], v[101:102], v[93:94], v[91:92]
	buffer_load_dword v100, off, s[0:3], 0 offset:244
	buffer_load_dword v101, off, s[0:3], 0 offset:264
	;; [unrolled: 1-line block ×7, first 2 shown]
	s_waitcnt vmcnt(23) lgkmcnt(0)
	v_fma_f64 v[91:92], v[103:104], v[95:96], v[91:92]
	s_waitcnt vmcnt(21)
	v_fma_f64 v[102:103], v[105:106], v[97:98], v[91:92]
	ds_read2_b64 v[91:94], v90 offset0:67 offset1:68
	ds_read2_b64 v[95:98], v90 offset0:69 offset1:70
	s_waitcnt vmcnt(19) lgkmcnt(1)
	v_fma_f64 v[91:92], v[107:108], v[91:92], v[102:103]
	buffer_load_dword v102, off, s[0:3], 0 offset:268
	s_waitcnt vmcnt(18)
	v_fma_f64 v[91:92], v[109:110], v[93:94], v[91:92]
	buffer_load_dword v104, off, s[0:3], 0 offset:276
	buffer_load_dword v105, off, s[0:3], 0 offset:296
	;; [unrolled: 1-line block ×8, first 2 shown]
	s_waitcnt vmcnt(24) lgkmcnt(0)
	v_fma_f64 v[91:92], v[111:112], v[95:96], v[91:92]
	s_waitcnt vmcnt(19)
	v_fma_f64 v[111:112], v[113:114], v[97:98], v[91:92]
	ds_read2_b64 v[91:94], v90 offset0:71 offset1:72
	ds_read2_b64 v[95:98], v90 offset0:73 offset1:74
	s_waitcnt vmcnt(18) lgkmcnt(1)
	v_fma_f64 v[91:92], v[119:120], v[91:92], v[111:112]
	s_waitcnt vmcnt(17)
	v_fma_f64 v[91:92], v[117:118], v[93:94], v[91:92]
	buffer_load_dword v112, off, s[0:3], 0 offset:308
	buffer_load_dword v113, off, s[0:3], 0 offset:328
	buffer_load_dword v117, off, s[0:3], 0 offset:320
	buffer_load_dword v119, off, s[0:3], 0 offset:312
	buffer_load_dword v111, off, s[0:3], 0 offset:304
	buffer_load_dword v120, off, s[0:3], 0 offset:316
	buffer_load_dword v118, off, s[0:3], 0 offset:324
	s_waitcnt vmcnt(23) lgkmcnt(0)
	v_fma_f64 v[91:92], v[115:116], v[95:96], v[91:92]
	s_waitcnt vmcnt(18)
	v_fma_f64 v[99:100], v[99:100], v[97:98], v[91:92]
	ds_read2_b64 v[91:94], v90 offset0:75 offset1:76
	ds_read2_b64 v[95:98], v90 offset0:77 offset1:78
	buffer_load_dword v114, off, s[0:3], 0 offset:332
	s_waitcnt vmcnt(18) lgkmcnt(1)
	v_fma_f64 v[91:92], v[123:124], v[91:92], v[99:100]
	buffer_load_dword v100, off, s[0:3], 0 offset:340
	buffer_load_dword v115, off, s[0:3], 0 offset:344
	;; [unrolled: 1-line block ×4, first 2 shown]
	s_waitcnt vmcnt(21)
	v_fma_f64 v[91:92], v[121:122], v[93:94], v[91:92]
	s_waitcnt vmcnt(20) lgkmcnt(0)
	v_fma_f64 v[91:92], v[101:102], v[95:96], v[91:92]
	buffer_load_dword v101, off, s[0:3], 0 offset:144
	buffer_load_dword v102, off, s[0:3], 0 offset:148
	s_waitcnt vmcnt(17)
	v_fma_f64 v[103:104], v[103:104], v[97:98], v[91:92]
	ds_read2_b64 v[91:94], v90 offset0:79 offset1:80
	ds_read2_b64 v[95:98], v90 offset0:81 offset1:82
	s_waitcnt vmcnt(16) lgkmcnt(1)
	v_fma_f64 v[91:92], v[109:110], v[91:92], v[103:104]
	s_waitcnt vmcnt(15)
	v_fma_f64 v[91:92], v[107:108], v[93:94], v[91:92]
	s_waitcnt vmcnt(14) lgkmcnt(0)
	v_fma_f64 v[91:92], v[105:106], v[95:96], v[91:92]
	s_waitcnt vmcnt(9)
	v_fma_f64 v[103:104], v[111:112], v[97:98], v[91:92]
	ds_read2_b64 v[91:94], v90 offset0:83 offset1:84
	ds_read2_b64 v[95:98], v90 offset0:85 offset1:86
	s_waitcnt vmcnt(8) lgkmcnt(1)
	v_fma_f64 v[91:92], v[119:120], v[91:92], v[103:104]
	s_waitcnt vmcnt(7)
	v_fma_f64 v[91:92], v[117:118], v[93:94], v[91:92]
	ds_read_b64 v[93:94], v90 offset:696
	s_waitcnt vmcnt(6) lgkmcnt(1)
	v_fma_f64 v[91:92], v[113:114], v[95:96], v[91:92]
	s_waitcnt vmcnt(3)
	v_fma_f64 v[91:92], v[99:100], v[97:98], v[91:92]
	s_waitcnt vmcnt(2) lgkmcnt(0)
	v_fma_f64 v[91:92], v[115:116], v[93:94], v[91:92]
	s_waitcnt vmcnt(0)
	v_add_f64 v[91:92], v[101:102], -v[91:92]
	buffer_store_dword v92, off, s[0:3], 0 offset:148
	buffer_store_dword v91, off, s[0:3], 0 offset:144
	s_and_saveexec_b64 s[4:5], vcc
	s_cbranch_execz .LBB107_237
; %bb.236:
	buffer_load_dword v91, off, s[0:3], 0 offset:136
	buffer_load_dword v92, off, s[0:3], 0 offset:140
	s_waitcnt vmcnt(0)
	ds_write_b64 v89, v[91:92]
	buffer_store_dword v90, off, s[0:3], 0 offset:136
	buffer_store_dword v90, off, s[0:3], 0 offset:140
.LBB107_237:
	s_or_b64 exec, exec, s[4:5]
	s_waitcnt lgkmcnt(0)
	; wave barrier
	buffer_load_dword v99, off, s[0:3], 0 offset:144
	buffer_load_dword v100, off, s[0:3], 0 offset:148
	;; [unrolled: 1-line block ×22, first 2 shown]
	ds_read_b128 v[91:94], v90 offset:496
	ds_read_b128 v[95:98], v90 offset:512
	v_cmp_lt_u32_e32 vcc, 16, v0
	s_waitcnt vmcnt(20) lgkmcnt(1)
	v_fma_f64 v[91:92], v[99:100], v[91:92], 0
	s_waitcnt vmcnt(18)
	v_fma_f64 v[91:92], v[101:102], v[93:94], v[91:92]
	buffer_load_dword v100, off, s[0:3], 0 offset:236
	buffer_load_dword v101, off, s[0:3], 0 offset:256
	;; [unrolled: 1-line block ×7, first 2 shown]
	s_waitcnt vmcnt(23) lgkmcnt(0)
	v_fma_f64 v[91:92], v[103:104], v[95:96], v[91:92]
	s_waitcnt vmcnt(21)
	v_fma_f64 v[102:103], v[105:106], v[97:98], v[91:92]
	ds_read_b128 v[91:94], v90 offset:528
	ds_read_b128 v[95:98], v90 offset:544
	s_waitcnt vmcnt(19) lgkmcnt(1)
	v_fma_f64 v[91:92], v[107:108], v[91:92], v[102:103]
	buffer_load_dword v102, off, s[0:3], 0 offset:260
	s_waitcnt vmcnt(18)
	v_fma_f64 v[91:92], v[109:110], v[93:94], v[91:92]
	buffer_load_dword v104, off, s[0:3], 0 offset:268
	buffer_load_dword v105, off, s[0:3], 0 offset:288
	;; [unrolled: 1-line block ×8, first 2 shown]
	s_waitcnt vmcnt(24) lgkmcnt(0)
	v_fma_f64 v[91:92], v[111:112], v[95:96], v[91:92]
	s_waitcnt vmcnt(19)
	v_fma_f64 v[111:112], v[113:114], v[97:98], v[91:92]
	ds_read_b128 v[91:94], v90 offset:560
	ds_read_b128 v[95:98], v90 offset:576
	s_waitcnt vmcnt(18) lgkmcnt(1)
	v_fma_f64 v[91:92], v[119:120], v[91:92], v[111:112]
	s_waitcnt vmcnt(17)
	v_fma_f64 v[91:92], v[117:118], v[93:94], v[91:92]
	buffer_load_dword v112, off, s[0:3], 0 offset:300
	buffer_load_dword v113, off, s[0:3], 0 offset:320
	;; [unrolled: 1-line block ×8, first 2 shown]
	s_waitcnt vmcnt(24) lgkmcnt(0)
	v_fma_f64 v[91:92], v[115:116], v[95:96], v[91:92]
	s_waitcnt vmcnt(19)
	v_fma_f64 v[99:100], v[99:100], v[97:98], v[91:92]
	ds_read_b128 v[91:94], v90 offset:592
	ds_read_b128 v[95:98], v90 offset:608
	s_waitcnt vmcnt(18) lgkmcnt(1)
	v_fma_f64 v[91:92], v[123:124], v[91:92], v[99:100]
	s_waitcnt vmcnt(17)
	v_fma_f64 v[91:92], v[121:122], v[93:94], v[91:92]
	buffer_load_dword v100, off, s[0:3], 0 offset:332
	buffer_load_dword v115, off, s[0:3], 0 offset:344
	;; [unrolled: 1-line block ×6, first 2 shown]
	s_waitcnt vmcnt(22) lgkmcnt(0)
	v_fma_f64 v[91:92], v[101:102], v[95:96], v[91:92]
	s_waitcnt vmcnt(17)
	v_fma_f64 v[101:102], v[103:104], v[97:98], v[91:92]
	ds_read_b128 v[91:94], v90 offset:624
	buffer_load_dword v103, off, s[0:3], 0 offset:136
	buffer_load_dword v104, off, s[0:3], 0 offset:140
	ds_read_b128 v[95:98], v90 offset:640
	s_waitcnt vmcnt(18) lgkmcnt(1)
	v_fma_f64 v[91:92], v[109:110], v[91:92], v[101:102]
	s_waitcnt vmcnt(17)
	v_fma_f64 v[91:92], v[107:108], v[93:94], v[91:92]
	s_waitcnt vmcnt(16) lgkmcnt(0)
	v_fma_f64 v[91:92], v[105:106], v[95:96], v[91:92]
	s_waitcnt vmcnt(11)
	v_fma_f64 v[101:102], v[111:112], v[97:98], v[91:92]
	ds_read_b128 v[91:94], v90 offset:656
	ds_read_b128 v[95:98], v90 offset:672
	s_waitcnt vmcnt(10) lgkmcnt(1)
	v_fma_f64 v[91:92], v[119:120], v[91:92], v[101:102]
	s_waitcnt vmcnt(9)
	v_fma_f64 v[91:92], v[117:118], v[93:94], v[91:92]
	s_waitcnt vmcnt(8) lgkmcnt(0)
	v_fma_f64 v[91:92], v[113:114], v[95:96], v[91:92]
	s_waitcnt vmcnt(4)
	v_fma_f64 v[94:95], v[99:100], v[97:98], v[91:92]
	ds_read_b128 v[90:93], v90 offset:688
	s_waitcnt vmcnt(3) lgkmcnt(0)
	v_fma_f64 v[90:91], v[121:122], v[90:91], v[94:95]
	s_waitcnt vmcnt(2)
	v_fma_f64 v[90:91], v[115:116], v[92:93], v[90:91]
	s_waitcnt vmcnt(0)
	v_add_f64 v[90:91], v[103:104], -v[90:91]
	buffer_store_dword v91, off, s[0:3], 0 offset:140
	buffer_store_dword v90, off, s[0:3], 0 offset:136
	s_and_saveexec_b64 s[4:5], vcc
	s_cbranch_execz .LBB107_239
; %bb.238:
	buffer_load_dword v90, off, s[0:3], 0 offset:128
	buffer_load_dword v91, off, s[0:3], 0 offset:132
	v_mov_b32_e32 v92, 0
	buffer_store_dword v92, off, s[0:3], 0 offset:128
	buffer_store_dword v92, off, s[0:3], 0 offset:132
	s_waitcnt vmcnt(2)
	ds_write_b64 v89, v[90:91]
.LBB107_239:
	s_or_b64 exec, exec, s[4:5]
	s_waitcnt lgkmcnt(0)
	; wave barrier
	buffer_load_dword v99, off, s[0:3], 0 offset:136
	buffer_load_dword v100, off, s[0:3], 0 offset:140
	;; [unrolled: 1-line block ×22, first 2 shown]
	v_mov_b32_e32 v90, 0
	ds_read2_b64 v[91:94], v90 offset0:61 offset1:62
	ds_read2_b64 v[95:98], v90 offset0:63 offset1:64
	v_cmp_lt_u32_e32 vcc, 15, v0
	s_waitcnt vmcnt(20) lgkmcnt(1)
	v_fma_f64 v[91:92], v[99:100], v[91:92], 0
	s_waitcnt vmcnt(18)
	v_fma_f64 v[91:92], v[101:102], v[93:94], v[91:92]
	buffer_load_dword v100, off, s[0:3], 0 offset:228
	buffer_load_dword v101, off, s[0:3], 0 offset:248
	;; [unrolled: 1-line block ×7, first 2 shown]
	s_waitcnt vmcnt(23) lgkmcnt(0)
	v_fma_f64 v[91:92], v[103:104], v[95:96], v[91:92]
	s_waitcnt vmcnt(21)
	v_fma_f64 v[102:103], v[105:106], v[97:98], v[91:92]
	ds_read2_b64 v[91:94], v90 offset0:65 offset1:66
	ds_read2_b64 v[95:98], v90 offset0:67 offset1:68
	s_waitcnt vmcnt(19) lgkmcnt(1)
	v_fma_f64 v[91:92], v[107:108], v[91:92], v[102:103]
	buffer_load_dword v102, off, s[0:3], 0 offset:252
	s_waitcnt vmcnt(18)
	v_fma_f64 v[91:92], v[109:110], v[93:94], v[91:92]
	buffer_load_dword v104, off, s[0:3], 0 offset:260
	buffer_load_dword v105, off, s[0:3], 0 offset:280
	buffer_load_dword v107, off, s[0:3], 0 offset:272
	buffer_load_dword v109, off, s[0:3], 0 offset:264
	buffer_load_dword v103, off, s[0:3], 0 offset:256
	buffer_load_dword v110, off, s[0:3], 0 offset:268
	buffer_load_dword v108, off, s[0:3], 0 offset:276
	buffer_load_dword v106, off, s[0:3], 0 offset:284
	s_waitcnt vmcnt(24) lgkmcnt(0)
	v_fma_f64 v[91:92], v[111:112], v[95:96], v[91:92]
	s_waitcnt vmcnt(19)
	v_fma_f64 v[111:112], v[113:114], v[97:98], v[91:92]
	ds_read2_b64 v[91:94], v90 offset0:69 offset1:70
	ds_read2_b64 v[95:98], v90 offset0:71 offset1:72
	s_waitcnt vmcnt(18) lgkmcnt(1)
	v_fma_f64 v[91:92], v[119:120], v[91:92], v[111:112]
	s_waitcnt vmcnt(17)
	v_fma_f64 v[91:92], v[117:118], v[93:94], v[91:92]
	buffer_load_dword v112, off, s[0:3], 0 offset:292
	buffer_load_dword v113, off, s[0:3], 0 offset:312
	buffer_load_dword v117, off, s[0:3], 0 offset:304
	buffer_load_dword v119, off, s[0:3], 0 offset:296
	buffer_load_dword v111, off, s[0:3], 0 offset:288
	buffer_load_dword v120, off, s[0:3], 0 offset:300
	buffer_load_dword v118, off, s[0:3], 0 offset:308
	buffer_load_dword v114, off, s[0:3], 0 offset:316
	s_waitcnt vmcnt(24) lgkmcnt(0)
	v_fma_f64 v[91:92], v[115:116], v[95:96], v[91:92]
	s_waitcnt vmcnt(19)
	v_fma_f64 v[99:100], v[99:100], v[97:98], v[91:92]
	ds_read2_b64 v[91:94], v90 offset0:73 offset1:74
	ds_read2_b64 v[95:98], v90 offset0:75 offset1:76
	s_waitcnt vmcnt(18) lgkmcnt(1)
	v_fma_f64 v[91:92], v[123:124], v[91:92], v[99:100]
	;; [unrolled: 18-line block ×3, first 2 shown]
	buffer_load_dword v101, off, s[0:3], 0 offset:128
	buffer_load_dword v102, off, s[0:3], 0 offset:132
	s_waitcnt vmcnt(19)
	v_fma_f64 v[91:92], v[107:108], v[93:94], v[91:92]
	s_waitcnt vmcnt(18) lgkmcnt(0)
	v_fma_f64 v[91:92], v[105:106], v[95:96], v[91:92]
	s_waitcnt vmcnt(13)
	v_fma_f64 v[103:104], v[111:112], v[97:98], v[91:92]
	ds_read2_b64 v[91:94], v90 offset0:81 offset1:82
	ds_read2_b64 v[95:98], v90 offset0:83 offset1:84
	s_waitcnt vmcnt(12) lgkmcnt(1)
	v_fma_f64 v[91:92], v[119:120], v[91:92], v[103:104]
	s_waitcnt vmcnt(11)
	v_fma_f64 v[91:92], v[117:118], v[93:94], v[91:92]
	s_waitcnt vmcnt(10) lgkmcnt(0)
	v_fma_f64 v[91:92], v[113:114], v[95:96], v[91:92]
	s_waitcnt vmcnt(5)
	v_fma_f64 v[95:96], v[99:100], v[97:98], v[91:92]
	ds_read2_b64 v[91:94], v90 offset0:85 offset1:86
	ds_read_b64 v[97:98], v90 offset:696
	s_waitcnt vmcnt(4) lgkmcnt(1)
	v_fma_f64 v[91:92], v[123:124], v[91:92], v[95:96]
	s_waitcnt vmcnt(3)
	v_fma_f64 v[91:92], v[121:122], v[93:94], v[91:92]
	s_waitcnt vmcnt(2) lgkmcnt(0)
	v_fma_f64 v[91:92], v[115:116], v[97:98], v[91:92]
	s_waitcnt vmcnt(0)
	v_add_f64 v[91:92], v[101:102], -v[91:92]
	buffer_store_dword v92, off, s[0:3], 0 offset:132
	buffer_store_dword v91, off, s[0:3], 0 offset:128
	s_and_saveexec_b64 s[4:5], vcc
	s_cbranch_execz .LBB107_241
; %bb.240:
	buffer_load_dword v91, off, s[0:3], 0 offset:120
	buffer_load_dword v92, off, s[0:3], 0 offset:124
	s_waitcnt vmcnt(0)
	ds_write_b64 v89, v[91:92]
	buffer_store_dword v90, off, s[0:3], 0 offset:120
	buffer_store_dword v90, off, s[0:3], 0 offset:124
.LBB107_241:
	s_or_b64 exec, exec, s[4:5]
	s_waitcnt lgkmcnt(0)
	; wave barrier
	buffer_load_dword v99, off, s[0:3], 0 offset:128
	buffer_load_dword v100, off, s[0:3], 0 offset:132
	;; [unrolled: 1-line block ×22, first 2 shown]
	ds_read_b128 v[91:94], v90 offset:480
	ds_read_b128 v[95:98], v90 offset:496
	v_cmp_lt_u32_e32 vcc, 14, v0
	s_waitcnt vmcnt(20) lgkmcnt(1)
	v_fma_f64 v[91:92], v[99:100], v[91:92], 0
	s_waitcnt vmcnt(18)
	v_fma_f64 v[91:92], v[101:102], v[93:94], v[91:92]
	buffer_load_dword v100, off, s[0:3], 0 offset:220
	buffer_load_dword v101, off, s[0:3], 0 offset:240
	;; [unrolled: 1-line block ×7, first 2 shown]
	s_waitcnt vmcnt(23) lgkmcnt(0)
	v_fma_f64 v[91:92], v[103:104], v[95:96], v[91:92]
	s_waitcnt vmcnt(21)
	v_fma_f64 v[102:103], v[105:106], v[97:98], v[91:92]
	ds_read_b128 v[91:94], v90 offset:512
	ds_read_b128 v[95:98], v90 offset:528
	s_waitcnt vmcnt(19) lgkmcnt(1)
	v_fma_f64 v[91:92], v[107:108], v[91:92], v[102:103]
	buffer_load_dword v102, off, s[0:3], 0 offset:244
	s_waitcnt vmcnt(18)
	v_fma_f64 v[91:92], v[109:110], v[93:94], v[91:92]
	buffer_load_dword v104, off, s[0:3], 0 offset:252
	buffer_load_dword v105, off, s[0:3], 0 offset:272
	buffer_load_dword v107, off, s[0:3], 0 offset:264
	buffer_load_dword v109, off, s[0:3], 0 offset:256
	buffer_load_dword v103, off, s[0:3], 0 offset:248
	buffer_load_dword v110, off, s[0:3], 0 offset:260
	buffer_load_dword v108, off, s[0:3], 0 offset:268
	buffer_load_dword v106, off, s[0:3], 0 offset:276
	s_waitcnt vmcnt(24) lgkmcnt(0)
	v_fma_f64 v[91:92], v[111:112], v[95:96], v[91:92]
	s_waitcnt vmcnt(19)
	v_fma_f64 v[111:112], v[113:114], v[97:98], v[91:92]
	ds_read_b128 v[91:94], v90 offset:544
	ds_read_b128 v[95:98], v90 offset:560
	s_waitcnt vmcnt(18) lgkmcnt(1)
	v_fma_f64 v[91:92], v[119:120], v[91:92], v[111:112]
	s_waitcnt vmcnt(17)
	v_fma_f64 v[91:92], v[117:118], v[93:94], v[91:92]
	buffer_load_dword v112, off, s[0:3], 0 offset:284
	buffer_load_dword v113, off, s[0:3], 0 offset:304
	buffer_load_dword v117, off, s[0:3], 0 offset:296
	buffer_load_dword v119, off, s[0:3], 0 offset:288
	buffer_load_dword v111, off, s[0:3], 0 offset:280
	buffer_load_dword v120, off, s[0:3], 0 offset:292
	buffer_load_dword v118, off, s[0:3], 0 offset:300
	buffer_load_dword v114, off, s[0:3], 0 offset:308
	s_waitcnt vmcnt(24) lgkmcnt(0)
	v_fma_f64 v[91:92], v[115:116], v[95:96], v[91:92]
	s_waitcnt vmcnt(19)
	v_fma_f64 v[99:100], v[99:100], v[97:98], v[91:92]
	ds_read_b128 v[91:94], v90 offset:576
	ds_read_b128 v[95:98], v90 offset:592
	s_waitcnt vmcnt(18) lgkmcnt(1)
	v_fma_f64 v[91:92], v[123:124], v[91:92], v[99:100]
	;; [unrolled: 18-line block ×3, first 2 shown]
	buffer_load_dword v102, off, s[0:3], 0 offset:348
	buffer_load_dword v101, off, s[0:3], 0 offset:344
	;; [unrolled: 1-line block ×4, first 2 shown]
	s_waitcnt vmcnt(21)
	v_fma_f64 v[91:92], v[107:108], v[93:94], v[91:92]
	s_waitcnt vmcnt(20) lgkmcnt(0)
	v_fma_f64 v[91:92], v[105:106], v[95:96], v[91:92]
	s_waitcnt vmcnt(15)
	v_fma_f64 v[105:106], v[111:112], v[97:98], v[91:92]
	ds_read_b128 v[91:94], v90 offset:640
	ds_read_b128 v[95:98], v90 offset:656
	s_waitcnt vmcnt(14) lgkmcnt(1)
	v_fma_f64 v[91:92], v[119:120], v[91:92], v[105:106]
	s_waitcnt vmcnt(13)
	v_fma_f64 v[91:92], v[117:118], v[93:94], v[91:92]
	s_waitcnt vmcnt(12) lgkmcnt(0)
	v_fma_f64 v[91:92], v[113:114], v[95:96], v[91:92]
	s_waitcnt vmcnt(7)
	v_fma_f64 v[99:100], v[99:100], v[97:98], v[91:92]
	ds_read_b128 v[91:94], v90 offset:672
	ds_read_b128 v[95:98], v90 offset:688
	s_waitcnt vmcnt(6) lgkmcnt(1)
	v_fma_f64 v[90:91], v[123:124], v[91:92], v[99:100]
	s_waitcnt vmcnt(5)
	v_fma_f64 v[90:91], v[121:122], v[93:94], v[90:91]
	s_waitcnt vmcnt(4) lgkmcnt(0)
	v_fma_f64 v[90:91], v[115:116], v[95:96], v[90:91]
	s_waitcnt vmcnt(2)
	v_fma_f64 v[90:91], v[101:102], v[97:98], v[90:91]
	s_waitcnt vmcnt(0)
	v_add_f64 v[90:91], v[103:104], -v[90:91]
	buffer_store_dword v91, off, s[0:3], 0 offset:124
	buffer_store_dword v90, off, s[0:3], 0 offset:120
	s_and_saveexec_b64 s[4:5], vcc
	s_cbranch_execz .LBB107_243
; %bb.242:
	buffer_load_dword v90, off, s[0:3], 0 offset:112
	buffer_load_dword v91, off, s[0:3], 0 offset:116
	v_mov_b32_e32 v92, 0
	buffer_store_dword v92, off, s[0:3], 0 offset:112
	buffer_store_dword v92, off, s[0:3], 0 offset:116
	s_waitcnt vmcnt(2)
	ds_write_b64 v89, v[90:91]
.LBB107_243:
	s_or_b64 exec, exec, s[4:5]
	s_waitcnt lgkmcnt(0)
	; wave barrier
	buffer_load_dword v99, off, s[0:3], 0 offset:120
	buffer_load_dword v100, off, s[0:3], 0 offset:124
	;; [unrolled: 1-line block ×22, first 2 shown]
	v_mov_b32_e32 v90, 0
	ds_read2_b64 v[91:94], v90 offset0:59 offset1:60
	ds_read2_b64 v[95:98], v90 offset0:61 offset1:62
	v_cmp_lt_u32_e32 vcc, 13, v0
	s_waitcnt vmcnt(20) lgkmcnt(1)
	v_fma_f64 v[91:92], v[99:100], v[91:92], 0
	s_waitcnt vmcnt(18)
	v_fma_f64 v[91:92], v[101:102], v[93:94], v[91:92]
	buffer_load_dword v100, off, s[0:3], 0 offset:212
	buffer_load_dword v101, off, s[0:3], 0 offset:232
	;; [unrolled: 1-line block ×7, first 2 shown]
	s_waitcnt vmcnt(23) lgkmcnt(0)
	v_fma_f64 v[91:92], v[103:104], v[95:96], v[91:92]
	s_waitcnt vmcnt(21)
	v_fma_f64 v[102:103], v[105:106], v[97:98], v[91:92]
	ds_read2_b64 v[91:94], v90 offset0:63 offset1:64
	ds_read2_b64 v[95:98], v90 offset0:65 offset1:66
	s_waitcnt vmcnt(19) lgkmcnt(1)
	v_fma_f64 v[91:92], v[107:108], v[91:92], v[102:103]
	buffer_load_dword v102, off, s[0:3], 0 offset:236
	s_waitcnt vmcnt(18)
	v_fma_f64 v[91:92], v[109:110], v[93:94], v[91:92]
	buffer_load_dword v104, off, s[0:3], 0 offset:244
	buffer_load_dword v105, off, s[0:3], 0 offset:264
	;; [unrolled: 1-line block ×7, first 2 shown]
	s_waitcnt vmcnt(23) lgkmcnt(0)
	v_fma_f64 v[91:92], v[111:112], v[95:96], v[91:92]
	s_waitcnt vmcnt(18)
	v_fma_f64 v[111:112], v[113:114], v[97:98], v[91:92]
	ds_read2_b64 v[91:94], v90 offset0:67 offset1:68
	ds_read2_b64 v[95:98], v90 offset0:69 offset1:70
	buffer_load_dword v106, off, s[0:3], 0 offset:268
	s_waitcnt vmcnt(18) lgkmcnt(1)
	v_fma_f64 v[91:92], v[119:120], v[91:92], v[111:112]
	s_waitcnt vmcnt(17)
	v_fma_f64 v[91:92], v[117:118], v[93:94], v[91:92]
	buffer_load_dword v112, off, s[0:3], 0 offset:276
	buffer_load_dword v113, off, s[0:3], 0 offset:296
	;; [unrolled: 1-line block ×8, first 2 shown]
	s_waitcnt vmcnt(24) lgkmcnt(0)
	v_fma_f64 v[91:92], v[115:116], v[95:96], v[91:92]
	s_waitcnt vmcnt(19)
	v_fma_f64 v[99:100], v[99:100], v[97:98], v[91:92]
	ds_read2_b64 v[91:94], v90 offset0:71 offset1:72
	ds_read2_b64 v[95:98], v90 offset0:73 offset1:74
	s_waitcnt vmcnt(18) lgkmcnt(1)
	v_fma_f64 v[91:92], v[123:124], v[91:92], v[99:100]
	s_waitcnt vmcnt(17)
	v_fma_f64 v[91:92], v[121:122], v[93:94], v[91:92]
	buffer_load_dword v100, off, s[0:3], 0 offset:308
	buffer_load_dword v115, off, s[0:3], 0 offset:328
	;; [unrolled: 1-line block ×7, first 2 shown]
	s_waitcnt vmcnt(23) lgkmcnt(0)
	v_fma_f64 v[91:92], v[101:102], v[95:96], v[91:92]
	s_waitcnt vmcnt(18)
	v_fma_f64 v[101:102], v[103:104], v[97:98], v[91:92]
	ds_read2_b64 v[91:94], v90 offset0:75 offset1:76
	ds_read2_b64 v[95:98], v90 offset0:77 offset1:78
	buffer_load_dword v116, off, s[0:3], 0 offset:332
	s_waitcnt vmcnt(18) lgkmcnt(1)
	v_fma_f64 v[91:92], v[109:110], v[91:92], v[101:102]
	buffer_load_dword v102, off, s[0:3], 0 offset:340
	buffer_load_dword v103, off, s[0:3], 0 offset:344
	;; [unrolled: 1-line block ×4, first 2 shown]
	s_waitcnt vmcnt(21)
	v_fma_f64 v[91:92], v[107:108], v[93:94], v[91:92]
	s_waitcnt vmcnt(20) lgkmcnt(0)
	v_fma_f64 v[91:92], v[105:106], v[95:96], v[91:92]
	buffer_load_dword v105, off, s[0:3], 0 offset:112
	buffer_load_dword v106, off, s[0:3], 0 offset:116
	s_waitcnt vmcnt(17)
	v_fma_f64 v[107:108], v[111:112], v[97:98], v[91:92]
	ds_read2_b64 v[91:94], v90 offset0:79 offset1:80
	ds_read2_b64 v[95:98], v90 offset0:81 offset1:82
	s_waitcnt vmcnt(16) lgkmcnt(1)
	v_fma_f64 v[91:92], v[119:120], v[91:92], v[107:108]
	s_waitcnt vmcnt(15)
	v_fma_f64 v[91:92], v[117:118], v[93:94], v[91:92]
	s_waitcnt vmcnt(14) lgkmcnt(0)
	v_fma_f64 v[91:92], v[113:114], v[95:96], v[91:92]
	s_waitcnt vmcnt(9)
	v_fma_f64 v[99:100], v[99:100], v[97:98], v[91:92]
	ds_read2_b64 v[91:94], v90 offset0:83 offset1:84
	ds_read2_b64 v[95:98], v90 offset0:85 offset1:86
	s_waitcnt vmcnt(8) lgkmcnt(1)
	v_fma_f64 v[91:92], v[123:124], v[91:92], v[99:100]
	s_waitcnt vmcnt(7)
	v_fma_f64 v[91:92], v[121:122], v[93:94], v[91:92]
	ds_read_b64 v[93:94], v90 offset:696
	s_waitcnt vmcnt(6) lgkmcnt(1)
	v_fma_f64 v[91:92], v[115:116], v[95:96], v[91:92]
	s_waitcnt vmcnt(3)
	v_fma_f64 v[91:92], v[101:102], v[97:98], v[91:92]
	s_waitcnt vmcnt(2) lgkmcnt(0)
	v_fma_f64 v[91:92], v[103:104], v[93:94], v[91:92]
	s_waitcnt vmcnt(0)
	v_add_f64 v[91:92], v[105:106], -v[91:92]
	buffer_store_dword v92, off, s[0:3], 0 offset:116
	buffer_store_dword v91, off, s[0:3], 0 offset:112
	s_and_saveexec_b64 s[4:5], vcc
	s_cbranch_execz .LBB107_245
; %bb.244:
	buffer_load_dword v91, off, s[0:3], 0 offset:104
	buffer_load_dword v92, off, s[0:3], 0 offset:108
	s_waitcnt vmcnt(0)
	ds_write_b64 v89, v[91:92]
	buffer_store_dword v90, off, s[0:3], 0 offset:104
	buffer_store_dword v90, off, s[0:3], 0 offset:108
.LBB107_245:
	s_or_b64 exec, exec, s[4:5]
	s_waitcnt lgkmcnt(0)
	; wave barrier
	buffer_load_dword v99, off, s[0:3], 0 offset:112
	buffer_load_dword v100, off, s[0:3], 0 offset:116
	;; [unrolled: 1-line block ×22, first 2 shown]
	ds_read_b128 v[91:94], v90 offset:464
	ds_read_b128 v[95:98], v90 offset:480
	v_cmp_lt_u32_e32 vcc, 12, v0
	s_waitcnt vmcnt(20) lgkmcnt(1)
	v_fma_f64 v[91:92], v[99:100], v[91:92], 0
	s_waitcnt vmcnt(18)
	v_fma_f64 v[91:92], v[101:102], v[93:94], v[91:92]
	buffer_load_dword v100, off, s[0:3], 0 offset:204
	buffer_load_dword v101, off, s[0:3], 0 offset:224
	;; [unrolled: 1-line block ×7, first 2 shown]
	s_waitcnt vmcnt(23) lgkmcnt(0)
	v_fma_f64 v[91:92], v[103:104], v[95:96], v[91:92]
	s_waitcnt vmcnt(21)
	v_fma_f64 v[102:103], v[105:106], v[97:98], v[91:92]
	ds_read_b128 v[91:94], v90 offset:496
	ds_read_b128 v[95:98], v90 offset:512
	s_waitcnt vmcnt(19) lgkmcnt(1)
	v_fma_f64 v[91:92], v[107:108], v[91:92], v[102:103]
	buffer_load_dword v102, off, s[0:3], 0 offset:228
	s_waitcnt vmcnt(18)
	v_fma_f64 v[91:92], v[109:110], v[93:94], v[91:92]
	buffer_load_dword v104, off, s[0:3], 0 offset:236
	buffer_load_dword v105, off, s[0:3], 0 offset:256
	;; [unrolled: 1-line block ×7, first 2 shown]
	s_waitcnt vmcnt(23) lgkmcnt(0)
	v_fma_f64 v[91:92], v[111:112], v[95:96], v[91:92]
	s_waitcnt vmcnt(18)
	v_fma_f64 v[111:112], v[113:114], v[97:98], v[91:92]
	ds_read_b128 v[91:94], v90 offset:528
	ds_read_b128 v[95:98], v90 offset:544
	buffer_load_dword v106, off, s[0:3], 0 offset:260
	s_waitcnt vmcnt(18) lgkmcnt(1)
	v_fma_f64 v[91:92], v[119:120], v[91:92], v[111:112]
	s_waitcnt vmcnt(17)
	v_fma_f64 v[91:92], v[117:118], v[93:94], v[91:92]
	buffer_load_dword v112, off, s[0:3], 0 offset:268
	buffer_load_dword v113, off, s[0:3], 0 offset:288
	;; [unrolled: 1-line block ×8, first 2 shown]
	s_waitcnt vmcnt(24) lgkmcnt(0)
	v_fma_f64 v[91:92], v[115:116], v[95:96], v[91:92]
	s_waitcnt vmcnt(19)
	v_fma_f64 v[99:100], v[99:100], v[97:98], v[91:92]
	ds_read_b128 v[91:94], v90 offset:560
	ds_read_b128 v[95:98], v90 offset:576
	s_waitcnt vmcnt(18) lgkmcnt(1)
	v_fma_f64 v[91:92], v[123:124], v[91:92], v[99:100]
	s_waitcnt vmcnt(17)
	v_fma_f64 v[91:92], v[121:122], v[93:94], v[91:92]
	buffer_load_dword v100, off, s[0:3], 0 offset:300
	buffer_load_dword v115, off, s[0:3], 0 offset:320
	;; [unrolled: 1-line block ×8, first 2 shown]
	s_waitcnt vmcnt(24) lgkmcnt(0)
	v_fma_f64 v[91:92], v[101:102], v[95:96], v[91:92]
	s_waitcnt vmcnt(19)
	v_fma_f64 v[101:102], v[103:104], v[97:98], v[91:92]
	ds_read_b128 v[91:94], v90 offset:592
	ds_read_b128 v[95:98], v90 offset:608
	s_waitcnt vmcnt(18) lgkmcnt(1)
	v_fma_f64 v[91:92], v[109:110], v[91:92], v[101:102]
	s_waitcnt vmcnt(17)
	v_fma_f64 v[91:92], v[107:108], v[93:94], v[91:92]
	buffer_load_dword v102, off, s[0:3], 0 offset:332
	buffer_load_dword v103, off, s[0:3], 0 offset:344
	;; [unrolled: 1-line block ×6, first 2 shown]
	s_waitcnt vmcnt(22) lgkmcnt(0)
	v_fma_f64 v[91:92], v[105:106], v[95:96], v[91:92]
	s_waitcnt vmcnt(17)
	v_fma_f64 v[105:106], v[111:112], v[97:98], v[91:92]
	ds_read_b128 v[91:94], v90 offset:624
	buffer_load_dword v109, off, s[0:3], 0 offset:104
	buffer_load_dword v110, off, s[0:3], 0 offset:108
	ds_read_b128 v[95:98], v90 offset:640
	s_waitcnt vmcnt(18) lgkmcnt(1)
	v_fma_f64 v[91:92], v[119:120], v[91:92], v[105:106]
	s_waitcnt vmcnt(17)
	v_fma_f64 v[91:92], v[117:118], v[93:94], v[91:92]
	s_waitcnt vmcnt(16) lgkmcnt(0)
	v_fma_f64 v[91:92], v[113:114], v[95:96], v[91:92]
	s_waitcnt vmcnt(11)
	v_fma_f64 v[99:100], v[99:100], v[97:98], v[91:92]
	ds_read_b128 v[91:94], v90 offset:656
	ds_read_b128 v[95:98], v90 offset:672
	s_waitcnt vmcnt(10) lgkmcnt(1)
	v_fma_f64 v[91:92], v[123:124], v[91:92], v[99:100]
	s_waitcnt vmcnt(9)
	v_fma_f64 v[91:92], v[121:122], v[93:94], v[91:92]
	s_waitcnt vmcnt(8) lgkmcnt(0)
	v_fma_f64 v[91:92], v[115:116], v[95:96], v[91:92]
	s_waitcnt vmcnt(4)
	v_fma_f64 v[94:95], v[101:102], v[97:98], v[91:92]
	ds_read_b128 v[90:93], v90 offset:688
	s_waitcnt vmcnt(3) lgkmcnt(0)
	v_fma_f64 v[90:91], v[107:108], v[90:91], v[94:95]
	s_waitcnt vmcnt(2)
	v_fma_f64 v[90:91], v[103:104], v[92:93], v[90:91]
	s_waitcnt vmcnt(0)
	v_add_f64 v[90:91], v[109:110], -v[90:91]
	buffer_store_dword v91, off, s[0:3], 0 offset:108
	buffer_store_dword v90, off, s[0:3], 0 offset:104
	s_and_saveexec_b64 s[4:5], vcc
	s_cbranch_execz .LBB107_247
; %bb.246:
	buffer_load_dword v90, off, s[0:3], 0 offset:96
	buffer_load_dword v91, off, s[0:3], 0 offset:100
	v_mov_b32_e32 v92, 0
	buffer_store_dword v92, off, s[0:3], 0 offset:96
	buffer_store_dword v92, off, s[0:3], 0 offset:100
	s_waitcnt vmcnt(2)
	ds_write_b64 v89, v[90:91]
.LBB107_247:
	s_or_b64 exec, exec, s[4:5]
	s_waitcnt lgkmcnt(0)
	; wave barrier
	buffer_load_dword v99, off, s[0:3], 0 offset:104
	buffer_load_dword v100, off, s[0:3], 0 offset:108
	;; [unrolled: 1-line block ×22, first 2 shown]
	v_mov_b32_e32 v90, 0
	ds_read2_b64 v[91:94], v90 offset0:57 offset1:58
	ds_read2_b64 v[95:98], v90 offset0:59 offset1:60
	v_cmp_lt_u32_e32 vcc, 11, v0
	s_waitcnt vmcnt(20) lgkmcnt(1)
	v_fma_f64 v[91:92], v[99:100], v[91:92], 0
	s_waitcnt vmcnt(18)
	v_fma_f64 v[91:92], v[101:102], v[93:94], v[91:92]
	buffer_load_dword v100, off, s[0:3], 0 offset:196
	buffer_load_dword v101, off, s[0:3], 0 offset:216
	;; [unrolled: 1-line block ×7, first 2 shown]
	s_waitcnt vmcnt(23) lgkmcnt(0)
	v_fma_f64 v[91:92], v[103:104], v[95:96], v[91:92]
	s_waitcnt vmcnt(21)
	v_fma_f64 v[102:103], v[105:106], v[97:98], v[91:92]
	ds_read2_b64 v[91:94], v90 offset0:61 offset1:62
	ds_read2_b64 v[95:98], v90 offset0:63 offset1:64
	s_waitcnt vmcnt(19) lgkmcnt(1)
	v_fma_f64 v[91:92], v[107:108], v[91:92], v[102:103]
	buffer_load_dword v102, off, s[0:3], 0 offset:220
	s_waitcnt vmcnt(18)
	v_fma_f64 v[91:92], v[109:110], v[93:94], v[91:92]
	buffer_load_dword v104, off, s[0:3], 0 offset:228
	buffer_load_dword v105, off, s[0:3], 0 offset:248
	;; [unrolled: 1-line block ×7, first 2 shown]
	s_waitcnt vmcnt(23) lgkmcnt(0)
	v_fma_f64 v[91:92], v[111:112], v[95:96], v[91:92]
	s_waitcnt vmcnt(18)
	v_fma_f64 v[111:112], v[113:114], v[97:98], v[91:92]
	ds_read2_b64 v[91:94], v90 offset0:65 offset1:66
	ds_read2_b64 v[95:98], v90 offset0:67 offset1:68
	buffer_load_dword v106, off, s[0:3], 0 offset:252
	s_waitcnt vmcnt(18) lgkmcnt(1)
	v_fma_f64 v[91:92], v[119:120], v[91:92], v[111:112]
	s_waitcnt vmcnt(17)
	v_fma_f64 v[91:92], v[117:118], v[93:94], v[91:92]
	buffer_load_dword v112, off, s[0:3], 0 offset:260
	buffer_load_dword v113, off, s[0:3], 0 offset:280
	buffer_load_dword v117, off, s[0:3], 0 offset:272
	buffer_load_dword v119, off, s[0:3], 0 offset:264
	buffer_load_dword v111, off, s[0:3], 0 offset:256
	buffer_load_dword v120, off, s[0:3], 0 offset:268
	buffer_load_dword v118, off, s[0:3], 0 offset:276
	buffer_load_dword v114, off, s[0:3], 0 offset:284
	s_waitcnt vmcnt(24) lgkmcnt(0)
	v_fma_f64 v[91:92], v[115:116], v[95:96], v[91:92]
	s_waitcnt vmcnt(19)
	v_fma_f64 v[99:100], v[99:100], v[97:98], v[91:92]
	ds_read2_b64 v[91:94], v90 offset0:69 offset1:70
	ds_read2_b64 v[95:98], v90 offset0:71 offset1:72
	s_waitcnt vmcnt(18) lgkmcnt(1)
	v_fma_f64 v[91:92], v[123:124], v[91:92], v[99:100]
	s_waitcnt vmcnt(17)
	v_fma_f64 v[91:92], v[121:122], v[93:94], v[91:92]
	buffer_load_dword v100, off, s[0:3], 0 offset:292
	buffer_load_dword v115, off, s[0:3], 0 offset:312
	buffer_load_dword v121, off, s[0:3], 0 offset:304
	buffer_load_dword v123, off, s[0:3], 0 offset:296
	buffer_load_dword v99, off, s[0:3], 0 offset:288
	buffer_load_dword v124, off, s[0:3], 0 offset:300
	buffer_load_dword v122, off, s[0:3], 0 offset:308
	buffer_load_dword v116, off, s[0:3], 0 offset:316
	s_waitcnt vmcnt(24) lgkmcnt(0)
	v_fma_f64 v[91:92], v[101:102], v[95:96], v[91:92]
	s_waitcnt vmcnt(19)
	v_fma_f64 v[101:102], v[103:104], v[97:98], v[91:92]
	ds_read2_b64 v[91:94], v90 offset0:73 offset1:74
	ds_read2_b64 v[95:98], v90 offset0:75 offset1:76
	;; [unrolled: 18-line block ×3, first 2 shown]
	s_waitcnt vmcnt(18) lgkmcnt(1)
	v_fma_f64 v[91:92], v[119:120], v[91:92], v[105:106]
	buffer_load_dword v105, off, s[0:3], 0 offset:96
	buffer_load_dword v106, off, s[0:3], 0 offset:100
	s_waitcnt vmcnt(19)
	v_fma_f64 v[91:92], v[117:118], v[93:94], v[91:92]
	s_waitcnt vmcnt(18) lgkmcnt(0)
	v_fma_f64 v[91:92], v[113:114], v[95:96], v[91:92]
	s_waitcnt vmcnt(13)
	v_fma_f64 v[99:100], v[99:100], v[97:98], v[91:92]
	ds_read2_b64 v[91:94], v90 offset0:81 offset1:82
	ds_read2_b64 v[95:98], v90 offset0:83 offset1:84
	s_waitcnt vmcnt(12) lgkmcnt(1)
	v_fma_f64 v[91:92], v[123:124], v[91:92], v[99:100]
	s_waitcnt vmcnt(11)
	v_fma_f64 v[91:92], v[121:122], v[93:94], v[91:92]
	s_waitcnt vmcnt(10) lgkmcnt(0)
	v_fma_f64 v[91:92], v[115:116], v[95:96], v[91:92]
	s_waitcnt vmcnt(5)
	v_fma_f64 v[95:96], v[101:102], v[97:98], v[91:92]
	ds_read2_b64 v[91:94], v90 offset0:85 offset1:86
	ds_read_b64 v[97:98], v90 offset:696
	s_waitcnt vmcnt(4) lgkmcnt(1)
	v_fma_f64 v[91:92], v[109:110], v[91:92], v[95:96]
	s_waitcnt vmcnt(3)
	v_fma_f64 v[91:92], v[107:108], v[93:94], v[91:92]
	s_waitcnt vmcnt(2) lgkmcnt(0)
	v_fma_f64 v[91:92], v[103:104], v[97:98], v[91:92]
	s_waitcnt vmcnt(0)
	v_add_f64 v[91:92], v[105:106], -v[91:92]
	buffer_store_dword v92, off, s[0:3], 0 offset:100
	buffer_store_dword v91, off, s[0:3], 0 offset:96
	s_and_saveexec_b64 s[4:5], vcc
	s_cbranch_execz .LBB107_249
; %bb.248:
	buffer_load_dword v91, off, s[0:3], 0 offset:88
	buffer_load_dword v92, off, s[0:3], 0 offset:92
	s_waitcnt vmcnt(0)
	ds_write_b64 v89, v[91:92]
	buffer_store_dword v90, off, s[0:3], 0 offset:88
	buffer_store_dword v90, off, s[0:3], 0 offset:92
.LBB107_249:
	s_or_b64 exec, exec, s[4:5]
	s_waitcnt lgkmcnt(0)
	; wave barrier
	buffer_load_dword v99, off, s[0:3], 0 offset:96
	buffer_load_dword v100, off, s[0:3], 0 offset:100
	;; [unrolled: 1-line block ×22, first 2 shown]
	ds_read_b128 v[91:94], v90 offset:448
	ds_read_b128 v[95:98], v90 offset:464
	v_cmp_lt_u32_e32 vcc, 10, v0
	s_waitcnt vmcnt(20) lgkmcnt(1)
	v_fma_f64 v[91:92], v[99:100], v[91:92], 0
	s_waitcnt vmcnt(18)
	v_fma_f64 v[91:92], v[101:102], v[93:94], v[91:92]
	buffer_load_dword v100, off, s[0:3], 0 offset:188
	buffer_load_dword v101, off, s[0:3], 0 offset:208
	;; [unrolled: 1-line block ×7, first 2 shown]
	s_waitcnt vmcnt(23) lgkmcnt(0)
	v_fma_f64 v[91:92], v[103:104], v[95:96], v[91:92]
	s_waitcnt vmcnt(21)
	v_fma_f64 v[102:103], v[105:106], v[97:98], v[91:92]
	ds_read_b128 v[91:94], v90 offset:480
	ds_read_b128 v[95:98], v90 offset:496
	s_waitcnt vmcnt(19) lgkmcnt(1)
	v_fma_f64 v[91:92], v[107:108], v[91:92], v[102:103]
	buffer_load_dword v102, off, s[0:3], 0 offset:212
	s_waitcnt vmcnt(18)
	v_fma_f64 v[91:92], v[109:110], v[93:94], v[91:92]
	buffer_load_dword v104, off, s[0:3], 0 offset:220
	buffer_load_dword v105, off, s[0:3], 0 offset:240
	;; [unrolled: 1-line block ×7, first 2 shown]
	s_waitcnt vmcnt(23) lgkmcnt(0)
	v_fma_f64 v[91:92], v[111:112], v[95:96], v[91:92]
	s_waitcnt vmcnt(18)
	v_fma_f64 v[111:112], v[113:114], v[97:98], v[91:92]
	ds_read_b128 v[91:94], v90 offset:512
	ds_read_b128 v[95:98], v90 offset:528
	buffer_load_dword v106, off, s[0:3], 0 offset:244
	s_waitcnt vmcnt(18) lgkmcnt(1)
	v_fma_f64 v[91:92], v[119:120], v[91:92], v[111:112]
	s_waitcnt vmcnt(17)
	v_fma_f64 v[91:92], v[117:118], v[93:94], v[91:92]
	buffer_load_dword v112, off, s[0:3], 0 offset:252
	buffer_load_dword v113, off, s[0:3], 0 offset:272
	buffer_load_dword v117, off, s[0:3], 0 offset:264
	buffer_load_dword v119, off, s[0:3], 0 offset:256
	buffer_load_dword v111, off, s[0:3], 0 offset:248
	buffer_load_dword v120, off, s[0:3], 0 offset:260
	buffer_load_dword v118, off, s[0:3], 0 offset:268
	buffer_load_dword v114, off, s[0:3], 0 offset:276
	s_waitcnt vmcnt(24) lgkmcnt(0)
	v_fma_f64 v[91:92], v[115:116], v[95:96], v[91:92]
	s_waitcnt vmcnt(19)
	v_fma_f64 v[99:100], v[99:100], v[97:98], v[91:92]
	ds_read_b128 v[91:94], v90 offset:544
	ds_read_b128 v[95:98], v90 offset:560
	s_waitcnt vmcnt(18) lgkmcnt(1)
	v_fma_f64 v[91:92], v[123:124], v[91:92], v[99:100]
	s_waitcnt vmcnt(17)
	v_fma_f64 v[91:92], v[121:122], v[93:94], v[91:92]
	buffer_load_dword v100, off, s[0:3], 0 offset:284
	buffer_load_dword v115, off, s[0:3], 0 offset:304
	buffer_load_dword v121, off, s[0:3], 0 offset:296
	buffer_load_dword v123, off, s[0:3], 0 offset:288
	buffer_load_dword v99, off, s[0:3], 0 offset:280
	buffer_load_dword v124, off, s[0:3], 0 offset:292
	buffer_load_dword v122, off, s[0:3], 0 offset:300
	buffer_load_dword v116, off, s[0:3], 0 offset:308
	s_waitcnt vmcnt(24) lgkmcnt(0)
	v_fma_f64 v[91:92], v[101:102], v[95:96], v[91:92]
	s_waitcnt vmcnt(19)
	v_fma_f64 v[101:102], v[103:104], v[97:98], v[91:92]
	ds_read_b128 v[91:94], v90 offset:576
	ds_read_b128 v[95:98], v90 offset:592
	;; [unrolled: 18-line block ×3, first 2 shown]
	s_waitcnt vmcnt(18) lgkmcnt(1)
	v_fma_f64 v[91:92], v[119:120], v[91:92], v[105:106]
	buffer_load_dword v106, off, s[0:3], 0 offset:348
	buffer_load_dword v105, off, s[0:3], 0 offset:344
	;; [unrolled: 1-line block ×4, first 2 shown]
	s_waitcnt vmcnt(21)
	v_fma_f64 v[91:92], v[117:118], v[93:94], v[91:92]
	s_waitcnt vmcnt(20) lgkmcnt(0)
	v_fma_f64 v[91:92], v[113:114], v[95:96], v[91:92]
	s_waitcnt vmcnt(15)
	v_fma_f64 v[99:100], v[99:100], v[97:98], v[91:92]
	ds_read_b128 v[91:94], v90 offset:640
	ds_read_b128 v[95:98], v90 offset:656
	s_waitcnt vmcnt(14) lgkmcnt(1)
	v_fma_f64 v[91:92], v[123:124], v[91:92], v[99:100]
	s_waitcnt vmcnt(13)
	v_fma_f64 v[91:92], v[121:122], v[93:94], v[91:92]
	s_waitcnt vmcnt(12) lgkmcnt(0)
	v_fma_f64 v[91:92], v[115:116], v[95:96], v[91:92]
	s_waitcnt vmcnt(7)
	v_fma_f64 v[99:100], v[101:102], v[97:98], v[91:92]
	ds_read_b128 v[91:94], v90 offset:672
	ds_read_b128 v[95:98], v90 offset:688
	s_waitcnt vmcnt(6) lgkmcnt(1)
	v_fma_f64 v[90:91], v[109:110], v[91:92], v[99:100]
	s_waitcnt vmcnt(5)
	v_fma_f64 v[90:91], v[107:108], v[93:94], v[90:91]
	s_waitcnt vmcnt(4) lgkmcnt(0)
	v_fma_f64 v[90:91], v[103:104], v[95:96], v[90:91]
	s_waitcnt vmcnt(2)
	v_fma_f64 v[90:91], v[105:106], v[97:98], v[90:91]
	s_waitcnt vmcnt(0)
	v_add_f64 v[90:91], v[111:112], -v[90:91]
	buffer_store_dword v91, off, s[0:3], 0 offset:92
	buffer_store_dword v90, off, s[0:3], 0 offset:88
	s_and_saveexec_b64 s[4:5], vcc
	s_cbranch_execz .LBB107_251
; %bb.250:
	buffer_load_dword v90, off, s[0:3], 0 offset:80
	buffer_load_dword v91, off, s[0:3], 0 offset:84
	v_mov_b32_e32 v92, 0
	buffer_store_dword v92, off, s[0:3], 0 offset:80
	buffer_store_dword v92, off, s[0:3], 0 offset:84
	s_waitcnt vmcnt(2)
	ds_write_b64 v89, v[90:91]
.LBB107_251:
	s_or_b64 exec, exec, s[4:5]
	s_waitcnt lgkmcnt(0)
	; wave barrier
	buffer_load_dword v99, off, s[0:3], 0 offset:88
	buffer_load_dword v100, off, s[0:3], 0 offset:92
	;; [unrolled: 1-line block ×21, first 2 shown]
	v_mov_b32_e32 v90, 0
	ds_read2_b64 v[91:94], v90 offset0:55 offset1:56
	ds_read2_b64 v[95:98], v90 offset0:57 offset1:58
	buffer_load_dword v116, off, s[0:3], 0 offset:172
	v_cmp_lt_u32_e32 vcc, 9, v0
	s_waitcnt vmcnt(20) lgkmcnt(1)
	v_fma_f64 v[91:92], v[99:100], v[91:92], 0
	s_waitcnt vmcnt(18)
	v_fma_f64 v[91:92], v[101:102], v[93:94], v[91:92]
	buffer_load_dword v100, off, s[0:3], 0 offset:180
	buffer_load_dword v101, off, s[0:3], 0 offset:200
	;; [unrolled: 1-line block ×7, first 2 shown]
	s_waitcnt vmcnt(23) lgkmcnt(0)
	v_fma_f64 v[91:92], v[103:104], v[95:96], v[91:92]
	s_waitcnt vmcnt(21)
	v_fma_f64 v[102:103], v[105:106], v[97:98], v[91:92]
	ds_read2_b64 v[91:94], v90 offset0:59 offset1:60
	ds_read2_b64 v[95:98], v90 offset0:61 offset1:62
	s_waitcnt vmcnt(19) lgkmcnt(1)
	v_fma_f64 v[91:92], v[107:108], v[91:92], v[102:103]
	buffer_load_dword v102, off, s[0:3], 0 offset:204
	s_waitcnt vmcnt(18)
	v_fma_f64 v[91:92], v[109:110], v[93:94], v[91:92]
	buffer_load_dword v104, off, s[0:3], 0 offset:212
	buffer_load_dword v105, off, s[0:3], 0 offset:232
	;; [unrolled: 1-line block ×7, first 2 shown]
	s_waitcnt vmcnt(23) lgkmcnt(0)
	v_fma_f64 v[91:92], v[111:112], v[95:96], v[91:92]
	s_waitcnt vmcnt(18)
	v_fma_f64 v[111:112], v[113:114], v[97:98], v[91:92]
	ds_read2_b64 v[91:94], v90 offset0:63 offset1:64
	ds_read2_b64 v[95:98], v90 offset0:65 offset1:66
	buffer_load_dword v106, off, s[0:3], 0 offset:236
	s_waitcnt vmcnt(18) lgkmcnt(1)
	v_fma_f64 v[91:92], v[119:120], v[91:92], v[111:112]
	s_waitcnt vmcnt(17)
	v_fma_f64 v[91:92], v[117:118], v[93:94], v[91:92]
	buffer_load_dword v112, off, s[0:3], 0 offset:244
	buffer_load_dword v113, off, s[0:3], 0 offset:264
	;; [unrolled: 1-line block ×7, first 2 shown]
	s_waitcnt vmcnt(23) lgkmcnt(0)
	v_fma_f64 v[91:92], v[115:116], v[95:96], v[91:92]
	s_waitcnt vmcnt(18)
	v_fma_f64 v[99:100], v[99:100], v[97:98], v[91:92]
	ds_read2_b64 v[91:94], v90 offset0:67 offset1:68
	ds_read2_b64 v[95:98], v90 offset0:69 offset1:70
	buffer_load_dword v114, off, s[0:3], 0 offset:268
	s_waitcnt vmcnt(18) lgkmcnt(1)
	v_fma_f64 v[91:92], v[123:124], v[91:92], v[99:100]
	s_waitcnt vmcnt(17)
	v_fma_f64 v[91:92], v[121:122], v[93:94], v[91:92]
	buffer_load_dword v100, off, s[0:3], 0 offset:276
	buffer_load_dword v115, off, s[0:3], 0 offset:296
	;; [unrolled: 1-line block ×8, first 2 shown]
	s_waitcnt vmcnt(24) lgkmcnt(0)
	v_fma_f64 v[91:92], v[101:102], v[95:96], v[91:92]
	s_waitcnt vmcnt(19)
	v_fma_f64 v[101:102], v[103:104], v[97:98], v[91:92]
	ds_read2_b64 v[91:94], v90 offset0:71 offset1:72
	ds_read2_b64 v[95:98], v90 offset0:73 offset1:74
	s_waitcnt vmcnt(18) lgkmcnt(1)
	v_fma_f64 v[91:92], v[109:110], v[91:92], v[101:102]
	s_waitcnt vmcnt(17)
	v_fma_f64 v[91:92], v[107:108], v[93:94], v[91:92]
	buffer_load_dword v102, off, s[0:3], 0 offset:308
	buffer_load_dword v103, off, s[0:3], 0 offset:328
	;; [unrolled: 1-line block ×7, first 2 shown]
	s_waitcnt vmcnt(23) lgkmcnt(0)
	v_fma_f64 v[91:92], v[105:106], v[95:96], v[91:92]
	s_waitcnt vmcnt(18)
	v_fma_f64 v[104:105], v[111:112], v[97:98], v[91:92]
	ds_read2_b64 v[91:94], v90 offset0:75 offset1:76
	ds_read2_b64 v[95:98], v90 offset0:77 offset1:78
	s_waitcnt vmcnt(17) lgkmcnt(1)
	v_fma_f64 v[91:92], v[119:120], v[91:92], v[104:105]
	buffer_load_dword v104, off, s[0:3], 0 offset:332
	buffer_load_dword v106, off, s[0:3], 0 offset:340
	;; [unrolled: 1-line block ×5, first 2 shown]
	s_waitcnt vmcnt(21)
	v_fma_f64 v[91:92], v[117:118], v[93:94], v[91:92]
	s_waitcnt vmcnt(20) lgkmcnt(0)
	v_fma_f64 v[91:92], v[113:114], v[95:96], v[91:92]
	buffer_load_dword v113, off, s[0:3], 0 offset:80
	buffer_load_dword v114, off, s[0:3], 0 offset:84
	s_waitcnt vmcnt(17)
	v_fma_f64 v[99:100], v[99:100], v[97:98], v[91:92]
	ds_read2_b64 v[91:94], v90 offset0:79 offset1:80
	ds_read2_b64 v[95:98], v90 offset0:81 offset1:82
	s_waitcnt vmcnt(16) lgkmcnt(1)
	v_fma_f64 v[91:92], v[123:124], v[91:92], v[99:100]
	s_waitcnt vmcnt(15)
	v_fma_f64 v[91:92], v[121:122], v[93:94], v[91:92]
	s_waitcnt vmcnt(14) lgkmcnt(0)
	v_fma_f64 v[91:92], v[115:116], v[95:96], v[91:92]
	s_waitcnt vmcnt(9)
	v_fma_f64 v[99:100], v[101:102], v[97:98], v[91:92]
	ds_read2_b64 v[91:94], v90 offset0:83 offset1:84
	ds_read2_b64 v[95:98], v90 offset0:85 offset1:86
	s_waitcnt vmcnt(8) lgkmcnt(1)
	v_fma_f64 v[91:92], v[109:110], v[91:92], v[99:100]
	s_waitcnt vmcnt(7)
	v_fma_f64 v[91:92], v[107:108], v[93:94], v[91:92]
	ds_read_b64 v[93:94], v90 offset:696
	s_waitcnt vmcnt(6) lgkmcnt(1)
	v_fma_f64 v[91:92], v[103:104], v[95:96], v[91:92]
	s_waitcnt vmcnt(3)
	v_fma_f64 v[91:92], v[105:106], v[97:98], v[91:92]
	s_waitcnt vmcnt(2) lgkmcnt(0)
	v_fma_f64 v[91:92], v[111:112], v[93:94], v[91:92]
	s_waitcnt vmcnt(0)
	v_add_f64 v[91:92], v[113:114], -v[91:92]
	buffer_store_dword v92, off, s[0:3], 0 offset:84
	buffer_store_dword v91, off, s[0:3], 0 offset:80
	s_and_saveexec_b64 s[4:5], vcc
	s_cbranch_execz .LBB107_253
; %bb.252:
	buffer_load_dword v91, off, s[0:3], 0 offset:72
	buffer_load_dword v92, off, s[0:3], 0 offset:76
	s_waitcnt vmcnt(0)
	ds_write_b64 v89, v[91:92]
	buffer_store_dword v90, off, s[0:3], 0 offset:72
	buffer_store_dword v90, off, s[0:3], 0 offset:76
.LBB107_253:
	s_or_b64 exec, exec, s[4:5]
	s_waitcnt lgkmcnt(0)
	; wave barrier
	buffer_load_dword v99, off, s[0:3], 0 offset:80
	buffer_load_dword v100, off, s[0:3], 0 offset:84
	;; [unrolled: 1-line block ×21, first 2 shown]
	ds_read_b128 v[91:94], v90 offset:432
	ds_read_b128 v[95:98], v90 offset:448
	buffer_load_dword v116, off, s[0:3], 0 offset:164
	v_cmp_lt_u32_e32 vcc, 8, v0
	s_waitcnt vmcnt(20) lgkmcnt(1)
	v_fma_f64 v[91:92], v[99:100], v[91:92], 0
	s_waitcnt vmcnt(18)
	v_fma_f64 v[91:92], v[101:102], v[93:94], v[91:92]
	buffer_load_dword v100, off, s[0:3], 0 offset:172
	buffer_load_dword v101, off, s[0:3], 0 offset:192
	;; [unrolled: 1-line block ×7, first 2 shown]
	s_waitcnt vmcnt(23) lgkmcnt(0)
	v_fma_f64 v[91:92], v[103:104], v[95:96], v[91:92]
	s_waitcnt vmcnt(21)
	v_fma_f64 v[102:103], v[105:106], v[97:98], v[91:92]
	ds_read_b128 v[91:94], v90 offset:464
	ds_read_b128 v[95:98], v90 offset:480
	s_waitcnt vmcnt(19) lgkmcnt(1)
	v_fma_f64 v[91:92], v[107:108], v[91:92], v[102:103]
	buffer_load_dword v102, off, s[0:3], 0 offset:196
	s_waitcnt vmcnt(18)
	v_fma_f64 v[91:92], v[109:110], v[93:94], v[91:92]
	buffer_load_dword v104, off, s[0:3], 0 offset:204
	buffer_load_dword v105, off, s[0:3], 0 offset:224
	;; [unrolled: 1-line block ×8, first 2 shown]
	s_waitcnt vmcnt(24) lgkmcnt(0)
	v_fma_f64 v[91:92], v[111:112], v[95:96], v[91:92]
	s_waitcnt vmcnt(19)
	v_fma_f64 v[111:112], v[113:114], v[97:98], v[91:92]
	ds_read_b128 v[91:94], v90 offset:496
	ds_read_b128 v[95:98], v90 offset:512
	s_waitcnt vmcnt(18) lgkmcnt(1)
	v_fma_f64 v[91:92], v[119:120], v[91:92], v[111:112]
	s_waitcnt vmcnt(17)
	v_fma_f64 v[91:92], v[117:118], v[93:94], v[91:92]
	buffer_load_dword v112, off, s[0:3], 0 offset:236
	buffer_load_dword v113, off, s[0:3], 0 offset:256
	;; [unrolled: 1-line block ×7, first 2 shown]
	s_waitcnt vmcnt(23) lgkmcnt(0)
	v_fma_f64 v[91:92], v[115:116], v[95:96], v[91:92]
	s_waitcnt vmcnt(18)
	v_fma_f64 v[99:100], v[99:100], v[97:98], v[91:92]
	ds_read_b128 v[91:94], v90 offset:528
	ds_read_b128 v[95:98], v90 offset:544
	buffer_load_dword v114, off, s[0:3], 0 offset:260
	s_waitcnt vmcnt(18) lgkmcnt(1)
	v_fma_f64 v[91:92], v[123:124], v[91:92], v[99:100]
	s_waitcnt vmcnt(17)
	v_fma_f64 v[91:92], v[121:122], v[93:94], v[91:92]
	buffer_load_dword v100, off, s[0:3], 0 offset:268
	buffer_load_dword v115, off, s[0:3], 0 offset:288
	;; [unrolled: 1-line block ×8, first 2 shown]
	s_waitcnt vmcnt(24) lgkmcnt(0)
	v_fma_f64 v[91:92], v[101:102], v[95:96], v[91:92]
	s_waitcnt vmcnt(19)
	v_fma_f64 v[101:102], v[103:104], v[97:98], v[91:92]
	ds_read_b128 v[91:94], v90 offset:560
	ds_read_b128 v[95:98], v90 offset:576
	s_waitcnt vmcnt(18) lgkmcnt(1)
	v_fma_f64 v[91:92], v[109:110], v[91:92], v[101:102]
	s_waitcnt vmcnt(17)
	v_fma_f64 v[91:92], v[107:108], v[93:94], v[91:92]
	buffer_load_dword v102, off, s[0:3], 0 offset:300
	buffer_load_dword v103, off, s[0:3], 0 offset:320
	;; [unrolled: 1-line block ×7, first 2 shown]
	s_waitcnt vmcnt(23) lgkmcnt(0)
	v_fma_f64 v[91:92], v[105:106], v[95:96], v[91:92]
	s_waitcnt vmcnt(18)
	v_fma_f64 v[104:105], v[111:112], v[97:98], v[91:92]
	ds_read_b128 v[91:94], v90 offset:592
	ds_read_b128 v[95:98], v90 offset:608
	s_waitcnt vmcnt(17) lgkmcnt(1)
	v_fma_f64 v[91:92], v[119:120], v[91:92], v[104:105]
	buffer_load_dword v104, off, s[0:3], 0 offset:324
	s_waitcnt vmcnt(17)
	v_fma_f64 v[91:92], v[117:118], v[93:94], v[91:92]
	buffer_load_dword v106, off, s[0:3], 0 offset:332
	buffer_load_dword v111, off, s[0:3], 0 offset:344
	buffer_load_dword v117, off, s[0:3], 0 offset:336
	buffer_load_dword v105, off, s[0:3], 0 offset:328
	buffer_load_dword v118, off, s[0:3], 0 offset:340
	buffer_load_dword v112, off, s[0:3], 0 offset:348
	s_waitcnt vmcnt(22) lgkmcnt(0)
	v_fma_f64 v[91:92], v[113:114], v[95:96], v[91:92]
	s_waitcnt vmcnt(17)
	v_fma_f64 v[99:100], v[99:100], v[97:98], v[91:92]
	ds_read_b128 v[91:94], v90 offset:624
	buffer_load_dword v113, off, s[0:3], 0 offset:72
	buffer_load_dword v114, off, s[0:3], 0 offset:76
	ds_read_b128 v[95:98], v90 offset:640
	s_waitcnt vmcnt(18) lgkmcnt(1)
	v_fma_f64 v[91:92], v[123:124], v[91:92], v[99:100]
	s_waitcnt vmcnt(17)
	v_fma_f64 v[91:92], v[121:122], v[93:94], v[91:92]
	s_waitcnt vmcnt(16) lgkmcnt(0)
	v_fma_f64 v[91:92], v[115:116], v[95:96], v[91:92]
	s_waitcnt vmcnt(11)
	v_fma_f64 v[99:100], v[101:102], v[97:98], v[91:92]
	ds_read_b128 v[91:94], v90 offset:656
	ds_read_b128 v[95:98], v90 offset:672
	s_waitcnt vmcnt(10) lgkmcnt(1)
	v_fma_f64 v[91:92], v[109:110], v[91:92], v[99:100]
	s_waitcnt vmcnt(9)
	v_fma_f64 v[91:92], v[107:108], v[93:94], v[91:92]
	s_waitcnt vmcnt(8) lgkmcnt(0)
	v_fma_f64 v[91:92], v[103:104], v[95:96], v[91:92]
	s_waitcnt vmcnt(4)
	v_fma_f64 v[94:95], v[105:106], v[97:98], v[91:92]
	ds_read_b128 v[90:93], v90 offset:688
	s_waitcnt vmcnt(3) lgkmcnt(0)
	v_fma_f64 v[90:91], v[117:118], v[90:91], v[94:95]
	s_waitcnt vmcnt(2)
	v_fma_f64 v[90:91], v[111:112], v[92:93], v[90:91]
	s_waitcnt vmcnt(0)
	v_add_f64 v[90:91], v[113:114], -v[90:91]
	buffer_store_dword v91, off, s[0:3], 0 offset:76
	buffer_store_dword v90, off, s[0:3], 0 offset:72
	s_and_saveexec_b64 s[4:5], vcc
	s_cbranch_execz .LBB107_255
; %bb.254:
	buffer_load_dword v90, off, s[0:3], 0 offset:64
	buffer_load_dword v91, off, s[0:3], 0 offset:68
	v_mov_b32_e32 v92, 0
	buffer_store_dword v92, off, s[0:3], 0 offset:64
	buffer_store_dword v92, off, s[0:3], 0 offset:68
	s_waitcnt vmcnt(2)
	ds_write_b64 v89, v[90:91]
.LBB107_255:
	s_or_b64 exec, exec, s[4:5]
	s_waitcnt lgkmcnt(0)
	; wave barrier
	buffer_load_dword v99, off, s[0:3], 0 offset:72
	buffer_load_dword v100, off, s[0:3], 0 offset:76
	;; [unrolled: 1-line block ×21, first 2 shown]
	v_mov_b32_e32 v90, 0
	ds_read2_b64 v[91:94], v90 offset0:53 offset1:54
	ds_read2_b64 v[95:98], v90 offset0:55 offset1:56
	buffer_load_dword v116, off, s[0:3], 0 offset:156
	v_cmp_lt_u32_e32 vcc, 7, v0
	s_waitcnt vmcnt(20) lgkmcnt(1)
	v_fma_f64 v[91:92], v[99:100], v[91:92], 0
	s_waitcnt vmcnt(18)
	v_fma_f64 v[91:92], v[101:102], v[93:94], v[91:92]
	buffer_load_dword v100, off, s[0:3], 0 offset:164
	buffer_load_dword v101, off, s[0:3], 0 offset:184
	;; [unrolled: 1-line block ×7, first 2 shown]
	s_waitcnt vmcnt(23) lgkmcnt(0)
	v_fma_f64 v[91:92], v[103:104], v[95:96], v[91:92]
	s_waitcnt vmcnt(21)
	v_fma_f64 v[102:103], v[105:106], v[97:98], v[91:92]
	ds_read2_b64 v[91:94], v90 offset0:57 offset1:58
	ds_read2_b64 v[95:98], v90 offset0:59 offset1:60
	s_waitcnt vmcnt(19) lgkmcnt(1)
	v_fma_f64 v[91:92], v[107:108], v[91:92], v[102:103]
	buffer_load_dword v102, off, s[0:3], 0 offset:188
	s_waitcnt vmcnt(18)
	v_fma_f64 v[91:92], v[109:110], v[93:94], v[91:92]
	buffer_load_dword v104, off, s[0:3], 0 offset:196
	buffer_load_dword v105, off, s[0:3], 0 offset:216
	;; [unrolled: 1-line block ×8, first 2 shown]
	s_waitcnt vmcnt(24) lgkmcnt(0)
	v_fma_f64 v[91:92], v[111:112], v[95:96], v[91:92]
	s_waitcnt vmcnt(19)
	v_fma_f64 v[111:112], v[113:114], v[97:98], v[91:92]
	ds_read2_b64 v[91:94], v90 offset0:61 offset1:62
	ds_read2_b64 v[95:98], v90 offset0:63 offset1:64
	s_waitcnt vmcnt(18) lgkmcnt(1)
	v_fma_f64 v[91:92], v[119:120], v[91:92], v[111:112]
	s_waitcnt vmcnt(17)
	v_fma_f64 v[91:92], v[117:118], v[93:94], v[91:92]
	buffer_load_dword v112, off, s[0:3], 0 offset:228
	buffer_load_dword v113, off, s[0:3], 0 offset:248
	;; [unrolled: 1-line block ×7, first 2 shown]
	s_waitcnt vmcnt(23) lgkmcnt(0)
	v_fma_f64 v[91:92], v[115:116], v[95:96], v[91:92]
	s_waitcnt vmcnt(18)
	v_fma_f64 v[99:100], v[99:100], v[97:98], v[91:92]
	ds_read2_b64 v[91:94], v90 offset0:65 offset1:66
	ds_read2_b64 v[95:98], v90 offset0:67 offset1:68
	buffer_load_dword v114, off, s[0:3], 0 offset:252
	s_waitcnt vmcnt(18) lgkmcnt(1)
	v_fma_f64 v[91:92], v[123:124], v[91:92], v[99:100]
	s_waitcnt vmcnt(17)
	v_fma_f64 v[91:92], v[121:122], v[93:94], v[91:92]
	buffer_load_dword v100, off, s[0:3], 0 offset:260
	buffer_load_dword v115, off, s[0:3], 0 offset:280
	;; [unrolled: 1-line block ×8, first 2 shown]
	s_waitcnt vmcnt(24) lgkmcnt(0)
	v_fma_f64 v[91:92], v[101:102], v[95:96], v[91:92]
	s_waitcnt vmcnt(19)
	v_fma_f64 v[101:102], v[103:104], v[97:98], v[91:92]
	ds_read2_b64 v[91:94], v90 offset0:69 offset1:70
	ds_read2_b64 v[95:98], v90 offset0:71 offset1:72
	s_waitcnt vmcnt(18) lgkmcnt(1)
	v_fma_f64 v[91:92], v[109:110], v[91:92], v[101:102]
	s_waitcnt vmcnt(17)
	v_fma_f64 v[91:92], v[107:108], v[93:94], v[91:92]
	buffer_load_dword v102, off, s[0:3], 0 offset:292
	buffer_load_dword v103, off, s[0:3], 0 offset:312
	;; [unrolled: 1-line block ×7, first 2 shown]
	s_waitcnt vmcnt(23) lgkmcnt(0)
	v_fma_f64 v[91:92], v[105:106], v[95:96], v[91:92]
	s_waitcnt vmcnt(18)
	v_fma_f64 v[104:105], v[111:112], v[97:98], v[91:92]
	ds_read2_b64 v[91:94], v90 offset0:73 offset1:74
	ds_read2_b64 v[95:98], v90 offset0:75 offset1:76
	s_waitcnt vmcnt(17) lgkmcnt(1)
	v_fma_f64 v[91:92], v[119:120], v[91:92], v[104:105]
	buffer_load_dword v104, off, s[0:3], 0 offset:316
	s_waitcnt vmcnt(17)
	v_fma_f64 v[91:92], v[117:118], v[93:94], v[91:92]
	buffer_load_dword v106, off, s[0:3], 0 offset:324
	buffer_load_dword v111, off, s[0:3], 0 offset:344
	;; [unrolled: 1-line block ×8, first 2 shown]
	s_waitcnt vmcnt(24) lgkmcnt(0)
	v_fma_f64 v[91:92], v[113:114], v[95:96], v[91:92]
	s_waitcnt vmcnt(19)
	v_fma_f64 v[99:100], v[99:100], v[97:98], v[91:92]
	ds_read2_b64 v[91:94], v90 offset0:77 offset1:78
	ds_read2_b64 v[95:98], v90 offset0:79 offset1:80
	s_waitcnt vmcnt(18) lgkmcnt(1)
	v_fma_f64 v[91:92], v[123:124], v[91:92], v[99:100]
	buffer_load_dword v99, off, s[0:3], 0 offset:64
	buffer_load_dword v100, off, s[0:3], 0 offset:68
	s_waitcnt vmcnt(19)
	v_fma_f64 v[91:92], v[121:122], v[93:94], v[91:92]
	s_waitcnt vmcnt(18) lgkmcnt(0)
	v_fma_f64 v[91:92], v[115:116], v[95:96], v[91:92]
	s_waitcnt vmcnt(13)
	v_fma_f64 v[101:102], v[101:102], v[97:98], v[91:92]
	ds_read2_b64 v[91:94], v90 offset0:81 offset1:82
	ds_read2_b64 v[95:98], v90 offset0:83 offset1:84
	s_waitcnt vmcnt(12) lgkmcnt(1)
	v_fma_f64 v[91:92], v[109:110], v[91:92], v[101:102]
	s_waitcnt vmcnt(11)
	v_fma_f64 v[91:92], v[107:108], v[93:94], v[91:92]
	s_waitcnt vmcnt(10) lgkmcnt(0)
	v_fma_f64 v[91:92], v[103:104], v[95:96], v[91:92]
	s_waitcnt vmcnt(5)
	v_fma_f64 v[95:96], v[105:106], v[97:98], v[91:92]
	ds_read2_b64 v[91:94], v90 offset0:85 offset1:86
	ds_read_b64 v[97:98], v90 offset:696
	s_waitcnt vmcnt(4) lgkmcnt(1)
	v_fma_f64 v[91:92], v[119:120], v[91:92], v[95:96]
	s_waitcnt vmcnt(3)
	v_fma_f64 v[91:92], v[117:118], v[93:94], v[91:92]
	s_waitcnt vmcnt(2) lgkmcnt(0)
	v_fma_f64 v[91:92], v[111:112], v[97:98], v[91:92]
	s_waitcnt vmcnt(0)
	v_add_f64 v[91:92], v[99:100], -v[91:92]
	buffer_store_dword v92, off, s[0:3], 0 offset:68
	buffer_store_dword v91, off, s[0:3], 0 offset:64
	s_and_saveexec_b64 s[4:5], vcc
	s_cbranch_execz .LBB107_257
; %bb.256:
	buffer_load_dword v91, off, s[0:3], 0 offset:56
	buffer_load_dword v92, off, s[0:3], 0 offset:60
	s_waitcnt vmcnt(0)
	ds_write_b64 v89, v[91:92]
	buffer_store_dword v90, off, s[0:3], 0 offset:56
	buffer_store_dword v90, off, s[0:3], 0 offset:60
.LBB107_257:
	s_or_b64 exec, exec, s[4:5]
	s_waitcnt lgkmcnt(0)
	; wave barrier
	buffer_load_dword v99, off, s[0:3], 0 offset:64
	buffer_load_dword v100, off, s[0:3], 0 offset:68
	buffer_load_dword v101, off, s[0:3], 0 offset:72
	buffer_load_dword v102, off, s[0:3], 0 offset:76
	buffer_load_dword v103, off, s[0:3], 0 offset:80
	buffer_load_dword v104, off, s[0:3], 0 offset:84
	buffer_load_dword v105, off, s[0:3], 0 offset:88
	buffer_load_dword v106, off, s[0:3], 0 offset:92
	buffer_load_dword v107, off, s[0:3], 0 offset:96
	buffer_load_dword v108, off, s[0:3], 0 offset:100
	buffer_load_dword v109, off, s[0:3], 0 offset:104
	buffer_load_dword v110, off, s[0:3], 0 offset:108
	buffer_load_dword v111, off, s[0:3], 0 offset:112
	buffer_load_dword v112, off, s[0:3], 0 offset:116
	buffer_load_dword v114, off, s[0:3], 0 offset:124
	buffer_load_dword v115, off, s[0:3], 0 offset:144
	buffer_load_dword v117, off, s[0:3], 0 offset:136
	buffer_load_dword v119, off, s[0:3], 0 offset:128
	buffer_load_dword v113, off, s[0:3], 0 offset:120
	buffer_load_dword v120, off, s[0:3], 0 offset:132
	buffer_load_dword v118, off, s[0:3], 0 offset:140
	ds_read_b128 v[91:94], v90 offset:416
	ds_read_b128 v[95:98], v90 offset:432
	buffer_load_dword v116, off, s[0:3], 0 offset:148
	v_cmp_lt_u32_e32 vcc, 6, v0
	s_waitcnt vmcnt(20) lgkmcnt(1)
	v_fma_f64 v[91:92], v[99:100], v[91:92], 0
	s_waitcnt vmcnt(18)
	v_fma_f64 v[91:92], v[101:102], v[93:94], v[91:92]
	buffer_load_dword v100, off, s[0:3], 0 offset:156
	buffer_load_dword v101, off, s[0:3], 0 offset:176
	;; [unrolled: 1-line block ×7, first 2 shown]
	s_waitcnt vmcnt(23) lgkmcnt(0)
	v_fma_f64 v[91:92], v[103:104], v[95:96], v[91:92]
	s_waitcnt vmcnt(21)
	v_fma_f64 v[102:103], v[105:106], v[97:98], v[91:92]
	ds_read_b128 v[91:94], v90 offset:448
	ds_read_b128 v[95:98], v90 offset:464
	s_waitcnt vmcnt(19) lgkmcnt(1)
	v_fma_f64 v[91:92], v[107:108], v[91:92], v[102:103]
	buffer_load_dword v102, off, s[0:3], 0 offset:180
	s_waitcnt vmcnt(18)
	v_fma_f64 v[91:92], v[109:110], v[93:94], v[91:92]
	buffer_load_dword v104, off, s[0:3], 0 offset:188
	buffer_load_dword v105, off, s[0:3], 0 offset:208
	;; [unrolled: 1-line block ×8, first 2 shown]
	s_waitcnt vmcnt(24) lgkmcnt(0)
	v_fma_f64 v[91:92], v[111:112], v[95:96], v[91:92]
	s_waitcnt vmcnt(19)
	v_fma_f64 v[111:112], v[113:114], v[97:98], v[91:92]
	ds_read_b128 v[91:94], v90 offset:480
	ds_read_b128 v[95:98], v90 offset:496
	s_waitcnt vmcnt(18) lgkmcnt(1)
	v_fma_f64 v[91:92], v[119:120], v[91:92], v[111:112]
	s_waitcnt vmcnt(17)
	v_fma_f64 v[91:92], v[117:118], v[93:94], v[91:92]
	buffer_load_dword v112, off, s[0:3], 0 offset:220
	buffer_load_dword v113, off, s[0:3], 0 offset:240
	;; [unrolled: 1-line block ×7, first 2 shown]
	s_waitcnt vmcnt(23) lgkmcnt(0)
	v_fma_f64 v[91:92], v[115:116], v[95:96], v[91:92]
	s_waitcnt vmcnt(18)
	v_fma_f64 v[99:100], v[99:100], v[97:98], v[91:92]
	ds_read_b128 v[91:94], v90 offset:512
	ds_read_b128 v[95:98], v90 offset:528
	buffer_load_dword v114, off, s[0:3], 0 offset:244
	s_waitcnt vmcnt(18) lgkmcnt(1)
	v_fma_f64 v[91:92], v[123:124], v[91:92], v[99:100]
	s_waitcnt vmcnt(17)
	v_fma_f64 v[91:92], v[121:122], v[93:94], v[91:92]
	buffer_load_dword v100, off, s[0:3], 0 offset:252
	buffer_load_dword v115, off, s[0:3], 0 offset:272
	;; [unrolled: 1-line block ×8, first 2 shown]
	s_waitcnt vmcnt(24) lgkmcnt(0)
	v_fma_f64 v[91:92], v[101:102], v[95:96], v[91:92]
	s_waitcnt vmcnt(19)
	v_fma_f64 v[101:102], v[103:104], v[97:98], v[91:92]
	ds_read_b128 v[91:94], v90 offset:544
	ds_read_b128 v[95:98], v90 offset:560
	s_waitcnt vmcnt(18) lgkmcnt(1)
	v_fma_f64 v[91:92], v[109:110], v[91:92], v[101:102]
	s_waitcnt vmcnt(17)
	v_fma_f64 v[91:92], v[107:108], v[93:94], v[91:92]
	buffer_load_dword v102, off, s[0:3], 0 offset:284
	buffer_load_dword v103, off, s[0:3], 0 offset:304
	;; [unrolled: 1-line block ×7, first 2 shown]
	s_waitcnt vmcnt(23) lgkmcnt(0)
	v_fma_f64 v[91:92], v[105:106], v[95:96], v[91:92]
	s_waitcnt vmcnt(18)
	v_fma_f64 v[104:105], v[111:112], v[97:98], v[91:92]
	ds_read_b128 v[91:94], v90 offset:576
	ds_read_b128 v[95:98], v90 offset:592
	s_waitcnt vmcnt(17) lgkmcnt(1)
	v_fma_f64 v[91:92], v[119:120], v[91:92], v[104:105]
	buffer_load_dword v104, off, s[0:3], 0 offset:308
	s_waitcnt vmcnt(17)
	v_fma_f64 v[91:92], v[117:118], v[93:94], v[91:92]
	buffer_load_dword v106, off, s[0:3], 0 offset:316
	buffer_load_dword v111, off, s[0:3], 0 offset:336
	;; [unrolled: 1-line block ×8, first 2 shown]
	s_waitcnt vmcnt(24) lgkmcnt(0)
	v_fma_f64 v[91:92], v[113:114], v[95:96], v[91:92]
	s_waitcnt vmcnt(19)
	v_fma_f64 v[99:100], v[99:100], v[97:98], v[91:92]
	ds_read_b128 v[91:94], v90 offset:608
	ds_read_b128 v[95:98], v90 offset:624
	s_waitcnt vmcnt(18) lgkmcnt(1)
	v_fma_f64 v[91:92], v[123:124], v[91:92], v[99:100]
	buffer_load_dword v100, off, s[0:3], 0 offset:348
	buffer_load_dword v99, off, s[0:3], 0 offset:344
	;; [unrolled: 1-line block ×4, first 2 shown]
	s_waitcnt vmcnt(21)
	v_fma_f64 v[91:92], v[121:122], v[93:94], v[91:92]
	s_waitcnt vmcnt(20) lgkmcnt(0)
	v_fma_f64 v[91:92], v[115:116], v[95:96], v[91:92]
	s_waitcnt vmcnt(15)
	v_fma_f64 v[101:102], v[101:102], v[97:98], v[91:92]
	ds_read_b128 v[91:94], v90 offset:640
	ds_read_b128 v[95:98], v90 offset:656
	s_waitcnt vmcnt(14) lgkmcnt(1)
	v_fma_f64 v[91:92], v[109:110], v[91:92], v[101:102]
	s_waitcnt vmcnt(13)
	v_fma_f64 v[91:92], v[107:108], v[93:94], v[91:92]
	s_waitcnt vmcnt(12) lgkmcnt(0)
	v_fma_f64 v[91:92], v[103:104], v[95:96], v[91:92]
	s_waitcnt vmcnt(7)
	v_fma_f64 v[101:102], v[105:106], v[97:98], v[91:92]
	ds_read_b128 v[91:94], v90 offset:672
	ds_read_b128 v[95:98], v90 offset:688
	s_waitcnt vmcnt(6) lgkmcnt(1)
	v_fma_f64 v[90:91], v[119:120], v[91:92], v[101:102]
	s_waitcnt vmcnt(5)
	v_fma_f64 v[90:91], v[117:118], v[93:94], v[90:91]
	s_waitcnt vmcnt(4) lgkmcnt(0)
	v_fma_f64 v[90:91], v[111:112], v[95:96], v[90:91]
	s_waitcnt vmcnt(2)
	v_fma_f64 v[90:91], v[99:100], v[97:98], v[90:91]
	s_waitcnt vmcnt(0)
	v_add_f64 v[90:91], v[113:114], -v[90:91]
	buffer_store_dword v91, off, s[0:3], 0 offset:60
	buffer_store_dword v90, off, s[0:3], 0 offset:56
	s_and_saveexec_b64 s[4:5], vcc
	s_cbranch_execz .LBB107_259
; %bb.258:
	buffer_load_dword v90, off, s[0:3], 0 offset:48
	buffer_load_dword v91, off, s[0:3], 0 offset:52
	v_mov_b32_e32 v92, 0
	buffer_store_dword v92, off, s[0:3], 0 offset:48
	buffer_store_dword v92, off, s[0:3], 0 offset:52
	s_waitcnt vmcnt(2)
	ds_write_b64 v89, v[90:91]
.LBB107_259:
	s_or_b64 exec, exec, s[4:5]
	s_waitcnt lgkmcnt(0)
	; wave barrier
	buffer_load_dword v99, off, s[0:3], 0 offset:56
	buffer_load_dword v100, off, s[0:3], 0 offset:60
	buffer_load_dword v101, off, s[0:3], 0 offset:64
	buffer_load_dword v102, off, s[0:3], 0 offset:68
	buffer_load_dword v103, off, s[0:3], 0 offset:72
	buffer_load_dword v104, off, s[0:3], 0 offset:76
	buffer_load_dword v105, off, s[0:3], 0 offset:80
	buffer_load_dword v106, off, s[0:3], 0 offset:84
	buffer_load_dword v107, off, s[0:3], 0 offset:88
	buffer_load_dword v108, off, s[0:3], 0 offset:92
	buffer_load_dword v109, off, s[0:3], 0 offset:96
	buffer_load_dword v110, off, s[0:3], 0 offset:100
	buffer_load_dword v111, off, s[0:3], 0 offset:104
	buffer_load_dword v112, off, s[0:3], 0 offset:108
	buffer_load_dword v114, off, s[0:3], 0 offset:116
	buffer_load_dword v115, off, s[0:3], 0 offset:136
	buffer_load_dword v117, off, s[0:3], 0 offset:128
	buffer_load_dword v119, off, s[0:3], 0 offset:120
	buffer_load_dword v113, off, s[0:3], 0 offset:112
	buffer_load_dword v120, off, s[0:3], 0 offset:124
	buffer_load_dword v118, off, s[0:3], 0 offset:132
	v_mov_b32_e32 v90, 0
	ds_read2_b64 v[91:94], v90 offset0:51 offset1:52
	ds_read2_b64 v[95:98], v90 offset0:53 offset1:54
	buffer_load_dword v116, off, s[0:3], 0 offset:140
	v_cmp_lt_u32_e32 vcc, 5, v0
	s_waitcnt vmcnt(20) lgkmcnt(1)
	v_fma_f64 v[91:92], v[99:100], v[91:92], 0
	s_waitcnt vmcnt(18)
	v_fma_f64 v[91:92], v[101:102], v[93:94], v[91:92]
	buffer_load_dword v100, off, s[0:3], 0 offset:148
	buffer_load_dword v101, off, s[0:3], 0 offset:168
	;; [unrolled: 1-line block ×7, first 2 shown]
	s_waitcnt vmcnt(23) lgkmcnt(0)
	v_fma_f64 v[91:92], v[103:104], v[95:96], v[91:92]
	s_waitcnt vmcnt(21)
	v_fma_f64 v[102:103], v[105:106], v[97:98], v[91:92]
	ds_read2_b64 v[91:94], v90 offset0:55 offset1:56
	ds_read2_b64 v[95:98], v90 offset0:57 offset1:58
	s_waitcnt vmcnt(19) lgkmcnt(1)
	v_fma_f64 v[91:92], v[107:108], v[91:92], v[102:103]
	buffer_load_dword v102, off, s[0:3], 0 offset:172
	s_waitcnt vmcnt(18)
	v_fma_f64 v[91:92], v[109:110], v[93:94], v[91:92]
	buffer_load_dword v104, off, s[0:3], 0 offset:180
	buffer_load_dword v105, off, s[0:3], 0 offset:200
	;; [unrolled: 1-line block ×8, first 2 shown]
	s_waitcnt vmcnt(24) lgkmcnt(0)
	v_fma_f64 v[91:92], v[111:112], v[95:96], v[91:92]
	s_waitcnt vmcnt(19)
	v_fma_f64 v[111:112], v[113:114], v[97:98], v[91:92]
	ds_read2_b64 v[91:94], v90 offset0:59 offset1:60
	ds_read2_b64 v[95:98], v90 offset0:61 offset1:62
	s_waitcnt vmcnt(18) lgkmcnt(1)
	v_fma_f64 v[91:92], v[119:120], v[91:92], v[111:112]
	s_waitcnt vmcnt(17)
	v_fma_f64 v[91:92], v[117:118], v[93:94], v[91:92]
	buffer_load_dword v112, off, s[0:3], 0 offset:212
	buffer_load_dword v113, off, s[0:3], 0 offset:232
	;; [unrolled: 1-line block ×7, first 2 shown]
	s_waitcnt vmcnt(23) lgkmcnt(0)
	v_fma_f64 v[91:92], v[115:116], v[95:96], v[91:92]
	s_waitcnt vmcnt(18)
	v_fma_f64 v[99:100], v[99:100], v[97:98], v[91:92]
	ds_read2_b64 v[91:94], v90 offset0:63 offset1:64
	ds_read2_b64 v[95:98], v90 offset0:65 offset1:66
	buffer_load_dword v114, off, s[0:3], 0 offset:236
	s_waitcnt vmcnt(18) lgkmcnt(1)
	v_fma_f64 v[91:92], v[123:124], v[91:92], v[99:100]
	s_waitcnt vmcnt(17)
	v_fma_f64 v[91:92], v[121:122], v[93:94], v[91:92]
	buffer_load_dword v100, off, s[0:3], 0 offset:244
	buffer_load_dword v115, off, s[0:3], 0 offset:264
	;; [unrolled: 1-line block ×7, first 2 shown]
	s_waitcnt vmcnt(23) lgkmcnt(0)
	v_fma_f64 v[91:92], v[101:102], v[95:96], v[91:92]
	s_waitcnt vmcnt(18)
	v_fma_f64 v[101:102], v[103:104], v[97:98], v[91:92]
	ds_read2_b64 v[91:94], v90 offset0:67 offset1:68
	ds_read2_b64 v[95:98], v90 offset0:69 offset1:70
	buffer_load_dword v116, off, s[0:3], 0 offset:268
	s_waitcnt vmcnt(18) lgkmcnt(1)
	v_fma_f64 v[91:92], v[109:110], v[91:92], v[101:102]
	s_waitcnt vmcnt(17)
	v_fma_f64 v[91:92], v[107:108], v[93:94], v[91:92]
	buffer_load_dword v102, off, s[0:3], 0 offset:276
	buffer_load_dword v103, off, s[0:3], 0 offset:296
	;; [unrolled: 1-line block ×7, first 2 shown]
	s_waitcnt vmcnt(23) lgkmcnt(0)
	v_fma_f64 v[91:92], v[105:106], v[95:96], v[91:92]
	s_waitcnt vmcnt(18)
	v_fma_f64 v[104:105], v[111:112], v[97:98], v[91:92]
	ds_read2_b64 v[91:94], v90 offset0:71 offset1:72
	ds_read2_b64 v[95:98], v90 offset0:73 offset1:74
	s_waitcnt vmcnt(17) lgkmcnt(1)
	v_fma_f64 v[91:92], v[119:120], v[91:92], v[104:105]
	buffer_load_dword v104, off, s[0:3], 0 offset:300
	s_waitcnt vmcnt(17)
	v_fma_f64 v[91:92], v[117:118], v[93:94], v[91:92]
	buffer_load_dword v106, off, s[0:3], 0 offset:308
	buffer_load_dword v111, off, s[0:3], 0 offset:328
	;; [unrolled: 1-line block ×7, first 2 shown]
	s_waitcnt vmcnt(23) lgkmcnt(0)
	v_fma_f64 v[91:92], v[113:114], v[95:96], v[91:92]
	s_waitcnt vmcnt(18)
	v_fma_f64 v[99:100], v[99:100], v[97:98], v[91:92]
	ds_read2_b64 v[91:94], v90 offset0:75 offset1:76
	ds_read2_b64 v[95:98], v90 offset0:77 offset1:78
	buffer_load_dword v112, off, s[0:3], 0 offset:332
	s_waitcnt vmcnt(18) lgkmcnt(1)
	v_fma_f64 v[91:92], v[123:124], v[91:92], v[99:100]
	buffer_load_dword v100, off, s[0:3], 0 offset:340
	buffer_load_dword v113, off, s[0:3], 0 offset:344
	;; [unrolled: 1-line block ×4, first 2 shown]
	s_waitcnt vmcnt(21)
	v_fma_f64 v[91:92], v[121:122], v[93:94], v[91:92]
	s_waitcnt vmcnt(20) lgkmcnt(0)
	v_fma_f64 v[91:92], v[115:116], v[95:96], v[91:92]
	buffer_load_dword v115, off, s[0:3], 0 offset:48
	buffer_load_dword v116, off, s[0:3], 0 offset:52
	s_waitcnt vmcnt(17)
	v_fma_f64 v[101:102], v[101:102], v[97:98], v[91:92]
	ds_read2_b64 v[91:94], v90 offset0:79 offset1:80
	ds_read2_b64 v[95:98], v90 offset0:81 offset1:82
	s_waitcnt vmcnt(16) lgkmcnt(1)
	v_fma_f64 v[91:92], v[109:110], v[91:92], v[101:102]
	s_waitcnt vmcnt(15)
	v_fma_f64 v[91:92], v[107:108], v[93:94], v[91:92]
	s_waitcnt vmcnt(14) lgkmcnt(0)
	v_fma_f64 v[91:92], v[103:104], v[95:96], v[91:92]
	s_waitcnt vmcnt(9)
	v_fma_f64 v[101:102], v[105:106], v[97:98], v[91:92]
	ds_read2_b64 v[91:94], v90 offset0:83 offset1:84
	ds_read2_b64 v[95:98], v90 offset0:85 offset1:86
	s_waitcnt vmcnt(8) lgkmcnt(1)
	v_fma_f64 v[91:92], v[119:120], v[91:92], v[101:102]
	s_waitcnt vmcnt(7)
	v_fma_f64 v[91:92], v[117:118], v[93:94], v[91:92]
	ds_read_b64 v[93:94], v90 offset:696
	s_waitcnt vmcnt(6) lgkmcnt(1)
	v_fma_f64 v[91:92], v[111:112], v[95:96], v[91:92]
	s_waitcnt vmcnt(3)
	v_fma_f64 v[91:92], v[99:100], v[97:98], v[91:92]
	s_waitcnt vmcnt(2) lgkmcnt(0)
	v_fma_f64 v[91:92], v[113:114], v[93:94], v[91:92]
	s_waitcnt vmcnt(0)
	v_add_f64 v[91:92], v[115:116], -v[91:92]
	buffer_store_dword v92, off, s[0:3], 0 offset:52
	buffer_store_dword v91, off, s[0:3], 0 offset:48
	s_and_saveexec_b64 s[4:5], vcc
	s_cbranch_execz .LBB107_261
; %bb.260:
	buffer_load_dword v91, off, s[0:3], 0 offset:40
	buffer_load_dword v92, off, s[0:3], 0 offset:44
	s_waitcnt vmcnt(0)
	ds_write_b64 v89, v[91:92]
	buffer_store_dword v90, off, s[0:3], 0 offset:40
	buffer_store_dword v90, off, s[0:3], 0 offset:44
.LBB107_261:
	s_or_b64 exec, exec, s[4:5]
	s_waitcnt lgkmcnt(0)
	; wave barrier
	buffer_load_dword v99, off, s[0:3], 0 offset:48
	buffer_load_dword v100, off, s[0:3], 0 offset:52
	;; [unrolled: 1-line block ×22, first 2 shown]
	ds_read_b128 v[91:94], v90 offset:400
	ds_read_b128 v[95:98], v90 offset:416
	v_cmp_lt_u32_e32 vcc, 4, v0
	s_waitcnt vmcnt(20) lgkmcnt(1)
	v_fma_f64 v[91:92], v[99:100], v[91:92], 0
	s_waitcnt vmcnt(18)
	v_fma_f64 v[91:92], v[101:102], v[93:94], v[91:92]
	buffer_load_dword v100, off, s[0:3], 0 offset:140
	buffer_load_dword v101, off, s[0:3], 0 offset:160
	;; [unrolled: 1-line block ×7, first 2 shown]
	s_waitcnt vmcnt(23) lgkmcnt(0)
	v_fma_f64 v[91:92], v[103:104], v[95:96], v[91:92]
	s_waitcnt vmcnt(21)
	v_fma_f64 v[102:103], v[105:106], v[97:98], v[91:92]
	ds_read_b128 v[91:94], v90 offset:432
	ds_read_b128 v[95:98], v90 offset:448
	s_waitcnt vmcnt(19) lgkmcnt(1)
	v_fma_f64 v[91:92], v[107:108], v[91:92], v[102:103]
	buffer_load_dword v102, off, s[0:3], 0 offset:164
	s_waitcnt vmcnt(18)
	v_fma_f64 v[91:92], v[109:110], v[93:94], v[91:92]
	buffer_load_dword v104, off, s[0:3], 0 offset:172
	buffer_load_dword v105, off, s[0:3], 0 offset:192
	;; [unrolled: 1-line block ×8, first 2 shown]
	s_waitcnt vmcnt(24) lgkmcnt(0)
	v_fma_f64 v[91:92], v[111:112], v[95:96], v[91:92]
	s_waitcnt vmcnt(19)
	v_fma_f64 v[111:112], v[113:114], v[97:98], v[91:92]
	ds_read_b128 v[91:94], v90 offset:464
	ds_read_b128 v[95:98], v90 offset:480
	s_waitcnt vmcnt(18) lgkmcnt(1)
	v_fma_f64 v[91:92], v[119:120], v[91:92], v[111:112]
	s_waitcnt vmcnt(17)
	v_fma_f64 v[91:92], v[117:118], v[93:94], v[91:92]
	buffer_load_dword v112, off, s[0:3], 0 offset:204
	buffer_load_dword v113, off, s[0:3], 0 offset:224
	;; [unrolled: 1-line block ×8, first 2 shown]
	s_waitcnt vmcnt(24) lgkmcnt(0)
	v_fma_f64 v[91:92], v[115:116], v[95:96], v[91:92]
	s_waitcnt vmcnt(19)
	v_fma_f64 v[99:100], v[99:100], v[97:98], v[91:92]
	ds_read_b128 v[91:94], v90 offset:496
	ds_read_b128 v[95:98], v90 offset:512
	s_waitcnt vmcnt(18) lgkmcnt(1)
	v_fma_f64 v[91:92], v[123:124], v[91:92], v[99:100]
	s_waitcnt vmcnt(17)
	v_fma_f64 v[91:92], v[121:122], v[93:94], v[91:92]
	buffer_load_dword v100, off, s[0:3], 0 offset:236
	buffer_load_dword v115, off, s[0:3], 0 offset:256
	;; [unrolled: 1-line block ×7, first 2 shown]
	s_waitcnt vmcnt(23) lgkmcnt(0)
	v_fma_f64 v[91:92], v[101:102], v[95:96], v[91:92]
	s_waitcnt vmcnt(18)
	v_fma_f64 v[101:102], v[103:104], v[97:98], v[91:92]
	ds_read_b128 v[91:94], v90 offset:528
	ds_read_b128 v[95:98], v90 offset:544
	buffer_load_dword v116, off, s[0:3], 0 offset:260
	s_waitcnt vmcnt(18) lgkmcnt(1)
	v_fma_f64 v[91:92], v[109:110], v[91:92], v[101:102]
	s_waitcnt vmcnt(17)
	v_fma_f64 v[91:92], v[107:108], v[93:94], v[91:92]
	buffer_load_dword v102, off, s[0:3], 0 offset:268
	buffer_load_dword v103, off, s[0:3], 0 offset:288
	;; [unrolled: 1-line block ×7, first 2 shown]
	s_waitcnt vmcnt(23) lgkmcnt(0)
	v_fma_f64 v[91:92], v[105:106], v[95:96], v[91:92]
	s_waitcnt vmcnt(18)
	v_fma_f64 v[104:105], v[111:112], v[97:98], v[91:92]
	ds_read_b128 v[91:94], v90 offset:560
	ds_read_b128 v[95:98], v90 offset:576
	s_waitcnt vmcnt(17) lgkmcnt(1)
	v_fma_f64 v[91:92], v[119:120], v[91:92], v[104:105]
	buffer_load_dword v104, off, s[0:3], 0 offset:292
	s_waitcnt vmcnt(17)
	v_fma_f64 v[91:92], v[117:118], v[93:94], v[91:92]
	buffer_load_dword v106, off, s[0:3], 0 offset:300
	buffer_load_dword v111, off, s[0:3], 0 offset:320
	;; [unrolled: 1-line block ×8, first 2 shown]
	s_waitcnt vmcnt(24) lgkmcnt(0)
	v_fma_f64 v[91:92], v[113:114], v[95:96], v[91:92]
	s_waitcnt vmcnt(19)
	v_fma_f64 v[99:100], v[99:100], v[97:98], v[91:92]
	ds_read_b128 v[91:94], v90 offset:592
	ds_read_b128 v[95:98], v90 offset:608
	s_waitcnt vmcnt(18) lgkmcnt(1)
	v_fma_f64 v[91:92], v[123:124], v[91:92], v[99:100]
	s_waitcnt vmcnt(17)
	v_fma_f64 v[91:92], v[121:122], v[93:94], v[91:92]
	buffer_load_dword v100, off, s[0:3], 0 offset:332
	buffer_load_dword v113, off, s[0:3], 0 offset:344
	;; [unrolled: 1-line block ×6, first 2 shown]
	s_waitcnt vmcnt(22) lgkmcnt(0)
	v_fma_f64 v[91:92], v[115:116], v[95:96], v[91:92]
	s_waitcnt vmcnt(17)
	v_fma_f64 v[101:102], v[101:102], v[97:98], v[91:92]
	ds_read_b128 v[91:94], v90 offset:624
	buffer_load_dword v115, off, s[0:3], 0 offset:40
	buffer_load_dword v116, off, s[0:3], 0 offset:44
	ds_read_b128 v[95:98], v90 offset:640
	s_waitcnt vmcnt(18) lgkmcnt(1)
	v_fma_f64 v[91:92], v[109:110], v[91:92], v[101:102]
	s_waitcnt vmcnt(17)
	v_fma_f64 v[91:92], v[107:108], v[93:94], v[91:92]
	s_waitcnt vmcnt(16) lgkmcnt(0)
	v_fma_f64 v[91:92], v[103:104], v[95:96], v[91:92]
	s_waitcnt vmcnt(11)
	v_fma_f64 v[101:102], v[105:106], v[97:98], v[91:92]
	ds_read_b128 v[91:94], v90 offset:656
	ds_read_b128 v[95:98], v90 offset:672
	s_waitcnt vmcnt(10) lgkmcnt(1)
	v_fma_f64 v[91:92], v[119:120], v[91:92], v[101:102]
	s_waitcnt vmcnt(9)
	v_fma_f64 v[91:92], v[117:118], v[93:94], v[91:92]
	s_waitcnt vmcnt(8) lgkmcnt(0)
	v_fma_f64 v[91:92], v[111:112], v[95:96], v[91:92]
	s_waitcnt vmcnt(4)
	v_fma_f64 v[94:95], v[99:100], v[97:98], v[91:92]
	ds_read_b128 v[90:93], v90 offset:688
	s_waitcnt vmcnt(3) lgkmcnt(0)
	v_fma_f64 v[90:91], v[121:122], v[90:91], v[94:95]
	s_waitcnt vmcnt(2)
	v_fma_f64 v[90:91], v[113:114], v[92:93], v[90:91]
	s_waitcnt vmcnt(0)
	v_add_f64 v[90:91], v[115:116], -v[90:91]
	buffer_store_dword v91, off, s[0:3], 0 offset:44
	buffer_store_dword v90, off, s[0:3], 0 offset:40
	s_and_saveexec_b64 s[4:5], vcc
	s_cbranch_execz .LBB107_263
; %bb.262:
	buffer_load_dword v90, off, s[0:3], 0 offset:32
	buffer_load_dword v91, off, s[0:3], 0 offset:36
	v_mov_b32_e32 v92, 0
	buffer_store_dword v92, off, s[0:3], 0 offset:32
	buffer_store_dword v92, off, s[0:3], 0 offset:36
	s_waitcnt vmcnt(2)
	ds_write_b64 v89, v[90:91]
.LBB107_263:
	s_or_b64 exec, exec, s[4:5]
	s_waitcnt lgkmcnt(0)
	; wave barrier
	buffer_load_dword v99, off, s[0:3], 0 offset:40
	buffer_load_dword v100, off, s[0:3], 0 offset:44
	;; [unrolled: 1-line block ×22, first 2 shown]
	v_mov_b32_e32 v90, 0
	ds_read2_b64 v[91:94], v90 offset0:49 offset1:50
	ds_read2_b64 v[95:98], v90 offset0:51 offset1:52
	v_cmp_lt_u32_e32 vcc, 3, v0
	s_waitcnt vmcnt(20) lgkmcnt(1)
	v_fma_f64 v[91:92], v[99:100], v[91:92], 0
	s_waitcnt vmcnt(18)
	v_fma_f64 v[91:92], v[101:102], v[93:94], v[91:92]
	buffer_load_dword v100, off, s[0:3], 0 offset:132
	buffer_load_dword v101, off, s[0:3], 0 offset:152
	;; [unrolled: 1-line block ×7, first 2 shown]
	s_waitcnt vmcnt(23) lgkmcnt(0)
	v_fma_f64 v[91:92], v[103:104], v[95:96], v[91:92]
	s_waitcnt vmcnt(21)
	v_fma_f64 v[102:103], v[105:106], v[97:98], v[91:92]
	ds_read2_b64 v[91:94], v90 offset0:53 offset1:54
	ds_read2_b64 v[95:98], v90 offset0:55 offset1:56
	s_waitcnt vmcnt(19) lgkmcnt(1)
	v_fma_f64 v[91:92], v[107:108], v[91:92], v[102:103]
	buffer_load_dword v102, off, s[0:3], 0 offset:156
	s_waitcnt vmcnt(18)
	v_fma_f64 v[91:92], v[109:110], v[93:94], v[91:92]
	buffer_load_dword v104, off, s[0:3], 0 offset:164
	buffer_load_dword v105, off, s[0:3], 0 offset:184
	;; [unrolled: 1-line block ×8, first 2 shown]
	s_waitcnt vmcnt(24) lgkmcnt(0)
	v_fma_f64 v[91:92], v[111:112], v[95:96], v[91:92]
	s_waitcnt vmcnt(19)
	v_fma_f64 v[111:112], v[113:114], v[97:98], v[91:92]
	ds_read2_b64 v[91:94], v90 offset0:57 offset1:58
	ds_read2_b64 v[95:98], v90 offset0:59 offset1:60
	s_waitcnt vmcnt(18) lgkmcnt(1)
	v_fma_f64 v[91:92], v[119:120], v[91:92], v[111:112]
	s_waitcnt vmcnt(17)
	v_fma_f64 v[91:92], v[117:118], v[93:94], v[91:92]
	buffer_load_dword v112, off, s[0:3], 0 offset:196
	buffer_load_dword v113, off, s[0:3], 0 offset:216
	;; [unrolled: 1-line block ×8, first 2 shown]
	s_waitcnt vmcnt(24) lgkmcnt(0)
	v_fma_f64 v[91:92], v[115:116], v[95:96], v[91:92]
	s_waitcnt vmcnt(19)
	v_fma_f64 v[99:100], v[99:100], v[97:98], v[91:92]
	ds_read2_b64 v[91:94], v90 offset0:61 offset1:62
	ds_read2_b64 v[95:98], v90 offset0:63 offset1:64
	s_waitcnt vmcnt(18) lgkmcnt(1)
	v_fma_f64 v[91:92], v[123:124], v[91:92], v[99:100]
	s_waitcnt vmcnt(17)
	v_fma_f64 v[91:92], v[121:122], v[93:94], v[91:92]
	buffer_load_dword v100, off, s[0:3], 0 offset:228
	buffer_load_dword v115, off, s[0:3], 0 offset:248
	;; [unrolled: 1-line block ×7, first 2 shown]
	s_waitcnt vmcnt(23) lgkmcnt(0)
	v_fma_f64 v[91:92], v[101:102], v[95:96], v[91:92]
	s_waitcnt vmcnt(18)
	v_fma_f64 v[101:102], v[103:104], v[97:98], v[91:92]
	ds_read2_b64 v[91:94], v90 offset0:65 offset1:66
	ds_read2_b64 v[95:98], v90 offset0:67 offset1:68
	buffer_load_dword v116, off, s[0:3], 0 offset:252
	s_waitcnt vmcnt(18) lgkmcnt(1)
	v_fma_f64 v[91:92], v[109:110], v[91:92], v[101:102]
	s_waitcnt vmcnt(17)
	v_fma_f64 v[91:92], v[107:108], v[93:94], v[91:92]
	buffer_load_dword v102, off, s[0:3], 0 offset:260
	buffer_load_dword v103, off, s[0:3], 0 offset:280
	;; [unrolled: 1-line block ×7, first 2 shown]
	s_waitcnt vmcnt(23) lgkmcnt(0)
	v_fma_f64 v[91:92], v[105:106], v[95:96], v[91:92]
	s_waitcnt vmcnt(18)
	v_fma_f64 v[104:105], v[111:112], v[97:98], v[91:92]
	ds_read2_b64 v[91:94], v90 offset0:69 offset1:70
	ds_read2_b64 v[95:98], v90 offset0:71 offset1:72
	s_waitcnt vmcnt(17) lgkmcnt(1)
	v_fma_f64 v[91:92], v[119:120], v[91:92], v[104:105]
	buffer_load_dword v104, off, s[0:3], 0 offset:284
	s_waitcnt vmcnt(17)
	v_fma_f64 v[91:92], v[117:118], v[93:94], v[91:92]
	buffer_load_dword v106, off, s[0:3], 0 offset:292
	buffer_load_dword v111, off, s[0:3], 0 offset:312
	;; [unrolled: 1-line block ×8, first 2 shown]
	s_waitcnt vmcnt(24) lgkmcnt(0)
	v_fma_f64 v[91:92], v[113:114], v[95:96], v[91:92]
	s_waitcnt vmcnt(19)
	v_fma_f64 v[99:100], v[99:100], v[97:98], v[91:92]
	ds_read2_b64 v[91:94], v90 offset0:73 offset1:74
	ds_read2_b64 v[95:98], v90 offset0:75 offset1:76
	s_waitcnt vmcnt(18) lgkmcnt(1)
	v_fma_f64 v[91:92], v[123:124], v[91:92], v[99:100]
	s_waitcnt vmcnt(17)
	v_fma_f64 v[91:92], v[121:122], v[93:94], v[91:92]
	buffer_load_dword v100, off, s[0:3], 0 offset:324
	buffer_load_dword v113, off, s[0:3], 0 offset:344
	;; [unrolled: 1-line block ×8, first 2 shown]
	s_waitcnt vmcnt(24) lgkmcnt(0)
	v_fma_f64 v[91:92], v[115:116], v[95:96], v[91:92]
	s_waitcnt vmcnt(19)
	v_fma_f64 v[101:102], v[101:102], v[97:98], v[91:92]
	ds_read2_b64 v[91:94], v90 offset0:77 offset1:78
	ds_read2_b64 v[95:98], v90 offset0:79 offset1:80
	s_waitcnt vmcnt(18) lgkmcnt(1)
	v_fma_f64 v[91:92], v[109:110], v[91:92], v[101:102]
	buffer_load_dword v101, off, s[0:3], 0 offset:32
	buffer_load_dword v102, off, s[0:3], 0 offset:36
	s_waitcnt vmcnt(19)
	v_fma_f64 v[91:92], v[107:108], v[93:94], v[91:92]
	s_waitcnt vmcnt(18) lgkmcnt(0)
	v_fma_f64 v[91:92], v[103:104], v[95:96], v[91:92]
	s_waitcnt vmcnt(13)
	v_fma_f64 v[103:104], v[105:106], v[97:98], v[91:92]
	ds_read2_b64 v[91:94], v90 offset0:81 offset1:82
	ds_read2_b64 v[95:98], v90 offset0:83 offset1:84
	s_waitcnt vmcnt(12) lgkmcnt(1)
	v_fma_f64 v[91:92], v[119:120], v[91:92], v[103:104]
	s_waitcnt vmcnt(11)
	v_fma_f64 v[91:92], v[117:118], v[93:94], v[91:92]
	s_waitcnt vmcnt(10) lgkmcnt(0)
	v_fma_f64 v[91:92], v[111:112], v[95:96], v[91:92]
	s_waitcnt vmcnt(5)
	v_fma_f64 v[95:96], v[99:100], v[97:98], v[91:92]
	ds_read2_b64 v[91:94], v90 offset0:85 offset1:86
	ds_read_b64 v[97:98], v90 offset:696
	s_waitcnt vmcnt(4) lgkmcnt(1)
	v_fma_f64 v[91:92], v[123:124], v[91:92], v[95:96]
	s_waitcnt vmcnt(3)
	v_fma_f64 v[91:92], v[121:122], v[93:94], v[91:92]
	s_waitcnt vmcnt(2) lgkmcnt(0)
	v_fma_f64 v[91:92], v[113:114], v[97:98], v[91:92]
	s_waitcnt vmcnt(0)
	v_add_f64 v[91:92], v[101:102], -v[91:92]
	buffer_store_dword v92, off, s[0:3], 0 offset:36
	buffer_store_dword v91, off, s[0:3], 0 offset:32
	s_and_saveexec_b64 s[4:5], vcc
	s_cbranch_execz .LBB107_265
; %bb.264:
	buffer_load_dword v91, off, s[0:3], 0 offset:24
	buffer_load_dword v92, off, s[0:3], 0 offset:28
	s_waitcnt vmcnt(0)
	ds_write_b64 v89, v[91:92]
	buffer_store_dword v90, off, s[0:3], 0 offset:24
	buffer_store_dword v90, off, s[0:3], 0 offset:28
.LBB107_265:
	s_or_b64 exec, exec, s[4:5]
	s_waitcnt lgkmcnt(0)
	; wave barrier
	buffer_load_dword v99, off, s[0:3], 0 offset:32
	buffer_load_dword v100, off, s[0:3], 0 offset:36
	;; [unrolled: 1-line block ×22, first 2 shown]
	ds_read_b128 v[91:94], v90 offset:384
	ds_read_b128 v[95:98], v90 offset:400
	v_cmp_lt_u32_e32 vcc, 2, v0
	s_waitcnt vmcnt(20) lgkmcnt(1)
	v_fma_f64 v[91:92], v[99:100], v[91:92], 0
	s_waitcnt vmcnt(18)
	v_fma_f64 v[91:92], v[101:102], v[93:94], v[91:92]
	buffer_load_dword v100, off, s[0:3], 0 offset:124
	buffer_load_dword v101, off, s[0:3], 0 offset:144
	;; [unrolled: 1-line block ×7, first 2 shown]
	s_waitcnt vmcnt(23) lgkmcnt(0)
	v_fma_f64 v[91:92], v[103:104], v[95:96], v[91:92]
	s_waitcnt vmcnt(21)
	v_fma_f64 v[102:103], v[105:106], v[97:98], v[91:92]
	ds_read_b128 v[91:94], v90 offset:416
	ds_read_b128 v[95:98], v90 offset:432
	s_waitcnt vmcnt(19) lgkmcnt(1)
	v_fma_f64 v[91:92], v[107:108], v[91:92], v[102:103]
	buffer_load_dword v102, off, s[0:3], 0 offset:148
	s_waitcnt vmcnt(18)
	v_fma_f64 v[91:92], v[109:110], v[93:94], v[91:92]
	buffer_load_dword v104, off, s[0:3], 0 offset:156
	buffer_load_dword v105, off, s[0:3], 0 offset:176
	;; [unrolled: 1-line block ×8, first 2 shown]
	s_waitcnt vmcnt(24) lgkmcnt(0)
	v_fma_f64 v[91:92], v[111:112], v[95:96], v[91:92]
	s_waitcnt vmcnt(19)
	v_fma_f64 v[111:112], v[113:114], v[97:98], v[91:92]
	ds_read_b128 v[91:94], v90 offset:448
	ds_read_b128 v[95:98], v90 offset:464
	s_waitcnt vmcnt(18) lgkmcnt(1)
	v_fma_f64 v[91:92], v[119:120], v[91:92], v[111:112]
	s_waitcnt vmcnt(17)
	v_fma_f64 v[91:92], v[117:118], v[93:94], v[91:92]
	buffer_load_dword v112, off, s[0:3], 0 offset:188
	buffer_load_dword v113, off, s[0:3], 0 offset:208
	;; [unrolled: 1-line block ×8, first 2 shown]
	s_waitcnt vmcnt(24) lgkmcnt(0)
	v_fma_f64 v[91:92], v[115:116], v[95:96], v[91:92]
	s_waitcnt vmcnt(19)
	v_fma_f64 v[99:100], v[99:100], v[97:98], v[91:92]
	ds_read_b128 v[91:94], v90 offset:480
	ds_read_b128 v[95:98], v90 offset:496
	s_waitcnt vmcnt(18) lgkmcnt(1)
	v_fma_f64 v[91:92], v[123:124], v[91:92], v[99:100]
	s_waitcnt vmcnt(17)
	v_fma_f64 v[91:92], v[121:122], v[93:94], v[91:92]
	buffer_load_dword v100, off, s[0:3], 0 offset:220
	buffer_load_dword v115, off, s[0:3], 0 offset:240
	;; [unrolled: 1-line block ×7, first 2 shown]
	s_waitcnt vmcnt(23) lgkmcnt(0)
	v_fma_f64 v[91:92], v[101:102], v[95:96], v[91:92]
	s_waitcnt vmcnt(18)
	v_fma_f64 v[101:102], v[103:104], v[97:98], v[91:92]
	ds_read_b128 v[91:94], v90 offset:512
	ds_read_b128 v[95:98], v90 offset:528
	buffer_load_dword v116, off, s[0:3], 0 offset:244
	s_waitcnt vmcnt(18) lgkmcnt(1)
	v_fma_f64 v[91:92], v[109:110], v[91:92], v[101:102]
	s_waitcnt vmcnt(17)
	v_fma_f64 v[91:92], v[107:108], v[93:94], v[91:92]
	buffer_load_dword v102, off, s[0:3], 0 offset:252
	buffer_load_dword v103, off, s[0:3], 0 offset:272
	;; [unrolled: 1-line block ×7, first 2 shown]
	s_waitcnt vmcnt(23) lgkmcnt(0)
	v_fma_f64 v[91:92], v[105:106], v[95:96], v[91:92]
	s_waitcnt vmcnt(18)
	v_fma_f64 v[104:105], v[111:112], v[97:98], v[91:92]
	ds_read_b128 v[91:94], v90 offset:544
	ds_read_b128 v[95:98], v90 offset:560
	s_waitcnt vmcnt(17) lgkmcnt(1)
	v_fma_f64 v[91:92], v[119:120], v[91:92], v[104:105]
	buffer_load_dword v104, off, s[0:3], 0 offset:276
	s_waitcnt vmcnt(17)
	v_fma_f64 v[91:92], v[117:118], v[93:94], v[91:92]
	buffer_load_dword v106, off, s[0:3], 0 offset:284
	buffer_load_dword v111, off, s[0:3], 0 offset:304
	;; [unrolled: 1-line block ×8, first 2 shown]
	s_waitcnt vmcnt(24) lgkmcnt(0)
	v_fma_f64 v[91:92], v[113:114], v[95:96], v[91:92]
	s_waitcnt vmcnt(19)
	v_fma_f64 v[99:100], v[99:100], v[97:98], v[91:92]
	ds_read_b128 v[91:94], v90 offset:576
	ds_read_b128 v[95:98], v90 offset:592
	s_waitcnt vmcnt(18) lgkmcnt(1)
	v_fma_f64 v[91:92], v[123:124], v[91:92], v[99:100]
	s_waitcnt vmcnt(17)
	v_fma_f64 v[91:92], v[121:122], v[93:94], v[91:92]
	buffer_load_dword v100, off, s[0:3], 0 offset:316
	buffer_load_dword v113, off, s[0:3], 0 offset:336
	;; [unrolled: 1-line block ×8, first 2 shown]
	s_waitcnt vmcnt(24) lgkmcnt(0)
	v_fma_f64 v[91:92], v[115:116], v[95:96], v[91:92]
	s_waitcnt vmcnt(19)
	v_fma_f64 v[101:102], v[101:102], v[97:98], v[91:92]
	ds_read_b128 v[91:94], v90 offset:608
	ds_read_b128 v[95:98], v90 offset:624
	s_waitcnt vmcnt(18) lgkmcnt(1)
	v_fma_f64 v[91:92], v[109:110], v[91:92], v[101:102]
	buffer_load_dword v102, off, s[0:3], 0 offset:348
	buffer_load_dword v101, off, s[0:3], 0 offset:344
	s_waitcnt vmcnt(19)
	v_fma_f64 v[91:92], v[107:108], v[93:94], v[91:92]
	buffer_load_dword v107, off, s[0:3], 0 offset:24
	buffer_load_dword v108, off, s[0:3], 0 offset:28
	s_waitcnt vmcnt(20) lgkmcnt(0)
	v_fma_f64 v[91:92], v[103:104], v[95:96], v[91:92]
	s_waitcnt vmcnt(15)
	v_fma_f64 v[103:104], v[105:106], v[97:98], v[91:92]
	ds_read_b128 v[91:94], v90 offset:640
	ds_read_b128 v[95:98], v90 offset:656
	s_waitcnt vmcnt(14) lgkmcnt(1)
	v_fma_f64 v[91:92], v[119:120], v[91:92], v[103:104]
	s_waitcnt vmcnt(13)
	v_fma_f64 v[91:92], v[117:118], v[93:94], v[91:92]
	s_waitcnt vmcnt(12) lgkmcnt(0)
	v_fma_f64 v[91:92], v[111:112], v[95:96], v[91:92]
	s_waitcnt vmcnt(7)
	v_fma_f64 v[99:100], v[99:100], v[97:98], v[91:92]
	ds_read_b128 v[91:94], v90 offset:672
	ds_read_b128 v[95:98], v90 offset:688
	s_waitcnt vmcnt(6) lgkmcnt(1)
	v_fma_f64 v[90:91], v[123:124], v[91:92], v[99:100]
	s_waitcnt vmcnt(5)
	v_fma_f64 v[90:91], v[121:122], v[93:94], v[90:91]
	s_waitcnt vmcnt(4) lgkmcnt(0)
	v_fma_f64 v[90:91], v[113:114], v[95:96], v[90:91]
	s_waitcnt vmcnt(2)
	v_fma_f64 v[90:91], v[101:102], v[97:98], v[90:91]
	s_waitcnt vmcnt(0)
	v_add_f64 v[90:91], v[107:108], -v[90:91]
	buffer_store_dword v91, off, s[0:3], 0 offset:28
	buffer_store_dword v90, off, s[0:3], 0 offset:24
	s_and_saveexec_b64 s[4:5], vcc
	s_cbranch_execz .LBB107_267
; %bb.266:
	buffer_load_dword v90, off, s[0:3], 0 offset:16
	buffer_load_dword v91, off, s[0:3], 0 offset:20
	v_mov_b32_e32 v92, 0
	buffer_store_dword v92, off, s[0:3], 0 offset:16
	buffer_store_dword v92, off, s[0:3], 0 offset:20
	s_waitcnt vmcnt(2)
	ds_write_b64 v89, v[90:91]
.LBB107_267:
	s_or_b64 exec, exec, s[4:5]
	s_waitcnt lgkmcnt(0)
	; wave barrier
	buffer_load_dword v99, off, s[0:3], 0 offset:24
	buffer_load_dword v100, off, s[0:3], 0 offset:28
	;; [unrolled: 1-line block ×22, first 2 shown]
	v_mov_b32_e32 v90, 0
	ds_read2_b64 v[91:94], v90 offset0:47 offset1:48
	ds_read2_b64 v[95:98], v90 offset0:49 offset1:50
	v_cmp_lt_u32_e32 vcc, 1, v0
	s_waitcnt vmcnt(20) lgkmcnt(1)
	v_fma_f64 v[91:92], v[99:100], v[91:92], 0
	s_waitcnt vmcnt(18)
	v_fma_f64 v[91:92], v[101:102], v[93:94], v[91:92]
	buffer_load_dword v100, off, s[0:3], 0 offset:116
	buffer_load_dword v101, off, s[0:3], 0 offset:136
	;; [unrolled: 1-line block ×7, first 2 shown]
	s_waitcnt vmcnt(23) lgkmcnt(0)
	v_fma_f64 v[91:92], v[103:104], v[95:96], v[91:92]
	s_waitcnt vmcnt(21)
	v_fma_f64 v[102:103], v[105:106], v[97:98], v[91:92]
	ds_read2_b64 v[91:94], v90 offset0:51 offset1:52
	ds_read2_b64 v[95:98], v90 offset0:53 offset1:54
	s_waitcnt vmcnt(19) lgkmcnt(1)
	v_fma_f64 v[91:92], v[107:108], v[91:92], v[102:103]
	buffer_load_dword v102, off, s[0:3], 0 offset:140
	s_waitcnt vmcnt(18)
	v_fma_f64 v[91:92], v[109:110], v[93:94], v[91:92]
	buffer_load_dword v104, off, s[0:3], 0 offset:148
	buffer_load_dword v105, off, s[0:3], 0 offset:168
	;; [unrolled: 1-line block ×7, first 2 shown]
	s_waitcnt vmcnt(23) lgkmcnt(0)
	v_fma_f64 v[91:92], v[111:112], v[95:96], v[91:92]
	s_waitcnt vmcnt(18)
	v_fma_f64 v[111:112], v[113:114], v[97:98], v[91:92]
	ds_read2_b64 v[91:94], v90 offset0:55 offset1:56
	ds_read2_b64 v[95:98], v90 offset0:57 offset1:58
	buffer_load_dword v106, off, s[0:3], 0 offset:172
	s_waitcnt vmcnt(18) lgkmcnt(1)
	v_fma_f64 v[91:92], v[119:120], v[91:92], v[111:112]
	s_waitcnt vmcnt(17)
	v_fma_f64 v[91:92], v[117:118], v[93:94], v[91:92]
	buffer_load_dword v112, off, s[0:3], 0 offset:180
	buffer_load_dword v113, off, s[0:3], 0 offset:200
	buffer_load_dword v117, off, s[0:3], 0 offset:192
	buffer_load_dword v119, off, s[0:3], 0 offset:184
	buffer_load_dword v111, off, s[0:3], 0 offset:176
	buffer_load_dword v120, off, s[0:3], 0 offset:188
	buffer_load_dword v118, off, s[0:3], 0 offset:196
	buffer_load_dword v114, off, s[0:3], 0 offset:204
	s_waitcnt vmcnt(24) lgkmcnt(0)
	v_fma_f64 v[91:92], v[115:116], v[95:96], v[91:92]
	s_waitcnt vmcnt(19)
	v_fma_f64 v[99:100], v[99:100], v[97:98], v[91:92]
	ds_read2_b64 v[91:94], v90 offset0:59 offset1:60
	ds_read2_b64 v[95:98], v90 offset0:61 offset1:62
	s_waitcnt vmcnt(18) lgkmcnt(1)
	v_fma_f64 v[91:92], v[123:124], v[91:92], v[99:100]
	s_waitcnt vmcnt(17)
	v_fma_f64 v[91:92], v[121:122], v[93:94], v[91:92]
	buffer_load_dword v100, off, s[0:3], 0 offset:212
	buffer_load_dword v115, off, s[0:3], 0 offset:232
	buffer_load_dword v121, off, s[0:3], 0 offset:224
	buffer_load_dword v123, off, s[0:3], 0 offset:216
	buffer_load_dword v99, off, s[0:3], 0 offset:208
	buffer_load_dword v124, off, s[0:3], 0 offset:220
	buffer_load_dword v122, off, s[0:3], 0 offset:228
	s_waitcnt vmcnt(23) lgkmcnt(0)
	v_fma_f64 v[91:92], v[101:102], v[95:96], v[91:92]
	s_waitcnt vmcnt(18)
	v_fma_f64 v[101:102], v[103:104], v[97:98], v[91:92]
	ds_read2_b64 v[91:94], v90 offset0:63 offset1:64
	ds_read2_b64 v[95:98], v90 offset0:65 offset1:66
	buffer_load_dword v116, off, s[0:3], 0 offset:236
	s_waitcnt vmcnt(18) lgkmcnt(1)
	v_fma_f64 v[91:92], v[109:110], v[91:92], v[101:102]
	s_waitcnt vmcnt(17)
	v_fma_f64 v[91:92], v[107:108], v[93:94], v[91:92]
	buffer_load_dword v102, off, s[0:3], 0 offset:244
	buffer_load_dword v103, off, s[0:3], 0 offset:264
	;; [unrolled: 1-line block ×7, first 2 shown]
	s_waitcnt vmcnt(23) lgkmcnt(0)
	v_fma_f64 v[91:92], v[105:106], v[95:96], v[91:92]
	s_waitcnt vmcnt(18)
	v_fma_f64 v[104:105], v[111:112], v[97:98], v[91:92]
	ds_read2_b64 v[91:94], v90 offset0:67 offset1:68
	ds_read2_b64 v[95:98], v90 offset0:69 offset1:70
	s_waitcnt vmcnt(17) lgkmcnt(1)
	v_fma_f64 v[91:92], v[119:120], v[91:92], v[104:105]
	buffer_load_dword v104, off, s[0:3], 0 offset:268
	s_waitcnt vmcnt(17)
	v_fma_f64 v[91:92], v[117:118], v[93:94], v[91:92]
	buffer_load_dword v106, off, s[0:3], 0 offset:276
	buffer_load_dword v111, off, s[0:3], 0 offset:296
	;; [unrolled: 1-line block ×8, first 2 shown]
	s_waitcnt vmcnt(24) lgkmcnt(0)
	v_fma_f64 v[91:92], v[113:114], v[95:96], v[91:92]
	s_waitcnt vmcnt(19)
	v_fma_f64 v[99:100], v[99:100], v[97:98], v[91:92]
	ds_read2_b64 v[91:94], v90 offset0:71 offset1:72
	ds_read2_b64 v[95:98], v90 offset0:73 offset1:74
	s_waitcnt vmcnt(18) lgkmcnt(1)
	v_fma_f64 v[91:92], v[123:124], v[91:92], v[99:100]
	s_waitcnt vmcnt(17)
	v_fma_f64 v[91:92], v[121:122], v[93:94], v[91:92]
	buffer_load_dword v100, off, s[0:3], 0 offset:308
	buffer_load_dword v113, off, s[0:3], 0 offset:328
	;; [unrolled: 1-line block ×7, first 2 shown]
	s_waitcnt vmcnt(23) lgkmcnt(0)
	v_fma_f64 v[91:92], v[115:116], v[95:96], v[91:92]
	s_waitcnt vmcnt(18)
	v_fma_f64 v[101:102], v[101:102], v[97:98], v[91:92]
	ds_read2_b64 v[91:94], v90 offset0:75 offset1:76
	ds_read2_b64 v[95:98], v90 offset0:77 offset1:78
	buffer_load_dword v114, off, s[0:3], 0 offset:332
	s_waitcnt vmcnt(18) lgkmcnt(1)
	v_fma_f64 v[91:92], v[109:110], v[91:92], v[101:102]
	s_waitcnt vmcnt(17)
	v_fma_f64 v[91:92], v[107:108], v[93:94], v[91:92]
	buffer_load_dword v102, off, s[0:3], 0 offset:340
	buffer_load_dword v107, off, s[0:3], 0 offset:344
	;; [unrolled: 1-line block ×4, first 2 shown]
	s_waitcnt vmcnt(20) lgkmcnt(0)
	v_fma_f64 v[91:92], v[103:104], v[95:96], v[91:92]
	buffer_load_dword v103, off, s[0:3], 0 offset:16
	buffer_load_dword v104, off, s[0:3], 0 offset:20
	s_waitcnt vmcnt(17)
	v_fma_f64 v[105:106], v[105:106], v[97:98], v[91:92]
	ds_read2_b64 v[91:94], v90 offset0:79 offset1:80
	ds_read2_b64 v[95:98], v90 offset0:81 offset1:82
	s_waitcnt vmcnt(16) lgkmcnt(1)
	v_fma_f64 v[91:92], v[119:120], v[91:92], v[105:106]
	s_waitcnt vmcnt(15)
	v_fma_f64 v[91:92], v[117:118], v[93:94], v[91:92]
	s_waitcnt vmcnt(14) lgkmcnt(0)
	v_fma_f64 v[91:92], v[111:112], v[95:96], v[91:92]
	s_waitcnt vmcnt(9)
	v_fma_f64 v[99:100], v[99:100], v[97:98], v[91:92]
	ds_read2_b64 v[91:94], v90 offset0:83 offset1:84
	ds_read2_b64 v[95:98], v90 offset0:85 offset1:86
	s_waitcnt vmcnt(8) lgkmcnt(1)
	v_fma_f64 v[91:92], v[123:124], v[91:92], v[99:100]
	s_waitcnt vmcnt(7)
	v_fma_f64 v[91:92], v[121:122], v[93:94], v[91:92]
	ds_read_b64 v[93:94], v90 offset:696
	s_waitcnt vmcnt(6) lgkmcnt(1)
	v_fma_f64 v[91:92], v[113:114], v[95:96], v[91:92]
	s_waitcnt vmcnt(3)
	v_fma_f64 v[91:92], v[101:102], v[97:98], v[91:92]
	s_waitcnt vmcnt(2) lgkmcnt(0)
	v_fma_f64 v[91:92], v[107:108], v[93:94], v[91:92]
	s_waitcnt vmcnt(0)
	v_add_f64 v[91:92], v[103:104], -v[91:92]
	buffer_store_dword v92, off, s[0:3], 0 offset:20
	buffer_store_dword v91, off, s[0:3], 0 offset:16
	s_and_saveexec_b64 s[4:5], vcc
	s_cbranch_execz .LBB107_269
; %bb.268:
	buffer_load_dword v91, off, s[0:3], 0 offset:8
	buffer_load_dword v92, off, s[0:3], 0 offset:12
	s_waitcnt vmcnt(0)
	ds_write_b64 v89, v[91:92]
	buffer_store_dword v90, off, s[0:3], 0 offset:8
	buffer_store_dword v90, off, s[0:3], 0 offset:12
.LBB107_269:
	s_or_b64 exec, exec, s[4:5]
	s_waitcnt lgkmcnt(0)
	; wave barrier
	buffer_load_dword v99, off, s[0:3], 0 offset:16
	buffer_load_dword v100, off, s[0:3], 0 offset:20
	buffer_load_dword v101, off, s[0:3], 0 offset:24
	buffer_load_dword v102, off, s[0:3], 0 offset:28
	buffer_load_dword v103, off, s[0:3], 0 offset:32
	buffer_load_dword v104, off, s[0:3], 0 offset:36
	buffer_load_dword v105, off, s[0:3], 0 offset:40
	buffer_load_dword v106, off, s[0:3], 0 offset:44
	buffer_load_dword v107, off, s[0:3], 0 offset:48
	buffer_load_dword v108, off, s[0:3], 0 offset:52
	buffer_load_dword v109, off, s[0:3], 0 offset:56
	buffer_load_dword v110, off, s[0:3], 0 offset:60
	buffer_load_dword v111, off, s[0:3], 0 offset:64
	buffer_load_dword v112, off, s[0:3], 0 offset:68
	buffer_load_dword v114, off, s[0:3], 0 offset:76
	buffer_load_dword v115, off, s[0:3], 0 offset:96
	buffer_load_dword v117, off, s[0:3], 0 offset:88
	buffer_load_dword v119, off, s[0:3], 0 offset:80
	buffer_load_dword v113, off, s[0:3], 0 offset:72
	buffer_load_dword v120, off, s[0:3], 0 offset:84
	buffer_load_dword v118, off, s[0:3], 0 offset:92
	buffer_load_dword v116, off, s[0:3], 0 offset:100
	ds_read_b128 v[91:94], v90 offset:368
	ds_read_b128 v[95:98], v90 offset:384
	v_cmp_ne_u32_e32 vcc, 0, v0
	s_waitcnt vmcnt(20) lgkmcnt(1)
	v_fma_f64 v[91:92], v[99:100], v[91:92], 0
	s_waitcnt vmcnt(18)
	v_fma_f64 v[91:92], v[101:102], v[93:94], v[91:92]
	buffer_load_dword v100, off, s[0:3], 0 offset:108
	buffer_load_dword v101, off, s[0:3], 0 offset:128
	;; [unrolled: 1-line block ×7, first 2 shown]
	s_waitcnt vmcnt(23) lgkmcnt(0)
	v_fma_f64 v[91:92], v[103:104], v[95:96], v[91:92]
	s_waitcnt vmcnt(21)
	v_fma_f64 v[102:103], v[105:106], v[97:98], v[91:92]
	ds_read_b128 v[91:94], v90 offset:400
	ds_read_b128 v[95:98], v90 offset:416
	s_waitcnt vmcnt(19) lgkmcnt(1)
	v_fma_f64 v[91:92], v[107:108], v[91:92], v[102:103]
	buffer_load_dword v102, off, s[0:3], 0 offset:132
	s_waitcnt vmcnt(18)
	v_fma_f64 v[91:92], v[109:110], v[93:94], v[91:92]
	buffer_load_dword v104, off, s[0:3], 0 offset:140
	buffer_load_dword v105, off, s[0:3], 0 offset:160
	;; [unrolled: 1-line block ×7, first 2 shown]
	s_waitcnt vmcnt(23) lgkmcnt(0)
	v_fma_f64 v[91:92], v[111:112], v[95:96], v[91:92]
	s_waitcnt vmcnt(18)
	v_fma_f64 v[111:112], v[113:114], v[97:98], v[91:92]
	ds_read_b128 v[91:94], v90 offset:432
	ds_read_b128 v[95:98], v90 offset:448
	buffer_load_dword v106, off, s[0:3], 0 offset:164
	s_waitcnt vmcnt(18) lgkmcnt(1)
	v_fma_f64 v[91:92], v[119:120], v[91:92], v[111:112]
	s_waitcnt vmcnt(17)
	v_fma_f64 v[91:92], v[117:118], v[93:94], v[91:92]
	buffer_load_dword v112, off, s[0:3], 0 offset:172
	buffer_load_dword v113, off, s[0:3], 0 offset:192
	buffer_load_dword v117, off, s[0:3], 0 offset:184
	buffer_load_dword v119, off, s[0:3], 0 offset:176
	buffer_load_dword v111, off, s[0:3], 0 offset:168
	buffer_load_dword v120, off, s[0:3], 0 offset:180
	buffer_load_dword v118, off, s[0:3], 0 offset:188
	buffer_load_dword v114, off, s[0:3], 0 offset:196
	s_waitcnt vmcnt(24) lgkmcnt(0)
	v_fma_f64 v[91:92], v[115:116], v[95:96], v[91:92]
	s_waitcnt vmcnt(19)
	v_fma_f64 v[99:100], v[99:100], v[97:98], v[91:92]
	ds_read_b128 v[91:94], v90 offset:464
	ds_read_b128 v[95:98], v90 offset:480
	s_waitcnt vmcnt(18) lgkmcnt(1)
	v_fma_f64 v[91:92], v[123:124], v[91:92], v[99:100]
	s_waitcnt vmcnt(17)
	v_fma_f64 v[91:92], v[121:122], v[93:94], v[91:92]
	buffer_load_dword v100, off, s[0:3], 0 offset:204
	buffer_load_dword v115, off, s[0:3], 0 offset:224
	;; [unrolled: 1-line block ×8, first 2 shown]
	s_waitcnt vmcnt(24) lgkmcnt(0)
	v_fma_f64 v[91:92], v[101:102], v[95:96], v[91:92]
	s_waitcnt vmcnt(19)
	v_fma_f64 v[101:102], v[103:104], v[97:98], v[91:92]
	ds_read_b128 v[91:94], v90 offset:496
	ds_read_b128 v[95:98], v90 offset:512
	s_waitcnt vmcnt(18) lgkmcnt(1)
	v_fma_f64 v[91:92], v[109:110], v[91:92], v[101:102]
	s_waitcnt vmcnt(17)
	v_fma_f64 v[91:92], v[107:108], v[93:94], v[91:92]
	buffer_load_dword v102, off, s[0:3], 0 offset:236
	buffer_load_dword v103, off, s[0:3], 0 offset:256
	;; [unrolled: 1-line block ×7, first 2 shown]
	s_waitcnt vmcnt(23) lgkmcnt(0)
	v_fma_f64 v[91:92], v[105:106], v[95:96], v[91:92]
	s_waitcnt vmcnt(18)
	v_fma_f64 v[104:105], v[111:112], v[97:98], v[91:92]
	ds_read_b128 v[91:94], v90 offset:528
	ds_read_b128 v[95:98], v90 offset:544
	s_waitcnt vmcnt(17) lgkmcnt(1)
	v_fma_f64 v[91:92], v[119:120], v[91:92], v[104:105]
	buffer_load_dword v104, off, s[0:3], 0 offset:260
	s_waitcnt vmcnt(17)
	v_fma_f64 v[91:92], v[117:118], v[93:94], v[91:92]
	buffer_load_dword v106, off, s[0:3], 0 offset:268
	buffer_load_dword v111, off, s[0:3], 0 offset:288
	;; [unrolled: 1-line block ×8, first 2 shown]
	s_waitcnt vmcnt(24) lgkmcnt(0)
	v_fma_f64 v[91:92], v[113:114], v[95:96], v[91:92]
	s_waitcnt vmcnt(19)
	v_fma_f64 v[99:100], v[99:100], v[97:98], v[91:92]
	ds_read_b128 v[91:94], v90 offset:560
	ds_read_b128 v[95:98], v90 offset:576
	s_waitcnt vmcnt(18) lgkmcnt(1)
	v_fma_f64 v[91:92], v[123:124], v[91:92], v[99:100]
	s_waitcnt vmcnt(17)
	v_fma_f64 v[91:92], v[121:122], v[93:94], v[91:92]
	buffer_load_dword v100, off, s[0:3], 0 offset:300
	buffer_load_dword v113, off, s[0:3], 0 offset:320
	;; [unrolled: 1-line block ×8, first 2 shown]
	s_waitcnt vmcnt(24) lgkmcnt(0)
	v_fma_f64 v[91:92], v[115:116], v[95:96], v[91:92]
	s_waitcnt vmcnt(19)
	v_fma_f64 v[101:102], v[101:102], v[97:98], v[91:92]
	ds_read_b128 v[91:94], v90 offset:592
	ds_read_b128 v[95:98], v90 offset:608
	s_waitcnt vmcnt(18) lgkmcnt(1)
	v_fma_f64 v[91:92], v[109:110], v[91:92], v[101:102]
	s_waitcnt vmcnt(17)
	v_fma_f64 v[91:92], v[107:108], v[93:94], v[91:92]
	buffer_load_dword v102, off, s[0:3], 0 offset:332
	buffer_load_dword v107, off, s[0:3], 0 offset:344
	buffer_load_dword v109, off, s[0:3], 0 offset:336
	buffer_load_dword v101, off, s[0:3], 0 offset:328
	buffer_load_dword v110, off, s[0:3], 0 offset:340
	buffer_load_dword v108, off, s[0:3], 0 offset:348
	s_waitcnt vmcnt(22) lgkmcnt(0)
	v_fma_f64 v[91:92], v[103:104], v[95:96], v[91:92]
	s_waitcnt vmcnt(17)
	v_fma_f64 v[103:104], v[105:106], v[97:98], v[91:92]
	ds_read_b128 v[91:94], v90 offset:624
	buffer_load_dword v105, off, s[0:3], 0 offset:8
	buffer_load_dword v106, off, s[0:3], 0 offset:12
	ds_read_b128 v[95:98], v90 offset:640
	s_waitcnt vmcnt(18) lgkmcnt(1)
	v_fma_f64 v[91:92], v[119:120], v[91:92], v[103:104]
	s_waitcnt vmcnt(17)
	v_fma_f64 v[91:92], v[117:118], v[93:94], v[91:92]
	s_waitcnt vmcnt(16) lgkmcnt(0)
	v_fma_f64 v[91:92], v[111:112], v[95:96], v[91:92]
	s_waitcnt vmcnt(11)
	v_fma_f64 v[99:100], v[99:100], v[97:98], v[91:92]
	ds_read_b128 v[91:94], v90 offset:656
	ds_read_b128 v[95:98], v90 offset:672
	s_waitcnt vmcnt(10) lgkmcnt(1)
	v_fma_f64 v[91:92], v[123:124], v[91:92], v[99:100]
	s_waitcnt vmcnt(9)
	v_fma_f64 v[91:92], v[121:122], v[93:94], v[91:92]
	s_waitcnt vmcnt(8) lgkmcnt(0)
	v_fma_f64 v[91:92], v[113:114], v[95:96], v[91:92]
	s_waitcnt vmcnt(4)
	v_fma_f64 v[94:95], v[101:102], v[97:98], v[91:92]
	ds_read_b128 v[90:93], v90 offset:688
	s_waitcnt vmcnt(3) lgkmcnt(0)
	v_fma_f64 v[90:91], v[109:110], v[90:91], v[94:95]
	s_waitcnt vmcnt(2)
	v_fma_f64 v[90:91], v[107:108], v[92:93], v[90:91]
	s_waitcnt vmcnt(0)
	v_add_f64 v[90:91], v[105:106], -v[90:91]
	buffer_store_dword v91, off, s[0:3], 0 offset:12
	buffer_store_dword v90, off, s[0:3], 0 offset:8
	s_and_saveexec_b64 s[4:5], vcc
	s_cbranch_execz .LBB107_271
; %bb.270:
	buffer_load_dword v90, off, s[0:3], 0
	buffer_load_dword v91, off, s[0:3], 0 offset:4
	v_mov_b32_e32 v0, 0
	buffer_store_dword v0, off, s[0:3], 0
	buffer_store_dword v0, off, s[0:3], 0 offset:4
	s_waitcnt vmcnt(2)
	ds_write_b64 v89, v[90:91]
.LBB107_271:
	s_or_b64 exec, exec, s[4:5]
	s_waitcnt lgkmcnt(0)
	; wave barrier
	buffer_load_dword v97, off, s[0:3], 0 offset:8
	buffer_load_dword v98, off, s[0:3], 0 offset:12
	;; [unrolled: 1-line block ×22, first 2 shown]
	v_mov_b32_e32 v0, 0
	ds_read2_b64 v[89:92], v0 offset0:45 offset1:46
	ds_read2_b64 v[93:96], v0 offset0:47 offset1:48
	s_and_b64 vcc, exec, s[14:15]
	s_waitcnt vmcnt(20) lgkmcnt(1)
	v_fma_f64 v[89:90], v[97:98], v[89:90], 0
	s_waitcnt vmcnt(18)
	v_fma_f64 v[89:90], v[99:100], v[91:92], v[89:90]
	buffer_load_dword v98, off, s[0:3], 0 offset:100
	buffer_load_dword v99, off, s[0:3], 0 offset:120
	;; [unrolled: 1-line block ×7, first 2 shown]
	s_waitcnt vmcnt(23) lgkmcnt(0)
	v_fma_f64 v[89:90], v[101:102], v[93:94], v[89:90]
	s_waitcnt vmcnt(21)
	v_fma_f64 v[100:101], v[103:104], v[95:96], v[89:90]
	ds_read2_b64 v[89:92], v0 offset0:49 offset1:50
	ds_read2_b64 v[93:96], v0 offset0:51 offset1:52
	s_waitcnt vmcnt(19) lgkmcnt(1)
	v_fma_f64 v[89:90], v[105:106], v[89:90], v[100:101]
	buffer_load_dword v100, off, s[0:3], 0 offset:124
	s_waitcnt vmcnt(18)
	v_fma_f64 v[89:90], v[107:108], v[91:92], v[89:90]
	buffer_load_dword v102, off, s[0:3], 0 offset:132
	buffer_load_dword v103, off, s[0:3], 0 offset:152
	;; [unrolled: 1-line block ×7, first 2 shown]
	s_waitcnt vmcnt(23) lgkmcnt(0)
	v_fma_f64 v[89:90], v[109:110], v[93:94], v[89:90]
	s_waitcnt vmcnt(18)
	v_fma_f64 v[109:110], v[111:112], v[95:96], v[89:90]
	ds_read2_b64 v[89:92], v0 offset0:53 offset1:54
	ds_read2_b64 v[93:96], v0 offset0:55 offset1:56
	buffer_load_dword v104, off, s[0:3], 0 offset:156
	s_waitcnt vmcnt(18) lgkmcnt(1)
	v_fma_f64 v[89:90], v[117:118], v[89:90], v[109:110]
	s_waitcnt vmcnt(17)
	v_fma_f64 v[89:90], v[115:116], v[91:92], v[89:90]
	buffer_load_dword v110, off, s[0:3], 0 offset:164
	buffer_load_dword v111, off, s[0:3], 0 offset:184
	;; [unrolled: 1-line block ×8, first 2 shown]
	s_waitcnt vmcnt(24) lgkmcnt(0)
	v_fma_f64 v[89:90], v[113:114], v[93:94], v[89:90]
	s_waitcnt vmcnt(19)
	v_fma_f64 v[97:98], v[97:98], v[95:96], v[89:90]
	ds_read2_b64 v[89:92], v0 offset0:57 offset1:58
	ds_read2_b64 v[93:96], v0 offset0:59 offset1:60
	s_waitcnt vmcnt(18) lgkmcnt(1)
	v_fma_f64 v[89:90], v[121:122], v[89:90], v[97:98]
	s_waitcnt vmcnt(17)
	v_fma_f64 v[89:90], v[119:120], v[91:92], v[89:90]
	buffer_load_dword v98, off, s[0:3], 0 offset:196
	buffer_load_dword v113, off, s[0:3], 0 offset:216
	;; [unrolled: 1-line block ×8, first 2 shown]
	s_waitcnt vmcnt(24) lgkmcnt(0)
	v_fma_f64 v[89:90], v[99:100], v[93:94], v[89:90]
	s_waitcnt vmcnt(19)
	v_fma_f64 v[99:100], v[101:102], v[95:96], v[89:90]
	ds_read2_b64 v[89:92], v0 offset0:61 offset1:62
	ds_read2_b64 v[93:96], v0 offset0:63 offset1:64
	s_waitcnt vmcnt(18) lgkmcnt(1)
	v_fma_f64 v[89:90], v[107:108], v[89:90], v[99:100]
	s_waitcnt vmcnt(17)
	v_fma_f64 v[89:90], v[105:106], v[91:92], v[89:90]
	buffer_load_dword v100, off, s[0:3], 0 offset:228
	buffer_load_dword v101, off, s[0:3], 0 offset:248
	buffer_load_dword v105, off, s[0:3], 0 offset:240
	buffer_load_dword v107, off, s[0:3], 0 offset:232
	buffer_load_dword v99, off, s[0:3], 0 offset:224
	buffer_load_dword v108, off, s[0:3], 0 offset:236
	buffer_load_dword v106, off, s[0:3], 0 offset:244
	s_waitcnt vmcnt(23) lgkmcnt(0)
	v_fma_f64 v[89:90], v[103:104], v[93:94], v[89:90]
	s_waitcnt vmcnt(18)
	v_fma_f64 v[102:103], v[109:110], v[95:96], v[89:90]
	ds_read2_b64 v[89:92], v0 offset0:65 offset1:66
	ds_read2_b64 v[93:96], v0 offset0:67 offset1:68
	s_waitcnt vmcnt(17) lgkmcnt(1)
	v_fma_f64 v[89:90], v[117:118], v[89:90], v[102:103]
	buffer_load_dword v102, off, s[0:3], 0 offset:252
	s_waitcnt vmcnt(17)
	v_fma_f64 v[89:90], v[115:116], v[91:92], v[89:90]
	buffer_load_dword v104, off, s[0:3], 0 offset:260
	buffer_load_dword v109, off, s[0:3], 0 offset:280
	;; [unrolled: 1-line block ×8, first 2 shown]
	s_waitcnt vmcnt(24) lgkmcnt(0)
	v_fma_f64 v[89:90], v[111:112], v[93:94], v[89:90]
	s_waitcnt vmcnt(19)
	v_fma_f64 v[97:98], v[97:98], v[95:96], v[89:90]
	ds_read2_b64 v[89:92], v0 offset0:69 offset1:70
	ds_read2_b64 v[93:96], v0 offset0:71 offset1:72
	s_waitcnt vmcnt(18) lgkmcnt(1)
	v_fma_f64 v[89:90], v[121:122], v[89:90], v[97:98]
	s_waitcnt vmcnt(17)
	v_fma_f64 v[89:90], v[119:120], v[91:92], v[89:90]
	buffer_load_dword v112, off, s[0:3], 0 offset:292
	buffer_load_dword v119, off, s[0:3], 0 offset:312
	;; [unrolled: 1-line block ×8, first 2 shown]
	s_waitcnt vmcnt(24) lgkmcnt(0)
	v_fma_f64 v[89:90], v[113:114], v[93:94], v[89:90]
	s_waitcnt vmcnt(19)
	v_fma_f64 v[97:98], v[99:100], v[95:96], v[89:90]
	ds_read2_b64 v[89:92], v0 offset0:73 offset1:74
	ds_read2_b64 v[93:96], v0 offset0:75 offset1:76
	s_waitcnt vmcnt(18) lgkmcnt(1)
	v_fma_f64 v[89:90], v[107:108], v[89:90], v[97:98]
	s_waitcnt vmcnt(17)
	v_fma_f64 v[90:91], v[105:106], v[91:92], v[89:90]
	buffer_load_dword v100, off, s[0:3], 0 offset:324
	buffer_load_dword v105, off, s[0:3], 0 offset:344
	;; [unrolled: 1-line block ×5, first 2 shown]
	s_waitcnt vmcnt(21) lgkmcnt(0)
	v_fma_f64 v[91:92], v[101:102], v[93:94], v[90:91]
	buffer_load_dword v108, off, s[0:3], 0 offset:332
	buffer_load_dword v90, off, s[0:3], 0 offset:340
	;; [unrolled: 1-line block ×3, first 2 shown]
	s_waitcnt vmcnt(19)
	v_fma_f64 v[101:102], v[103:104], v[95:96], v[91:92]
	ds_read2_b64 v[91:94], v0 offset0:77 offset1:78
	ds_read2_b64 v[95:98], v0 offset0:79 offset1:80
	s_waitcnt vmcnt(18) lgkmcnt(1)
	v_fma_f64 v[91:92], v[117:118], v[91:92], v[101:102]
	buffer_load_dword v101, off, s[0:3], 0
	buffer_load_dword v102, off, s[0:3], 0 offset:4
	s_waitcnt vmcnt(19)
	v_fma_f64 v[91:92], v[115:116], v[93:94], v[91:92]
	s_waitcnt vmcnt(18) lgkmcnt(0)
	v_fma_f64 v[91:92], v[109:110], v[95:96], v[91:92]
	s_waitcnt vmcnt(13)
	v_fma_f64 v[103:104], v[111:112], v[97:98], v[91:92]
	ds_read2_b64 v[91:94], v0 offset0:81 offset1:82
	ds_read2_b64 v[95:98], v0 offset0:83 offset1:84
	s_waitcnt vmcnt(12) lgkmcnt(1)
	v_fma_f64 v[91:92], v[123:124], v[91:92], v[103:104]
	s_waitcnt vmcnt(11)
	v_fma_f64 v[91:92], v[121:122], v[93:94], v[91:92]
	s_waitcnt vmcnt(10) lgkmcnt(0)
	v_fma_f64 v[91:92], v[119:120], v[95:96], v[91:92]
	s_waitcnt vmcnt(5)
	v_fma_f64 v[95:96], v[99:100], v[97:98], v[91:92]
	ds_read2_b64 v[91:94], v0 offset0:85 offset1:86
	ds_read_b64 v[97:98], v0 offset:696
	s_waitcnt vmcnt(4) lgkmcnt(1)
	v_fma_f64 v[91:92], v[107:108], v[91:92], v[95:96]
	s_waitcnt vmcnt(3)
	v_fma_f64 v[91:92], v[89:90], v[93:94], v[91:92]
	s_waitcnt vmcnt(2) lgkmcnt(0)
	v_fma_f64 v[91:92], v[105:106], v[97:98], v[91:92]
	s_waitcnt vmcnt(0)
	v_add_f64 v[91:92], v[101:102], -v[91:92]
	buffer_store_dword v92, off, s[0:3], 0 offset:4
	buffer_store_dword v91, off, s[0:3], 0
	s_cbranch_vccz .LBB107_358
; %bb.272:
	global_load_dword v0, v0, s[12:13] offset:168
	s_waitcnt vmcnt(0)
	v_add_u32_e32 v0, -1, v0
	v_cmp_ne_u32_e32 vcc, 42, v0
	s_cbranch_vccz .LBB107_274
; %bb.273:
	v_lshlrev_b32_e32 v0, 3, v0
	buffer_load_dword v91, v0, s[0:3], 0 offen offset:4
	buffer_load_dword v92, v0, s[0:3], 0 offen
	s_waitcnt vmcnt(1)
	buffer_store_dword v91, off, s[0:3], 0 offset:340
	s_waitcnt vmcnt(1)
	buffer_store_dword v92, off, s[0:3], 0 offset:336
	buffer_store_dword v90, v0, s[0:3], 0 offen offset:4
	buffer_store_dword v89, v0, s[0:3], 0 offen
.LBB107_274:
	v_mov_b32_e32 v0, 0
	global_load_dword v89, v0, s[12:13] offset:164
	s_waitcnt vmcnt(0)
	v_add_u32_e32 v89, -1, v89
	v_cmp_eq_u32_e32 vcc, 41, v89
	s_cbranch_vccnz .LBB107_276
; %bb.275:
	v_lshlrev_b32_e32 v89, 3, v89
	buffer_load_dword v90, v89, s[0:3], 0 offen
	buffer_load_dword v91, v89, s[0:3], 0 offen offset:4
	buffer_load_dword v92, off, s[0:3], 0 offset:328
	buffer_load_dword v93, off, s[0:3], 0 offset:332
	s_waitcnt vmcnt(3)
	buffer_store_dword v90, off, s[0:3], 0 offset:328
	s_waitcnt vmcnt(3)
	buffer_store_dword v91, off, s[0:3], 0 offset:332
	s_waitcnt vmcnt(3)
	buffer_store_dword v92, v89, s[0:3], 0 offen
	s_waitcnt vmcnt(3)
	buffer_store_dword v93, v89, s[0:3], 0 offen offset:4
.LBB107_276:
	global_load_dword v0, v0, s[12:13] offset:160
	s_waitcnt vmcnt(0)
	v_add_u32_e32 v0, -1, v0
	v_cmp_eq_u32_e32 vcc, 40, v0
	s_cbranch_vccnz .LBB107_278
; %bb.277:
	v_lshlrev_b32_e32 v0, 3, v0
	buffer_load_dword v89, v0, s[0:3], 0 offen
	buffer_load_dword v90, v0, s[0:3], 0 offen offset:4
	buffer_load_dword v91, off, s[0:3], 0 offset:324
	buffer_load_dword v92, off, s[0:3], 0 offset:320
	s_waitcnt vmcnt(3)
	buffer_store_dword v89, off, s[0:3], 0 offset:320
	s_waitcnt vmcnt(3)
	buffer_store_dword v90, off, s[0:3], 0 offset:324
	s_waitcnt vmcnt(3)
	buffer_store_dword v91, v0, s[0:3], 0 offen offset:4
	s_waitcnt vmcnt(3)
	buffer_store_dword v92, v0, s[0:3], 0 offen
.LBB107_278:
	v_mov_b32_e32 v0, 0
	global_load_dword v89, v0, s[12:13] offset:156
	s_waitcnt vmcnt(0)
	v_add_u32_e32 v89, -1, v89
	v_cmp_eq_u32_e32 vcc, 39, v89
	s_cbranch_vccnz .LBB107_280
; %bb.279:
	v_lshlrev_b32_e32 v89, 3, v89
	buffer_load_dword v90, v89, s[0:3], 0 offen
	buffer_load_dword v91, v89, s[0:3], 0 offen offset:4
	buffer_load_dword v92, off, s[0:3], 0 offset:312
	buffer_load_dword v93, off, s[0:3], 0 offset:316
	s_waitcnt vmcnt(3)
	buffer_store_dword v90, off, s[0:3], 0 offset:312
	s_waitcnt vmcnt(3)
	buffer_store_dword v91, off, s[0:3], 0 offset:316
	s_waitcnt vmcnt(3)
	buffer_store_dword v92, v89, s[0:3], 0 offen
	s_waitcnt vmcnt(3)
	buffer_store_dword v93, v89, s[0:3], 0 offen offset:4
.LBB107_280:
	global_load_dword v0, v0, s[12:13] offset:152
	s_waitcnt vmcnt(0)
	v_add_u32_e32 v0, -1, v0
	v_cmp_eq_u32_e32 vcc, 38, v0
	s_cbranch_vccnz .LBB107_282
; %bb.281:
	v_lshlrev_b32_e32 v0, 3, v0
	buffer_load_dword v89, v0, s[0:3], 0 offen
	buffer_load_dword v90, v0, s[0:3], 0 offen offset:4
	buffer_load_dword v91, off, s[0:3], 0 offset:308
	buffer_load_dword v92, off, s[0:3], 0 offset:304
	s_waitcnt vmcnt(3)
	buffer_store_dword v89, off, s[0:3], 0 offset:304
	s_waitcnt vmcnt(3)
	buffer_store_dword v90, off, s[0:3], 0 offset:308
	s_waitcnt vmcnt(3)
	buffer_store_dword v91, v0, s[0:3], 0 offen offset:4
	s_waitcnt vmcnt(3)
	buffer_store_dword v92, v0, s[0:3], 0 offen
.LBB107_282:
	;; [unrolled: 41-line block ×20, first 2 shown]
	v_mov_b32_e32 v0, 0
	global_load_dword v89, v0, s[12:13] offset:4
	s_waitcnt vmcnt(0)
	v_add_u32_e32 v89, -1, v89
	v_cmp_eq_u32_e32 vcc, 1, v89
	s_cbranch_vccnz .LBB107_356
; %bb.355:
	v_lshlrev_b32_e32 v89, 3, v89
	buffer_load_dword v90, v89, s[0:3], 0 offen
	buffer_load_dword v91, v89, s[0:3], 0 offen offset:4
	buffer_load_dword v92, off, s[0:3], 0 offset:8
	buffer_load_dword v93, off, s[0:3], 0 offset:12
	s_waitcnt vmcnt(3)
	buffer_store_dword v90, off, s[0:3], 0 offset:8
	s_waitcnt vmcnt(3)
	buffer_store_dword v91, off, s[0:3], 0 offset:12
	s_waitcnt vmcnt(3)
	buffer_store_dword v92, v89, s[0:3], 0 offen
	s_waitcnt vmcnt(3)
	buffer_store_dword v93, v89, s[0:3], 0 offen offset:4
.LBB107_356:
	global_load_dword v0, v0, s[12:13]
	s_nop 0
	buffer_load_dword v91, off, s[0:3], 0
	buffer_load_dword v92, off, s[0:3], 0 offset:4
	s_waitcnt vmcnt(2)
	v_add_u32_e32 v0, -1, v0
	v_cmp_eq_u32_e32 vcc, 0, v0
	s_cbranch_vccnz .LBB107_358
; %bb.357:
	v_lshlrev_b32_e32 v0, 3, v0
	buffer_load_dword v89, v0, s[0:3], 0 offen offset:4
	buffer_load_dword v90, v0, s[0:3], 0 offen
	s_waitcnt vmcnt(1)
	buffer_store_dword v89, off, s[0:3], 0 offset:4
	s_waitcnt vmcnt(1)
	buffer_store_dword v90, off, s[0:3], 0
	buffer_store_dword v92, v0, s[0:3], 0 offen offset:4
	buffer_store_dword v91, v0, s[0:3], 0 offen
	buffer_load_dword v91, off, s[0:3], 0
	s_nop 0
	buffer_load_dword v92, off, s[0:3], 0 offset:4
.LBB107_358:
	s_waitcnt vmcnt(0)
	flat_store_dwordx2 v[1:2], v[91:92]
	buffer_load_dword v0, off, s[0:3], 0 offset:8
	s_nop 0
	buffer_load_dword v1, off, s[0:3], 0 offset:12
	s_waitcnt vmcnt(0)
	flat_store_dwordx2 v[3:4], v[0:1]
	buffer_load_dword v0, off, s[0:3], 0 offset:16
	s_nop 0
	buffer_load_dword v1, off, s[0:3], 0 offset:20
	;; [unrolled: 5-line block ×43, first 2 shown]
	s_waitcnt vmcnt(0)
	flat_store_dwordx2 v[87:88], v[0:1]
	s_endpgm
	.section	.rodata,"a",@progbits
	.p2align	6, 0x0
	.amdhsa_kernel _ZN9rocsolver6v33100L18getri_kernel_smallILi44EdPKPdEEvT1_iilPiilS6_bb
		.amdhsa_group_segment_fixed_size 712
		.amdhsa_private_segment_fixed_size 368
		.amdhsa_kernarg_size 60
		.amdhsa_user_sgpr_count 6
		.amdhsa_user_sgpr_private_segment_buffer 1
		.amdhsa_user_sgpr_dispatch_ptr 0
		.amdhsa_user_sgpr_queue_ptr 0
		.amdhsa_user_sgpr_kernarg_segment_ptr 1
		.amdhsa_user_sgpr_dispatch_id 0
		.amdhsa_user_sgpr_flat_scratch_init 0
		.amdhsa_user_sgpr_private_segment_size 0
		.amdhsa_uses_dynamic_stack 0
		.amdhsa_system_sgpr_private_segment_wavefront_offset 1
		.amdhsa_system_sgpr_workgroup_id_x 1
		.amdhsa_system_sgpr_workgroup_id_y 0
		.amdhsa_system_sgpr_workgroup_id_z 0
		.amdhsa_system_sgpr_workgroup_info 0
		.amdhsa_system_vgpr_workitem_id 0
		.amdhsa_next_free_vgpr 125
		.amdhsa_next_free_sgpr 21
		.amdhsa_reserve_vcc 1
		.amdhsa_reserve_flat_scratch 0
		.amdhsa_float_round_mode_32 0
		.amdhsa_float_round_mode_16_64 0
		.amdhsa_float_denorm_mode_32 3
		.amdhsa_float_denorm_mode_16_64 3
		.amdhsa_dx10_clamp 1
		.amdhsa_ieee_mode 1
		.amdhsa_fp16_overflow 0
		.amdhsa_exception_fp_ieee_invalid_op 0
		.amdhsa_exception_fp_denorm_src 0
		.amdhsa_exception_fp_ieee_div_zero 0
		.amdhsa_exception_fp_ieee_overflow 0
		.amdhsa_exception_fp_ieee_underflow 0
		.amdhsa_exception_fp_ieee_inexact 0
		.amdhsa_exception_int_div_zero 0
	.end_amdhsa_kernel
	.section	.text._ZN9rocsolver6v33100L18getri_kernel_smallILi44EdPKPdEEvT1_iilPiilS6_bb,"axG",@progbits,_ZN9rocsolver6v33100L18getri_kernel_smallILi44EdPKPdEEvT1_iilPiilS6_bb,comdat
.Lfunc_end107:
	.size	_ZN9rocsolver6v33100L18getri_kernel_smallILi44EdPKPdEEvT1_iilPiilS6_bb, .Lfunc_end107-_ZN9rocsolver6v33100L18getri_kernel_smallILi44EdPKPdEEvT1_iilPiilS6_bb
                                        ; -- End function
	.set _ZN9rocsolver6v33100L18getri_kernel_smallILi44EdPKPdEEvT1_iilPiilS6_bb.num_vgpr, 125
	.set _ZN9rocsolver6v33100L18getri_kernel_smallILi44EdPKPdEEvT1_iilPiilS6_bb.num_agpr, 0
	.set _ZN9rocsolver6v33100L18getri_kernel_smallILi44EdPKPdEEvT1_iilPiilS6_bb.numbered_sgpr, 21
	.set _ZN9rocsolver6v33100L18getri_kernel_smallILi44EdPKPdEEvT1_iilPiilS6_bb.num_named_barrier, 0
	.set _ZN9rocsolver6v33100L18getri_kernel_smallILi44EdPKPdEEvT1_iilPiilS6_bb.private_seg_size, 368
	.set _ZN9rocsolver6v33100L18getri_kernel_smallILi44EdPKPdEEvT1_iilPiilS6_bb.uses_vcc, 1
	.set _ZN9rocsolver6v33100L18getri_kernel_smallILi44EdPKPdEEvT1_iilPiilS6_bb.uses_flat_scratch, 0
	.set _ZN9rocsolver6v33100L18getri_kernel_smallILi44EdPKPdEEvT1_iilPiilS6_bb.has_dyn_sized_stack, 0
	.set _ZN9rocsolver6v33100L18getri_kernel_smallILi44EdPKPdEEvT1_iilPiilS6_bb.has_recursion, 0
	.set _ZN9rocsolver6v33100L18getri_kernel_smallILi44EdPKPdEEvT1_iilPiilS6_bb.has_indirect_call, 0
	.section	.AMDGPU.csdata,"",@progbits
; Kernel info:
; codeLenInByte = 52248
; TotalNumSgprs: 25
; NumVgprs: 125
; ScratchSize: 368
; MemoryBound: 1
; FloatMode: 240
; IeeeMode: 1
; LDSByteSize: 712 bytes/workgroup (compile time only)
; SGPRBlocks: 3
; VGPRBlocks: 31
; NumSGPRsForWavesPerEU: 25
; NumVGPRsForWavesPerEU: 125
; Occupancy: 2
; WaveLimiterHint : 1
; COMPUTE_PGM_RSRC2:SCRATCH_EN: 1
; COMPUTE_PGM_RSRC2:USER_SGPR: 6
; COMPUTE_PGM_RSRC2:TRAP_HANDLER: 0
; COMPUTE_PGM_RSRC2:TGID_X_EN: 1
; COMPUTE_PGM_RSRC2:TGID_Y_EN: 0
; COMPUTE_PGM_RSRC2:TGID_Z_EN: 0
; COMPUTE_PGM_RSRC2:TIDIG_COMP_CNT: 0
	.section	.text._ZN9rocsolver6v33100L18getri_kernel_smallILi45EdPKPdEEvT1_iilPiilS6_bb,"axG",@progbits,_ZN9rocsolver6v33100L18getri_kernel_smallILi45EdPKPdEEvT1_iilPiilS6_bb,comdat
	.globl	_ZN9rocsolver6v33100L18getri_kernel_smallILi45EdPKPdEEvT1_iilPiilS6_bb ; -- Begin function _ZN9rocsolver6v33100L18getri_kernel_smallILi45EdPKPdEEvT1_iilPiilS6_bb
	.p2align	8
	.type	_ZN9rocsolver6v33100L18getri_kernel_smallILi45EdPKPdEEvT1_iilPiilS6_bb,@function
_ZN9rocsolver6v33100L18getri_kernel_smallILi45EdPKPdEEvT1_iilPiilS6_bb: ; @_ZN9rocsolver6v33100L18getri_kernel_smallILi45EdPKPdEEvT1_iilPiilS6_bb
; %bb.0:
	s_add_u32 s0, s0, s7
	s_addc_u32 s1, s1, 0
	v_cmp_gt_u32_e32 vcc, 45, v0
	s_and_saveexec_b64 s[8:9], vcc
	s_cbranch_execz .LBB108_188
; %bb.1:
	s_load_dword s18, s[4:5], 0x38
	s_load_dwordx2 s[12:13], s[4:5], 0x0
	s_load_dwordx4 s[8:11], s[4:5], 0x28
	s_waitcnt lgkmcnt(0)
	s_bitcmp1_b32 s18, 8
	s_cselect_b64 s[14:15], -1, 0
	s_ashr_i32 s7, s6, 31
	s_lshl_b64 s[16:17], s[6:7], 3
	s_add_u32 s12, s12, s16
	s_addc_u32 s13, s13, s17
	s_load_dwordx2 s[16:17], s[12:13], 0x0
	s_bfe_u32 s12, s18, 0x10008
	s_cmp_eq_u32 s12, 0
                                        ; implicit-def: $sgpr12_sgpr13
	s_cbranch_scc1 .LBB108_3
; %bb.2:
	s_load_dword s12, s[4:5], 0x20
	s_load_dwordx2 s[18:19], s[4:5], 0x18
	s_mul_i32 s13, s8, s7
	s_mul_hi_u32 s20, s8, s6
	s_add_i32 s20, s20, s13
	s_mul_i32 s9, s9, s6
	s_add_i32 s9, s20, s9
	s_mul_i32 s8, s8, s6
	s_waitcnt lgkmcnt(0)
	s_ashr_i32 s13, s12, 31
	s_lshl_b64 s[8:9], s[8:9], 2
	s_add_u32 s18, s18, s8
	s_addc_u32 s19, s19, s9
	s_lshl_b64 s[8:9], s[12:13], 2
	s_add_u32 s12, s18, s8
	s_addc_u32 s13, s19, s9
.LBB108_3:
	s_load_dwordx2 s[8:9], s[4:5], 0x8
	v_lshlrev_b32_e32 v93, 3, v0
	s_load_dword s4, s[4:5], 0x38
	s_waitcnt lgkmcnt(0)
	s_ashr_i32 s19, s8, 31
	s_mov_b32 s18, s8
	s_lshl_b64 s[18:19], s[18:19], 3
	s_add_u32 s5, s16, s18
	s_addc_u32 s8, s17, s19
	v_mov_b32_e32 v2, s8
	v_add_co_u32_e32 v1, vcc, s5, v93
	v_addc_co_u32_e32 v2, vcc, 0, v2, vcc
	flat_load_dwordx2 v[5:6], v[1:2]
	s_mov_b32 s16, s9
	s_ashr_i32 s17, s9, 31
	s_lshl_b64 s[16:17], s[16:17], 3
	v_mov_b32_e32 v4, s17
	v_add_co_u32_e32 v3, vcc, s16, v1
	v_addc_co_u32_e32 v4, vcc, v2, v4, vcc
	s_add_i32 s16, s9, s9
	v_add_u32_e32 v9, s16, v0
	v_ashrrev_i32_e32 v10, 31, v9
	v_mov_b32_e32 v11, s8
	v_add_u32_e32 v12, s9, v9
	v_ashrrev_i32_e32 v13, 31, v12
	v_mov_b32_e32 v14, s8
	v_mov_b32_e32 v15, s8
	;; [unrolled: 1-line block ×41, first 2 shown]
	s_bitcmp0_b32 s4, 0
	s_waitcnt vmcnt(0) lgkmcnt(0)
	buffer_store_dword v6, off, s[0:3], 0 offset:4
	buffer_store_dword v5, off, s[0:3], 0
	flat_load_dwordx2 v[7:8], v[3:4]
	v_lshlrev_b64 v[5:6], 3, v[9:10]
	s_waitcnt vmcnt(0) lgkmcnt(0)
	buffer_store_dword v8, off, s[0:3], 0 offset:12
	buffer_store_dword v7, off, s[0:3], 0 offset:8
	v_add_co_u32_e32 v5, vcc, s5, v5
	v_addc_co_u32_e32 v6, vcc, v11, v6, vcc
	flat_load_dwordx2 v[10:11], v[5:6]
	v_lshlrev_b64 v[7:8], 3, v[12:13]
	s_waitcnt vmcnt(0) lgkmcnt(0)
	buffer_store_dword v11, off, s[0:3], 0 offset:20
	buffer_store_dword v10, off, s[0:3], 0 offset:16
	v_add_co_u32_e32 v7, vcc, s5, v7
	v_addc_co_u32_e32 v8, vcc, v14, v8, vcc
	flat_load_dwordx2 v[13:14], v[7:8]
	v_add_u32_e32 v11, s9, v12
	v_ashrrev_i32_e32 v12, 31, v11
	v_lshlrev_b64 v[9:10], 3, v[11:12]
	s_waitcnt vmcnt(0) lgkmcnt(0)
	buffer_store_dword v14, off, s[0:3], 0 offset:28
	buffer_store_dword v13, off, s[0:3], 0 offset:24
	v_add_co_u32_e32 v9, vcc, s5, v9
	v_addc_co_u32_e32 v10, vcc, v15, v10, vcc
	flat_load_dwordx2 v[13:14], v[9:10]
	v_add_u32_e32 v15, s9, v11
	v_ashrrev_i32_e32 v16, 31, v15
	v_lshlrev_b64 v[11:12], 3, v[15:16]
	v_add_u32_e32 v18, s9, v15
	v_add_co_u32_e32 v11, vcc, s5, v11
	v_addc_co_u32_e32 v12, vcc, v17, v12, vcc
	v_ashrrev_i32_e32 v19, 31, v18
	s_waitcnt vmcnt(0) lgkmcnt(0)
	buffer_store_dword v14, off, s[0:3], 0 offset:36
	buffer_store_dword v13, off, s[0:3], 0 offset:32
	flat_load_dwordx2 v[16:17], v[11:12]
	v_lshlrev_b64 v[13:14], 3, v[18:19]
	s_waitcnt vmcnt(0) lgkmcnt(0)
	buffer_store_dword v17, off, s[0:3], 0 offset:44
	buffer_store_dword v16, off, s[0:3], 0 offset:40
	v_add_co_u32_e32 v13, vcc, s5, v13
	v_addc_co_u32_e32 v14, vcc, v20, v14, vcc
	flat_load_dwordx2 v[19:20], v[13:14]
	v_add_u32_e32 v17, s9, v18
	v_ashrrev_i32_e32 v18, 31, v17
	v_lshlrev_b64 v[15:16], 3, v[17:18]
	s_waitcnt vmcnt(0) lgkmcnt(0)
	buffer_store_dword v20, off, s[0:3], 0 offset:52
	buffer_store_dword v19, off, s[0:3], 0 offset:48
	v_add_co_u32_e32 v15, vcc, s5, v15
	v_addc_co_u32_e32 v16, vcc, v21, v16, vcc
	flat_load_dwordx2 v[19:20], v[15:16]
	v_add_u32_e32 v21, s9, v17
	v_ashrrev_i32_e32 v22, 31, v21
	v_lshlrev_b64 v[17:18], 3, v[21:22]
	v_add_u32_e32 v24, s9, v21
	v_add_co_u32_e32 v17, vcc, s5, v17
	v_addc_co_u32_e32 v18, vcc, v23, v18, vcc
	v_ashrrev_i32_e32 v25, 31, v24
	s_waitcnt vmcnt(0) lgkmcnt(0)
	buffer_store_dword v20, off, s[0:3], 0 offset:60
	buffer_store_dword v19, off, s[0:3], 0 offset:56
	;; [unrolled: 27-line block ×7, first 2 shown]
	flat_load_dwordx2 v[52:53], v[47:48]
	v_lshlrev_b64 v[49:50], 3, v[54:55]
	s_waitcnt vmcnt(0) lgkmcnt(0)
	buffer_store_dword v53, off, s[0:3], 0 offset:188
	buffer_store_dword v52, off, s[0:3], 0 offset:184
	v_add_co_u32_e32 v49, vcc, s5, v49
	v_addc_co_u32_e32 v50, vcc, v56, v50, vcc
	flat_load_dwordx2 v[55:56], v[49:50]
	v_add_u32_e32 v53, s9, v54
	v_ashrrev_i32_e32 v54, 31, v53
	v_lshlrev_b64 v[51:52], 3, v[53:54]
	s_waitcnt vmcnt(0) lgkmcnt(0)
	buffer_store_dword v56, off, s[0:3], 0 offset:196
	buffer_store_dword v55, off, s[0:3], 0 offset:192
	v_add_co_u32_e32 v51, vcc, s5, v51
	v_addc_co_u32_e32 v52, vcc, v57, v52, vcc
	flat_load_dwordx2 v[55:56], v[51:52]
	v_add_u32_e32 v57, s9, v53
	v_ashrrev_i32_e32 v58, 31, v57
	v_lshlrev_b64 v[53:54], 3, v[57:58]
	v_add_u32_e32 v60, s9, v57
	v_add_co_u32_e32 v53, vcc, s5, v53
	v_addc_co_u32_e32 v54, vcc, v59, v54, vcc
	s_waitcnt vmcnt(0) lgkmcnt(0)
	buffer_store_dword v56, off, s[0:3], 0 offset:204
	buffer_store_dword v55, off, s[0:3], 0 offset:200
	flat_load_dwordx2 v[58:59], v[53:54]
	v_ashrrev_i32_e32 v61, 31, v60
	v_lshlrev_b64 v[55:56], 3, v[60:61]
	s_waitcnt vmcnt(0) lgkmcnt(0)
	buffer_store_dword v59, off, s[0:3], 0 offset:212
	buffer_store_dword v58, off, s[0:3], 0 offset:208
	v_add_co_u32_e32 v55, vcc, s5, v55
	v_addc_co_u32_e32 v56, vcc, v62, v56, vcc
	flat_load_dwordx2 v[61:62], v[55:56]
	v_add_u32_e32 v59, s9, v60
	v_ashrrev_i32_e32 v60, 31, v59
	v_lshlrev_b64 v[57:58], 3, v[59:60]
	s_waitcnt vmcnt(0) lgkmcnt(0)
	buffer_store_dword v62, off, s[0:3], 0 offset:220
	buffer_store_dword v61, off, s[0:3], 0 offset:216
	v_add_co_u32_e32 v57, vcc, s5, v57
	v_addc_co_u32_e32 v58, vcc, v63, v58, vcc
	flat_load_dwordx2 v[61:62], v[57:58]
	v_add_u32_e32 v63, s9, v59
	;; [unrolled: 9-line block ×17, first 2 shown]
	v_ashrrev_i32_e32 v90, 31, v89
	v_lshlrev_b64 v[89:90], 3, v[89:90]
	s_waitcnt vmcnt(0) lgkmcnt(0)
	buffer_store_dword v92, off, s[0:3], 0 offset:348
	buffer_store_dword v91, off, s[0:3], 0 offset:344
	v_add_co_u32_e32 v89, vcc, s5, v89
	v_addc_co_u32_e32 v90, vcc, v94, v90, vcc
	flat_load_dwordx2 v[91:92], v[89:90]
	s_mov_b64 s[8:9], -1
	s_waitcnt vmcnt(0) lgkmcnt(0)
	buffer_store_dword v92, off, s[0:3], 0 offset:356
	buffer_store_dword v91, off, s[0:3], 0 offset:352
	s_cbranch_scc1 .LBB108_186
; %bb.4:
	v_cmp_eq_u32_e64 s[4:5], 0, v0
	s_and_saveexec_b64 s[8:9], s[4:5]
; %bb.5:
	v_mov_b32_e32 v91, 0
	ds_write_b32 v91, v91 offset:360
; %bb.6:
	s_or_b64 exec, exec, s[8:9]
	v_mov_b32_e32 v91, 0
	v_lshl_add_u32 v91, v0, 3, v91
	s_waitcnt lgkmcnt(0)
	; wave barrier
	buffer_load_dword v94, v91, s[0:3], 0 offen
	buffer_load_dword v95, v91, s[0:3], 0 offen offset:4
	s_waitcnt vmcnt(0)
	v_cmp_eq_f64_e32 vcc, 0, v[94:95]
	s_and_saveexec_b64 s[16:17], vcc
	s_cbranch_execz .LBB108_10
; %bb.7:
	v_mov_b32_e32 v92, 0
	ds_read_b32 v95, v92 offset:360
	v_add_u32_e32 v94, 1, v0
	s_waitcnt lgkmcnt(0)
	v_readfirstlane_b32 s8, v95
	s_cmp_eq_u32 s8, 0
	s_cselect_b64 s[18:19], -1, 0
	v_cmp_gt_i32_e32 vcc, s8, v94
	s_or_b64 s[18:19], s[18:19], vcc
	s_and_b64 exec, exec, s[18:19]
	s_cbranch_execz .LBB108_10
; %bb.8:
	s_mov_b64 s[18:19], 0
	v_mov_b32_e32 v95, s8
.LBB108_9:                              ; =>This Inner Loop Header: Depth=1
	ds_cmpst_rtn_b32 v95, v92, v95, v94 offset:360
	s_waitcnt lgkmcnt(0)
	v_cmp_ne_u32_e32 vcc, 0, v95
	v_cmp_le_i32_e64 s[8:9], v95, v94
	s_and_b64 s[8:9], vcc, s[8:9]
	s_and_b64 s[8:9], exec, s[8:9]
	s_or_b64 s[18:19], s[8:9], s[18:19]
	s_andn2_b64 exec, exec, s[18:19]
	s_cbranch_execnz .LBB108_9
.LBB108_10:
	s_or_b64 exec, exec, s[16:17]
	v_mov_b32_e32 v94, 0
	; wave barrier
	ds_read_b32 v92, v94 offset:360
	s_and_saveexec_b64 s[8:9], s[4:5]
	s_cbranch_execz .LBB108_12
; %bb.11:
	s_lshl_b64 s[16:17], s[6:7], 2
	s_add_u32 s16, s10, s16
	s_addc_u32 s17, s11, s17
	s_waitcnt lgkmcnt(0)
	global_store_dword v94, v92, s[16:17]
.LBB108_12:
	s_or_b64 exec, exec, s[8:9]
	s_waitcnt lgkmcnt(0)
	v_cmp_ne_u32_e32 vcc, 0, v92
	s_mov_b64 s[8:9], 0
	s_cbranch_vccnz .LBB108_186
; %bb.13:
	buffer_load_dword v94, v91, s[0:3], 0 offen
	buffer_load_dword v95, v91, s[0:3], 0 offen offset:4
	s_waitcnt vmcnt(0)
	v_div_scale_f64 v[96:97], s[8:9], v[94:95], v[94:95], 1.0
	v_rcp_f64_e32 v[98:99], v[96:97]
	v_fma_f64 v[100:101], -v[96:97], v[98:99], 1.0
	v_fma_f64 v[98:99], v[98:99], v[100:101], v[98:99]
	v_div_scale_f64 v[100:101], vcc, 1.0, v[94:95], 1.0
	v_fma_f64 v[102:103], -v[96:97], v[98:99], 1.0
	v_fma_f64 v[98:99], v[98:99], v[102:103], v[98:99]
	v_mul_f64 v[102:103], v[100:101], v[98:99]
	v_fma_f64 v[96:97], -v[96:97], v[102:103], v[100:101]
	v_div_fmas_f64 v[96:97], v[96:97], v[98:99], v[102:103]
	v_div_fixup_f64 v[95:96], v[96:97], v[94:95], 1.0
	v_add_u32_e32 v94, 0x170, v93
	buffer_store_dword v96, v91, s[0:3], 0 offen offset:4
	buffer_store_dword v95, v91, s[0:3], 0 offen
	buffer_load_dword v98, off, s[0:3], 0 offset:12
	buffer_load_dword v97, off, s[0:3], 0 offset:8
	v_xor_b32_e32 v96, 0x80000000, v96
	s_waitcnt vmcnt(0)
	ds_write2_b64 v93, v[95:96], v[97:98] offset1:46
	s_waitcnt lgkmcnt(0)
	; wave barrier
	s_and_saveexec_b64 s[8:9], s[4:5]
	s_cbranch_execz .LBB108_15
; %bb.14:
	buffer_load_dword v95, v91, s[0:3], 0 offen
	buffer_load_dword v96, v91, s[0:3], 0 offen offset:4
	ds_read_b64 v[97:98], v94
	v_mov_b32_e32 v92, 0
	ds_read_b64 v[99:100], v92 offset:8
	s_waitcnt vmcnt(0) lgkmcnt(1)
	v_fma_f64 v[95:96], v[95:96], v[97:98], 0
	s_waitcnt lgkmcnt(0)
	v_mul_f64 v[95:96], v[95:96], v[99:100]
	buffer_store_dword v95, off, s[0:3], 0 offset:8
	buffer_store_dword v96, off, s[0:3], 0 offset:12
.LBB108_15:
	s_or_b64 exec, exec, s[8:9]
	; wave barrier
	buffer_load_dword v95, off, s[0:3], 0 offset:16
	buffer_load_dword v96, off, s[0:3], 0 offset:20
	v_cmp_gt_u32_e32 vcc, 2, v0
	s_waitcnt vmcnt(0)
	ds_write_b64 v94, v[95:96]
	s_waitcnt lgkmcnt(0)
	; wave barrier
	s_and_saveexec_b64 s[8:9], vcc
	s_cbranch_execz .LBB108_17
; %bb.16:
	buffer_load_dword v95, v91, s[0:3], 0 offen
	buffer_load_dword v96, v91, s[0:3], 0 offen offset:4
                                        ; kill: killed $vgpr91
	s_nop 0
	buffer_load_dword v91, off, s[0:3], 0 offset:8
	buffer_load_dword v92, off, s[0:3], 0 offset:12
	ds_read_b64 v[97:98], v94
	s_waitcnt vmcnt(2) lgkmcnt(0)
	v_fma_f64 v[99:100], v[95:96], v[97:98], 0
	v_mov_b32_e32 v95, 0
	ds_read2_b64 v[95:98], v95 offset0:2 offset1:47
	s_waitcnt vmcnt(0) lgkmcnt(0)
	v_fma_f64 v[91:92], v[91:92], v[97:98], v[99:100]
	v_cndmask_b32_e64 v92, v100, v92, s[4:5]
	v_cndmask_b32_e64 v91, v99, v91, s[4:5]
	v_mul_f64 v[91:92], v[91:92], v[95:96]
	buffer_store_dword v92, off, s[0:3], 0 offset:20
	buffer_store_dword v91, off, s[0:3], 0 offset:16
.LBB108_17:
	s_or_b64 exec, exec, s[8:9]
	; wave barrier
	buffer_load_dword v91, off, s[0:3], 0 offset:24
	buffer_load_dword v92, off, s[0:3], 0 offset:28
	v_cmp_gt_u32_e32 vcc, 3, v0
	v_add_u32_e32 v95, -1, v0
	s_waitcnt vmcnt(0)
	ds_write_b64 v94, v[91:92]
	s_waitcnt lgkmcnt(0)
	; wave barrier
	s_and_saveexec_b64 s[4:5], vcc
	s_cbranch_execz .LBB108_21
; %bb.18:
	v_mov_b32_e32 v91, 0
	v_add_u32_e32 v96, -1, v0
	v_add_u32_e32 v97, 0x170, v93
	v_mov_b32_e32 v98, v93
	v_mov_b32_e32 v92, 0
	s_mov_b64 s[8:9], 0
.LBB108_19:                             ; =>This Inner Loop Header: Depth=1
	buffer_load_dword v99, v98, s[0:3], 0 offen
	buffer_load_dword v100, v98, s[0:3], 0 offen offset:4
	ds_read_b64 v[101:102], v97
	v_add_u32_e32 v96, 1, v96
	v_cmp_lt_u32_e32 vcc, 1, v96
	v_add_u32_e32 v97, 8, v97
	s_or_b64 s[8:9], vcc, s[8:9]
	v_add_u32_e32 v98, 8, v98
	s_waitcnt vmcnt(0) lgkmcnt(0)
	v_fma_f64 v[91:92], v[99:100], v[101:102], v[91:92]
	s_andn2_b64 exec, exec, s[8:9]
	s_cbranch_execnz .LBB108_19
; %bb.20:
	s_or_b64 exec, exec, s[8:9]
	v_mov_b32_e32 v96, 0
	ds_read_b64 v[96:97], v96 offset:24
	s_waitcnt lgkmcnt(0)
	v_mul_f64 v[91:92], v[91:92], v[96:97]
	buffer_store_dword v92, off, s[0:3], 0 offset:28
	buffer_store_dword v91, off, s[0:3], 0 offset:24
.LBB108_21:
	s_or_b64 exec, exec, s[4:5]
	; wave barrier
	buffer_load_dword v91, off, s[0:3], 0 offset:32
	buffer_load_dword v92, off, s[0:3], 0 offset:36
	v_cmp_gt_u32_e32 vcc, 4, v0
	s_waitcnt vmcnt(0)
	ds_write_b64 v94, v[91:92]
	s_waitcnt lgkmcnt(0)
	; wave barrier
	s_and_saveexec_b64 s[4:5], vcc
	s_cbranch_execz .LBB108_25
; %bb.22:
	v_mov_b32_e32 v91, 0
	v_add_u32_e32 v96, -1, v0
	v_add_u32_e32 v97, 0x170, v93
	v_mov_b32_e32 v98, v93
	v_mov_b32_e32 v92, 0
	s_mov_b64 s[8:9], 0
.LBB108_23:                             ; =>This Inner Loop Header: Depth=1
	buffer_load_dword v99, v98, s[0:3], 0 offen
	buffer_load_dword v100, v98, s[0:3], 0 offen offset:4
	ds_read_b64 v[101:102], v97
	v_add_u32_e32 v96, 1, v96
	v_cmp_lt_u32_e32 vcc, 2, v96
	v_add_u32_e32 v97, 8, v97
	s_or_b64 s[8:9], vcc, s[8:9]
	v_add_u32_e32 v98, 8, v98
	s_waitcnt vmcnt(0) lgkmcnt(0)
	v_fma_f64 v[91:92], v[99:100], v[101:102], v[91:92]
	s_andn2_b64 exec, exec, s[8:9]
	s_cbranch_execnz .LBB108_23
; %bb.24:
	s_or_b64 exec, exec, s[8:9]
	v_mov_b32_e32 v96, 0
	ds_read_b64 v[96:97], v96 offset:32
	s_waitcnt lgkmcnt(0)
	v_mul_f64 v[91:92], v[91:92], v[96:97]
	buffer_store_dword v92, off, s[0:3], 0 offset:36
	buffer_store_dword v91, off, s[0:3], 0 offset:32
.LBB108_25:
	s_or_b64 exec, exec, s[4:5]
	; wave barrier
	buffer_load_dword v91, off, s[0:3], 0 offset:40
	buffer_load_dword v92, off, s[0:3], 0 offset:44
	v_cmp_gt_u32_e32 vcc, 5, v0
	;; [unrolled: 40-line block ×21, first 2 shown]
	s_waitcnt vmcnt(0)
	ds_write_b64 v94, v[91:92]
	s_waitcnt lgkmcnt(0)
	; wave barrier
	s_and_saveexec_b64 s[4:5], vcc
	s_cbranch_execz .LBB108_105
; %bb.102:
	v_mov_b32_e32 v91, 0
	v_add_u32_e32 v96, -1, v0
	v_add_u32_e32 v97, 0x170, v93
	v_mov_b32_e32 v98, v93
	v_mov_b32_e32 v92, 0
	s_mov_b64 s[8:9], 0
.LBB108_103:                            ; =>This Inner Loop Header: Depth=1
	buffer_load_dword v99, v98, s[0:3], 0 offen
	buffer_load_dword v100, v98, s[0:3], 0 offen offset:4
	ds_read_b64 v[101:102], v97
	v_add_u32_e32 v96, 1, v96
	v_cmp_lt_u32_e32 vcc, 22, v96
	v_add_u32_e32 v97, 8, v97
	s_or_b64 s[8:9], vcc, s[8:9]
	v_add_u32_e32 v98, 8, v98
	s_waitcnt vmcnt(0) lgkmcnt(0)
	v_fma_f64 v[91:92], v[99:100], v[101:102], v[91:92]
	s_andn2_b64 exec, exec, s[8:9]
	s_cbranch_execnz .LBB108_103
; %bb.104:
	s_or_b64 exec, exec, s[8:9]
	v_mov_b32_e32 v96, 0
	ds_read_b64 v[96:97], v96 offset:192
	s_waitcnt lgkmcnt(0)
	v_mul_f64 v[91:92], v[91:92], v[96:97]
	buffer_store_dword v92, off, s[0:3], 0 offset:196
	buffer_store_dword v91, off, s[0:3], 0 offset:192
.LBB108_105:
	s_or_b64 exec, exec, s[4:5]
	; wave barrier
	buffer_load_dword v91, off, s[0:3], 0 offset:200
	buffer_load_dword v92, off, s[0:3], 0 offset:204
	v_cmp_gt_u32_e32 vcc, 25, v0
	s_waitcnt vmcnt(0)
	ds_write_b64 v94, v[91:92]
	s_waitcnt lgkmcnt(0)
	; wave barrier
	s_and_saveexec_b64 s[4:5], vcc
	s_cbranch_execz .LBB108_109
; %bb.106:
	v_mov_b32_e32 v91, 0
	v_add_u32_e32 v96, -1, v0
	v_add_u32_e32 v97, 0x170, v93
	v_mov_b32_e32 v98, v93
	v_mov_b32_e32 v92, 0
	s_mov_b64 s[8:9], 0
.LBB108_107:                            ; =>This Inner Loop Header: Depth=1
	buffer_load_dword v99, v98, s[0:3], 0 offen
	buffer_load_dword v100, v98, s[0:3], 0 offen offset:4
	ds_read_b64 v[101:102], v97
	v_add_u32_e32 v96, 1, v96
	v_cmp_lt_u32_e32 vcc, 23, v96
	v_add_u32_e32 v97, 8, v97
	s_or_b64 s[8:9], vcc, s[8:9]
	v_add_u32_e32 v98, 8, v98
	s_waitcnt vmcnt(0) lgkmcnt(0)
	v_fma_f64 v[91:92], v[99:100], v[101:102], v[91:92]
	s_andn2_b64 exec, exec, s[8:9]
	s_cbranch_execnz .LBB108_107
; %bb.108:
	s_or_b64 exec, exec, s[8:9]
	v_mov_b32_e32 v96, 0
	ds_read_b64 v[96:97], v96 offset:200
	s_waitcnt lgkmcnt(0)
	v_mul_f64 v[91:92], v[91:92], v[96:97]
	buffer_store_dword v92, off, s[0:3], 0 offset:204
	buffer_store_dword v91, off, s[0:3], 0 offset:200
.LBB108_109:
	s_or_b64 exec, exec, s[4:5]
	; wave barrier
	buffer_load_dword v91, off, s[0:3], 0 offset:208
	buffer_load_dword v92, off, s[0:3], 0 offset:212
	v_cmp_gt_u32_e32 vcc, 26, v0
	;; [unrolled: 40-line block ×19, first 2 shown]
	s_waitcnt vmcnt(0)
	ds_write_b64 v94, v[91:92]
	s_waitcnt lgkmcnt(0)
	; wave barrier
	s_and_saveexec_b64 s[4:5], vcc
	s_cbranch_execz .LBB108_181
; %bb.178:
	v_mov_b32_e32 v91, 0
	v_add_u32_e32 v96, -1, v0
	v_add_u32_e32 v97, 0x170, v93
	v_mov_b32_e32 v98, v93
	v_mov_b32_e32 v92, 0
	s_mov_b64 s[8:9], 0
.LBB108_179:                            ; =>This Inner Loop Header: Depth=1
	buffer_load_dword v99, v98, s[0:3], 0 offen
	buffer_load_dword v100, v98, s[0:3], 0 offen offset:4
	ds_read_b64 v[101:102], v97
	v_add_u32_e32 v96, 1, v96
	v_cmp_lt_u32_e32 vcc, 41, v96
	v_add_u32_e32 v97, 8, v97
	s_or_b64 s[8:9], vcc, s[8:9]
	v_add_u32_e32 v98, 8, v98
	s_waitcnt vmcnt(0) lgkmcnt(0)
	v_fma_f64 v[91:92], v[99:100], v[101:102], v[91:92]
	s_andn2_b64 exec, exec, s[8:9]
	s_cbranch_execnz .LBB108_179
; %bb.180:
	s_or_b64 exec, exec, s[8:9]
	v_mov_b32_e32 v96, 0
	ds_read_b64 v[96:97], v96 offset:344
	s_waitcnt lgkmcnt(0)
	v_mul_f64 v[91:92], v[91:92], v[96:97]
	buffer_store_dword v92, off, s[0:3], 0 offset:348
	buffer_store_dword v91, off, s[0:3], 0 offset:344
.LBB108_181:
	s_or_b64 exec, exec, s[4:5]
	; wave barrier
	buffer_load_dword v91, off, s[0:3], 0 offset:352
	buffer_load_dword v92, off, s[0:3], 0 offset:356
	v_cmp_ne_u32_e32 vcc, 44, v0
	s_waitcnt vmcnt(0)
	ds_write_b64 v94, v[91:92]
	s_waitcnt lgkmcnt(0)
	; wave barrier
	s_and_saveexec_b64 s[4:5], vcc
	s_cbranch_execz .LBB108_185
; %bb.182:
	v_mov_b32_e32 v91, 0
	v_add_u32_e32 v94, 0x170, v93
	v_mov_b32_e32 v92, 0
	s_mov_b64 s[8:9], 0
.LBB108_183:                            ; =>This Inner Loop Header: Depth=1
	buffer_load_dword v96, v93, s[0:3], 0 offen
	buffer_load_dword v97, v93, s[0:3], 0 offen offset:4
	ds_read_b64 v[98:99], v94
	v_add_u32_e32 v95, 1, v95
	v_cmp_lt_u32_e32 vcc, 42, v95
	v_add_u32_e32 v94, 8, v94
	s_or_b64 s[8:9], vcc, s[8:9]
	v_add_u32_e32 v93, 8, v93
	s_waitcnt vmcnt(0) lgkmcnt(0)
	v_fma_f64 v[91:92], v[96:97], v[98:99], v[91:92]
	s_andn2_b64 exec, exec, s[8:9]
	s_cbranch_execnz .LBB108_183
; %bb.184:
	s_or_b64 exec, exec, s[8:9]
	v_mov_b32_e32 v93, 0
	ds_read_b64 v[93:94], v93 offset:352
	s_waitcnt lgkmcnt(0)
	v_mul_f64 v[91:92], v[91:92], v[93:94]
	buffer_store_dword v92, off, s[0:3], 0 offset:356
	buffer_store_dword v91, off, s[0:3], 0 offset:352
.LBB108_185:
	s_or_b64 exec, exec, s[4:5]
	s_mov_b64 s[8:9], -1
	; wave barrier
.LBB108_186:
	s_and_b64 vcc, exec, s[8:9]
	s_cbranch_vccz .LBB108_188
; %bb.187:
	s_lshl_b64 s[4:5], s[6:7], 2
	s_add_u32 s4, s10, s4
	s_addc_u32 s5, s11, s5
	v_mov_b32_e32 v91, 0
	global_load_dword v91, v91, s[4:5]
	s_waitcnt vmcnt(0)
	v_cmp_ne_u32_e32 vcc, 0, v91
	s_cbranch_vccz .LBB108_189
.LBB108_188:
	s_endpgm
.LBB108_189:
	v_mov_b32_e32 v91, 0x170
	v_lshl_add_u32 v91, v0, 3, v91
	v_cmp_eq_u32_e32 vcc, 44, v0
	s_and_saveexec_b64 s[4:5], vcc
	s_cbranch_execz .LBB108_191
; %bb.190:
	buffer_load_dword v92, off, s[0:3], 0 offset:344
	buffer_load_dword v93, off, s[0:3], 0 offset:348
	v_mov_b32_e32 v94, 0
	buffer_store_dword v94, off, s[0:3], 0 offset:344
	buffer_store_dword v94, off, s[0:3], 0 offset:348
	s_waitcnt vmcnt(2)
	ds_write_b64 v91, v[92:93]
.LBB108_191:
	s_or_b64 exec, exec, s[4:5]
	s_waitcnt lgkmcnt(0)
	; wave barrier
	buffer_load_dword v93, off, s[0:3], 0 offset:352
	buffer_load_dword v94, off, s[0:3], 0 offset:356
	buffer_load_dword v95, off, s[0:3], 0 offset:344
	buffer_load_dword v96, off, s[0:3], 0 offset:348
	v_mov_b32_e32 v92, 0
	ds_read_b64 v[97:98], v92 offset:720
	v_cmp_lt_u32_e32 vcc, 42, v0
	s_waitcnt vmcnt(2) lgkmcnt(0)
	v_fma_f64 v[93:94], v[93:94], v[97:98], 0
	s_waitcnt vmcnt(0)
	v_add_f64 v[93:94], v[95:96], -v[93:94]
	buffer_store_dword v93, off, s[0:3], 0 offset:344
	buffer_store_dword v94, off, s[0:3], 0 offset:348
	s_and_saveexec_b64 s[4:5], vcc
	s_cbranch_execz .LBB108_193
; %bb.192:
	buffer_load_dword v93, off, s[0:3], 0 offset:336
	buffer_load_dword v94, off, s[0:3], 0 offset:340
	s_waitcnt vmcnt(0)
	ds_write_b64 v91, v[93:94]
	buffer_store_dword v92, off, s[0:3], 0 offset:336
	buffer_store_dword v92, off, s[0:3], 0 offset:340
.LBB108_193:
	s_or_b64 exec, exec, s[4:5]
	s_waitcnt lgkmcnt(0)
	; wave barrier
	buffer_load_dword v96, off, s[0:3], 0 offset:344
	buffer_load_dword v97, off, s[0:3], 0 offset:348
	;; [unrolled: 1-line block ×6, first 2 shown]
	ds_read2_b64 v[92:95], v92 offset0:89 offset1:90
	v_cmp_lt_u32_e32 vcc, 41, v0
	s_waitcnt vmcnt(4) lgkmcnt(0)
	v_fma_f64 v[92:93], v[96:97], v[92:93], 0
	s_waitcnt vmcnt(2)
	v_fma_f64 v[92:93], v[98:99], v[94:95], v[92:93]
	s_waitcnt vmcnt(0)
	v_add_f64 v[92:93], v[100:101], -v[92:93]
	buffer_store_dword v92, off, s[0:3], 0 offset:336
	buffer_store_dword v93, off, s[0:3], 0 offset:340
	s_and_saveexec_b64 s[4:5], vcc
	s_cbranch_execz .LBB108_195
; %bb.194:
	buffer_load_dword v92, off, s[0:3], 0 offset:328
	buffer_load_dword v93, off, s[0:3], 0 offset:332
	v_mov_b32_e32 v94, 0
	buffer_store_dword v94, off, s[0:3], 0 offset:328
	buffer_store_dword v94, off, s[0:3], 0 offset:332
	s_waitcnt vmcnt(2)
	ds_write_b64 v91, v[92:93]
.LBB108_195:
	s_or_b64 exec, exec, s[4:5]
	s_waitcnt lgkmcnt(0)
	; wave barrier
	buffer_load_dword v97, off, s[0:3], 0 offset:336
	buffer_load_dword v98, off, s[0:3], 0 offset:340
	;; [unrolled: 1-line block ×8, first 2 shown]
	v_mov_b32_e32 v92, 0
	ds_read_b128 v[93:96], v92 offset:704
	ds_read_b64 v[105:106], v92 offset:720
	v_cmp_lt_u32_e32 vcc, 40, v0
	s_waitcnt vmcnt(6) lgkmcnt(1)
	v_fma_f64 v[93:94], v[97:98], v[93:94], 0
	s_waitcnt vmcnt(4)
	v_fma_f64 v[93:94], v[99:100], v[95:96], v[93:94]
	s_waitcnt vmcnt(2) lgkmcnt(0)
	v_fma_f64 v[93:94], v[101:102], v[105:106], v[93:94]
	s_waitcnt vmcnt(0)
	v_add_f64 v[93:94], v[103:104], -v[93:94]
	buffer_store_dword v93, off, s[0:3], 0 offset:328
	buffer_store_dword v94, off, s[0:3], 0 offset:332
	s_and_saveexec_b64 s[4:5], vcc
	s_cbranch_execz .LBB108_197
; %bb.196:
	buffer_load_dword v93, off, s[0:3], 0 offset:320
	buffer_load_dword v94, off, s[0:3], 0 offset:324
	s_waitcnt vmcnt(0)
	ds_write_b64 v91, v[93:94]
	buffer_store_dword v92, off, s[0:3], 0 offset:320
	buffer_store_dword v92, off, s[0:3], 0 offset:324
.LBB108_197:
	s_or_b64 exec, exec, s[4:5]
	s_waitcnt lgkmcnt(0)
	; wave barrier
	buffer_load_dword v101, off, s[0:3], 0 offset:328
	buffer_load_dword v102, off, s[0:3], 0 offset:332
	;; [unrolled: 1-line block ×10, first 2 shown]
	ds_read2_b64 v[93:96], v92 offset0:87 offset1:88
	ds_read2_b64 v[97:100], v92 offset0:89 offset1:90
	v_cmp_lt_u32_e32 vcc, 39, v0
	s_waitcnt vmcnt(8) lgkmcnt(1)
	v_fma_f64 v[92:93], v[101:102], v[93:94], 0
	s_waitcnt vmcnt(6)
	v_fma_f64 v[92:93], v[103:104], v[95:96], v[92:93]
	s_waitcnt vmcnt(4) lgkmcnt(0)
	v_fma_f64 v[92:93], v[105:106], v[97:98], v[92:93]
	s_waitcnt vmcnt(2)
	v_fma_f64 v[92:93], v[107:108], v[99:100], v[92:93]
	s_waitcnt vmcnt(0)
	v_add_f64 v[92:93], v[109:110], -v[92:93]
	buffer_store_dword v92, off, s[0:3], 0 offset:320
	buffer_store_dword v93, off, s[0:3], 0 offset:324
	s_and_saveexec_b64 s[4:5], vcc
	s_cbranch_execz .LBB108_199
; %bb.198:
	buffer_load_dword v92, off, s[0:3], 0 offset:312
	buffer_load_dword v93, off, s[0:3], 0 offset:316
	v_mov_b32_e32 v94, 0
	buffer_store_dword v94, off, s[0:3], 0 offset:312
	buffer_store_dword v94, off, s[0:3], 0 offset:316
	s_waitcnt vmcnt(2)
	ds_write_b64 v91, v[92:93]
.LBB108_199:
	s_or_b64 exec, exec, s[4:5]
	s_waitcnt lgkmcnt(0)
	; wave barrier
	buffer_load_dword v101, off, s[0:3], 0 offset:320
	buffer_load_dword v102, off, s[0:3], 0 offset:324
	;; [unrolled: 1-line block ×12, first 2 shown]
	v_mov_b32_e32 v92, 0
	ds_read_b128 v[93:96], v92 offset:688
	ds_read_b128 v[97:100], v92 offset:704
	v_cmp_lt_u32_e32 vcc, 38, v0
	s_waitcnt vmcnt(10) lgkmcnt(1)
	v_fma_f64 v[93:94], v[101:102], v[93:94], 0
	s_waitcnt vmcnt(8)
	v_fma_f64 v[93:94], v[103:104], v[95:96], v[93:94]
	ds_read_b64 v[95:96], v92 offset:720
	s_waitcnt vmcnt(6) lgkmcnt(1)
	v_fma_f64 v[93:94], v[105:106], v[97:98], v[93:94]
	s_waitcnt vmcnt(4)
	v_fma_f64 v[93:94], v[107:108], v[99:100], v[93:94]
	s_waitcnt vmcnt(2) lgkmcnt(0)
	v_fma_f64 v[93:94], v[109:110], v[95:96], v[93:94]
	s_waitcnt vmcnt(0)
	v_add_f64 v[93:94], v[111:112], -v[93:94]
	buffer_store_dword v93, off, s[0:3], 0 offset:312
	buffer_store_dword v94, off, s[0:3], 0 offset:316
	s_and_saveexec_b64 s[4:5], vcc
	s_cbranch_execz .LBB108_201
; %bb.200:
	buffer_load_dword v93, off, s[0:3], 0 offset:304
	buffer_load_dword v94, off, s[0:3], 0 offset:308
	s_waitcnt vmcnt(0)
	ds_write_b64 v91, v[93:94]
	buffer_store_dword v92, off, s[0:3], 0 offset:304
	buffer_store_dword v92, off, s[0:3], 0 offset:308
.LBB108_201:
	s_or_b64 exec, exec, s[4:5]
	s_waitcnt lgkmcnt(0)
	; wave barrier
	buffer_load_dword v101, off, s[0:3], 0 offset:312
	buffer_load_dword v102, off, s[0:3], 0 offset:316
	;; [unrolled: 1-line block ×14, first 2 shown]
	ds_read2_b64 v[93:96], v92 offset0:85 offset1:86
	ds_read2_b64 v[97:100], v92 offset0:87 offset1:88
	v_cmp_lt_u32_e32 vcc, 37, v0
	s_waitcnt vmcnt(12) lgkmcnt(1)
	v_fma_f64 v[93:94], v[101:102], v[93:94], 0
	s_waitcnt vmcnt(10)
	v_fma_f64 v[93:94], v[103:104], v[95:96], v[93:94]
	s_waitcnt vmcnt(8) lgkmcnt(0)
	v_fma_f64 v[93:94], v[105:106], v[97:98], v[93:94]
	s_waitcnt vmcnt(6)
	v_fma_f64 v[96:97], v[107:108], v[99:100], v[93:94]
	ds_read2_b64 v[92:95], v92 offset0:89 offset1:90
	s_waitcnt vmcnt(4) lgkmcnt(0)
	v_fma_f64 v[92:93], v[109:110], v[92:93], v[96:97]
	s_waitcnt vmcnt(2)
	v_fma_f64 v[92:93], v[111:112], v[94:95], v[92:93]
	s_waitcnt vmcnt(0)
	v_add_f64 v[92:93], v[113:114], -v[92:93]
	buffer_store_dword v92, off, s[0:3], 0 offset:304
	buffer_store_dword v93, off, s[0:3], 0 offset:308
	s_and_saveexec_b64 s[4:5], vcc
	s_cbranch_execz .LBB108_203
; %bb.202:
	buffer_load_dword v92, off, s[0:3], 0 offset:296
	buffer_load_dword v93, off, s[0:3], 0 offset:300
	v_mov_b32_e32 v94, 0
	buffer_store_dword v94, off, s[0:3], 0 offset:296
	buffer_store_dword v94, off, s[0:3], 0 offset:300
	s_waitcnt vmcnt(2)
	ds_write_b64 v91, v[92:93]
.LBB108_203:
	s_or_b64 exec, exec, s[4:5]
	s_waitcnt lgkmcnt(0)
	; wave barrier
	buffer_load_dword v101, off, s[0:3], 0 offset:304
	buffer_load_dword v102, off, s[0:3], 0 offset:308
	;; [unrolled: 1-line block ×16, first 2 shown]
	v_mov_b32_e32 v92, 0
	ds_read_b128 v[93:96], v92 offset:672
	ds_read_b128 v[97:100], v92 offset:688
	v_cmp_lt_u32_e32 vcc, 36, v0
	s_waitcnt vmcnt(14) lgkmcnt(1)
	v_fma_f64 v[93:94], v[101:102], v[93:94], 0
	s_waitcnt vmcnt(12)
	v_fma_f64 v[93:94], v[103:104], v[95:96], v[93:94]
	s_waitcnt vmcnt(10) lgkmcnt(0)
	v_fma_f64 v[93:94], v[105:106], v[97:98], v[93:94]
	s_waitcnt vmcnt(8)
	v_fma_f64 v[97:98], v[107:108], v[99:100], v[93:94]
	ds_read_b128 v[93:96], v92 offset:704
	ds_read_b64 v[99:100], v92 offset:720
	s_waitcnt vmcnt(6) lgkmcnt(1)
	v_fma_f64 v[93:94], v[109:110], v[93:94], v[97:98]
	s_waitcnt vmcnt(4)
	v_fma_f64 v[93:94], v[111:112], v[95:96], v[93:94]
	s_waitcnt vmcnt(2) lgkmcnt(0)
	v_fma_f64 v[93:94], v[113:114], v[99:100], v[93:94]
	s_waitcnt vmcnt(0)
	v_add_f64 v[93:94], v[115:116], -v[93:94]
	buffer_store_dword v93, off, s[0:3], 0 offset:296
	buffer_store_dword v94, off, s[0:3], 0 offset:300
	s_and_saveexec_b64 s[4:5], vcc
	s_cbranch_execz .LBB108_205
; %bb.204:
	buffer_load_dword v93, off, s[0:3], 0 offset:288
	buffer_load_dword v94, off, s[0:3], 0 offset:292
	s_waitcnt vmcnt(0)
	ds_write_b64 v91, v[93:94]
	buffer_store_dword v92, off, s[0:3], 0 offset:288
	buffer_store_dword v92, off, s[0:3], 0 offset:292
.LBB108_205:
	s_or_b64 exec, exec, s[4:5]
	s_waitcnt lgkmcnt(0)
	; wave barrier
	buffer_load_dword v101, off, s[0:3], 0 offset:296
	buffer_load_dword v102, off, s[0:3], 0 offset:300
	;; [unrolled: 1-line block ×18, first 2 shown]
	ds_read2_b64 v[93:96], v92 offset0:83 offset1:84
	ds_read2_b64 v[97:100], v92 offset0:85 offset1:86
	v_cmp_lt_u32_e32 vcc, 35, v0
	s_waitcnt vmcnt(16) lgkmcnt(1)
	v_fma_f64 v[93:94], v[101:102], v[93:94], 0
	s_waitcnt vmcnt(14)
	v_fma_f64 v[93:94], v[103:104], v[95:96], v[93:94]
	s_waitcnt vmcnt(12) lgkmcnt(0)
	v_fma_f64 v[93:94], v[105:106], v[97:98], v[93:94]
	s_waitcnt vmcnt(10)
	v_fma_f64 v[101:102], v[107:108], v[99:100], v[93:94]
	ds_read2_b64 v[93:96], v92 offset0:87 offset1:88
	ds_read2_b64 v[97:100], v92 offset0:89 offset1:90
	s_waitcnt vmcnt(8) lgkmcnt(1)
	v_fma_f64 v[92:93], v[109:110], v[93:94], v[101:102]
	s_waitcnt vmcnt(6)
	v_fma_f64 v[92:93], v[111:112], v[95:96], v[92:93]
	s_waitcnt vmcnt(4) lgkmcnt(0)
	v_fma_f64 v[92:93], v[113:114], v[97:98], v[92:93]
	s_waitcnt vmcnt(2)
	v_fma_f64 v[92:93], v[115:116], v[99:100], v[92:93]
	s_waitcnt vmcnt(0)
	v_add_f64 v[92:93], v[117:118], -v[92:93]
	buffer_store_dword v92, off, s[0:3], 0 offset:288
	buffer_store_dword v93, off, s[0:3], 0 offset:292
	s_and_saveexec_b64 s[4:5], vcc
	s_cbranch_execz .LBB108_207
; %bb.206:
	buffer_load_dword v92, off, s[0:3], 0 offset:280
	buffer_load_dword v93, off, s[0:3], 0 offset:284
	v_mov_b32_e32 v94, 0
	buffer_store_dword v94, off, s[0:3], 0 offset:280
	buffer_store_dword v94, off, s[0:3], 0 offset:284
	s_waitcnt vmcnt(2)
	ds_write_b64 v91, v[92:93]
.LBB108_207:
	s_or_b64 exec, exec, s[4:5]
	s_waitcnt lgkmcnt(0)
	; wave barrier
	buffer_load_dword v101, off, s[0:3], 0 offset:288
	buffer_load_dword v102, off, s[0:3], 0 offset:292
	;; [unrolled: 1-line block ×20, first 2 shown]
	v_mov_b32_e32 v92, 0
	ds_read_b128 v[93:96], v92 offset:656
	ds_read_b128 v[97:100], v92 offset:672
	v_cmp_lt_u32_e32 vcc, 34, v0
	s_waitcnt vmcnt(18) lgkmcnt(1)
	v_fma_f64 v[93:94], v[101:102], v[93:94], 0
	s_waitcnt vmcnt(16)
	v_fma_f64 v[93:94], v[103:104], v[95:96], v[93:94]
	s_waitcnt vmcnt(14) lgkmcnt(0)
	v_fma_f64 v[93:94], v[105:106], v[97:98], v[93:94]
	s_waitcnt vmcnt(12)
	v_fma_f64 v[101:102], v[107:108], v[99:100], v[93:94]
	ds_read_b128 v[93:96], v92 offset:688
	ds_read_b128 v[97:100], v92 offset:704
	s_waitcnt vmcnt(10) lgkmcnt(1)
	v_fma_f64 v[93:94], v[109:110], v[93:94], v[101:102]
	s_waitcnt vmcnt(8)
	v_fma_f64 v[93:94], v[111:112], v[95:96], v[93:94]
	ds_read_b64 v[95:96], v92 offset:720
	s_waitcnt vmcnt(6) lgkmcnt(1)
	v_fma_f64 v[93:94], v[113:114], v[97:98], v[93:94]
	s_waitcnt vmcnt(3)
	v_fma_f64 v[93:94], v[115:116], v[99:100], v[93:94]
	s_waitcnt vmcnt(2) lgkmcnt(0)
	v_fma_f64 v[93:94], v[117:118], v[95:96], v[93:94]
	s_waitcnt vmcnt(0)
	v_add_f64 v[93:94], v[119:120], -v[93:94]
	buffer_store_dword v93, off, s[0:3], 0 offset:280
	buffer_store_dword v94, off, s[0:3], 0 offset:284
	s_and_saveexec_b64 s[4:5], vcc
	s_cbranch_execz .LBB108_209
; %bb.208:
	buffer_load_dword v93, off, s[0:3], 0 offset:272
	buffer_load_dword v94, off, s[0:3], 0 offset:276
	s_waitcnt vmcnt(0)
	ds_write_b64 v91, v[93:94]
	buffer_store_dword v92, off, s[0:3], 0 offset:272
	buffer_store_dword v92, off, s[0:3], 0 offset:276
.LBB108_209:
	s_or_b64 exec, exec, s[4:5]
	s_waitcnt lgkmcnt(0)
	; wave barrier
	buffer_load_dword v101, off, s[0:3], 0 offset:280
	buffer_load_dword v102, off, s[0:3], 0 offset:284
	;; [unrolled: 1-line block ×20, first 2 shown]
	ds_read2_b64 v[93:96], v92 offset0:81 offset1:82
	buffer_load_dword v121, off, s[0:3], 0 offset:272
	buffer_load_dword v122, off, s[0:3], 0 offset:276
	ds_read2_b64 v[97:100], v92 offset0:83 offset1:84
	v_cmp_lt_u32_e32 vcc, 33, v0
	s_waitcnt vmcnt(20) lgkmcnt(1)
	v_fma_f64 v[93:94], v[101:102], v[93:94], 0
	s_waitcnt vmcnt(18)
	v_fma_f64 v[93:94], v[103:104], v[95:96], v[93:94]
	s_waitcnt vmcnt(16) lgkmcnt(0)
	v_fma_f64 v[93:94], v[105:106], v[97:98], v[93:94]
	s_waitcnt vmcnt(14)
	v_fma_f64 v[101:102], v[107:108], v[99:100], v[93:94]
	ds_read2_b64 v[93:96], v92 offset0:85 offset1:86
	ds_read2_b64 v[97:100], v92 offset0:87 offset1:88
	s_waitcnt vmcnt(12) lgkmcnt(1)
	v_fma_f64 v[93:94], v[109:110], v[93:94], v[101:102]
	s_waitcnt vmcnt(10)
	v_fma_f64 v[93:94], v[111:112], v[95:96], v[93:94]
	s_waitcnt vmcnt(8) lgkmcnt(0)
	v_fma_f64 v[93:94], v[113:114], v[97:98], v[93:94]
	s_waitcnt vmcnt(4)
	v_fma_f64 v[96:97], v[115:116], v[99:100], v[93:94]
	ds_read2_b64 v[92:95], v92 offset0:89 offset1:90
	s_waitcnt vmcnt(3) lgkmcnt(0)
	v_fma_f64 v[92:93], v[119:120], v[92:93], v[96:97]
	s_waitcnt vmcnt(2)
	v_fma_f64 v[92:93], v[117:118], v[94:95], v[92:93]
	s_waitcnt vmcnt(0)
	v_add_f64 v[92:93], v[121:122], -v[92:93]
	buffer_store_dword v92, off, s[0:3], 0 offset:272
	buffer_store_dword v93, off, s[0:3], 0 offset:276
	s_and_saveexec_b64 s[4:5], vcc
	s_cbranch_execz .LBB108_211
; %bb.210:
	buffer_load_dword v92, off, s[0:3], 0 offset:264
	buffer_load_dword v93, off, s[0:3], 0 offset:268
	v_mov_b32_e32 v94, 0
	buffer_store_dword v94, off, s[0:3], 0 offset:264
	buffer_store_dword v94, off, s[0:3], 0 offset:268
	s_waitcnt vmcnt(2)
	ds_write_b64 v91, v[92:93]
.LBB108_211:
	s_or_b64 exec, exec, s[4:5]
	s_waitcnt lgkmcnt(0)
	; wave barrier
	buffer_load_dword v101, off, s[0:3], 0 offset:272
	buffer_load_dword v102, off, s[0:3], 0 offset:276
	;; [unrolled: 1-line block ×21, first 2 shown]
	v_mov_b32_e32 v92, 0
	ds_read_b128 v[93:96], v92 offset:640
	ds_read_b128 v[97:100], v92 offset:656
	buffer_load_dword v118, off, s[0:3], 0 offset:356
	v_cmp_lt_u32_e32 vcc, 32, v0
	s_waitcnt vmcnt(20) lgkmcnt(1)
	v_fma_f64 v[93:94], v[101:102], v[93:94], 0
	buffer_load_dword v101, off, s[0:3], 0 offset:264
	buffer_load_dword v102, off, s[0:3], 0 offset:268
	s_waitcnt vmcnt(20)
	v_fma_f64 v[93:94], v[103:104], v[95:96], v[93:94]
	s_waitcnt vmcnt(18) lgkmcnt(0)
	v_fma_f64 v[93:94], v[105:106], v[97:98], v[93:94]
	s_waitcnt vmcnt(16)
	v_fma_f64 v[103:104], v[107:108], v[99:100], v[93:94]
	ds_read_b128 v[93:96], v92 offset:672
	ds_read_b128 v[97:100], v92 offset:688
	s_waitcnt vmcnt(14) lgkmcnt(1)
	v_fma_f64 v[93:94], v[109:110], v[93:94], v[103:104]
	s_waitcnt vmcnt(12)
	v_fma_f64 v[93:94], v[111:112], v[95:96], v[93:94]
	s_waitcnt vmcnt(10) lgkmcnt(0)
	v_fma_f64 v[93:94], v[113:114], v[97:98], v[93:94]
	s_waitcnt vmcnt(5)
	v_fma_f64 v[97:98], v[115:116], v[99:100], v[93:94]
	ds_read_b128 v[93:96], v92 offset:704
	ds_read_b64 v[99:100], v92 offset:720
	s_waitcnt vmcnt(4) lgkmcnt(1)
	v_fma_f64 v[93:94], v[121:122], v[93:94], v[97:98]
	s_waitcnt vmcnt(3)
	v_fma_f64 v[93:94], v[119:120], v[95:96], v[93:94]
	s_waitcnt vmcnt(2) lgkmcnt(0)
	v_fma_f64 v[93:94], v[117:118], v[99:100], v[93:94]
	s_waitcnt vmcnt(0)
	v_add_f64 v[93:94], v[101:102], -v[93:94]
	buffer_store_dword v94, off, s[0:3], 0 offset:268
	buffer_store_dword v93, off, s[0:3], 0 offset:264
	s_and_saveexec_b64 s[4:5], vcc
	s_cbranch_execz .LBB108_213
; %bb.212:
	buffer_load_dword v93, off, s[0:3], 0 offset:256
	buffer_load_dword v94, off, s[0:3], 0 offset:260
	s_waitcnt vmcnt(0)
	ds_write_b64 v91, v[93:94]
	buffer_store_dword v92, off, s[0:3], 0 offset:256
	buffer_store_dword v92, off, s[0:3], 0 offset:260
.LBB108_213:
	s_or_b64 exec, exec, s[4:5]
	s_waitcnt lgkmcnt(0)
	; wave barrier
	buffer_load_dword v101, off, s[0:3], 0 offset:264
	buffer_load_dword v102, off, s[0:3], 0 offset:268
	;; [unrolled: 1-line block ×21, first 2 shown]
	ds_read2_b64 v[93:96], v92 offset0:79 offset1:80
	ds_read2_b64 v[97:100], v92 offset0:81 offset1:82
	buffer_load_dword v118, off, s[0:3], 0 offset:348
	v_cmp_lt_u32_e32 vcc, 31, v0
	s_waitcnt vmcnt(20) lgkmcnt(1)
	v_fma_f64 v[93:94], v[101:102], v[93:94], 0
	buffer_load_dword v102, off, s[0:3], 0 offset:356
	buffer_load_dword v101, off, s[0:3], 0 offset:352
	s_waitcnt vmcnt(20)
	v_fma_f64 v[93:94], v[103:104], v[95:96], v[93:94]
	buffer_load_dword v103, off, s[0:3], 0 offset:256
	buffer_load_dword v104, off, s[0:3], 0 offset:260
	s_waitcnt vmcnt(20) lgkmcnt(0)
	v_fma_f64 v[93:94], v[105:106], v[97:98], v[93:94]
	s_waitcnt vmcnt(18)
	v_fma_f64 v[105:106], v[107:108], v[99:100], v[93:94]
	ds_read2_b64 v[93:96], v92 offset0:83 offset1:84
	ds_read2_b64 v[97:100], v92 offset0:85 offset1:86
	s_waitcnt vmcnt(16) lgkmcnt(1)
	v_fma_f64 v[93:94], v[109:110], v[93:94], v[105:106]
	s_waitcnt vmcnt(14)
	v_fma_f64 v[93:94], v[111:112], v[95:96], v[93:94]
	s_waitcnt vmcnt(12) lgkmcnt(0)
	v_fma_f64 v[93:94], v[113:114], v[97:98], v[93:94]
	s_waitcnt vmcnt(7)
	v_fma_f64 v[105:106], v[115:116], v[99:100], v[93:94]
	ds_read2_b64 v[93:96], v92 offset0:87 offset1:88
	ds_read2_b64 v[97:100], v92 offset0:89 offset1:90
	s_waitcnt vmcnt(6) lgkmcnt(1)
	v_fma_f64 v[92:93], v[121:122], v[93:94], v[105:106]
	s_waitcnt vmcnt(5)
	v_fma_f64 v[92:93], v[119:120], v[95:96], v[92:93]
	s_waitcnt vmcnt(4) lgkmcnt(0)
	v_fma_f64 v[92:93], v[117:118], v[97:98], v[92:93]
	s_waitcnt vmcnt(2)
	v_fma_f64 v[92:93], v[101:102], v[99:100], v[92:93]
	s_waitcnt vmcnt(0)
	v_add_f64 v[92:93], v[103:104], -v[92:93]
	buffer_store_dword v93, off, s[0:3], 0 offset:260
	buffer_store_dword v92, off, s[0:3], 0 offset:256
	s_and_saveexec_b64 s[4:5], vcc
	s_cbranch_execz .LBB108_215
; %bb.214:
	buffer_load_dword v92, off, s[0:3], 0 offset:248
	buffer_load_dword v93, off, s[0:3], 0 offset:252
	v_mov_b32_e32 v94, 0
	buffer_store_dword v94, off, s[0:3], 0 offset:248
	buffer_store_dword v94, off, s[0:3], 0 offset:252
	s_waitcnt vmcnt(2)
	ds_write_b64 v91, v[92:93]
.LBB108_215:
	s_or_b64 exec, exec, s[4:5]
	s_waitcnt lgkmcnt(0)
	; wave barrier
	buffer_load_dword v101, off, s[0:3], 0 offset:256
	buffer_load_dword v102, off, s[0:3], 0 offset:260
	;; [unrolled: 1-line block ×21, first 2 shown]
	v_mov_b32_e32 v92, 0
	ds_read_b128 v[93:96], v92 offset:624
	ds_read_b128 v[97:100], v92 offset:640
	buffer_load_dword v118, off, s[0:3], 0 offset:340
	v_cmp_lt_u32_e32 vcc, 30, v0
	s_waitcnt vmcnt(20) lgkmcnt(1)
	v_fma_f64 v[93:94], v[101:102], v[93:94], 0
	s_waitcnt vmcnt(18)
	v_fma_f64 v[93:94], v[103:104], v[95:96], v[93:94]
	buffer_load_dword v102, off, s[0:3], 0 offset:348
	buffer_load_dword v103, off, s[0:3], 0 offset:352
	;; [unrolled: 1-line block ×4, first 2 shown]
	s_waitcnt vmcnt(20) lgkmcnt(0)
	v_fma_f64 v[93:94], v[105:106], v[97:98], v[93:94]
	buffer_load_dword v105, off, s[0:3], 0 offset:248
	buffer_load_dword v106, off, s[0:3], 0 offset:252
	s_waitcnt vmcnt(20)
	v_fma_f64 v[107:108], v[107:108], v[99:100], v[93:94]
	ds_read_b128 v[93:96], v92 offset:656
	ds_read_b128 v[97:100], v92 offset:672
	s_waitcnt vmcnt(18) lgkmcnt(1)
	v_fma_f64 v[93:94], v[109:110], v[93:94], v[107:108]
	s_waitcnt vmcnt(16)
	v_fma_f64 v[93:94], v[111:112], v[95:96], v[93:94]
	s_waitcnt vmcnt(14) lgkmcnt(0)
	v_fma_f64 v[93:94], v[113:114], v[97:98], v[93:94]
	s_waitcnt vmcnt(9)
	v_fma_f64 v[107:108], v[115:116], v[99:100], v[93:94]
	ds_read_b128 v[93:96], v92 offset:688
	ds_read_b128 v[97:100], v92 offset:704
	s_waitcnt vmcnt(8) lgkmcnt(1)
	v_fma_f64 v[93:94], v[121:122], v[93:94], v[107:108]
	s_waitcnt vmcnt(7)
	v_fma_f64 v[93:94], v[119:120], v[95:96], v[93:94]
	ds_read_b64 v[95:96], v92 offset:720
	s_waitcnt vmcnt(6) lgkmcnt(1)
	v_fma_f64 v[93:94], v[117:118], v[97:98], v[93:94]
	s_waitcnt vmcnt(3)
	v_fma_f64 v[93:94], v[101:102], v[99:100], v[93:94]
	s_waitcnt vmcnt(2) lgkmcnt(0)
	v_fma_f64 v[93:94], v[103:104], v[95:96], v[93:94]
	s_waitcnt vmcnt(0)
	v_add_f64 v[93:94], v[105:106], -v[93:94]
	buffer_store_dword v94, off, s[0:3], 0 offset:252
	buffer_store_dword v93, off, s[0:3], 0 offset:248
	s_and_saveexec_b64 s[4:5], vcc
	s_cbranch_execz .LBB108_217
; %bb.216:
	buffer_load_dword v93, off, s[0:3], 0 offset:240
	buffer_load_dword v94, off, s[0:3], 0 offset:244
	s_waitcnt vmcnt(0)
	ds_write_b64 v91, v[93:94]
	buffer_store_dword v92, off, s[0:3], 0 offset:240
	buffer_store_dword v92, off, s[0:3], 0 offset:244
.LBB108_217:
	s_or_b64 exec, exec, s[4:5]
	s_waitcnt lgkmcnt(0)
	; wave barrier
	buffer_load_dword v101, off, s[0:3], 0 offset:248
	buffer_load_dword v102, off, s[0:3], 0 offset:252
	;; [unrolled: 1-line block ×22, first 2 shown]
	ds_read2_b64 v[93:96], v92 offset0:77 offset1:78
	ds_read2_b64 v[97:100], v92 offset0:79 offset1:80
	v_cmp_lt_u32_e32 vcc, 29, v0
	s_waitcnt vmcnt(20) lgkmcnt(1)
	v_fma_f64 v[93:94], v[101:102], v[93:94], 0
	s_waitcnt vmcnt(18)
	v_fma_f64 v[93:94], v[103:104], v[95:96], v[93:94]
	buffer_load_dword v102, off, s[0:3], 0 offset:340
	buffer_load_dword v103, off, s[0:3], 0 offset:352
	buffer_load_dword v123, off, s[0:3], 0 offset:344
	buffer_load_dword v101, off, s[0:3], 0 offset:336
	buffer_load_dword v124, off, s[0:3], 0 offset:348
	buffer_load_dword v104, off, s[0:3], 0 offset:356
	s_waitcnt vmcnt(22) lgkmcnt(0)
	v_fma_f64 v[93:94], v[105:106], v[97:98], v[93:94]
	s_waitcnt vmcnt(20)
	v_fma_f64 v[105:106], v[107:108], v[99:100], v[93:94]
	ds_read2_b64 v[93:96], v92 offset0:81 offset1:82
	buffer_load_dword v107, off, s[0:3], 0 offset:240
	buffer_load_dword v108, off, s[0:3], 0 offset:244
	ds_read2_b64 v[97:100], v92 offset0:83 offset1:84
	s_waitcnt vmcnt(20) lgkmcnt(1)
	v_fma_f64 v[93:94], v[109:110], v[93:94], v[105:106]
	s_waitcnt vmcnt(18)
	v_fma_f64 v[93:94], v[111:112], v[95:96], v[93:94]
	s_waitcnt vmcnt(16) lgkmcnt(0)
	v_fma_f64 v[93:94], v[113:114], v[97:98], v[93:94]
	s_waitcnt vmcnt(11)
	v_fma_f64 v[105:106], v[115:116], v[99:100], v[93:94]
	ds_read2_b64 v[93:96], v92 offset0:85 offset1:86
	ds_read2_b64 v[97:100], v92 offset0:87 offset1:88
	s_waitcnt vmcnt(10) lgkmcnt(1)
	v_fma_f64 v[93:94], v[121:122], v[93:94], v[105:106]
	s_waitcnt vmcnt(9)
	v_fma_f64 v[93:94], v[119:120], v[95:96], v[93:94]
	s_waitcnt vmcnt(8) lgkmcnt(0)
	v_fma_f64 v[93:94], v[117:118], v[97:98], v[93:94]
	s_waitcnt vmcnt(4)
	v_fma_f64 v[96:97], v[101:102], v[99:100], v[93:94]
	ds_read2_b64 v[92:95], v92 offset0:89 offset1:90
	s_waitcnt vmcnt(3) lgkmcnt(0)
	v_fma_f64 v[92:93], v[123:124], v[92:93], v[96:97]
	s_waitcnt vmcnt(2)
	v_fma_f64 v[92:93], v[103:104], v[94:95], v[92:93]
	s_waitcnt vmcnt(0)
	v_add_f64 v[92:93], v[107:108], -v[92:93]
	buffer_store_dword v93, off, s[0:3], 0 offset:244
	buffer_store_dword v92, off, s[0:3], 0 offset:240
	s_and_saveexec_b64 s[4:5], vcc
	s_cbranch_execz .LBB108_219
; %bb.218:
	buffer_load_dword v92, off, s[0:3], 0 offset:232
	buffer_load_dword v93, off, s[0:3], 0 offset:236
	v_mov_b32_e32 v94, 0
	buffer_store_dword v94, off, s[0:3], 0 offset:232
	buffer_store_dword v94, off, s[0:3], 0 offset:236
	s_waitcnt vmcnt(2)
	ds_write_b64 v91, v[92:93]
.LBB108_219:
	s_or_b64 exec, exec, s[4:5]
	s_waitcnt lgkmcnt(0)
	; wave barrier
	buffer_load_dword v101, off, s[0:3], 0 offset:240
	buffer_load_dword v102, off, s[0:3], 0 offset:244
	;; [unrolled: 1-line block ×22, first 2 shown]
	v_mov_b32_e32 v92, 0
	ds_read_b128 v[93:96], v92 offset:608
	ds_read_b128 v[97:100], v92 offset:624
	v_cmp_lt_u32_e32 vcc, 28, v0
	s_waitcnt vmcnt(20) lgkmcnt(1)
	v_fma_f64 v[93:94], v[101:102], v[93:94], 0
	s_waitcnt vmcnt(18)
	v_fma_f64 v[93:94], v[103:104], v[95:96], v[93:94]
	buffer_load_dword v102, off, s[0:3], 0 offset:332
	buffer_load_dword v103, off, s[0:3], 0 offset:352
	;; [unrolled: 1-line block ×8, first 2 shown]
	s_waitcnt vmcnt(24) lgkmcnt(0)
	v_fma_f64 v[93:94], v[105:106], v[97:98], v[93:94]
	s_waitcnt vmcnt(22)
	v_fma_f64 v[105:106], v[107:108], v[99:100], v[93:94]
	ds_read_b128 v[93:96], v92 offset:640
	ds_read_b128 v[97:100], v92 offset:656
	s_waitcnt vmcnt(20) lgkmcnt(1)
	v_fma_f64 v[93:94], v[109:110], v[93:94], v[105:106]
	buffer_load_dword v105, off, s[0:3], 0 offset:232
	buffer_load_dword v106, off, s[0:3], 0 offset:236
	s_waitcnt vmcnt(20)
	v_fma_f64 v[93:94], v[111:112], v[95:96], v[93:94]
	s_waitcnt vmcnt(18) lgkmcnt(0)
	v_fma_f64 v[93:94], v[113:114], v[97:98], v[93:94]
	s_waitcnt vmcnt(13)
	v_fma_f64 v[107:108], v[115:116], v[99:100], v[93:94]
	ds_read_b128 v[93:96], v92 offset:672
	ds_read_b128 v[97:100], v92 offset:688
	s_waitcnt vmcnt(12) lgkmcnt(1)
	v_fma_f64 v[93:94], v[121:122], v[93:94], v[107:108]
	s_waitcnt vmcnt(11)
	v_fma_f64 v[93:94], v[119:120], v[95:96], v[93:94]
	s_waitcnt vmcnt(10) lgkmcnt(0)
	v_fma_f64 v[93:94], v[117:118], v[97:98], v[93:94]
	s_waitcnt vmcnt(5)
	v_fma_f64 v[97:98], v[101:102], v[99:100], v[93:94]
	ds_read_b128 v[93:96], v92 offset:704
	ds_read_b64 v[99:100], v92 offset:720
	s_waitcnt vmcnt(4) lgkmcnt(1)
	v_fma_f64 v[93:94], v[125:126], v[93:94], v[97:98]
	s_waitcnt vmcnt(3)
	v_fma_f64 v[93:94], v[123:124], v[95:96], v[93:94]
	s_waitcnt vmcnt(2) lgkmcnt(0)
	v_fma_f64 v[93:94], v[103:104], v[99:100], v[93:94]
	s_waitcnt vmcnt(0)
	v_add_f64 v[93:94], v[105:106], -v[93:94]
	buffer_store_dword v94, off, s[0:3], 0 offset:236
	buffer_store_dword v93, off, s[0:3], 0 offset:232
	s_and_saveexec_b64 s[4:5], vcc
	s_cbranch_execz .LBB108_221
; %bb.220:
	buffer_load_dword v93, off, s[0:3], 0 offset:224
	buffer_load_dword v94, off, s[0:3], 0 offset:228
	s_waitcnt vmcnt(0)
	ds_write_b64 v91, v[93:94]
	buffer_store_dword v92, off, s[0:3], 0 offset:224
	buffer_store_dword v92, off, s[0:3], 0 offset:228
.LBB108_221:
	s_or_b64 exec, exec, s[4:5]
	s_waitcnt lgkmcnt(0)
	; wave barrier
	buffer_load_dword v101, off, s[0:3], 0 offset:232
	buffer_load_dword v102, off, s[0:3], 0 offset:236
	;; [unrolled: 1-line block ×22, first 2 shown]
	ds_read2_b64 v[93:96], v92 offset0:75 offset1:76
	ds_read2_b64 v[97:100], v92 offset0:77 offset1:78
	v_cmp_lt_u32_e32 vcc, 27, v0
	s_waitcnt vmcnt(20) lgkmcnt(1)
	v_fma_f64 v[93:94], v[101:102], v[93:94], 0
	s_waitcnt vmcnt(18)
	v_fma_f64 v[93:94], v[103:104], v[95:96], v[93:94]
	buffer_load_dword v102, off, s[0:3], 0 offset:324
	buffer_load_dword v103, off, s[0:3], 0 offset:344
	;; [unrolled: 1-line block ×8, first 2 shown]
	s_waitcnt vmcnt(24) lgkmcnt(0)
	v_fma_f64 v[93:94], v[105:106], v[97:98], v[93:94]
	s_waitcnt vmcnt(22)
	v_fma_f64 v[105:106], v[107:108], v[99:100], v[93:94]
	ds_read2_b64 v[93:96], v92 offset0:79 offset1:80
	ds_read2_b64 v[97:100], v92 offset0:81 offset1:82
	s_waitcnt vmcnt(20) lgkmcnt(1)
	v_fma_f64 v[93:94], v[109:110], v[93:94], v[105:106]
	buffer_load_dword v106, off, s[0:3], 0 offset:356
	buffer_load_dword v105, off, s[0:3], 0 offset:352
	buffer_load_dword v107, off, s[0:3], 0 offset:224
	buffer_load_dword v108, off, s[0:3], 0 offset:228
	s_waitcnt vmcnt(22)
	v_fma_f64 v[93:94], v[111:112], v[95:96], v[93:94]
	s_waitcnt vmcnt(20) lgkmcnt(0)
	v_fma_f64 v[93:94], v[113:114], v[97:98], v[93:94]
	s_waitcnt vmcnt(15)
	v_fma_f64 v[109:110], v[115:116], v[99:100], v[93:94]
	ds_read2_b64 v[93:96], v92 offset0:83 offset1:84
	ds_read2_b64 v[97:100], v92 offset0:85 offset1:86
	s_waitcnt vmcnt(14) lgkmcnt(1)
	v_fma_f64 v[93:94], v[121:122], v[93:94], v[109:110]
	s_waitcnt vmcnt(13)
	v_fma_f64 v[93:94], v[119:120], v[95:96], v[93:94]
	s_waitcnt vmcnt(12) lgkmcnt(0)
	v_fma_f64 v[93:94], v[117:118], v[97:98], v[93:94]
	s_waitcnt vmcnt(7)
	v_fma_f64 v[101:102], v[101:102], v[99:100], v[93:94]
	ds_read2_b64 v[93:96], v92 offset0:87 offset1:88
	ds_read2_b64 v[97:100], v92 offset0:89 offset1:90
	s_waitcnt vmcnt(6) lgkmcnt(1)
	v_fma_f64 v[92:93], v[125:126], v[93:94], v[101:102]
	s_waitcnt vmcnt(5)
	v_fma_f64 v[92:93], v[123:124], v[95:96], v[92:93]
	s_waitcnt vmcnt(4) lgkmcnt(0)
	v_fma_f64 v[92:93], v[103:104], v[97:98], v[92:93]
	s_waitcnt vmcnt(2)
	v_fma_f64 v[92:93], v[105:106], v[99:100], v[92:93]
	s_waitcnt vmcnt(0)
	v_add_f64 v[92:93], v[107:108], -v[92:93]
	buffer_store_dword v93, off, s[0:3], 0 offset:228
	buffer_store_dword v92, off, s[0:3], 0 offset:224
	s_and_saveexec_b64 s[4:5], vcc
	s_cbranch_execz .LBB108_223
; %bb.222:
	buffer_load_dword v92, off, s[0:3], 0 offset:216
	buffer_load_dword v93, off, s[0:3], 0 offset:220
	v_mov_b32_e32 v94, 0
	buffer_store_dword v94, off, s[0:3], 0 offset:216
	buffer_store_dword v94, off, s[0:3], 0 offset:220
	s_waitcnt vmcnt(2)
	ds_write_b64 v91, v[92:93]
.LBB108_223:
	s_or_b64 exec, exec, s[4:5]
	s_waitcnt lgkmcnt(0)
	; wave barrier
	buffer_load_dword v101, off, s[0:3], 0 offset:224
	buffer_load_dword v102, off, s[0:3], 0 offset:228
	;; [unrolled: 1-line block ×22, first 2 shown]
	v_mov_b32_e32 v92, 0
	ds_read_b128 v[93:96], v92 offset:592
	ds_read_b128 v[97:100], v92 offset:608
	v_cmp_lt_u32_e32 vcc, 26, v0
	s_waitcnt vmcnt(20) lgkmcnt(1)
	v_fma_f64 v[93:94], v[101:102], v[93:94], 0
	s_waitcnt vmcnt(18)
	v_fma_f64 v[93:94], v[103:104], v[95:96], v[93:94]
	buffer_load_dword v102, off, s[0:3], 0 offset:316
	buffer_load_dword v103, off, s[0:3], 0 offset:336
	;; [unrolled: 1-line block ×7, first 2 shown]
	s_waitcnt vmcnt(23) lgkmcnt(0)
	v_fma_f64 v[93:94], v[105:106], v[97:98], v[93:94]
	s_waitcnt vmcnt(21)
	v_fma_f64 v[104:105], v[107:108], v[99:100], v[93:94]
	ds_read_b128 v[93:96], v92 offset:624
	ds_read_b128 v[97:100], v92 offset:640
	s_waitcnt vmcnt(19) lgkmcnt(1)
	v_fma_f64 v[93:94], v[109:110], v[93:94], v[104:105]
	buffer_load_dword v104, off, s[0:3], 0 offset:340
	buffer_load_dword v106, off, s[0:3], 0 offset:348
	;; [unrolled: 1-line block ×7, first 2 shown]
	s_waitcnt vmcnt(24)
	v_fma_f64 v[93:94], v[111:112], v[95:96], v[93:94]
	s_waitcnt vmcnt(22) lgkmcnt(0)
	v_fma_f64 v[93:94], v[113:114], v[97:98], v[93:94]
	s_waitcnt vmcnt(17)
	v_fma_f64 v[111:112], v[115:116], v[99:100], v[93:94]
	ds_read_b128 v[93:96], v92 offset:656
	ds_read_b128 v[97:100], v92 offset:672
	s_waitcnt vmcnt(16) lgkmcnt(1)
	v_fma_f64 v[93:94], v[121:122], v[93:94], v[111:112]
	s_waitcnt vmcnt(15)
	v_fma_f64 v[93:94], v[119:120], v[95:96], v[93:94]
	s_waitcnt vmcnt(14) lgkmcnt(0)
	v_fma_f64 v[93:94], v[117:118], v[97:98], v[93:94]
	s_waitcnt vmcnt(9)
	v_fma_f64 v[101:102], v[101:102], v[99:100], v[93:94]
	ds_read_b128 v[93:96], v92 offset:688
	ds_read_b128 v[97:100], v92 offset:704
	s_waitcnt vmcnt(8) lgkmcnt(1)
	v_fma_f64 v[93:94], v[125:126], v[93:94], v[101:102]
	s_waitcnt vmcnt(7)
	v_fma_f64 v[93:94], v[123:124], v[95:96], v[93:94]
	ds_read_b64 v[95:96], v92 offset:720
	s_waitcnt vmcnt(6) lgkmcnt(1)
	v_fma_f64 v[93:94], v[103:104], v[97:98], v[93:94]
	s_waitcnt vmcnt(3)
	v_fma_f64 v[93:94], v[105:106], v[99:100], v[93:94]
	s_waitcnt vmcnt(2) lgkmcnt(0)
	v_fma_f64 v[93:94], v[107:108], v[95:96], v[93:94]
	s_waitcnt vmcnt(0)
	v_add_f64 v[93:94], v[109:110], -v[93:94]
	buffer_store_dword v94, off, s[0:3], 0 offset:220
	buffer_store_dword v93, off, s[0:3], 0 offset:216
	s_and_saveexec_b64 s[4:5], vcc
	s_cbranch_execz .LBB108_225
; %bb.224:
	buffer_load_dword v93, off, s[0:3], 0 offset:208
	buffer_load_dword v94, off, s[0:3], 0 offset:212
	s_waitcnt vmcnt(0)
	ds_write_b64 v91, v[93:94]
	buffer_store_dword v92, off, s[0:3], 0 offset:208
	buffer_store_dword v92, off, s[0:3], 0 offset:212
.LBB108_225:
	s_or_b64 exec, exec, s[4:5]
	s_waitcnt lgkmcnt(0)
	; wave barrier
	buffer_load_dword v101, off, s[0:3], 0 offset:216
	buffer_load_dword v102, off, s[0:3], 0 offset:220
	;; [unrolled: 1-line block ×22, first 2 shown]
	ds_read2_b64 v[93:96], v92 offset0:73 offset1:74
	ds_read2_b64 v[97:100], v92 offset0:75 offset1:76
	v_cmp_lt_u32_e32 vcc, 25, v0
	s_waitcnt vmcnt(20) lgkmcnt(1)
	v_fma_f64 v[93:94], v[101:102], v[93:94], 0
	s_waitcnt vmcnt(18)
	v_fma_f64 v[93:94], v[103:104], v[95:96], v[93:94]
	buffer_load_dword v102, off, s[0:3], 0 offset:308
	buffer_load_dword v103, off, s[0:3], 0 offset:328
	;; [unrolled: 1-line block ×7, first 2 shown]
	s_waitcnt vmcnt(23) lgkmcnt(0)
	v_fma_f64 v[93:94], v[105:106], v[97:98], v[93:94]
	s_waitcnt vmcnt(21)
	v_fma_f64 v[104:105], v[107:108], v[99:100], v[93:94]
	ds_read2_b64 v[93:96], v92 offset0:77 offset1:78
	ds_read2_b64 v[97:100], v92 offset0:79 offset1:80
	s_waitcnt vmcnt(19) lgkmcnt(1)
	v_fma_f64 v[93:94], v[109:110], v[93:94], v[104:105]
	buffer_load_dword v104, off, s[0:3], 0 offset:332
	buffer_load_dword v106, off, s[0:3], 0 offset:340
	buffer_load_dword v107, off, s[0:3], 0 offset:352
	buffer_load_dword v109, off, s[0:3], 0 offset:344
	buffer_load_dword v105, off, s[0:3], 0 offset:336
	buffer_load_dword v110, off, s[0:3], 0 offset:348
	buffer_load_dword v108, off, s[0:3], 0 offset:356
	s_waitcnt vmcnt(24)
	v_fma_f64 v[93:94], v[111:112], v[95:96], v[93:94]
	s_waitcnt vmcnt(22) lgkmcnt(0)
	v_fma_f64 v[93:94], v[113:114], v[97:98], v[93:94]
	s_waitcnt vmcnt(17)
	v_fma_f64 v[111:112], v[115:116], v[99:100], v[93:94]
	ds_read2_b64 v[93:96], v92 offset0:81 offset1:82
	buffer_load_dword v113, off, s[0:3], 0 offset:208
	buffer_load_dword v114, off, s[0:3], 0 offset:212
	ds_read2_b64 v[97:100], v92 offset0:83 offset1:84
	s_waitcnt vmcnt(18) lgkmcnt(1)
	v_fma_f64 v[93:94], v[121:122], v[93:94], v[111:112]
	s_waitcnt vmcnt(17)
	v_fma_f64 v[93:94], v[119:120], v[95:96], v[93:94]
	s_waitcnt vmcnt(16) lgkmcnt(0)
	v_fma_f64 v[93:94], v[117:118], v[97:98], v[93:94]
	s_waitcnt vmcnt(11)
	v_fma_f64 v[101:102], v[101:102], v[99:100], v[93:94]
	ds_read2_b64 v[93:96], v92 offset0:85 offset1:86
	ds_read2_b64 v[97:100], v92 offset0:87 offset1:88
	s_waitcnt vmcnt(10) lgkmcnt(1)
	v_fma_f64 v[93:94], v[125:126], v[93:94], v[101:102]
	s_waitcnt vmcnt(9)
	v_fma_f64 v[93:94], v[123:124], v[95:96], v[93:94]
	s_waitcnt vmcnt(8) lgkmcnt(0)
	v_fma_f64 v[93:94], v[103:104], v[97:98], v[93:94]
	s_waitcnt vmcnt(4)
	v_fma_f64 v[96:97], v[105:106], v[99:100], v[93:94]
	ds_read2_b64 v[92:95], v92 offset0:89 offset1:90
	s_waitcnt vmcnt(3) lgkmcnt(0)
	v_fma_f64 v[92:93], v[109:110], v[92:93], v[96:97]
	s_waitcnt vmcnt(2)
	v_fma_f64 v[92:93], v[107:108], v[94:95], v[92:93]
	s_waitcnt vmcnt(0)
	v_add_f64 v[92:93], v[113:114], -v[92:93]
	buffer_store_dword v93, off, s[0:3], 0 offset:212
	buffer_store_dword v92, off, s[0:3], 0 offset:208
	s_and_saveexec_b64 s[4:5], vcc
	s_cbranch_execz .LBB108_227
; %bb.226:
	buffer_load_dword v92, off, s[0:3], 0 offset:200
	buffer_load_dword v93, off, s[0:3], 0 offset:204
	v_mov_b32_e32 v94, 0
	buffer_store_dword v94, off, s[0:3], 0 offset:200
	buffer_store_dword v94, off, s[0:3], 0 offset:204
	s_waitcnt vmcnt(2)
	ds_write_b64 v91, v[92:93]
.LBB108_227:
	s_or_b64 exec, exec, s[4:5]
	s_waitcnt lgkmcnt(0)
	; wave barrier
	buffer_load_dword v101, off, s[0:3], 0 offset:208
	buffer_load_dword v102, off, s[0:3], 0 offset:212
	;; [unrolled: 1-line block ×22, first 2 shown]
	v_mov_b32_e32 v92, 0
	ds_read_b128 v[93:96], v92 offset:576
	ds_read_b128 v[97:100], v92 offset:592
	v_cmp_lt_u32_e32 vcc, 24, v0
	s_waitcnt vmcnt(20) lgkmcnt(1)
	v_fma_f64 v[93:94], v[101:102], v[93:94], 0
	s_waitcnt vmcnt(18)
	v_fma_f64 v[93:94], v[103:104], v[95:96], v[93:94]
	buffer_load_dword v102, off, s[0:3], 0 offset:300
	buffer_load_dword v103, off, s[0:3], 0 offset:320
	;; [unrolled: 1-line block ×7, first 2 shown]
	s_waitcnt vmcnt(23) lgkmcnt(0)
	v_fma_f64 v[93:94], v[105:106], v[97:98], v[93:94]
	s_waitcnt vmcnt(21)
	v_fma_f64 v[104:105], v[107:108], v[99:100], v[93:94]
	ds_read_b128 v[93:96], v92 offset:608
	ds_read_b128 v[97:100], v92 offset:624
	s_waitcnt vmcnt(19) lgkmcnt(1)
	v_fma_f64 v[93:94], v[109:110], v[93:94], v[104:105]
	buffer_load_dword v104, off, s[0:3], 0 offset:324
	s_waitcnt vmcnt(18)
	v_fma_f64 v[93:94], v[111:112], v[95:96], v[93:94]
	buffer_load_dword v106, off, s[0:3], 0 offset:332
	buffer_load_dword v107, off, s[0:3], 0 offset:352
	;; [unrolled: 1-line block ×8, first 2 shown]
	s_waitcnt vmcnt(24) lgkmcnt(0)
	v_fma_f64 v[93:94], v[113:114], v[97:98], v[93:94]
	s_waitcnt vmcnt(19)
	v_fma_f64 v[113:114], v[115:116], v[99:100], v[93:94]
	ds_read_b128 v[93:96], v92 offset:640
	ds_read_b128 v[97:100], v92 offset:656
	s_waitcnt vmcnt(18) lgkmcnt(1)
	v_fma_f64 v[93:94], v[121:122], v[93:94], v[113:114]
	buffer_load_dword v113, off, s[0:3], 0 offset:200
	buffer_load_dword v114, off, s[0:3], 0 offset:204
	s_waitcnt vmcnt(19)
	v_fma_f64 v[93:94], v[119:120], v[95:96], v[93:94]
	s_waitcnt vmcnt(18) lgkmcnt(0)
	v_fma_f64 v[93:94], v[117:118], v[97:98], v[93:94]
	s_waitcnt vmcnt(13)
	v_fma_f64 v[101:102], v[101:102], v[99:100], v[93:94]
	ds_read_b128 v[93:96], v92 offset:672
	ds_read_b128 v[97:100], v92 offset:688
	s_waitcnt vmcnt(12) lgkmcnt(1)
	v_fma_f64 v[93:94], v[125:126], v[93:94], v[101:102]
	s_waitcnt vmcnt(11)
	v_fma_f64 v[93:94], v[123:124], v[95:96], v[93:94]
	s_waitcnt vmcnt(10) lgkmcnt(0)
	v_fma_f64 v[93:94], v[103:104], v[97:98], v[93:94]
	s_waitcnt vmcnt(5)
	v_fma_f64 v[97:98], v[105:106], v[99:100], v[93:94]
	ds_read_b128 v[93:96], v92 offset:704
	ds_read_b64 v[99:100], v92 offset:720
	s_waitcnt vmcnt(4) lgkmcnt(1)
	v_fma_f64 v[93:94], v[111:112], v[93:94], v[97:98]
	s_waitcnt vmcnt(3)
	v_fma_f64 v[93:94], v[109:110], v[95:96], v[93:94]
	s_waitcnt vmcnt(2) lgkmcnt(0)
	v_fma_f64 v[93:94], v[107:108], v[99:100], v[93:94]
	s_waitcnt vmcnt(0)
	v_add_f64 v[93:94], v[113:114], -v[93:94]
	buffer_store_dword v94, off, s[0:3], 0 offset:204
	buffer_store_dword v93, off, s[0:3], 0 offset:200
	s_and_saveexec_b64 s[4:5], vcc
	s_cbranch_execz .LBB108_229
; %bb.228:
	buffer_load_dword v93, off, s[0:3], 0 offset:192
	buffer_load_dword v94, off, s[0:3], 0 offset:196
	s_waitcnt vmcnt(0)
	ds_write_b64 v91, v[93:94]
	buffer_store_dword v92, off, s[0:3], 0 offset:192
	buffer_store_dword v92, off, s[0:3], 0 offset:196
.LBB108_229:
	s_or_b64 exec, exec, s[4:5]
	s_waitcnt lgkmcnt(0)
	; wave barrier
	buffer_load_dword v101, off, s[0:3], 0 offset:200
	buffer_load_dword v102, off, s[0:3], 0 offset:204
	;; [unrolled: 1-line block ×22, first 2 shown]
	ds_read2_b64 v[93:96], v92 offset0:71 offset1:72
	ds_read2_b64 v[97:100], v92 offset0:73 offset1:74
	v_cmp_lt_u32_e32 vcc, 23, v0
	s_waitcnt vmcnt(20) lgkmcnt(1)
	v_fma_f64 v[93:94], v[101:102], v[93:94], 0
	s_waitcnt vmcnt(18)
	v_fma_f64 v[93:94], v[103:104], v[95:96], v[93:94]
	buffer_load_dword v102, off, s[0:3], 0 offset:292
	buffer_load_dword v103, off, s[0:3], 0 offset:312
	;; [unrolled: 1-line block ×7, first 2 shown]
	s_waitcnt vmcnt(23) lgkmcnt(0)
	v_fma_f64 v[93:94], v[105:106], v[97:98], v[93:94]
	s_waitcnt vmcnt(21)
	v_fma_f64 v[104:105], v[107:108], v[99:100], v[93:94]
	ds_read2_b64 v[93:96], v92 offset0:75 offset1:76
	ds_read2_b64 v[97:100], v92 offset0:77 offset1:78
	s_waitcnt vmcnt(19) lgkmcnt(1)
	v_fma_f64 v[93:94], v[109:110], v[93:94], v[104:105]
	buffer_load_dword v104, off, s[0:3], 0 offset:316
	s_waitcnt vmcnt(18)
	v_fma_f64 v[93:94], v[111:112], v[95:96], v[93:94]
	buffer_load_dword v106, off, s[0:3], 0 offset:324
	buffer_load_dword v107, off, s[0:3], 0 offset:344
	;; [unrolled: 1-line block ×8, first 2 shown]
	s_waitcnt vmcnt(24) lgkmcnt(0)
	v_fma_f64 v[93:94], v[113:114], v[97:98], v[93:94]
	s_waitcnt vmcnt(19)
	v_fma_f64 v[113:114], v[115:116], v[99:100], v[93:94]
	ds_read2_b64 v[93:96], v92 offset0:79 offset1:80
	ds_read2_b64 v[97:100], v92 offset0:81 offset1:82
	s_waitcnt vmcnt(18) lgkmcnt(1)
	v_fma_f64 v[93:94], v[121:122], v[93:94], v[113:114]
	buffer_load_dword v114, off, s[0:3], 0 offset:356
	buffer_load_dword v113, off, s[0:3], 0 offset:352
	;; [unrolled: 1-line block ×4, first 2 shown]
	s_waitcnt vmcnt(21)
	v_fma_f64 v[93:94], v[119:120], v[95:96], v[93:94]
	s_waitcnt vmcnt(20) lgkmcnt(0)
	v_fma_f64 v[93:94], v[117:118], v[97:98], v[93:94]
	s_waitcnt vmcnt(15)
	v_fma_f64 v[101:102], v[101:102], v[99:100], v[93:94]
	ds_read2_b64 v[93:96], v92 offset0:83 offset1:84
	ds_read2_b64 v[97:100], v92 offset0:85 offset1:86
	s_waitcnt vmcnt(14) lgkmcnt(1)
	v_fma_f64 v[93:94], v[125:126], v[93:94], v[101:102]
	s_waitcnt vmcnt(13)
	v_fma_f64 v[93:94], v[123:124], v[95:96], v[93:94]
	s_waitcnt vmcnt(12) lgkmcnt(0)
	v_fma_f64 v[93:94], v[103:104], v[97:98], v[93:94]
	s_waitcnt vmcnt(7)
	v_fma_f64 v[101:102], v[105:106], v[99:100], v[93:94]
	ds_read2_b64 v[93:96], v92 offset0:87 offset1:88
	ds_read2_b64 v[97:100], v92 offset0:89 offset1:90
	s_waitcnt vmcnt(6) lgkmcnt(1)
	v_fma_f64 v[92:93], v[111:112], v[93:94], v[101:102]
	s_waitcnt vmcnt(5)
	v_fma_f64 v[92:93], v[109:110], v[95:96], v[92:93]
	s_waitcnt vmcnt(4) lgkmcnt(0)
	v_fma_f64 v[92:93], v[107:108], v[97:98], v[92:93]
	s_waitcnt vmcnt(2)
	v_fma_f64 v[92:93], v[113:114], v[99:100], v[92:93]
	s_waitcnt vmcnt(0)
	v_add_f64 v[92:93], v[115:116], -v[92:93]
	buffer_store_dword v93, off, s[0:3], 0 offset:196
	buffer_store_dword v92, off, s[0:3], 0 offset:192
	s_and_saveexec_b64 s[4:5], vcc
	s_cbranch_execz .LBB108_231
; %bb.230:
	buffer_load_dword v92, off, s[0:3], 0 offset:184
	buffer_load_dword v93, off, s[0:3], 0 offset:188
	v_mov_b32_e32 v94, 0
	buffer_store_dword v94, off, s[0:3], 0 offset:184
	buffer_store_dword v94, off, s[0:3], 0 offset:188
	s_waitcnt vmcnt(2)
	ds_write_b64 v91, v[92:93]
.LBB108_231:
	s_or_b64 exec, exec, s[4:5]
	s_waitcnt lgkmcnt(0)
	; wave barrier
	buffer_load_dword v101, off, s[0:3], 0 offset:192
	buffer_load_dword v102, off, s[0:3], 0 offset:196
	;; [unrolled: 1-line block ×21, first 2 shown]
	v_mov_b32_e32 v92, 0
	ds_read_b128 v[93:96], v92 offset:560
	ds_read_b128 v[97:100], v92 offset:576
	buffer_load_dword v118, off, s[0:3], 0 offset:276
	v_cmp_lt_u32_e32 vcc, 22, v0
	s_waitcnt vmcnt(20) lgkmcnt(1)
	v_fma_f64 v[93:94], v[101:102], v[93:94], 0
	s_waitcnt vmcnt(18)
	v_fma_f64 v[93:94], v[103:104], v[95:96], v[93:94]
	buffer_load_dword v102, off, s[0:3], 0 offset:284
	buffer_load_dword v103, off, s[0:3], 0 offset:304
	;; [unrolled: 1-line block ×7, first 2 shown]
	s_waitcnt vmcnt(23) lgkmcnt(0)
	v_fma_f64 v[93:94], v[105:106], v[97:98], v[93:94]
	s_waitcnt vmcnt(21)
	v_fma_f64 v[104:105], v[107:108], v[99:100], v[93:94]
	ds_read_b128 v[93:96], v92 offset:592
	ds_read_b128 v[97:100], v92 offset:608
	s_waitcnt vmcnt(19) lgkmcnt(1)
	v_fma_f64 v[93:94], v[109:110], v[93:94], v[104:105]
	buffer_load_dword v104, off, s[0:3], 0 offset:308
	s_waitcnt vmcnt(18)
	v_fma_f64 v[93:94], v[111:112], v[95:96], v[93:94]
	buffer_load_dword v106, off, s[0:3], 0 offset:316
	buffer_load_dword v107, off, s[0:3], 0 offset:336
	;; [unrolled: 1-line block ×7, first 2 shown]
	s_waitcnt vmcnt(23) lgkmcnt(0)
	v_fma_f64 v[93:94], v[113:114], v[97:98], v[93:94]
	s_waitcnt vmcnt(18)
	v_fma_f64 v[113:114], v[115:116], v[99:100], v[93:94]
	ds_read_b128 v[93:96], v92 offset:624
	ds_read_b128 v[97:100], v92 offset:640
	buffer_load_dword v108, off, s[0:3], 0 offset:340
	s_waitcnt vmcnt(18) lgkmcnt(1)
	v_fma_f64 v[93:94], v[121:122], v[93:94], v[113:114]
	buffer_load_dword v114, off, s[0:3], 0 offset:348
	buffer_load_dword v115, off, s[0:3], 0 offset:352
	;; [unrolled: 1-line block ×4, first 2 shown]
	s_waitcnt vmcnt(21)
	v_fma_f64 v[93:94], v[119:120], v[95:96], v[93:94]
	s_waitcnt vmcnt(20) lgkmcnt(0)
	v_fma_f64 v[93:94], v[117:118], v[97:98], v[93:94]
	buffer_load_dword v117, off, s[0:3], 0 offset:184
	buffer_load_dword v118, off, s[0:3], 0 offset:188
	s_waitcnt vmcnt(17)
	v_fma_f64 v[101:102], v[101:102], v[99:100], v[93:94]
	ds_read_b128 v[93:96], v92 offset:656
	ds_read_b128 v[97:100], v92 offset:672
	s_waitcnt vmcnt(16) lgkmcnt(1)
	v_fma_f64 v[93:94], v[125:126], v[93:94], v[101:102]
	s_waitcnt vmcnt(15)
	v_fma_f64 v[93:94], v[123:124], v[95:96], v[93:94]
	s_waitcnt vmcnt(14) lgkmcnt(0)
	v_fma_f64 v[93:94], v[103:104], v[97:98], v[93:94]
	s_waitcnt vmcnt(9)
	v_fma_f64 v[101:102], v[105:106], v[99:100], v[93:94]
	ds_read_b128 v[93:96], v92 offset:688
	ds_read_b128 v[97:100], v92 offset:704
	s_waitcnt vmcnt(8) lgkmcnt(1)
	v_fma_f64 v[93:94], v[111:112], v[93:94], v[101:102]
	s_waitcnt vmcnt(7)
	v_fma_f64 v[93:94], v[109:110], v[95:96], v[93:94]
	ds_read_b64 v[95:96], v92 offset:720
	s_waitcnt vmcnt(6) lgkmcnt(1)
	v_fma_f64 v[93:94], v[107:108], v[97:98], v[93:94]
	s_waitcnt vmcnt(3)
	v_fma_f64 v[93:94], v[113:114], v[99:100], v[93:94]
	s_waitcnt vmcnt(2) lgkmcnt(0)
	v_fma_f64 v[93:94], v[115:116], v[95:96], v[93:94]
	s_waitcnt vmcnt(0)
	v_add_f64 v[93:94], v[117:118], -v[93:94]
	buffer_store_dword v94, off, s[0:3], 0 offset:188
	buffer_store_dword v93, off, s[0:3], 0 offset:184
	s_and_saveexec_b64 s[4:5], vcc
	s_cbranch_execz .LBB108_233
; %bb.232:
	buffer_load_dword v93, off, s[0:3], 0 offset:176
	buffer_load_dword v94, off, s[0:3], 0 offset:180
	s_waitcnt vmcnt(0)
	ds_write_b64 v91, v[93:94]
	buffer_store_dword v92, off, s[0:3], 0 offset:176
	buffer_store_dword v92, off, s[0:3], 0 offset:180
.LBB108_233:
	s_or_b64 exec, exec, s[4:5]
	s_waitcnt lgkmcnt(0)
	; wave barrier
	buffer_load_dword v101, off, s[0:3], 0 offset:184
	buffer_load_dword v102, off, s[0:3], 0 offset:188
	;; [unrolled: 1-line block ×21, first 2 shown]
	ds_read2_b64 v[93:96], v92 offset0:69 offset1:70
	ds_read2_b64 v[97:100], v92 offset0:71 offset1:72
	buffer_load_dword v118, off, s[0:3], 0 offset:268
	v_cmp_lt_u32_e32 vcc, 21, v0
	s_waitcnt vmcnt(20) lgkmcnt(1)
	v_fma_f64 v[93:94], v[101:102], v[93:94], 0
	s_waitcnt vmcnt(18)
	v_fma_f64 v[93:94], v[103:104], v[95:96], v[93:94]
	buffer_load_dword v102, off, s[0:3], 0 offset:276
	buffer_load_dword v103, off, s[0:3], 0 offset:296
	;; [unrolled: 1-line block ×7, first 2 shown]
	s_waitcnt vmcnt(23) lgkmcnt(0)
	v_fma_f64 v[93:94], v[105:106], v[97:98], v[93:94]
	s_waitcnt vmcnt(21)
	v_fma_f64 v[104:105], v[107:108], v[99:100], v[93:94]
	ds_read2_b64 v[93:96], v92 offset0:73 offset1:74
	ds_read2_b64 v[97:100], v92 offset0:75 offset1:76
	s_waitcnt vmcnt(19) lgkmcnt(1)
	v_fma_f64 v[93:94], v[109:110], v[93:94], v[104:105]
	buffer_load_dword v104, off, s[0:3], 0 offset:300
	s_waitcnt vmcnt(18)
	v_fma_f64 v[93:94], v[111:112], v[95:96], v[93:94]
	buffer_load_dword v106, off, s[0:3], 0 offset:308
	buffer_load_dword v107, off, s[0:3], 0 offset:328
	;; [unrolled: 1-line block ×8, first 2 shown]
	s_waitcnt vmcnt(24) lgkmcnt(0)
	v_fma_f64 v[93:94], v[113:114], v[97:98], v[93:94]
	s_waitcnt vmcnt(19)
	v_fma_f64 v[113:114], v[115:116], v[99:100], v[93:94]
	ds_read2_b64 v[93:96], v92 offset0:77 offset1:78
	ds_read2_b64 v[97:100], v92 offset0:79 offset1:80
	s_waitcnt vmcnt(18) lgkmcnt(1)
	v_fma_f64 v[93:94], v[121:122], v[93:94], v[113:114]
	s_waitcnt vmcnt(17)
	v_fma_f64 v[93:94], v[119:120], v[95:96], v[93:94]
	buffer_load_dword v114, off, s[0:3], 0 offset:340
	buffer_load_dword v115, off, s[0:3], 0 offset:352
	buffer_load_dword v119, off, s[0:3], 0 offset:344
	buffer_load_dword v113, off, s[0:3], 0 offset:336
	buffer_load_dword v120, off, s[0:3], 0 offset:348
	buffer_load_dword v116, off, s[0:3], 0 offset:356
	s_waitcnt vmcnt(22) lgkmcnt(0)
	v_fma_f64 v[93:94], v[117:118], v[97:98], v[93:94]
	s_waitcnt vmcnt(17)
	v_fma_f64 v[101:102], v[101:102], v[99:100], v[93:94]
	ds_read2_b64 v[93:96], v92 offset0:81 offset1:82
	buffer_load_dword v117, off, s[0:3], 0 offset:176
	buffer_load_dword v118, off, s[0:3], 0 offset:180
	ds_read2_b64 v[97:100], v92 offset0:83 offset1:84
	s_waitcnt vmcnt(18) lgkmcnt(1)
	v_fma_f64 v[93:94], v[125:126], v[93:94], v[101:102]
	s_waitcnt vmcnt(17)
	v_fma_f64 v[93:94], v[123:124], v[95:96], v[93:94]
	s_waitcnt vmcnt(16) lgkmcnt(0)
	v_fma_f64 v[93:94], v[103:104], v[97:98], v[93:94]
	s_waitcnt vmcnt(11)
	v_fma_f64 v[101:102], v[105:106], v[99:100], v[93:94]
	ds_read2_b64 v[93:96], v92 offset0:85 offset1:86
	ds_read2_b64 v[97:100], v92 offset0:87 offset1:88
	s_waitcnt vmcnt(10) lgkmcnt(1)
	v_fma_f64 v[93:94], v[111:112], v[93:94], v[101:102]
	s_waitcnt vmcnt(9)
	v_fma_f64 v[93:94], v[109:110], v[95:96], v[93:94]
	s_waitcnt vmcnt(8) lgkmcnt(0)
	v_fma_f64 v[93:94], v[107:108], v[97:98], v[93:94]
	s_waitcnt vmcnt(4)
	v_fma_f64 v[96:97], v[113:114], v[99:100], v[93:94]
	ds_read2_b64 v[92:95], v92 offset0:89 offset1:90
	s_waitcnt vmcnt(3) lgkmcnt(0)
	v_fma_f64 v[92:93], v[119:120], v[92:93], v[96:97]
	s_waitcnt vmcnt(2)
	v_fma_f64 v[92:93], v[115:116], v[94:95], v[92:93]
	s_waitcnt vmcnt(0)
	v_add_f64 v[92:93], v[117:118], -v[92:93]
	buffer_store_dword v93, off, s[0:3], 0 offset:180
	buffer_store_dword v92, off, s[0:3], 0 offset:176
	s_and_saveexec_b64 s[4:5], vcc
	s_cbranch_execz .LBB108_235
; %bb.234:
	buffer_load_dword v92, off, s[0:3], 0 offset:168
	buffer_load_dword v93, off, s[0:3], 0 offset:172
	v_mov_b32_e32 v94, 0
	buffer_store_dword v94, off, s[0:3], 0 offset:168
	buffer_store_dword v94, off, s[0:3], 0 offset:172
	s_waitcnt vmcnt(2)
	ds_write_b64 v91, v[92:93]
.LBB108_235:
	s_or_b64 exec, exec, s[4:5]
	s_waitcnt lgkmcnt(0)
	; wave barrier
	buffer_load_dword v101, off, s[0:3], 0 offset:176
	buffer_load_dword v102, off, s[0:3], 0 offset:180
	;; [unrolled: 1-line block ×21, first 2 shown]
	v_mov_b32_e32 v92, 0
	ds_read_b128 v[93:96], v92 offset:544
	ds_read_b128 v[97:100], v92 offset:560
	buffer_load_dword v118, off, s[0:3], 0 offset:260
	v_cmp_lt_u32_e32 vcc, 20, v0
	s_waitcnt vmcnt(20) lgkmcnt(1)
	v_fma_f64 v[93:94], v[101:102], v[93:94], 0
	s_waitcnt vmcnt(18)
	v_fma_f64 v[93:94], v[103:104], v[95:96], v[93:94]
	buffer_load_dword v102, off, s[0:3], 0 offset:268
	buffer_load_dword v103, off, s[0:3], 0 offset:288
	;; [unrolled: 1-line block ×7, first 2 shown]
	s_waitcnt vmcnt(23) lgkmcnt(0)
	v_fma_f64 v[93:94], v[105:106], v[97:98], v[93:94]
	s_waitcnt vmcnt(21)
	v_fma_f64 v[104:105], v[107:108], v[99:100], v[93:94]
	ds_read_b128 v[93:96], v92 offset:576
	ds_read_b128 v[97:100], v92 offset:592
	s_waitcnt vmcnt(19) lgkmcnt(1)
	v_fma_f64 v[93:94], v[109:110], v[93:94], v[104:105]
	buffer_load_dword v104, off, s[0:3], 0 offset:292
	s_waitcnt vmcnt(18)
	v_fma_f64 v[93:94], v[111:112], v[95:96], v[93:94]
	buffer_load_dword v106, off, s[0:3], 0 offset:300
	buffer_load_dword v107, off, s[0:3], 0 offset:320
	;; [unrolled: 1-line block ×8, first 2 shown]
	s_waitcnt vmcnt(24) lgkmcnt(0)
	v_fma_f64 v[93:94], v[113:114], v[97:98], v[93:94]
	s_waitcnt vmcnt(19)
	v_fma_f64 v[113:114], v[115:116], v[99:100], v[93:94]
	ds_read_b128 v[93:96], v92 offset:608
	ds_read_b128 v[97:100], v92 offset:624
	s_waitcnt vmcnt(18) lgkmcnt(1)
	v_fma_f64 v[93:94], v[121:122], v[93:94], v[113:114]
	s_waitcnt vmcnt(17)
	v_fma_f64 v[93:94], v[119:120], v[95:96], v[93:94]
	buffer_load_dword v114, off, s[0:3], 0 offset:332
	buffer_load_dword v115, off, s[0:3], 0 offset:352
	;; [unrolled: 1-line block ×8, first 2 shown]
	s_waitcnt vmcnt(24) lgkmcnt(0)
	v_fma_f64 v[93:94], v[117:118], v[97:98], v[93:94]
	s_waitcnt vmcnt(19)
	v_fma_f64 v[101:102], v[101:102], v[99:100], v[93:94]
	ds_read_b128 v[93:96], v92 offset:640
	ds_read_b128 v[97:100], v92 offset:656
	s_waitcnt vmcnt(18) lgkmcnt(1)
	v_fma_f64 v[93:94], v[125:126], v[93:94], v[101:102]
	buffer_load_dword v101, off, s[0:3], 0 offset:168
	buffer_load_dword v102, off, s[0:3], 0 offset:172
	s_waitcnt vmcnt(19)
	v_fma_f64 v[93:94], v[123:124], v[95:96], v[93:94]
	s_waitcnt vmcnt(18) lgkmcnt(0)
	v_fma_f64 v[93:94], v[103:104], v[97:98], v[93:94]
	s_waitcnt vmcnt(13)
	v_fma_f64 v[103:104], v[105:106], v[99:100], v[93:94]
	ds_read_b128 v[93:96], v92 offset:672
	ds_read_b128 v[97:100], v92 offset:688
	s_waitcnt vmcnt(12) lgkmcnt(1)
	v_fma_f64 v[93:94], v[111:112], v[93:94], v[103:104]
	s_waitcnt vmcnt(11)
	v_fma_f64 v[93:94], v[109:110], v[95:96], v[93:94]
	s_waitcnt vmcnt(10) lgkmcnt(0)
	v_fma_f64 v[93:94], v[107:108], v[97:98], v[93:94]
	s_waitcnt vmcnt(5)
	v_fma_f64 v[97:98], v[113:114], v[99:100], v[93:94]
	ds_read_b128 v[93:96], v92 offset:704
	ds_read_b64 v[99:100], v92 offset:720
	s_waitcnt vmcnt(4) lgkmcnt(1)
	v_fma_f64 v[93:94], v[121:122], v[93:94], v[97:98]
	s_waitcnt vmcnt(3)
	v_fma_f64 v[93:94], v[119:120], v[95:96], v[93:94]
	s_waitcnt vmcnt(2) lgkmcnt(0)
	v_fma_f64 v[93:94], v[115:116], v[99:100], v[93:94]
	s_waitcnt vmcnt(0)
	v_add_f64 v[93:94], v[101:102], -v[93:94]
	buffer_store_dword v94, off, s[0:3], 0 offset:172
	buffer_store_dword v93, off, s[0:3], 0 offset:168
	s_and_saveexec_b64 s[4:5], vcc
	s_cbranch_execz .LBB108_237
; %bb.236:
	buffer_load_dword v93, off, s[0:3], 0 offset:160
	buffer_load_dword v94, off, s[0:3], 0 offset:164
	s_waitcnt vmcnt(0)
	ds_write_b64 v91, v[93:94]
	buffer_store_dword v92, off, s[0:3], 0 offset:160
	buffer_store_dword v92, off, s[0:3], 0 offset:164
.LBB108_237:
	s_or_b64 exec, exec, s[4:5]
	s_waitcnt lgkmcnt(0)
	; wave barrier
	buffer_load_dword v101, off, s[0:3], 0 offset:168
	buffer_load_dword v102, off, s[0:3], 0 offset:172
	buffer_load_dword v103, off, s[0:3], 0 offset:176
	buffer_load_dword v104, off, s[0:3], 0 offset:180
	buffer_load_dword v105, off, s[0:3], 0 offset:184
	buffer_load_dword v106, off, s[0:3], 0 offset:188
	buffer_load_dword v107, off, s[0:3], 0 offset:192
	buffer_load_dword v108, off, s[0:3], 0 offset:196
	buffer_load_dword v109, off, s[0:3], 0 offset:200
	buffer_load_dword v110, off, s[0:3], 0 offset:204
	buffer_load_dword v111, off, s[0:3], 0 offset:208
	buffer_load_dword v112, off, s[0:3], 0 offset:212
	buffer_load_dword v113, off, s[0:3], 0 offset:216
	buffer_load_dword v114, off, s[0:3], 0 offset:220
	buffer_load_dword v116, off, s[0:3], 0 offset:228
	buffer_load_dword v117, off, s[0:3], 0 offset:248
	buffer_load_dword v119, off, s[0:3], 0 offset:240
	buffer_load_dword v121, off, s[0:3], 0 offset:232
	buffer_load_dword v115, off, s[0:3], 0 offset:224
	buffer_load_dword v122, off, s[0:3], 0 offset:236
	buffer_load_dword v120, off, s[0:3], 0 offset:244
	ds_read2_b64 v[93:96], v92 offset0:67 offset1:68
	ds_read2_b64 v[97:100], v92 offset0:69 offset1:70
	buffer_load_dword v118, off, s[0:3], 0 offset:252
	v_cmp_lt_u32_e32 vcc, 19, v0
	s_waitcnt vmcnt(20) lgkmcnt(1)
	v_fma_f64 v[93:94], v[101:102], v[93:94], 0
	s_waitcnt vmcnt(18)
	v_fma_f64 v[93:94], v[103:104], v[95:96], v[93:94]
	buffer_load_dword v102, off, s[0:3], 0 offset:260
	buffer_load_dword v103, off, s[0:3], 0 offset:280
	;; [unrolled: 1-line block ×7, first 2 shown]
	s_waitcnt vmcnt(23) lgkmcnt(0)
	v_fma_f64 v[93:94], v[105:106], v[97:98], v[93:94]
	s_waitcnt vmcnt(21)
	v_fma_f64 v[104:105], v[107:108], v[99:100], v[93:94]
	ds_read2_b64 v[93:96], v92 offset0:71 offset1:72
	ds_read2_b64 v[97:100], v92 offset0:73 offset1:74
	s_waitcnt vmcnt(19) lgkmcnt(1)
	v_fma_f64 v[93:94], v[109:110], v[93:94], v[104:105]
	buffer_load_dword v104, off, s[0:3], 0 offset:284
	s_waitcnt vmcnt(18)
	v_fma_f64 v[93:94], v[111:112], v[95:96], v[93:94]
	buffer_load_dword v106, off, s[0:3], 0 offset:292
	buffer_load_dword v107, off, s[0:3], 0 offset:312
	;; [unrolled: 1-line block ×8, first 2 shown]
	s_waitcnt vmcnt(24) lgkmcnt(0)
	v_fma_f64 v[93:94], v[113:114], v[97:98], v[93:94]
	s_waitcnt vmcnt(19)
	v_fma_f64 v[113:114], v[115:116], v[99:100], v[93:94]
	ds_read2_b64 v[93:96], v92 offset0:75 offset1:76
	ds_read2_b64 v[97:100], v92 offset0:77 offset1:78
	s_waitcnt vmcnt(18) lgkmcnt(1)
	v_fma_f64 v[93:94], v[121:122], v[93:94], v[113:114]
	s_waitcnt vmcnt(17)
	v_fma_f64 v[93:94], v[119:120], v[95:96], v[93:94]
	buffer_load_dword v114, off, s[0:3], 0 offset:324
	buffer_load_dword v115, off, s[0:3], 0 offset:344
	;; [unrolled: 1-line block ×8, first 2 shown]
	s_waitcnt vmcnt(24) lgkmcnt(0)
	v_fma_f64 v[93:94], v[117:118], v[97:98], v[93:94]
	s_waitcnt vmcnt(19)
	v_fma_f64 v[101:102], v[101:102], v[99:100], v[93:94]
	ds_read2_b64 v[93:96], v92 offset0:79 offset1:80
	ds_read2_b64 v[97:100], v92 offset0:81 offset1:82
	s_waitcnt vmcnt(18) lgkmcnt(1)
	v_fma_f64 v[93:94], v[125:126], v[93:94], v[101:102]
	buffer_load_dword v102, off, s[0:3], 0 offset:356
	buffer_load_dword v101, off, s[0:3], 0 offset:352
	;; [unrolled: 1-line block ×4, first 2 shown]
	s_waitcnt vmcnt(21)
	v_fma_f64 v[93:94], v[123:124], v[95:96], v[93:94]
	s_waitcnt vmcnt(20) lgkmcnt(0)
	v_fma_f64 v[93:94], v[103:104], v[97:98], v[93:94]
	s_waitcnt vmcnt(15)
	v_fma_f64 v[103:104], v[105:106], v[99:100], v[93:94]
	ds_read2_b64 v[93:96], v92 offset0:83 offset1:84
	ds_read2_b64 v[97:100], v92 offset0:85 offset1:86
	s_waitcnt vmcnt(14) lgkmcnt(1)
	v_fma_f64 v[93:94], v[111:112], v[93:94], v[103:104]
	s_waitcnt vmcnt(13)
	v_fma_f64 v[93:94], v[109:110], v[95:96], v[93:94]
	s_waitcnt vmcnt(12) lgkmcnt(0)
	v_fma_f64 v[93:94], v[107:108], v[97:98], v[93:94]
	s_waitcnt vmcnt(7)
	v_fma_f64 v[103:104], v[113:114], v[99:100], v[93:94]
	ds_read2_b64 v[93:96], v92 offset0:87 offset1:88
	ds_read2_b64 v[97:100], v92 offset0:89 offset1:90
	s_waitcnt vmcnt(6) lgkmcnt(1)
	v_fma_f64 v[92:93], v[121:122], v[93:94], v[103:104]
	s_waitcnt vmcnt(5)
	v_fma_f64 v[92:93], v[119:120], v[95:96], v[92:93]
	s_waitcnt vmcnt(4) lgkmcnt(0)
	v_fma_f64 v[92:93], v[115:116], v[97:98], v[92:93]
	s_waitcnt vmcnt(2)
	v_fma_f64 v[92:93], v[101:102], v[99:100], v[92:93]
	s_waitcnt vmcnt(0)
	v_add_f64 v[92:93], v[117:118], -v[92:93]
	buffer_store_dword v93, off, s[0:3], 0 offset:164
	buffer_store_dword v92, off, s[0:3], 0 offset:160
	s_and_saveexec_b64 s[4:5], vcc
	s_cbranch_execz .LBB108_239
; %bb.238:
	buffer_load_dword v92, off, s[0:3], 0 offset:152
	buffer_load_dword v93, off, s[0:3], 0 offset:156
	v_mov_b32_e32 v94, 0
	buffer_store_dword v94, off, s[0:3], 0 offset:152
	buffer_store_dword v94, off, s[0:3], 0 offset:156
	s_waitcnt vmcnt(2)
	ds_write_b64 v91, v[92:93]
.LBB108_239:
	s_or_b64 exec, exec, s[4:5]
	s_waitcnt lgkmcnt(0)
	; wave barrier
	buffer_load_dword v101, off, s[0:3], 0 offset:160
	buffer_load_dword v102, off, s[0:3], 0 offset:164
	;; [unrolled: 1-line block ×21, first 2 shown]
	v_mov_b32_e32 v92, 0
	ds_read_b128 v[93:96], v92 offset:528
	ds_read_b128 v[97:100], v92 offset:544
	buffer_load_dword v118, off, s[0:3], 0 offset:244
	v_cmp_lt_u32_e32 vcc, 18, v0
	s_waitcnt vmcnt(20) lgkmcnt(1)
	v_fma_f64 v[93:94], v[101:102], v[93:94], 0
	s_waitcnt vmcnt(18)
	v_fma_f64 v[93:94], v[103:104], v[95:96], v[93:94]
	buffer_load_dword v102, off, s[0:3], 0 offset:252
	buffer_load_dword v103, off, s[0:3], 0 offset:272
	;; [unrolled: 1-line block ×7, first 2 shown]
	s_waitcnt vmcnt(23) lgkmcnt(0)
	v_fma_f64 v[93:94], v[105:106], v[97:98], v[93:94]
	s_waitcnt vmcnt(21)
	v_fma_f64 v[104:105], v[107:108], v[99:100], v[93:94]
	ds_read_b128 v[93:96], v92 offset:560
	ds_read_b128 v[97:100], v92 offset:576
	s_waitcnt vmcnt(19) lgkmcnt(1)
	v_fma_f64 v[93:94], v[109:110], v[93:94], v[104:105]
	buffer_load_dword v104, off, s[0:3], 0 offset:276
	s_waitcnt vmcnt(18)
	v_fma_f64 v[93:94], v[111:112], v[95:96], v[93:94]
	buffer_load_dword v106, off, s[0:3], 0 offset:284
	buffer_load_dword v107, off, s[0:3], 0 offset:304
	;; [unrolled: 1-line block ×8, first 2 shown]
	s_waitcnt vmcnt(24) lgkmcnt(0)
	v_fma_f64 v[93:94], v[113:114], v[97:98], v[93:94]
	s_waitcnt vmcnt(19)
	v_fma_f64 v[113:114], v[115:116], v[99:100], v[93:94]
	ds_read_b128 v[93:96], v92 offset:592
	ds_read_b128 v[97:100], v92 offset:608
	s_waitcnt vmcnt(18) lgkmcnt(1)
	v_fma_f64 v[93:94], v[121:122], v[93:94], v[113:114]
	s_waitcnt vmcnt(17)
	v_fma_f64 v[93:94], v[119:120], v[95:96], v[93:94]
	buffer_load_dword v114, off, s[0:3], 0 offset:316
	buffer_load_dword v115, off, s[0:3], 0 offset:336
	;; [unrolled: 1-line block ×7, first 2 shown]
	s_waitcnt vmcnt(23) lgkmcnt(0)
	v_fma_f64 v[93:94], v[117:118], v[97:98], v[93:94]
	s_waitcnt vmcnt(18)
	v_fma_f64 v[101:102], v[101:102], v[99:100], v[93:94]
	ds_read_b128 v[93:96], v92 offset:624
	ds_read_b128 v[97:100], v92 offset:640
	buffer_load_dword v116, off, s[0:3], 0 offset:340
	s_waitcnt vmcnt(18) lgkmcnt(1)
	v_fma_f64 v[93:94], v[125:126], v[93:94], v[101:102]
	buffer_load_dword v102, off, s[0:3], 0 offset:348
	buffer_load_dword v117, off, s[0:3], 0 offset:352
	;; [unrolled: 1-line block ×4, first 2 shown]
	s_waitcnt vmcnt(21)
	v_fma_f64 v[93:94], v[123:124], v[95:96], v[93:94]
	s_waitcnt vmcnt(20) lgkmcnt(0)
	v_fma_f64 v[93:94], v[103:104], v[97:98], v[93:94]
	buffer_load_dword v103, off, s[0:3], 0 offset:152
	buffer_load_dword v104, off, s[0:3], 0 offset:156
	s_waitcnt vmcnt(17)
	v_fma_f64 v[105:106], v[105:106], v[99:100], v[93:94]
	ds_read_b128 v[93:96], v92 offset:656
	ds_read_b128 v[97:100], v92 offset:672
	s_waitcnt vmcnt(16) lgkmcnt(1)
	v_fma_f64 v[93:94], v[111:112], v[93:94], v[105:106]
	s_waitcnt vmcnt(15)
	v_fma_f64 v[93:94], v[109:110], v[95:96], v[93:94]
	s_waitcnt vmcnt(14) lgkmcnt(0)
	v_fma_f64 v[93:94], v[107:108], v[97:98], v[93:94]
	s_waitcnt vmcnt(9)
	v_fma_f64 v[105:106], v[113:114], v[99:100], v[93:94]
	ds_read_b128 v[93:96], v92 offset:688
	ds_read_b128 v[97:100], v92 offset:704
	s_waitcnt vmcnt(8) lgkmcnt(1)
	v_fma_f64 v[93:94], v[121:122], v[93:94], v[105:106]
	s_waitcnt vmcnt(7)
	v_fma_f64 v[93:94], v[119:120], v[95:96], v[93:94]
	ds_read_b64 v[95:96], v92 offset:720
	s_waitcnt vmcnt(6) lgkmcnt(1)
	v_fma_f64 v[93:94], v[115:116], v[97:98], v[93:94]
	s_waitcnt vmcnt(3)
	v_fma_f64 v[93:94], v[101:102], v[99:100], v[93:94]
	s_waitcnt vmcnt(2) lgkmcnt(0)
	v_fma_f64 v[93:94], v[117:118], v[95:96], v[93:94]
	s_waitcnt vmcnt(0)
	v_add_f64 v[93:94], v[103:104], -v[93:94]
	buffer_store_dword v94, off, s[0:3], 0 offset:156
	buffer_store_dword v93, off, s[0:3], 0 offset:152
	s_and_saveexec_b64 s[4:5], vcc
	s_cbranch_execz .LBB108_241
; %bb.240:
	buffer_load_dword v93, off, s[0:3], 0 offset:144
	buffer_load_dword v94, off, s[0:3], 0 offset:148
	s_waitcnt vmcnt(0)
	ds_write_b64 v91, v[93:94]
	buffer_store_dword v92, off, s[0:3], 0 offset:144
	buffer_store_dword v92, off, s[0:3], 0 offset:148
.LBB108_241:
	s_or_b64 exec, exec, s[4:5]
	s_waitcnt lgkmcnt(0)
	; wave barrier
	buffer_load_dword v101, off, s[0:3], 0 offset:152
	buffer_load_dword v102, off, s[0:3], 0 offset:156
	;; [unrolled: 1-line block ×22, first 2 shown]
	ds_read2_b64 v[93:96], v92 offset0:65 offset1:66
	ds_read2_b64 v[97:100], v92 offset0:67 offset1:68
	v_cmp_lt_u32_e32 vcc, 17, v0
	s_waitcnt vmcnt(20) lgkmcnt(1)
	v_fma_f64 v[93:94], v[101:102], v[93:94], 0
	s_waitcnt vmcnt(18)
	v_fma_f64 v[93:94], v[103:104], v[95:96], v[93:94]
	buffer_load_dword v102, off, s[0:3], 0 offset:244
	buffer_load_dword v103, off, s[0:3], 0 offset:264
	;; [unrolled: 1-line block ×7, first 2 shown]
	s_waitcnt vmcnt(23) lgkmcnt(0)
	v_fma_f64 v[93:94], v[105:106], v[97:98], v[93:94]
	s_waitcnt vmcnt(21)
	v_fma_f64 v[104:105], v[107:108], v[99:100], v[93:94]
	ds_read2_b64 v[93:96], v92 offset0:69 offset1:70
	ds_read2_b64 v[97:100], v92 offset0:71 offset1:72
	s_waitcnt vmcnt(19) lgkmcnt(1)
	v_fma_f64 v[93:94], v[109:110], v[93:94], v[104:105]
	buffer_load_dword v104, off, s[0:3], 0 offset:268
	s_waitcnt vmcnt(18)
	v_fma_f64 v[93:94], v[111:112], v[95:96], v[93:94]
	buffer_load_dword v106, off, s[0:3], 0 offset:276
	buffer_load_dword v107, off, s[0:3], 0 offset:296
	;; [unrolled: 1-line block ×8, first 2 shown]
	s_waitcnt vmcnt(24) lgkmcnt(0)
	v_fma_f64 v[93:94], v[113:114], v[97:98], v[93:94]
	s_waitcnt vmcnt(19)
	v_fma_f64 v[113:114], v[115:116], v[99:100], v[93:94]
	ds_read2_b64 v[93:96], v92 offset0:73 offset1:74
	ds_read2_b64 v[97:100], v92 offset0:75 offset1:76
	s_waitcnt vmcnt(18) lgkmcnt(1)
	v_fma_f64 v[93:94], v[121:122], v[93:94], v[113:114]
	s_waitcnt vmcnt(17)
	v_fma_f64 v[93:94], v[119:120], v[95:96], v[93:94]
	buffer_load_dword v114, off, s[0:3], 0 offset:308
	buffer_load_dword v115, off, s[0:3], 0 offset:328
	;; [unrolled: 1-line block ×8, first 2 shown]
	s_waitcnt vmcnt(24) lgkmcnt(0)
	v_fma_f64 v[93:94], v[117:118], v[97:98], v[93:94]
	s_waitcnt vmcnt(19)
	v_fma_f64 v[101:102], v[101:102], v[99:100], v[93:94]
	ds_read2_b64 v[93:96], v92 offset0:77 offset1:78
	ds_read2_b64 v[97:100], v92 offset0:79 offset1:80
	s_waitcnt vmcnt(18) lgkmcnt(1)
	v_fma_f64 v[93:94], v[125:126], v[93:94], v[101:102]
	s_waitcnt vmcnt(17)
	v_fma_f64 v[93:94], v[123:124], v[95:96], v[93:94]
	buffer_load_dword v102, off, s[0:3], 0 offset:340
	buffer_load_dword v117, off, s[0:3], 0 offset:352
	;; [unrolled: 1-line block ×6, first 2 shown]
	s_waitcnt vmcnt(22) lgkmcnt(0)
	v_fma_f64 v[93:94], v[103:104], v[97:98], v[93:94]
	s_waitcnt vmcnt(17)
	v_fma_f64 v[103:104], v[105:106], v[99:100], v[93:94]
	ds_read2_b64 v[93:96], v92 offset0:81 offset1:82
	buffer_load_dword v105, off, s[0:3], 0 offset:144
	buffer_load_dword v106, off, s[0:3], 0 offset:148
	ds_read2_b64 v[97:100], v92 offset0:83 offset1:84
	s_waitcnt vmcnt(18) lgkmcnt(1)
	v_fma_f64 v[93:94], v[111:112], v[93:94], v[103:104]
	s_waitcnt vmcnt(17)
	v_fma_f64 v[93:94], v[109:110], v[95:96], v[93:94]
	s_waitcnt vmcnt(16) lgkmcnt(0)
	v_fma_f64 v[93:94], v[107:108], v[97:98], v[93:94]
	s_waitcnt vmcnt(11)
	v_fma_f64 v[103:104], v[113:114], v[99:100], v[93:94]
	ds_read2_b64 v[93:96], v92 offset0:85 offset1:86
	ds_read2_b64 v[97:100], v92 offset0:87 offset1:88
	s_waitcnt vmcnt(10) lgkmcnt(1)
	v_fma_f64 v[93:94], v[121:122], v[93:94], v[103:104]
	s_waitcnt vmcnt(9)
	v_fma_f64 v[93:94], v[119:120], v[95:96], v[93:94]
	s_waitcnt vmcnt(8) lgkmcnt(0)
	v_fma_f64 v[93:94], v[115:116], v[97:98], v[93:94]
	s_waitcnt vmcnt(4)
	v_fma_f64 v[96:97], v[101:102], v[99:100], v[93:94]
	ds_read2_b64 v[92:95], v92 offset0:89 offset1:90
	s_waitcnt vmcnt(3) lgkmcnt(0)
	v_fma_f64 v[92:93], v[123:124], v[92:93], v[96:97]
	s_waitcnt vmcnt(2)
	v_fma_f64 v[92:93], v[117:118], v[94:95], v[92:93]
	s_waitcnt vmcnt(0)
	v_add_f64 v[92:93], v[105:106], -v[92:93]
	buffer_store_dword v93, off, s[0:3], 0 offset:148
	buffer_store_dword v92, off, s[0:3], 0 offset:144
	s_and_saveexec_b64 s[4:5], vcc
	s_cbranch_execz .LBB108_243
; %bb.242:
	buffer_load_dword v92, off, s[0:3], 0 offset:136
	buffer_load_dword v93, off, s[0:3], 0 offset:140
	v_mov_b32_e32 v94, 0
	buffer_store_dword v94, off, s[0:3], 0 offset:136
	buffer_store_dword v94, off, s[0:3], 0 offset:140
	s_waitcnt vmcnt(2)
	ds_write_b64 v91, v[92:93]
.LBB108_243:
	s_or_b64 exec, exec, s[4:5]
	s_waitcnt lgkmcnt(0)
	; wave barrier
	buffer_load_dword v101, off, s[0:3], 0 offset:144
	buffer_load_dword v102, off, s[0:3], 0 offset:148
	;; [unrolled: 1-line block ×22, first 2 shown]
	v_mov_b32_e32 v92, 0
	ds_read_b128 v[93:96], v92 offset:512
	ds_read_b128 v[97:100], v92 offset:528
	v_cmp_lt_u32_e32 vcc, 16, v0
	s_waitcnt vmcnt(20) lgkmcnt(1)
	v_fma_f64 v[93:94], v[101:102], v[93:94], 0
	s_waitcnt vmcnt(18)
	v_fma_f64 v[93:94], v[103:104], v[95:96], v[93:94]
	buffer_load_dword v102, off, s[0:3], 0 offset:236
	buffer_load_dword v103, off, s[0:3], 0 offset:256
	;; [unrolled: 1-line block ×7, first 2 shown]
	s_waitcnt vmcnt(23) lgkmcnt(0)
	v_fma_f64 v[93:94], v[105:106], v[97:98], v[93:94]
	s_waitcnt vmcnt(21)
	v_fma_f64 v[104:105], v[107:108], v[99:100], v[93:94]
	ds_read_b128 v[93:96], v92 offset:544
	ds_read_b128 v[97:100], v92 offset:560
	s_waitcnt vmcnt(19) lgkmcnt(1)
	v_fma_f64 v[93:94], v[109:110], v[93:94], v[104:105]
	buffer_load_dword v104, off, s[0:3], 0 offset:260
	s_waitcnt vmcnt(18)
	v_fma_f64 v[93:94], v[111:112], v[95:96], v[93:94]
	buffer_load_dword v106, off, s[0:3], 0 offset:268
	buffer_load_dword v107, off, s[0:3], 0 offset:288
	buffer_load_dword v109, off, s[0:3], 0 offset:280
	buffer_load_dword v111, off, s[0:3], 0 offset:272
	buffer_load_dword v105, off, s[0:3], 0 offset:264
	buffer_load_dword v112, off, s[0:3], 0 offset:276
	buffer_load_dword v110, off, s[0:3], 0 offset:284
	buffer_load_dword v108, off, s[0:3], 0 offset:292
	s_waitcnt vmcnt(24) lgkmcnt(0)
	v_fma_f64 v[93:94], v[113:114], v[97:98], v[93:94]
	s_waitcnt vmcnt(19)
	v_fma_f64 v[113:114], v[115:116], v[99:100], v[93:94]
	ds_read_b128 v[93:96], v92 offset:576
	ds_read_b128 v[97:100], v92 offset:592
	s_waitcnt vmcnt(18) lgkmcnt(1)
	v_fma_f64 v[93:94], v[121:122], v[93:94], v[113:114]
	s_waitcnt vmcnt(17)
	v_fma_f64 v[93:94], v[119:120], v[95:96], v[93:94]
	buffer_load_dword v114, off, s[0:3], 0 offset:300
	buffer_load_dword v115, off, s[0:3], 0 offset:320
	buffer_load_dword v119, off, s[0:3], 0 offset:312
	buffer_load_dword v121, off, s[0:3], 0 offset:304
	buffer_load_dword v113, off, s[0:3], 0 offset:296
	buffer_load_dword v122, off, s[0:3], 0 offset:308
	buffer_load_dword v120, off, s[0:3], 0 offset:316
	buffer_load_dword v116, off, s[0:3], 0 offset:324
	s_waitcnt vmcnt(24) lgkmcnt(0)
	v_fma_f64 v[93:94], v[117:118], v[97:98], v[93:94]
	s_waitcnt vmcnt(19)
	v_fma_f64 v[101:102], v[101:102], v[99:100], v[93:94]
	ds_read_b128 v[93:96], v92 offset:608
	ds_read_b128 v[97:100], v92 offset:624
	s_waitcnt vmcnt(18) lgkmcnt(1)
	v_fma_f64 v[93:94], v[125:126], v[93:94], v[101:102]
	;; [unrolled: 18-line block ×3, first 2 shown]
	buffer_load_dword v103, off, s[0:3], 0 offset:136
	buffer_load_dword v104, off, s[0:3], 0 offset:140
	s_waitcnt vmcnt(19)
	v_fma_f64 v[93:94], v[109:110], v[95:96], v[93:94]
	s_waitcnt vmcnt(18) lgkmcnt(0)
	v_fma_f64 v[93:94], v[107:108], v[97:98], v[93:94]
	s_waitcnt vmcnt(13)
	v_fma_f64 v[105:106], v[113:114], v[99:100], v[93:94]
	ds_read_b128 v[93:96], v92 offset:672
	ds_read_b128 v[97:100], v92 offset:688
	s_waitcnt vmcnt(12) lgkmcnt(1)
	v_fma_f64 v[93:94], v[121:122], v[93:94], v[105:106]
	s_waitcnt vmcnt(11)
	v_fma_f64 v[93:94], v[119:120], v[95:96], v[93:94]
	s_waitcnt vmcnt(10) lgkmcnt(0)
	v_fma_f64 v[93:94], v[115:116], v[97:98], v[93:94]
	s_waitcnt vmcnt(5)
	v_fma_f64 v[97:98], v[101:102], v[99:100], v[93:94]
	ds_read_b128 v[93:96], v92 offset:704
	ds_read_b64 v[99:100], v92 offset:720
	s_waitcnt vmcnt(4) lgkmcnt(1)
	v_fma_f64 v[93:94], v[125:126], v[93:94], v[97:98]
	s_waitcnt vmcnt(3)
	v_fma_f64 v[93:94], v[123:124], v[95:96], v[93:94]
	s_waitcnt vmcnt(2) lgkmcnt(0)
	v_fma_f64 v[93:94], v[117:118], v[99:100], v[93:94]
	s_waitcnt vmcnt(0)
	v_add_f64 v[93:94], v[103:104], -v[93:94]
	buffer_store_dword v94, off, s[0:3], 0 offset:140
	buffer_store_dword v93, off, s[0:3], 0 offset:136
	s_and_saveexec_b64 s[4:5], vcc
	s_cbranch_execz .LBB108_245
; %bb.244:
	buffer_load_dword v93, off, s[0:3], 0 offset:128
	buffer_load_dword v94, off, s[0:3], 0 offset:132
	s_waitcnt vmcnt(0)
	ds_write_b64 v91, v[93:94]
	buffer_store_dword v92, off, s[0:3], 0 offset:128
	buffer_store_dword v92, off, s[0:3], 0 offset:132
.LBB108_245:
	s_or_b64 exec, exec, s[4:5]
	s_waitcnt lgkmcnt(0)
	; wave barrier
	buffer_load_dword v101, off, s[0:3], 0 offset:136
	buffer_load_dword v102, off, s[0:3], 0 offset:140
	;; [unrolled: 1-line block ×22, first 2 shown]
	ds_read2_b64 v[93:96], v92 offset0:63 offset1:64
	ds_read2_b64 v[97:100], v92 offset0:65 offset1:66
	v_cmp_lt_u32_e32 vcc, 15, v0
	s_waitcnt vmcnt(20) lgkmcnt(1)
	v_fma_f64 v[93:94], v[101:102], v[93:94], 0
	s_waitcnt vmcnt(18)
	v_fma_f64 v[93:94], v[103:104], v[95:96], v[93:94]
	buffer_load_dword v102, off, s[0:3], 0 offset:228
	buffer_load_dword v103, off, s[0:3], 0 offset:248
	;; [unrolled: 1-line block ×7, first 2 shown]
	s_waitcnt vmcnt(23) lgkmcnt(0)
	v_fma_f64 v[93:94], v[105:106], v[97:98], v[93:94]
	s_waitcnt vmcnt(21)
	v_fma_f64 v[104:105], v[107:108], v[99:100], v[93:94]
	ds_read2_b64 v[93:96], v92 offset0:67 offset1:68
	ds_read2_b64 v[97:100], v92 offset0:69 offset1:70
	s_waitcnt vmcnt(19) lgkmcnt(1)
	v_fma_f64 v[93:94], v[109:110], v[93:94], v[104:105]
	buffer_load_dword v104, off, s[0:3], 0 offset:252
	s_waitcnt vmcnt(18)
	v_fma_f64 v[93:94], v[111:112], v[95:96], v[93:94]
	buffer_load_dword v106, off, s[0:3], 0 offset:260
	buffer_load_dword v107, off, s[0:3], 0 offset:280
	buffer_load_dword v109, off, s[0:3], 0 offset:272
	buffer_load_dword v111, off, s[0:3], 0 offset:264
	buffer_load_dword v105, off, s[0:3], 0 offset:256
	buffer_load_dword v112, off, s[0:3], 0 offset:268
	buffer_load_dword v110, off, s[0:3], 0 offset:276
	buffer_load_dword v108, off, s[0:3], 0 offset:284
	s_waitcnt vmcnt(24) lgkmcnt(0)
	v_fma_f64 v[93:94], v[113:114], v[97:98], v[93:94]
	s_waitcnt vmcnt(19)
	v_fma_f64 v[113:114], v[115:116], v[99:100], v[93:94]
	ds_read2_b64 v[93:96], v92 offset0:71 offset1:72
	ds_read2_b64 v[97:100], v92 offset0:73 offset1:74
	s_waitcnt vmcnt(18) lgkmcnt(1)
	v_fma_f64 v[93:94], v[121:122], v[93:94], v[113:114]
	s_waitcnt vmcnt(17)
	v_fma_f64 v[93:94], v[119:120], v[95:96], v[93:94]
	buffer_load_dword v114, off, s[0:3], 0 offset:292
	buffer_load_dword v115, off, s[0:3], 0 offset:312
	buffer_load_dword v119, off, s[0:3], 0 offset:304
	buffer_load_dword v121, off, s[0:3], 0 offset:296
	buffer_load_dword v113, off, s[0:3], 0 offset:288
	buffer_load_dword v122, off, s[0:3], 0 offset:300
	buffer_load_dword v120, off, s[0:3], 0 offset:308
	buffer_load_dword v116, off, s[0:3], 0 offset:316
	s_waitcnt vmcnt(24) lgkmcnt(0)
	v_fma_f64 v[93:94], v[117:118], v[97:98], v[93:94]
	s_waitcnt vmcnt(19)
	v_fma_f64 v[101:102], v[101:102], v[99:100], v[93:94]
	ds_read2_b64 v[93:96], v92 offset0:75 offset1:76
	ds_read2_b64 v[97:100], v92 offset0:77 offset1:78
	s_waitcnt vmcnt(18) lgkmcnt(1)
	v_fma_f64 v[93:94], v[125:126], v[93:94], v[101:102]
	;; [unrolled: 18-line block ×3, first 2 shown]
	buffer_load_dword v104, off, s[0:3], 0 offset:356
	buffer_load_dword v103, off, s[0:3], 0 offset:352
	;; [unrolled: 1-line block ×4, first 2 shown]
	s_waitcnt vmcnt(21)
	v_fma_f64 v[93:94], v[109:110], v[95:96], v[93:94]
	s_waitcnt vmcnt(20) lgkmcnt(0)
	v_fma_f64 v[93:94], v[107:108], v[97:98], v[93:94]
	s_waitcnt vmcnt(15)
	v_fma_f64 v[107:108], v[113:114], v[99:100], v[93:94]
	ds_read2_b64 v[93:96], v92 offset0:83 offset1:84
	ds_read2_b64 v[97:100], v92 offset0:85 offset1:86
	s_waitcnt vmcnt(14) lgkmcnt(1)
	v_fma_f64 v[93:94], v[121:122], v[93:94], v[107:108]
	s_waitcnt vmcnt(13)
	v_fma_f64 v[93:94], v[119:120], v[95:96], v[93:94]
	s_waitcnt vmcnt(12) lgkmcnt(0)
	v_fma_f64 v[93:94], v[115:116], v[97:98], v[93:94]
	s_waitcnt vmcnt(7)
	v_fma_f64 v[101:102], v[101:102], v[99:100], v[93:94]
	ds_read2_b64 v[93:96], v92 offset0:87 offset1:88
	ds_read2_b64 v[97:100], v92 offset0:89 offset1:90
	s_waitcnt vmcnt(6) lgkmcnt(1)
	v_fma_f64 v[92:93], v[125:126], v[93:94], v[101:102]
	s_waitcnt vmcnt(5)
	v_fma_f64 v[92:93], v[123:124], v[95:96], v[92:93]
	s_waitcnt vmcnt(4) lgkmcnt(0)
	v_fma_f64 v[92:93], v[117:118], v[97:98], v[92:93]
	s_waitcnt vmcnt(2)
	v_fma_f64 v[92:93], v[103:104], v[99:100], v[92:93]
	s_waitcnt vmcnt(0)
	v_add_f64 v[92:93], v[105:106], -v[92:93]
	buffer_store_dword v93, off, s[0:3], 0 offset:132
	buffer_store_dword v92, off, s[0:3], 0 offset:128
	s_and_saveexec_b64 s[4:5], vcc
	s_cbranch_execz .LBB108_247
; %bb.246:
	buffer_load_dword v92, off, s[0:3], 0 offset:120
	buffer_load_dword v93, off, s[0:3], 0 offset:124
	v_mov_b32_e32 v94, 0
	buffer_store_dword v94, off, s[0:3], 0 offset:120
	buffer_store_dword v94, off, s[0:3], 0 offset:124
	s_waitcnt vmcnt(2)
	ds_write_b64 v91, v[92:93]
.LBB108_247:
	s_or_b64 exec, exec, s[4:5]
	s_waitcnt lgkmcnt(0)
	; wave barrier
	buffer_load_dword v101, off, s[0:3], 0 offset:128
	buffer_load_dword v102, off, s[0:3], 0 offset:132
	buffer_load_dword v103, off, s[0:3], 0 offset:136
	buffer_load_dword v104, off, s[0:3], 0 offset:140
	buffer_load_dword v105, off, s[0:3], 0 offset:144
	buffer_load_dword v106, off, s[0:3], 0 offset:148
	buffer_load_dword v107, off, s[0:3], 0 offset:152
	buffer_load_dword v108, off, s[0:3], 0 offset:156
	buffer_load_dword v109, off, s[0:3], 0 offset:160
	buffer_load_dword v110, off, s[0:3], 0 offset:164
	buffer_load_dword v111, off, s[0:3], 0 offset:168
	buffer_load_dword v112, off, s[0:3], 0 offset:172
	buffer_load_dword v113, off, s[0:3], 0 offset:176
	buffer_load_dword v114, off, s[0:3], 0 offset:180
	buffer_load_dword v116, off, s[0:3], 0 offset:188
	buffer_load_dword v117, off, s[0:3], 0 offset:208
	buffer_load_dword v119, off, s[0:3], 0 offset:200
	buffer_load_dword v121, off, s[0:3], 0 offset:192
	buffer_load_dword v115, off, s[0:3], 0 offset:184
	buffer_load_dword v122, off, s[0:3], 0 offset:196
	buffer_load_dword v120, off, s[0:3], 0 offset:204
	buffer_load_dword v118, off, s[0:3], 0 offset:212
	v_mov_b32_e32 v92, 0
	ds_read_b128 v[93:96], v92 offset:496
	ds_read_b128 v[97:100], v92 offset:512
	v_cmp_lt_u32_e32 vcc, 14, v0
	s_waitcnt vmcnt(20) lgkmcnt(1)
	v_fma_f64 v[93:94], v[101:102], v[93:94], 0
	s_waitcnt vmcnt(18)
	v_fma_f64 v[93:94], v[103:104], v[95:96], v[93:94]
	buffer_load_dword v102, off, s[0:3], 0 offset:220
	buffer_load_dword v103, off, s[0:3], 0 offset:240
	;; [unrolled: 1-line block ×7, first 2 shown]
	s_waitcnt vmcnt(23) lgkmcnt(0)
	v_fma_f64 v[93:94], v[105:106], v[97:98], v[93:94]
	s_waitcnt vmcnt(21)
	v_fma_f64 v[104:105], v[107:108], v[99:100], v[93:94]
	ds_read_b128 v[93:96], v92 offset:528
	ds_read_b128 v[97:100], v92 offset:544
	s_waitcnt vmcnt(19) lgkmcnt(1)
	v_fma_f64 v[93:94], v[109:110], v[93:94], v[104:105]
	buffer_load_dword v104, off, s[0:3], 0 offset:244
	s_waitcnt vmcnt(18)
	v_fma_f64 v[93:94], v[111:112], v[95:96], v[93:94]
	buffer_load_dword v106, off, s[0:3], 0 offset:252
	buffer_load_dword v107, off, s[0:3], 0 offset:272
	;; [unrolled: 1-line block ×7, first 2 shown]
	s_waitcnt vmcnt(23) lgkmcnt(0)
	v_fma_f64 v[93:94], v[113:114], v[97:98], v[93:94]
	s_waitcnt vmcnt(18)
	v_fma_f64 v[113:114], v[115:116], v[99:100], v[93:94]
	ds_read_b128 v[93:96], v92 offset:560
	ds_read_b128 v[97:100], v92 offset:576
	buffer_load_dword v108, off, s[0:3], 0 offset:276
	s_waitcnt vmcnt(18) lgkmcnt(1)
	v_fma_f64 v[93:94], v[121:122], v[93:94], v[113:114]
	s_waitcnt vmcnt(17)
	v_fma_f64 v[93:94], v[119:120], v[95:96], v[93:94]
	buffer_load_dword v114, off, s[0:3], 0 offset:284
	buffer_load_dword v115, off, s[0:3], 0 offset:304
	;; [unrolled: 1-line block ×8, first 2 shown]
	s_waitcnt vmcnt(24) lgkmcnt(0)
	v_fma_f64 v[93:94], v[117:118], v[97:98], v[93:94]
	s_waitcnt vmcnt(19)
	v_fma_f64 v[101:102], v[101:102], v[99:100], v[93:94]
	ds_read_b128 v[93:96], v92 offset:592
	ds_read_b128 v[97:100], v92 offset:608
	s_waitcnt vmcnt(18) lgkmcnt(1)
	v_fma_f64 v[93:94], v[125:126], v[93:94], v[101:102]
	s_waitcnt vmcnt(17)
	v_fma_f64 v[93:94], v[123:124], v[95:96], v[93:94]
	buffer_load_dword v102, off, s[0:3], 0 offset:316
	buffer_load_dword v117, off, s[0:3], 0 offset:336
	;; [unrolled: 1-line block ×7, first 2 shown]
	s_waitcnt vmcnt(23) lgkmcnt(0)
	v_fma_f64 v[93:94], v[103:104], v[97:98], v[93:94]
	s_waitcnt vmcnt(18)
	v_fma_f64 v[103:104], v[105:106], v[99:100], v[93:94]
	ds_read_b128 v[93:96], v92 offset:624
	ds_read_b128 v[97:100], v92 offset:640
	buffer_load_dword v118, off, s[0:3], 0 offset:340
	s_waitcnt vmcnt(18) lgkmcnt(1)
	v_fma_f64 v[93:94], v[111:112], v[93:94], v[103:104]
	buffer_load_dword v104, off, s[0:3], 0 offset:348
	buffer_load_dword v105, off, s[0:3], 0 offset:352
	;; [unrolled: 1-line block ×4, first 2 shown]
	s_waitcnt vmcnt(21)
	v_fma_f64 v[93:94], v[109:110], v[95:96], v[93:94]
	s_waitcnt vmcnt(20) lgkmcnt(0)
	v_fma_f64 v[93:94], v[107:108], v[97:98], v[93:94]
	buffer_load_dword v107, off, s[0:3], 0 offset:120
	buffer_load_dword v108, off, s[0:3], 0 offset:124
	s_waitcnt vmcnt(17)
	v_fma_f64 v[109:110], v[113:114], v[99:100], v[93:94]
	ds_read_b128 v[93:96], v92 offset:656
	ds_read_b128 v[97:100], v92 offset:672
	s_waitcnt vmcnt(16) lgkmcnt(1)
	v_fma_f64 v[93:94], v[121:122], v[93:94], v[109:110]
	s_waitcnt vmcnt(15)
	v_fma_f64 v[93:94], v[119:120], v[95:96], v[93:94]
	s_waitcnt vmcnt(14) lgkmcnt(0)
	v_fma_f64 v[93:94], v[115:116], v[97:98], v[93:94]
	s_waitcnt vmcnt(9)
	v_fma_f64 v[101:102], v[101:102], v[99:100], v[93:94]
	ds_read_b128 v[93:96], v92 offset:688
	ds_read_b128 v[97:100], v92 offset:704
	s_waitcnt vmcnt(8) lgkmcnt(1)
	v_fma_f64 v[93:94], v[125:126], v[93:94], v[101:102]
	s_waitcnt vmcnt(7)
	v_fma_f64 v[93:94], v[123:124], v[95:96], v[93:94]
	ds_read_b64 v[95:96], v92 offset:720
	s_waitcnt vmcnt(6) lgkmcnt(1)
	v_fma_f64 v[93:94], v[117:118], v[97:98], v[93:94]
	s_waitcnt vmcnt(3)
	v_fma_f64 v[93:94], v[103:104], v[99:100], v[93:94]
	s_waitcnt vmcnt(2) lgkmcnt(0)
	v_fma_f64 v[93:94], v[105:106], v[95:96], v[93:94]
	s_waitcnt vmcnt(0)
	v_add_f64 v[93:94], v[107:108], -v[93:94]
	buffer_store_dword v94, off, s[0:3], 0 offset:124
	buffer_store_dword v93, off, s[0:3], 0 offset:120
	s_and_saveexec_b64 s[4:5], vcc
	s_cbranch_execz .LBB108_249
; %bb.248:
	buffer_load_dword v93, off, s[0:3], 0 offset:112
	buffer_load_dword v94, off, s[0:3], 0 offset:116
	s_waitcnt vmcnt(0)
	ds_write_b64 v91, v[93:94]
	buffer_store_dword v92, off, s[0:3], 0 offset:112
	buffer_store_dword v92, off, s[0:3], 0 offset:116
.LBB108_249:
	s_or_b64 exec, exec, s[4:5]
	s_waitcnt lgkmcnt(0)
	; wave barrier
	buffer_load_dword v101, off, s[0:3], 0 offset:120
	buffer_load_dword v102, off, s[0:3], 0 offset:124
	;; [unrolled: 1-line block ×22, first 2 shown]
	ds_read2_b64 v[93:96], v92 offset0:61 offset1:62
	ds_read2_b64 v[97:100], v92 offset0:63 offset1:64
	v_cmp_lt_u32_e32 vcc, 13, v0
	s_waitcnt vmcnt(20) lgkmcnt(1)
	v_fma_f64 v[93:94], v[101:102], v[93:94], 0
	s_waitcnt vmcnt(18)
	v_fma_f64 v[93:94], v[103:104], v[95:96], v[93:94]
	buffer_load_dword v102, off, s[0:3], 0 offset:212
	buffer_load_dword v103, off, s[0:3], 0 offset:232
	;; [unrolled: 1-line block ×7, first 2 shown]
	s_waitcnt vmcnt(23) lgkmcnt(0)
	v_fma_f64 v[93:94], v[105:106], v[97:98], v[93:94]
	s_waitcnt vmcnt(21)
	v_fma_f64 v[104:105], v[107:108], v[99:100], v[93:94]
	ds_read2_b64 v[93:96], v92 offset0:65 offset1:66
	ds_read2_b64 v[97:100], v92 offset0:67 offset1:68
	s_waitcnt vmcnt(19) lgkmcnt(1)
	v_fma_f64 v[93:94], v[109:110], v[93:94], v[104:105]
	buffer_load_dword v104, off, s[0:3], 0 offset:236
	s_waitcnt vmcnt(18)
	v_fma_f64 v[93:94], v[111:112], v[95:96], v[93:94]
	buffer_load_dword v106, off, s[0:3], 0 offset:244
	buffer_load_dword v107, off, s[0:3], 0 offset:264
	;; [unrolled: 1-line block ×7, first 2 shown]
	s_waitcnt vmcnt(23) lgkmcnt(0)
	v_fma_f64 v[93:94], v[113:114], v[97:98], v[93:94]
	s_waitcnt vmcnt(18)
	v_fma_f64 v[113:114], v[115:116], v[99:100], v[93:94]
	ds_read2_b64 v[93:96], v92 offset0:69 offset1:70
	ds_read2_b64 v[97:100], v92 offset0:71 offset1:72
	buffer_load_dword v108, off, s[0:3], 0 offset:268
	s_waitcnt vmcnt(18) lgkmcnt(1)
	v_fma_f64 v[93:94], v[121:122], v[93:94], v[113:114]
	s_waitcnt vmcnt(17)
	v_fma_f64 v[93:94], v[119:120], v[95:96], v[93:94]
	buffer_load_dword v114, off, s[0:3], 0 offset:276
	buffer_load_dword v115, off, s[0:3], 0 offset:296
	;; [unrolled: 1-line block ×8, first 2 shown]
	s_waitcnt vmcnt(24) lgkmcnt(0)
	v_fma_f64 v[93:94], v[117:118], v[97:98], v[93:94]
	s_waitcnt vmcnt(19)
	v_fma_f64 v[101:102], v[101:102], v[99:100], v[93:94]
	ds_read2_b64 v[93:96], v92 offset0:73 offset1:74
	ds_read2_b64 v[97:100], v92 offset0:75 offset1:76
	s_waitcnt vmcnt(18) lgkmcnt(1)
	v_fma_f64 v[93:94], v[125:126], v[93:94], v[101:102]
	s_waitcnt vmcnt(17)
	v_fma_f64 v[93:94], v[123:124], v[95:96], v[93:94]
	buffer_load_dword v102, off, s[0:3], 0 offset:308
	buffer_load_dword v117, off, s[0:3], 0 offset:328
	;; [unrolled: 1-line block ×8, first 2 shown]
	s_waitcnt vmcnt(24) lgkmcnt(0)
	v_fma_f64 v[93:94], v[103:104], v[97:98], v[93:94]
	s_waitcnt vmcnt(19)
	v_fma_f64 v[103:104], v[105:106], v[99:100], v[93:94]
	ds_read2_b64 v[93:96], v92 offset0:77 offset1:78
	ds_read2_b64 v[97:100], v92 offset0:79 offset1:80
	s_waitcnt vmcnt(18) lgkmcnt(1)
	v_fma_f64 v[93:94], v[111:112], v[93:94], v[103:104]
	s_waitcnt vmcnt(17)
	v_fma_f64 v[93:94], v[109:110], v[95:96], v[93:94]
	buffer_load_dword v104, off, s[0:3], 0 offset:340
	buffer_load_dword v105, off, s[0:3], 0 offset:352
	;; [unrolled: 1-line block ×6, first 2 shown]
	s_waitcnt vmcnt(22) lgkmcnt(0)
	v_fma_f64 v[93:94], v[107:108], v[97:98], v[93:94]
	s_waitcnt vmcnt(17)
	v_fma_f64 v[107:108], v[113:114], v[99:100], v[93:94]
	ds_read2_b64 v[93:96], v92 offset0:81 offset1:82
	buffer_load_dword v111, off, s[0:3], 0 offset:112
	buffer_load_dword v112, off, s[0:3], 0 offset:116
	ds_read2_b64 v[97:100], v92 offset0:83 offset1:84
	s_waitcnt vmcnt(18) lgkmcnt(1)
	v_fma_f64 v[93:94], v[121:122], v[93:94], v[107:108]
	s_waitcnt vmcnt(17)
	v_fma_f64 v[93:94], v[119:120], v[95:96], v[93:94]
	s_waitcnt vmcnt(16) lgkmcnt(0)
	v_fma_f64 v[93:94], v[115:116], v[97:98], v[93:94]
	s_waitcnt vmcnt(11)
	v_fma_f64 v[101:102], v[101:102], v[99:100], v[93:94]
	ds_read2_b64 v[93:96], v92 offset0:85 offset1:86
	ds_read2_b64 v[97:100], v92 offset0:87 offset1:88
	s_waitcnt vmcnt(10) lgkmcnt(1)
	v_fma_f64 v[93:94], v[125:126], v[93:94], v[101:102]
	s_waitcnt vmcnt(9)
	v_fma_f64 v[93:94], v[123:124], v[95:96], v[93:94]
	s_waitcnt vmcnt(8) lgkmcnt(0)
	v_fma_f64 v[93:94], v[117:118], v[97:98], v[93:94]
	s_waitcnt vmcnt(4)
	v_fma_f64 v[96:97], v[103:104], v[99:100], v[93:94]
	ds_read2_b64 v[92:95], v92 offset0:89 offset1:90
	s_waitcnt vmcnt(3) lgkmcnt(0)
	v_fma_f64 v[92:93], v[109:110], v[92:93], v[96:97]
	s_waitcnt vmcnt(2)
	v_fma_f64 v[92:93], v[105:106], v[94:95], v[92:93]
	s_waitcnt vmcnt(0)
	v_add_f64 v[92:93], v[111:112], -v[92:93]
	buffer_store_dword v93, off, s[0:3], 0 offset:116
	buffer_store_dword v92, off, s[0:3], 0 offset:112
	s_and_saveexec_b64 s[4:5], vcc
	s_cbranch_execz .LBB108_251
; %bb.250:
	buffer_load_dword v92, off, s[0:3], 0 offset:104
	buffer_load_dword v93, off, s[0:3], 0 offset:108
	v_mov_b32_e32 v94, 0
	buffer_store_dword v94, off, s[0:3], 0 offset:104
	buffer_store_dword v94, off, s[0:3], 0 offset:108
	s_waitcnt vmcnt(2)
	ds_write_b64 v91, v[92:93]
.LBB108_251:
	s_or_b64 exec, exec, s[4:5]
	s_waitcnt lgkmcnt(0)
	; wave barrier
	buffer_load_dword v101, off, s[0:3], 0 offset:112
	buffer_load_dword v102, off, s[0:3], 0 offset:116
	;; [unrolled: 1-line block ×22, first 2 shown]
	v_mov_b32_e32 v92, 0
	ds_read_b128 v[93:96], v92 offset:480
	ds_read_b128 v[97:100], v92 offset:496
	v_cmp_lt_u32_e32 vcc, 12, v0
	s_waitcnt vmcnt(20) lgkmcnt(1)
	v_fma_f64 v[93:94], v[101:102], v[93:94], 0
	s_waitcnt vmcnt(18)
	v_fma_f64 v[93:94], v[103:104], v[95:96], v[93:94]
	buffer_load_dword v102, off, s[0:3], 0 offset:204
	buffer_load_dword v103, off, s[0:3], 0 offset:224
	;; [unrolled: 1-line block ×7, first 2 shown]
	s_waitcnt vmcnt(23) lgkmcnt(0)
	v_fma_f64 v[93:94], v[105:106], v[97:98], v[93:94]
	s_waitcnt vmcnt(21)
	v_fma_f64 v[104:105], v[107:108], v[99:100], v[93:94]
	ds_read_b128 v[93:96], v92 offset:512
	ds_read_b128 v[97:100], v92 offset:528
	s_waitcnt vmcnt(19) lgkmcnt(1)
	v_fma_f64 v[93:94], v[109:110], v[93:94], v[104:105]
	buffer_load_dword v104, off, s[0:3], 0 offset:228
	s_waitcnt vmcnt(18)
	v_fma_f64 v[93:94], v[111:112], v[95:96], v[93:94]
	buffer_load_dword v106, off, s[0:3], 0 offset:236
	buffer_load_dword v107, off, s[0:3], 0 offset:256
	;; [unrolled: 1-line block ×7, first 2 shown]
	s_waitcnt vmcnt(23) lgkmcnt(0)
	v_fma_f64 v[93:94], v[113:114], v[97:98], v[93:94]
	s_waitcnt vmcnt(18)
	v_fma_f64 v[113:114], v[115:116], v[99:100], v[93:94]
	ds_read_b128 v[93:96], v92 offset:544
	ds_read_b128 v[97:100], v92 offset:560
	buffer_load_dword v108, off, s[0:3], 0 offset:260
	s_waitcnt vmcnt(18) lgkmcnt(1)
	v_fma_f64 v[93:94], v[121:122], v[93:94], v[113:114]
	s_waitcnt vmcnt(17)
	v_fma_f64 v[93:94], v[119:120], v[95:96], v[93:94]
	buffer_load_dword v114, off, s[0:3], 0 offset:268
	buffer_load_dword v115, off, s[0:3], 0 offset:288
	buffer_load_dword v119, off, s[0:3], 0 offset:280
	buffer_load_dword v121, off, s[0:3], 0 offset:272
	buffer_load_dword v113, off, s[0:3], 0 offset:264
	buffer_load_dword v122, off, s[0:3], 0 offset:276
	buffer_load_dword v120, off, s[0:3], 0 offset:284
	buffer_load_dword v116, off, s[0:3], 0 offset:292
	s_waitcnt vmcnt(24) lgkmcnt(0)
	v_fma_f64 v[93:94], v[117:118], v[97:98], v[93:94]
	s_waitcnt vmcnt(19)
	v_fma_f64 v[101:102], v[101:102], v[99:100], v[93:94]
	ds_read_b128 v[93:96], v92 offset:576
	ds_read_b128 v[97:100], v92 offset:592
	s_waitcnt vmcnt(18) lgkmcnt(1)
	v_fma_f64 v[93:94], v[125:126], v[93:94], v[101:102]
	s_waitcnt vmcnt(17)
	v_fma_f64 v[93:94], v[123:124], v[95:96], v[93:94]
	buffer_load_dword v102, off, s[0:3], 0 offset:300
	buffer_load_dword v117, off, s[0:3], 0 offset:320
	buffer_load_dword v123, off, s[0:3], 0 offset:312
	buffer_load_dword v125, off, s[0:3], 0 offset:304
	buffer_load_dword v101, off, s[0:3], 0 offset:296
	buffer_load_dword v126, off, s[0:3], 0 offset:308
	buffer_load_dword v124, off, s[0:3], 0 offset:316
	buffer_load_dword v118, off, s[0:3], 0 offset:324
	s_waitcnt vmcnt(24) lgkmcnt(0)
	v_fma_f64 v[93:94], v[103:104], v[97:98], v[93:94]
	s_waitcnt vmcnt(19)
	v_fma_f64 v[103:104], v[105:106], v[99:100], v[93:94]
	ds_read_b128 v[93:96], v92 offset:608
	ds_read_b128 v[97:100], v92 offset:624
	;; [unrolled: 18-line block ×3, first 2 shown]
	s_waitcnt vmcnt(18) lgkmcnt(1)
	v_fma_f64 v[93:94], v[121:122], v[93:94], v[107:108]
	buffer_load_dword v107, off, s[0:3], 0 offset:104
	buffer_load_dword v108, off, s[0:3], 0 offset:108
	s_waitcnt vmcnt(19)
	v_fma_f64 v[93:94], v[119:120], v[95:96], v[93:94]
	s_waitcnt vmcnt(18) lgkmcnt(0)
	v_fma_f64 v[93:94], v[115:116], v[97:98], v[93:94]
	s_waitcnt vmcnt(13)
	v_fma_f64 v[101:102], v[101:102], v[99:100], v[93:94]
	ds_read_b128 v[93:96], v92 offset:672
	ds_read_b128 v[97:100], v92 offset:688
	s_waitcnt vmcnt(12) lgkmcnt(1)
	v_fma_f64 v[93:94], v[125:126], v[93:94], v[101:102]
	s_waitcnt vmcnt(11)
	v_fma_f64 v[93:94], v[123:124], v[95:96], v[93:94]
	s_waitcnt vmcnt(10) lgkmcnt(0)
	v_fma_f64 v[93:94], v[117:118], v[97:98], v[93:94]
	s_waitcnt vmcnt(5)
	v_fma_f64 v[97:98], v[103:104], v[99:100], v[93:94]
	ds_read_b128 v[93:96], v92 offset:704
	ds_read_b64 v[99:100], v92 offset:720
	s_waitcnt vmcnt(4) lgkmcnt(1)
	v_fma_f64 v[93:94], v[111:112], v[93:94], v[97:98]
	s_waitcnt vmcnt(3)
	v_fma_f64 v[93:94], v[109:110], v[95:96], v[93:94]
	s_waitcnt vmcnt(2) lgkmcnt(0)
	v_fma_f64 v[93:94], v[105:106], v[99:100], v[93:94]
	s_waitcnt vmcnt(0)
	v_add_f64 v[93:94], v[107:108], -v[93:94]
	buffer_store_dword v94, off, s[0:3], 0 offset:108
	buffer_store_dword v93, off, s[0:3], 0 offset:104
	s_and_saveexec_b64 s[4:5], vcc
	s_cbranch_execz .LBB108_253
; %bb.252:
	buffer_load_dword v93, off, s[0:3], 0 offset:96
	buffer_load_dword v94, off, s[0:3], 0 offset:100
	s_waitcnt vmcnt(0)
	ds_write_b64 v91, v[93:94]
	buffer_store_dword v92, off, s[0:3], 0 offset:96
	buffer_store_dword v92, off, s[0:3], 0 offset:100
.LBB108_253:
	s_or_b64 exec, exec, s[4:5]
	s_waitcnt lgkmcnt(0)
	; wave barrier
	buffer_load_dword v101, off, s[0:3], 0 offset:104
	buffer_load_dword v102, off, s[0:3], 0 offset:108
	;; [unrolled: 1-line block ×22, first 2 shown]
	ds_read2_b64 v[93:96], v92 offset0:59 offset1:60
	ds_read2_b64 v[97:100], v92 offset0:61 offset1:62
	v_cmp_lt_u32_e32 vcc, 11, v0
	s_waitcnt vmcnt(20) lgkmcnt(1)
	v_fma_f64 v[93:94], v[101:102], v[93:94], 0
	s_waitcnt vmcnt(18)
	v_fma_f64 v[93:94], v[103:104], v[95:96], v[93:94]
	buffer_load_dword v102, off, s[0:3], 0 offset:196
	buffer_load_dword v103, off, s[0:3], 0 offset:216
	;; [unrolled: 1-line block ×7, first 2 shown]
	s_waitcnt vmcnt(23) lgkmcnt(0)
	v_fma_f64 v[93:94], v[105:106], v[97:98], v[93:94]
	s_waitcnt vmcnt(21)
	v_fma_f64 v[104:105], v[107:108], v[99:100], v[93:94]
	ds_read2_b64 v[93:96], v92 offset0:63 offset1:64
	ds_read2_b64 v[97:100], v92 offset0:65 offset1:66
	s_waitcnt vmcnt(19) lgkmcnt(1)
	v_fma_f64 v[93:94], v[109:110], v[93:94], v[104:105]
	buffer_load_dword v104, off, s[0:3], 0 offset:220
	s_waitcnt vmcnt(18)
	v_fma_f64 v[93:94], v[111:112], v[95:96], v[93:94]
	buffer_load_dword v106, off, s[0:3], 0 offset:228
	buffer_load_dword v107, off, s[0:3], 0 offset:248
	;; [unrolled: 1-line block ×7, first 2 shown]
	s_waitcnt vmcnt(23) lgkmcnt(0)
	v_fma_f64 v[93:94], v[113:114], v[97:98], v[93:94]
	s_waitcnt vmcnt(18)
	v_fma_f64 v[113:114], v[115:116], v[99:100], v[93:94]
	ds_read2_b64 v[93:96], v92 offset0:67 offset1:68
	ds_read2_b64 v[97:100], v92 offset0:69 offset1:70
	buffer_load_dword v108, off, s[0:3], 0 offset:252
	s_waitcnt vmcnt(18) lgkmcnt(1)
	v_fma_f64 v[93:94], v[121:122], v[93:94], v[113:114]
	s_waitcnt vmcnt(17)
	v_fma_f64 v[93:94], v[119:120], v[95:96], v[93:94]
	buffer_load_dword v114, off, s[0:3], 0 offset:260
	buffer_load_dword v115, off, s[0:3], 0 offset:280
	buffer_load_dword v119, off, s[0:3], 0 offset:272
	buffer_load_dword v121, off, s[0:3], 0 offset:264
	buffer_load_dword v113, off, s[0:3], 0 offset:256
	buffer_load_dword v122, off, s[0:3], 0 offset:268
	buffer_load_dword v120, off, s[0:3], 0 offset:276
	buffer_load_dword v116, off, s[0:3], 0 offset:284
	s_waitcnt vmcnt(24) lgkmcnt(0)
	v_fma_f64 v[93:94], v[117:118], v[97:98], v[93:94]
	s_waitcnt vmcnt(19)
	v_fma_f64 v[101:102], v[101:102], v[99:100], v[93:94]
	ds_read2_b64 v[93:96], v92 offset0:71 offset1:72
	ds_read2_b64 v[97:100], v92 offset0:73 offset1:74
	s_waitcnt vmcnt(18) lgkmcnt(1)
	v_fma_f64 v[93:94], v[125:126], v[93:94], v[101:102]
	s_waitcnt vmcnt(17)
	v_fma_f64 v[93:94], v[123:124], v[95:96], v[93:94]
	buffer_load_dword v102, off, s[0:3], 0 offset:292
	buffer_load_dword v117, off, s[0:3], 0 offset:312
	buffer_load_dword v123, off, s[0:3], 0 offset:304
	buffer_load_dword v125, off, s[0:3], 0 offset:296
	buffer_load_dword v101, off, s[0:3], 0 offset:288
	buffer_load_dword v126, off, s[0:3], 0 offset:300
	buffer_load_dword v124, off, s[0:3], 0 offset:308
	buffer_load_dword v118, off, s[0:3], 0 offset:316
	s_waitcnt vmcnt(24) lgkmcnt(0)
	v_fma_f64 v[93:94], v[103:104], v[97:98], v[93:94]
	s_waitcnt vmcnt(19)
	v_fma_f64 v[103:104], v[105:106], v[99:100], v[93:94]
	ds_read2_b64 v[93:96], v92 offset0:75 offset1:76
	ds_read2_b64 v[97:100], v92 offset0:77 offset1:78
	;; [unrolled: 18-line block ×3, first 2 shown]
	s_waitcnt vmcnt(18) lgkmcnt(1)
	v_fma_f64 v[93:94], v[121:122], v[93:94], v[107:108]
	buffer_load_dword v108, off, s[0:3], 0 offset:356
	buffer_load_dword v107, off, s[0:3], 0 offset:352
	;; [unrolled: 1-line block ×4, first 2 shown]
	s_waitcnt vmcnt(21)
	v_fma_f64 v[93:94], v[119:120], v[95:96], v[93:94]
	s_waitcnt vmcnt(20) lgkmcnt(0)
	v_fma_f64 v[93:94], v[115:116], v[97:98], v[93:94]
	s_waitcnt vmcnt(15)
	v_fma_f64 v[101:102], v[101:102], v[99:100], v[93:94]
	ds_read2_b64 v[93:96], v92 offset0:83 offset1:84
	ds_read2_b64 v[97:100], v92 offset0:85 offset1:86
	s_waitcnt vmcnt(14) lgkmcnt(1)
	v_fma_f64 v[93:94], v[125:126], v[93:94], v[101:102]
	s_waitcnt vmcnt(13)
	v_fma_f64 v[93:94], v[123:124], v[95:96], v[93:94]
	s_waitcnt vmcnt(12) lgkmcnt(0)
	v_fma_f64 v[93:94], v[117:118], v[97:98], v[93:94]
	s_waitcnt vmcnt(7)
	v_fma_f64 v[101:102], v[103:104], v[99:100], v[93:94]
	ds_read2_b64 v[93:96], v92 offset0:87 offset1:88
	ds_read2_b64 v[97:100], v92 offset0:89 offset1:90
	s_waitcnt vmcnt(6) lgkmcnt(1)
	v_fma_f64 v[92:93], v[111:112], v[93:94], v[101:102]
	s_waitcnt vmcnt(5)
	v_fma_f64 v[92:93], v[109:110], v[95:96], v[92:93]
	s_waitcnt vmcnt(4) lgkmcnt(0)
	v_fma_f64 v[92:93], v[105:106], v[97:98], v[92:93]
	s_waitcnt vmcnt(2)
	v_fma_f64 v[92:93], v[107:108], v[99:100], v[92:93]
	s_waitcnt vmcnt(0)
	v_add_f64 v[92:93], v[113:114], -v[92:93]
	buffer_store_dword v93, off, s[0:3], 0 offset:100
	buffer_store_dword v92, off, s[0:3], 0 offset:96
	s_and_saveexec_b64 s[4:5], vcc
	s_cbranch_execz .LBB108_255
; %bb.254:
	buffer_load_dword v92, off, s[0:3], 0 offset:88
	buffer_load_dword v93, off, s[0:3], 0 offset:92
	v_mov_b32_e32 v94, 0
	buffer_store_dword v94, off, s[0:3], 0 offset:88
	buffer_store_dword v94, off, s[0:3], 0 offset:92
	s_waitcnt vmcnt(2)
	ds_write_b64 v91, v[92:93]
.LBB108_255:
	s_or_b64 exec, exec, s[4:5]
	s_waitcnt lgkmcnt(0)
	; wave barrier
	buffer_load_dword v101, off, s[0:3], 0 offset:96
	buffer_load_dword v102, off, s[0:3], 0 offset:100
	;; [unrolled: 1-line block ×21, first 2 shown]
	v_mov_b32_e32 v92, 0
	ds_read_b128 v[93:96], v92 offset:464
	ds_read_b128 v[97:100], v92 offset:480
	buffer_load_dword v118, off, s[0:3], 0 offset:180
	v_cmp_lt_u32_e32 vcc, 10, v0
	s_waitcnt vmcnt(20) lgkmcnt(1)
	v_fma_f64 v[93:94], v[101:102], v[93:94], 0
	s_waitcnt vmcnt(18)
	v_fma_f64 v[93:94], v[103:104], v[95:96], v[93:94]
	buffer_load_dword v102, off, s[0:3], 0 offset:188
	buffer_load_dword v103, off, s[0:3], 0 offset:208
	;; [unrolled: 1-line block ×7, first 2 shown]
	s_waitcnt vmcnt(23) lgkmcnt(0)
	v_fma_f64 v[93:94], v[105:106], v[97:98], v[93:94]
	s_waitcnt vmcnt(21)
	v_fma_f64 v[104:105], v[107:108], v[99:100], v[93:94]
	ds_read_b128 v[93:96], v92 offset:496
	ds_read_b128 v[97:100], v92 offset:512
	s_waitcnt vmcnt(19) lgkmcnt(1)
	v_fma_f64 v[93:94], v[109:110], v[93:94], v[104:105]
	buffer_load_dword v104, off, s[0:3], 0 offset:212
	s_waitcnt vmcnt(18)
	v_fma_f64 v[93:94], v[111:112], v[95:96], v[93:94]
	buffer_load_dword v106, off, s[0:3], 0 offset:220
	buffer_load_dword v107, off, s[0:3], 0 offset:240
	;; [unrolled: 1-line block ×7, first 2 shown]
	s_waitcnt vmcnt(23) lgkmcnt(0)
	v_fma_f64 v[93:94], v[113:114], v[97:98], v[93:94]
	s_waitcnt vmcnt(18)
	v_fma_f64 v[113:114], v[115:116], v[99:100], v[93:94]
	ds_read_b128 v[93:96], v92 offset:528
	ds_read_b128 v[97:100], v92 offset:544
	buffer_load_dword v108, off, s[0:3], 0 offset:244
	s_waitcnt vmcnt(18) lgkmcnt(1)
	v_fma_f64 v[93:94], v[121:122], v[93:94], v[113:114]
	s_waitcnt vmcnt(17)
	v_fma_f64 v[93:94], v[119:120], v[95:96], v[93:94]
	buffer_load_dword v114, off, s[0:3], 0 offset:252
	buffer_load_dword v115, off, s[0:3], 0 offset:272
	;; [unrolled: 1-line block ×7, first 2 shown]
	s_waitcnt vmcnt(23) lgkmcnt(0)
	v_fma_f64 v[93:94], v[117:118], v[97:98], v[93:94]
	s_waitcnt vmcnt(18)
	v_fma_f64 v[101:102], v[101:102], v[99:100], v[93:94]
	ds_read_b128 v[93:96], v92 offset:560
	ds_read_b128 v[97:100], v92 offset:576
	buffer_load_dword v116, off, s[0:3], 0 offset:276
	s_waitcnt vmcnt(18) lgkmcnt(1)
	v_fma_f64 v[93:94], v[125:126], v[93:94], v[101:102]
	s_waitcnt vmcnt(17)
	v_fma_f64 v[93:94], v[123:124], v[95:96], v[93:94]
	buffer_load_dword v102, off, s[0:3], 0 offset:284
	buffer_load_dword v117, off, s[0:3], 0 offset:304
	buffer_load_dword v123, off, s[0:3], 0 offset:296
	buffer_load_dword v125, off, s[0:3], 0 offset:288
	buffer_load_dword v101, off, s[0:3], 0 offset:280
	buffer_load_dword v126, off, s[0:3], 0 offset:292
	buffer_load_dword v124, off, s[0:3], 0 offset:300
	buffer_load_dword v118, off, s[0:3], 0 offset:308
	s_waitcnt vmcnt(24) lgkmcnt(0)
	v_fma_f64 v[93:94], v[103:104], v[97:98], v[93:94]
	s_waitcnt vmcnt(19)
	v_fma_f64 v[103:104], v[105:106], v[99:100], v[93:94]
	ds_read_b128 v[93:96], v92 offset:592
	ds_read_b128 v[97:100], v92 offset:608
	s_waitcnt vmcnt(18) lgkmcnt(1)
	v_fma_f64 v[93:94], v[111:112], v[93:94], v[103:104]
	s_waitcnt vmcnt(17)
	v_fma_f64 v[93:94], v[109:110], v[95:96], v[93:94]
	buffer_load_dword v104, off, s[0:3], 0 offset:316
	buffer_load_dword v105, off, s[0:3], 0 offset:336
	;; [unrolled: 1-line block ×7, first 2 shown]
	s_waitcnt vmcnt(23) lgkmcnt(0)
	v_fma_f64 v[93:94], v[107:108], v[97:98], v[93:94]
	s_waitcnt vmcnt(18)
	v_fma_f64 v[106:107], v[113:114], v[99:100], v[93:94]
	ds_read_b128 v[93:96], v92 offset:624
	ds_read_b128 v[97:100], v92 offset:640
	s_waitcnt vmcnt(17) lgkmcnt(1)
	v_fma_f64 v[93:94], v[121:122], v[93:94], v[106:107]
	buffer_load_dword v106, off, s[0:3], 0 offset:340
	buffer_load_dword v108, off, s[0:3], 0 offset:348
	;; [unrolled: 1-line block ×5, first 2 shown]
	s_waitcnt vmcnt(21)
	v_fma_f64 v[93:94], v[119:120], v[95:96], v[93:94]
	s_waitcnt vmcnt(20) lgkmcnt(0)
	v_fma_f64 v[93:94], v[115:116], v[97:98], v[93:94]
	buffer_load_dword v115, off, s[0:3], 0 offset:88
	buffer_load_dword v116, off, s[0:3], 0 offset:92
	s_waitcnt vmcnt(17)
	v_fma_f64 v[101:102], v[101:102], v[99:100], v[93:94]
	ds_read_b128 v[93:96], v92 offset:656
	ds_read_b128 v[97:100], v92 offset:672
	s_waitcnt vmcnt(16) lgkmcnt(1)
	v_fma_f64 v[93:94], v[125:126], v[93:94], v[101:102]
	s_waitcnt vmcnt(15)
	v_fma_f64 v[93:94], v[123:124], v[95:96], v[93:94]
	s_waitcnt vmcnt(14) lgkmcnt(0)
	v_fma_f64 v[93:94], v[117:118], v[97:98], v[93:94]
	s_waitcnt vmcnt(9)
	v_fma_f64 v[101:102], v[103:104], v[99:100], v[93:94]
	ds_read_b128 v[93:96], v92 offset:688
	ds_read_b128 v[97:100], v92 offset:704
	s_waitcnt vmcnt(8) lgkmcnt(1)
	v_fma_f64 v[93:94], v[111:112], v[93:94], v[101:102]
	s_waitcnt vmcnt(7)
	v_fma_f64 v[93:94], v[109:110], v[95:96], v[93:94]
	ds_read_b64 v[95:96], v92 offset:720
	s_waitcnt vmcnt(6) lgkmcnt(1)
	v_fma_f64 v[93:94], v[105:106], v[97:98], v[93:94]
	s_waitcnt vmcnt(3)
	v_fma_f64 v[93:94], v[107:108], v[99:100], v[93:94]
	s_waitcnt vmcnt(2) lgkmcnt(0)
	v_fma_f64 v[93:94], v[113:114], v[95:96], v[93:94]
	s_waitcnt vmcnt(0)
	v_add_f64 v[93:94], v[115:116], -v[93:94]
	buffer_store_dword v94, off, s[0:3], 0 offset:92
	buffer_store_dword v93, off, s[0:3], 0 offset:88
	s_and_saveexec_b64 s[4:5], vcc
	s_cbranch_execz .LBB108_257
; %bb.256:
	buffer_load_dword v93, off, s[0:3], 0 offset:80
	buffer_load_dword v94, off, s[0:3], 0 offset:84
	s_waitcnt vmcnt(0)
	ds_write_b64 v91, v[93:94]
	buffer_store_dword v92, off, s[0:3], 0 offset:80
	buffer_store_dword v92, off, s[0:3], 0 offset:84
.LBB108_257:
	s_or_b64 exec, exec, s[4:5]
	s_waitcnt lgkmcnt(0)
	; wave barrier
	buffer_load_dword v101, off, s[0:3], 0 offset:88
	buffer_load_dword v102, off, s[0:3], 0 offset:92
	buffer_load_dword v103, off, s[0:3], 0 offset:96
	buffer_load_dword v104, off, s[0:3], 0 offset:100
	buffer_load_dword v105, off, s[0:3], 0 offset:104
	buffer_load_dword v106, off, s[0:3], 0 offset:108
	buffer_load_dword v107, off, s[0:3], 0 offset:112
	buffer_load_dword v108, off, s[0:3], 0 offset:116
	buffer_load_dword v109, off, s[0:3], 0 offset:120
	buffer_load_dword v110, off, s[0:3], 0 offset:124
	buffer_load_dword v111, off, s[0:3], 0 offset:128
	buffer_load_dword v112, off, s[0:3], 0 offset:132
	buffer_load_dword v113, off, s[0:3], 0 offset:136
	buffer_load_dword v114, off, s[0:3], 0 offset:140
	buffer_load_dword v116, off, s[0:3], 0 offset:148
	buffer_load_dword v117, off, s[0:3], 0 offset:168
	buffer_load_dword v119, off, s[0:3], 0 offset:160
	buffer_load_dword v121, off, s[0:3], 0 offset:152
	buffer_load_dword v115, off, s[0:3], 0 offset:144
	buffer_load_dword v122, off, s[0:3], 0 offset:156
	buffer_load_dword v120, off, s[0:3], 0 offset:164
	ds_read2_b64 v[93:96], v92 offset0:57 offset1:58
	ds_read2_b64 v[97:100], v92 offset0:59 offset1:60
	buffer_load_dword v118, off, s[0:3], 0 offset:172
	v_cmp_lt_u32_e32 vcc, 9, v0
	s_waitcnt vmcnt(20) lgkmcnt(1)
	v_fma_f64 v[93:94], v[101:102], v[93:94], 0
	s_waitcnt vmcnt(18)
	v_fma_f64 v[93:94], v[103:104], v[95:96], v[93:94]
	buffer_load_dword v102, off, s[0:3], 0 offset:180
	buffer_load_dword v103, off, s[0:3], 0 offset:200
	;; [unrolled: 1-line block ×7, first 2 shown]
	s_waitcnt vmcnt(23) lgkmcnt(0)
	v_fma_f64 v[93:94], v[105:106], v[97:98], v[93:94]
	s_waitcnt vmcnt(21)
	v_fma_f64 v[104:105], v[107:108], v[99:100], v[93:94]
	ds_read2_b64 v[93:96], v92 offset0:61 offset1:62
	ds_read2_b64 v[97:100], v92 offset0:63 offset1:64
	s_waitcnt vmcnt(19) lgkmcnt(1)
	v_fma_f64 v[93:94], v[109:110], v[93:94], v[104:105]
	buffer_load_dword v104, off, s[0:3], 0 offset:204
	s_waitcnt vmcnt(18)
	v_fma_f64 v[93:94], v[111:112], v[95:96], v[93:94]
	buffer_load_dword v106, off, s[0:3], 0 offset:212
	buffer_load_dword v107, off, s[0:3], 0 offset:232
	;; [unrolled: 1-line block ×8, first 2 shown]
	s_waitcnt vmcnt(24) lgkmcnt(0)
	v_fma_f64 v[93:94], v[113:114], v[97:98], v[93:94]
	s_waitcnt vmcnt(19)
	v_fma_f64 v[113:114], v[115:116], v[99:100], v[93:94]
	ds_read2_b64 v[93:96], v92 offset0:65 offset1:66
	ds_read2_b64 v[97:100], v92 offset0:67 offset1:68
	s_waitcnt vmcnt(18) lgkmcnt(1)
	v_fma_f64 v[93:94], v[121:122], v[93:94], v[113:114]
	s_waitcnt vmcnt(17)
	v_fma_f64 v[93:94], v[119:120], v[95:96], v[93:94]
	buffer_load_dword v114, off, s[0:3], 0 offset:244
	buffer_load_dword v115, off, s[0:3], 0 offset:264
	buffer_load_dword v119, off, s[0:3], 0 offset:256
	buffer_load_dword v121, off, s[0:3], 0 offset:248
	buffer_load_dword v113, off, s[0:3], 0 offset:240
	buffer_load_dword v122, off, s[0:3], 0 offset:252
	buffer_load_dword v120, off, s[0:3], 0 offset:260
	s_waitcnt vmcnt(23) lgkmcnt(0)
	v_fma_f64 v[93:94], v[117:118], v[97:98], v[93:94]
	s_waitcnt vmcnt(18)
	v_fma_f64 v[101:102], v[101:102], v[99:100], v[93:94]
	ds_read2_b64 v[93:96], v92 offset0:69 offset1:70
	ds_read2_b64 v[97:100], v92 offset0:71 offset1:72
	buffer_load_dword v116, off, s[0:3], 0 offset:268
	s_waitcnt vmcnt(18) lgkmcnt(1)
	v_fma_f64 v[93:94], v[125:126], v[93:94], v[101:102]
	s_waitcnt vmcnt(17)
	v_fma_f64 v[93:94], v[123:124], v[95:96], v[93:94]
	buffer_load_dword v102, off, s[0:3], 0 offset:276
	buffer_load_dword v117, off, s[0:3], 0 offset:296
	;; [unrolled: 1-line block ×8, first 2 shown]
	s_waitcnt vmcnt(24) lgkmcnt(0)
	v_fma_f64 v[93:94], v[103:104], v[97:98], v[93:94]
	s_waitcnt vmcnt(19)
	v_fma_f64 v[103:104], v[105:106], v[99:100], v[93:94]
	ds_read2_b64 v[93:96], v92 offset0:73 offset1:74
	ds_read2_b64 v[97:100], v92 offset0:75 offset1:76
	s_waitcnt vmcnt(18) lgkmcnt(1)
	v_fma_f64 v[93:94], v[111:112], v[93:94], v[103:104]
	s_waitcnt vmcnt(17)
	v_fma_f64 v[93:94], v[109:110], v[95:96], v[93:94]
	buffer_load_dword v104, off, s[0:3], 0 offset:308
	buffer_load_dword v105, off, s[0:3], 0 offset:328
	;; [unrolled: 1-line block ×7, first 2 shown]
	s_waitcnt vmcnt(23) lgkmcnt(0)
	v_fma_f64 v[93:94], v[107:108], v[97:98], v[93:94]
	s_waitcnt vmcnt(18)
	v_fma_f64 v[106:107], v[113:114], v[99:100], v[93:94]
	ds_read2_b64 v[93:96], v92 offset0:77 offset1:78
	ds_read2_b64 v[97:100], v92 offset0:79 offset1:80
	s_waitcnt vmcnt(17) lgkmcnt(1)
	v_fma_f64 v[93:94], v[121:122], v[93:94], v[106:107]
	buffer_load_dword v106, off, s[0:3], 0 offset:332
	s_waitcnt vmcnt(17)
	v_fma_f64 v[93:94], v[119:120], v[95:96], v[93:94]
	buffer_load_dword v108, off, s[0:3], 0 offset:340
	buffer_load_dword v113, off, s[0:3], 0 offset:352
	;; [unrolled: 1-line block ×6, first 2 shown]
	s_waitcnt vmcnt(22) lgkmcnt(0)
	v_fma_f64 v[93:94], v[115:116], v[97:98], v[93:94]
	s_waitcnt vmcnt(17)
	v_fma_f64 v[101:102], v[101:102], v[99:100], v[93:94]
	ds_read2_b64 v[93:96], v92 offset0:81 offset1:82
	buffer_load_dword v115, off, s[0:3], 0 offset:80
	buffer_load_dword v116, off, s[0:3], 0 offset:84
	ds_read2_b64 v[97:100], v92 offset0:83 offset1:84
	s_waitcnt vmcnt(18) lgkmcnt(1)
	v_fma_f64 v[93:94], v[125:126], v[93:94], v[101:102]
	s_waitcnt vmcnt(17)
	v_fma_f64 v[93:94], v[123:124], v[95:96], v[93:94]
	s_waitcnt vmcnt(16) lgkmcnt(0)
	v_fma_f64 v[93:94], v[117:118], v[97:98], v[93:94]
	s_waitcnt vmcnt(11)
	v_fma_f64 v[101:102], v[103:104], v[99:100], v[93:94]
	ds_read2_b64 v[93:96], v92 offset0:85 offset1:86
	ds_read2_b64 v[97:100], v92 offset0:87 offset1:88
	s_waitcnt vmcnt(10) lgkmcnt(1)
	v_fma_f64 v[93:94], v[111:112], v[93:94], v[101:102]
	s_waitcnt vmcnt(9)
	v_fma_f64 v[93:94], v[109:110], v[95:96], v[93:94]
	s_waitcnt vmcnt(8) lgkmcnt(0)
	v_fma_f64 v[93:94], v[105:106], v[97:98], v[93:94]
	s_waitcnt vmcnt(4)
	v_fma_f64 v[96:97], v[107:108], v[99:100], v[93:94]
	ds_read2_b64 v[92:95], v92 offset0:89 offset1:90
	s_waitcnt vmcnt(3) lgkmcnt(0)
	v_fma_f64 v[92:93], v[119:120], v[92:93], v[96:97]
	s_waitcnt vmcnt(2)
	v_fma_f64 v[92:93], v[113:114], v[94:95], v[92:93]
	s_waitcnt vmcnt(0)
	v_add_f64 v[92:93], v[115:116], -v[92:93]
	buffer_store_dword v93, off, s[0:3], 0 offset:84
	buffer_store_dword v92, off, s[0:3], 0 offset:80
	s_and_saveexec_b64 s[4:5], vcc
	s_cbranch_execz .LBB108_259
; %bb.258:
	buffer_load_dword v92, off, s[0:3], 0 offset:72
	buffer_load_dword v93, off, s[0:3], 0 offset:76
	v_mov_b32_e32 v94, 0
	buffer_store_dword v94, off, s[0:3], 0 offset:72
	buffer_store_dword v94, off, s[0:3], 0 offset:76
	s_waitcnt vmcnt(2)
	ds_write_b64 v91, v[92:93]
.LBB108_259:
	s_or_b64 exec, exec, s[4:5]
	s_waitcnt lgkmcnt(0)
	; wave barrier
	buffer_load_dword v101, off, s[0:3], 0 offset:80
	buffer_load_dword v102, off, s[0:3], 0 offset:84
	buffer_load_dword v103, off, s[0:3], 0 offset:88
	buffer_load_dword v104, off, s[0:3], 0 offset:92
	buffer_load_dword v105, off, s[0:3], 0 offset:96
	buffer_load_dword v106, off, s[0:3], 0 offset:100
	buffer_load_dword v107, off, s[0:3], 0 offset:104
	buffer_load_dword v108, off, s[0:3], 0 offset:108
	buffer_load_dword v109, off, s[0:3], 0 offset:112
	buffer_load_dword v110, off, s[0:3], 0 offset:116
	buffer_load_dword v111, off, s[0:3], 0 offset:120
	buffer_load_dword v112, off, s[0:3], 0 offset:124
	buffer_load_dword v113, off, s[0:3], 0 offset:128
	buffer_load_dword v114, off, s[0:3], 0 offset:132
	buffer_load_dword v116, off, s[0:3], 0 offset:140
	buffer_load_dword v117, off, s[0:3], 0 offset:160
	buffer_load_dword v119, off, s[0:3], 0 offset:152
	buffer_load_dword v121, off, s[0:3], 0 offset:144
	buffer_load_dword v115, off, s[0:3], 0 offset:136
	buffer_load_dword v122, off, s[0:3], 0 offset:148
	buffer_load_dword v120, off, s[0:3], 0 offset:156
	v_mov_b32_e32 v92, 0
	ds_read_b128 v[93:96], v92 offset:448
	ds_read_b128 v[97:100], v92 offset:464
	buffer_load_dword v118, off, s[0:3], 0 offset:164
	v_cmp_lt_u32_e32 vcc, 8, v0
	s_waitcnt vmcnt(20) lgkmcnt(1)
	v_fma_f64 v[93:94], v[101:102], v[93:94], 0
	s_waitcnt vmcnt(18)
	v_fma_f64 v[93:94], v[103:104], v[95:96], v[93:94]
	buffer_load_dword v102, off, s[0:3], 0 offset:172
	buffer_load_dword v103, off, s[0:3], 0 offset:192
	;; [unrolled: 1-line block ×7, first 2 shown]
	s_waitcnt vmcnt(23) lgkmcnt(0)
	v_fma_f64 v[93:94], v[105:106], v[97:98], v[93:94]
	s_waitcnt vmcnt(21)
	v_fma_f64 v[104:105], v[107:108], v[99:100], v[93:94]
	ds_read_b128 v[93:96], v92 offset:480
	ds_read_b128 v[97:100], v92 offset:496
	s_waitcnt vmcnt(19) lgkmcnt(1)
	v_fma_f64 v[93:94], v[109:110], v[93:94], v[104:105]
	buffer_load_dword v104, off, s[0:3], 0 offset:196
	s_waitcnt vmcnt(18)
	v_fma_f64 v[93:94], v[111:112], v[95:96], v[93:94]
	buffer_load_dword v106, off, s[0:3], 0 offset:204
	buffer_load_dword v107, off, s[0:3], 0 offset:224
	;; [unrolled: 1-line block ×8, first 2 shown]
	s_waitcnt vmcnt(24) lgkmcnt(0)
	v_fma_f64 v[93:94], v[113:114], v[97:98], v[93:94]
	s_waitcnt vmcnt(19)
	v_fma_f64 v[113:114], v[115:116], v[99:100], v[93:94]
	ds_read_b128 v[93:96], v92 offset:512
	ds_read_b128 v[97:100], v92 offset:528
	s_waitcnt vmcnt(18) lgkmcnt(1)
	v_fma_f64 v[93:94], v[121:122], v[93:94], v[113:114]
	s_waitcnt vmcnt(17)
	v_fma_f64 v[93:94], v[119:120], v[95:96], v[93:94]
	buffer_load_dword v114, off, s[0:3], 0 offset:236
	buffer_load_dword v115, off, s[0:3], 0 offset:256
	;; [unrolled: 1-line block ×7, first 2 shown]
	s_waitcnt vmcnt(23) lgkmcnt(0)
	v_fma_f64 v[93:94], v[117:118], v[97:98], v[93:94]
	s_waitcnt vmcnt(18)
	v_fma_f64 v[101:102], v[101:102], v[99:100], v[93:94]
	ds_read_b128 v[93:96], v92 offset:544
	ds_read_b128 v[97:100], v92 offset:560
	buffer_load_dword v116, off, s[0:3], 0 offset:260
	s_waitcnt vmcnt(18) lgkmcnt(1)
	v_fma_f64 v[93:94], v[125:126], v[93:94], v[101:102]
	s_waitcnt vmcnt(17)
	v_fma_f64 v[93:94], v[123:124], v[95:96], v[93:94]
	buffer_load_dword v102, off, s[0:3], 0 offset:268
	buffer_load_dword v117, off, s[0:3], 0 offset:288
	;; [unrolled: 1-line block ×8, first 2 shown]
	s_waitcnt vmcnt(24) lgkmcnt(0)
	v_fma_f64 v[93:94], v[103:104], v[97:98], v[93:94]
	s_waitcnt vmcnt(19)
	v_fma_f64 v[103:104], v[105:106], v[99:100], v[93:94]
	ds_read_b128 v[93:96], v92 offset:576
	ds_read_b128 v[97:100], v92 offset:592
	s_waitcnt vmcnt(18) lgkmcnt(1)
	v_fma_f64 v[93:94], v[111:112], v[93:94], v[103:104]
	s_waitcnt vmcnt(17)
	v_fma_f64 v[93:94], v[109:110], v[95:96], v[93:94]
	buffer_load_dword v104, off, s[0:3], 0 offset:300
	buffer_load_dword v105, off, s[0:3], 0 offset:320
	;; [unrolled: 1-line block ×7, first 2 shown]
	s_waitcnt vmcnt(23) lgkmcnt(0)
	v_fma_f64 v[93:94], v[107:108], v[97:98], v[93:94]
	s_waitcnt vmcnt(18)
	v_fma_f64 v[106:107], v[113:114], v[99:100], v[93:94]
	ds_read_b128 v[93:96], v92 offset:608
	ds_read_b128 v[97:100], v92 offset:624
	s_waitcnt vmcnt(17) lgkmcnt(1)
	v_fma_f64 v[93:94], v[121:122], v[93:94], v[106:107]
	buffer_load_dword v106, off, s[0:3], 0 offset:324
	s_waitcnt vmcnt(17)
	v_fma_f64 v[93:94], v[119:120], v[95:96], v[93:94]
	buffer_load_dword v108, off, s[0:3], 0 offset:332
	buffer_load_dword v113, off, s[0:3], 0 offset:352
	;; [unrolled: 1-line block ×8, first 2 shown]
	s_waitcnt vmcnt(24) lgkmcnt(0)
	v_fma_f64 v[93:94], v[115:116], v[97:98], v[93:94]
	s_waitcnt vmcnt(19)
	v_fma_f64 v[101:102], v[101:102], v[99:100], v[93:94]
	ds_read_b128 v[93:96], v92 offset:640
	ds_read_b128 v[97:100], v92 offset:656
	s_waitcnt vmcnt(18) lgkmcnt(1)
	v_fma_f64 v[93:94], v[125:126], v[93:94], v[101:102]
	buffer_load_dword v101, off, s[0:3], 0 offset:72
	buffer_load_dword v102, off, s[0:3], 0 offset:76
	s_waitcnt vmcnt(19)
	v_fma_f64 v[93:94], v[123:124], v[95:96], v[93:94]
	s_waitcnt vmcnt(18) lgkmcnt(0)
	v_fma_f64 v[93:94], v[117:118], v[97:98], v[93:94]
	s_waitcnt vmcnt(13)
	v_fma_f64 v[103:104], v[103:104], v[99:100], v[93:94]
	ds_read_b128 v[93:96], v92 offset:672
	ds_read_b128 v[97:100], v92 offset:688
	s_waitcnt vmcnt(12) lgkmcnt(1)
	v_fma_f64 v[93:94], v[111:112], v[93:94], v[103:104]
	s_waitcnt vmcnt(11)
	v_fma_f64 v[93:94], v[109:110], v[95:96], v[93:94]
	s_waitcnt vmcnt(10) lgkmcnt(0)
	v_fma_f64 v[93:94], v[105:106], v[97:98], v[93:94]
	s_waitcnt vmcnt(5)
	v_fma_f64 v[97:98], v[107:108], v[99:100], v[93:94]
	ds_read_b128 v[93:96], v92 offset:704
	ds_read_b64 v[99:100], v92 offset:720
	s_waitcnt vmcnt(4) lgkmcnt(1)
	v_fma_f64 v[93:94], v[121:122], v[93:94], v[97:98]
	s_waitcnt vmcnt(3)
	v_fma_f64 v[93:94], v[119:120], v[95:96], v[93:94]
	s_waitcnt vmcnt(2) lgkmcnt(0)
	v_fma_f64 v[93:94], v[113:114], v[99:100], v[93:94]
	s_waitcnt vmcnt(0)
	v_add_f64 v[93:94], v[101:102], -v[93:94]
	buffer_store_dword v94, off, s[0:3], 0 offset:76
	buffer_store_dword v93, off, s[0:3], 0 offset:72
	s_and_saveexec_b64 s[4:5], vcc
	s_cbranch_execz .LBB108_261
; %bb.260:
	buffer_load_dword v93, off, s[0:3], 0 offset:64
	buffer_load_dword v94, off, s[0:3], 0 offset:68
	s_waitcnt vmcnt(0)
	ds_write_b64 v91, v[93:94]
	buffer_store_dword v92, off, s[0:3], 0 offset:64
	buffer_store_dword v92, off, s[0:3], 0 offset:68
.LBB108_261:
	s_or_b64 exec, exec, s[4:5]
	s_waitcnt lgkmcnt(0)
	; wave barrier
	buffer_load_dword v101, off, s[0:3], 0 offset:72
	buffer_load_dword v102, off, s[0:3], 0 offset:76
	buffer_load_dword v103, off, s[0:3], 0 offset:80
	buffer_load_dword v104, off, s[0:3], 0 offset:84
	buffer_load_dword v105, off, s[0:3], 0 offset:88
	buffer_load_dword v106, off, s[0:3], 0 offset:92
	buffer_load_dword v107, off, s[0:3], 0 offset:96
	buffer_load_dword v108, off, s[0:3], 0 offset:100
	buffer_load_dword v109, off, s[0:3], 0 offset:104
	buffer_load_dword v110, off, s[0:3], 0 offset:108
	buffer_load_dword v111, off, s[0:3], 0 offset:112
	buffer_load_dword v112, off, s[0:3], 0 offset:116
	buffer_load_dword v113, off, s[0:3], 0 offset:120
	buffer_load_dword v114, off, s[0:3], 0 offset:124
	buffer_load_dword v116, off, s[0:3], 0 offset:132
	buffer_load_dword v117, off, s[0:3], 0 offset:152
	buffer_load_dword v119, off, s[0:3], 0 offset:144
	buffer_load_dword v121, off, s[0:3], 0 offset:136
	buffer_load_dword v115, off, s[0:3], 0 offset:128
	buffer_load_dword v122, off, s[0:3], 0 offset:140
	buffer_load_dword v120, off, s[0:3], 0 offset:148
	ds_read2_b64 v[93:96], v92 offset0:55 offset1:56
	ds_read2_b64 v[97:100], v92 offset0:57 offset1:58
	buffer_load_dword v118, off, s[0:3], 0 offset:156
	v_cmp_lt_u32_e32 vcc, 7, v0
	s_waitcnt vmcnt(20) lgkmcnt(1)
	v_fma_f64 v[93:94], v[101:102], v[93:94], 0
	s_waitcnt vmcnt(18)
	v_fma_f64 v[93:94], v[103:104], v[95:96], v[93:94]
	buffer_load_dword v102, off, s[0:3], 0 offset:164
	buffer_load_dword v103, off, s[0:3], 0 offset:184
	;; [unrolled: 1-line block ×7, first 2 shown]
	s_waitcnt vmcnt(23) lgkmcnt(0)
	v_fma_f64 v[93:94], v[105:106], v[97:98], v[93:94]
	s_waitcnt vmcnt(21)
	v_fma_f64 v[104:105], v[107:108], v[99:100], v[93:94]
	ds_read2_b64 v[93:96], v92 offset0:59 offset1:60
	ds_read2_b64 v[97:100], v92 offset0:61 offset1:62
	s_waitcnt vmcnt(19) lgkmcnt(1)
	v_fma_f64 v[93:94], v[109:110], v[93:94], v[104:105]
	buffer_load_dword v104, off, s[0:3], 0 offset:188
	s_waitcnt vmcnt(18)
	v_fma_f64 v[93:94], v[111:112], v[95:96], v[93:94]
	buffer_load_dword v106, off, s[0:3], 0 offset:196
	buffer_load_dword v107, off, s[0:3], 0 offset:216
	;; [unrolled: 1-line block ×8, first 2 shown]
	s_waitcnt vmcnt(24) lgkmcnt(0)
	v_fma_f64 v[93:94], v[113:114], v[97:98], v[93:94]
	s_waitcnt vmcnt(19)
	v_fma_f64 v[113:114], v[115:116], v[99:100], v[93:94]
	ds_read2_b64 v[93:96], v92 offset0:63 offset1:64
	ds_read2_b64 v[97:100], v92 offset0:65 offset1:66
	s_waitcnt vmcnt(18) lgkmcnt(1)
	v_fma_f64 v[93:94], v[121:122], v[93:94], v[113:114]
	s_waitcnt vmcnt(17)
	v_fma_f64 v[93:94], v[119:120], v[95:96], v[93:94]
	buffer_load_dword v114, off, s[0:3], 0 offset:228
	buffer_load_dword v115, off, s[0:3], 0 offset:248
	;; [unrolled: 1-line block ×7, first 2 shown]
	s_waitcnt vmcnt(23) lgkmcnt(0)
	v_fma_f64 v[93:94], v[117:118], v[97:98], v[93:94]
	s_waitcnt vmcnt(18)
	v_fma_f64 v[101:102], v[101:102], v[99:100], v[93:94]
	ds_read2_b64 v[93:96], v92 offset0:67 offset1:68
	ds_read2_b64 v[97:100], v92 offset0:69 offset1:70
	buffer_load_dword v116, off, s[0:3], 0 offset:252
	s_waitcnt vmcnt(18) lgkmcnt(1)
	v_fma_f64 v[93:94], v[125:126], v[93:94], v[101:102]
	s_waitcnt vmcnt(17)
	v_fma_f64 v[93:94], v[123:124], v[95:96], v[93:94]
	buffer_load_dword v102, off, s[0:3], 0 offset:260
	buffer_load_dword v117, off, s[0:3], 0 offset:280
	;; [unrolled: 1-line block ×8, first 2 shown]
	s_waitcnt vmcnt(24) lgkmcnt(0)
	v_fma_f64 v[93:94], v[103:104], v[97:98], v[93:94]
	s_waitcnt vmcnt(19)
	v_fma_f64 v[103:104], v[105:106], v[99:100], v[93:94]
	ds_read2_b64 v[93:96], v92 offset0:71 offset1:72
	ds_read2_b64 v[97:100], v92 offset0:73 offset1:74
	s_waitcnt vmcnt(18) lgkmcnt(1)
	v_fma_f64 v[93:94], v[111:112], v[93:94], v[103:104]
	s_waitcnt vmcnt(17)
	v_fma_f64 v[93:94], v[109:110], v[95:96], v[93:94]
	buffer_load_dword v104, off, s[0:3], 0 offset:292
	buffer_load_dword v105, off, s[0:3], 0 offset:312
	;; [unrolled: 1-line block ×7, first 2 shown]
	s_waitcnt vmcnt(23) lgkmcnt(0)
	v_fma_f64 v[93:94], v[107:108], v[97:98], v[93:94]
	s_waitcnt vmcnt(18)
	v_fma_f64 v[106:107], v[113:114], v[99:100], v[93:94]
	ds_read2_b64 v[93:96], v92 offset0:75 offset1:76
	ds_read2_b64 v[97:100], v92 offset0:77 offset1:78
	s_waitcnt vmcnt(17) lgkmcnt(1)
	v_fma_f64 v[93:94], v[121:122], v[93:94], v[106:107]
	buffer_load_dword v106, off, s[0:3], 0 offset:316
	s_waitcnt vmcnt(17)
	v_fma_f64 v[93:94], v[119:120], v[95:96], v[93:94]
	buffer_load_dword v108, off, s[0:3], 0 offset:324
	buffer_load_dword v113, off, s[0:3], 0 offset:344
	;; [unrolled: 1-line block ×8, first 2 shown]
	s_waitcnt vmcnt(24) lgkmcnt(0)
	v_fma_f64 v[93:94], v[115:116], v[97:98], v[93:94]
	s_waitcnt vmcnt(19)
	v_fma_f64 v[101:102], v[101:102], v[99:100], v[93:94]
	ds_read2_b64 v[93:96], v92 offset0:79 offset1:80
	ds_read2_b64 v[97:100], v92 offset0:81 offset1:82
	s_waitcnt vmcnt(18) lgkmcnt(1)
	v_fma_f64 v[93:94], v[125:126], v[93:94], v[101:102]
	buffer_load_dword v102, off, s[0:3], 0 offset:356
	buffer_load_dword v101, off, s[0:3], 0 offset:352
	buffer_load_dword v115, off, s[0:3], 0 offset:64
	buffer_load_dword v116, off, s[0:3], 0 offset:68
	s_waitcnt vmcnt(21)
	v_fma_f64 v[93:94], v[123:124], v[95:96], v[93:94]
	s_waitcnt vmcnt(20) lgkmcnt(0)
	v_fma_f64 v[93:94], v[117:118], v[97:98], v[93:94]
	s_waitcnt vmcnt(15)
	v_fma_f64 v[103:104], v[103:104], v[99:100], v[93:94]
	ds_read2_b64 v[93:96], v92 offset0:83 offset1:84
	ds_read2_b64 v[97:100], v92 offset0:85 offset1:86
	s_waitcnt vmcnt(14) lgkmcnt(1)
	v_fma_f64 v[93:94], v[111:112], v[93:94], v[103:104]
	s_waitcnt vmcnt(13)
	v_fma_f64 v[93:94], v[109:110], v[95:96], v[93:94]
	s_waitcnt vmcnt(12) lgkmcnt(0)
	v_fma_f64 v[93:94], v[105:106], v[97:98], v[93:94]
	s_waitcnt vmcnt(7)
	v_fma_f64 v[103:104], v[107:108], v[99:100], v[93:94]
	ds_read2_b64 v[93:96], v92 offset0:87 offset1:88
	ds_read2_b64 v[97:100], v92 offset0:89 offset1:90
	s_waitcnt vmcnt(6) lgkmcnt(1)
	v_fma_f64 v[92:93], v[121:122], v[93:94], v[103:104]
	s_waitcnt vmcnt(5)
	v_fma_f64 v[92:93], v[119:120], v[95:96], v[92:93]
	s_waitcnt vmcnt(4) lgkmcnt(0)
	v_fma_f64 v[92:93], v[113:114], v[97:98], v[92:93]
	s_waitcnt vmcnt(2)
	v_fma_f64 v[92:93], v[101:102], v[99:100], v[92:93]
	s_waitcnt vmcnt(0)
	v_add_f64 v[92:93], v[115:116], -v[92:93]
	buffer_store_dword v93, off, s[0:3], 0 offset:68
	buffer_store_dword v92, off, s[0:3], 0 offset:64
	s_and_saveexec_b64 s[4:5], vcc
	s_cbranch_execz .LBB108_263
; %bb.262:
	buffer_load_dword v92, off, s[0:3], 0 offset:56
	buffer_load_dword v93, off, s[0:3], 0 offset:60
	v_mov_b32_e32 v94, 0
	buffer_store_dword v94, off, s[0:3], 0 offset:56
	buffer_store_dword v94, off, s[0:3], 0 offset:60
	s_waitcnt vmcnt(2)
	ds_write_b64 v91, v[92:93]
.LBB108_263:
	s_or_b64 exec, exec, s[4:5]
	s_waitcnt lgkmcnt(0)
	; wave barrier
	buffer_load_dword v101, off, s[0:3], 0 offset:64
	buffer_load_dword v102, off, s[0:3], 0 offset:68
	buffer_load_dword v103, off, s[0:3], 0 offset:72
	buffer_load_dword v104, off, s[0:3], 0 offset:76
	buffer_load_dword v105, off, s[0:3], 0 offset:80
	buffer_load_dword v106, off, s[0:3], 0 offset:84
	buffer_load_dword v107, off, s[0:3], 0 offset:88
	buffer_load_dword v108, off, s[0:3], 0 offset:92
	buffer_load_dword v109, off, s[0:3], 0 offset:96
	buffer_load_dword v110, off, s[0:3], 0 offset:100
	buffer_load_dword v111, off, s[0:3], 0 offset:104
	buffer_load_dword v112, off, s[0:3], 0 offset:108
	buffer_load_dword v113, off, s[0:3], 0 offset:112
	buffer_load_dword v114, off, s[0:3], 0 offset:116
	buffer_load_dword v116, off, s[0:3], 0 offset:124
	buffer_load_dword v117, off, s[0:3], 0 offset:144
	buffer_load_dword v119, off, s[0:3], 0 offset:136
	buffer_load_dword v121, off, s[0:3], 0 offset:128
	buffer_load_dword v115, off, s[0:3], 0 offset:120
	buffer_load_dword v122, off, s[0:3], 0 offset:132
	buffer_load_dword v120, off, s[0:3], 0 offset:140
	v_mov_b32_e32 v92, 0
	ds_read_b128 v[93:96], v92 offset:432
	ds_read_b128 v[97:100], v92 offset:448
	buffer_load_dword v118, off, s[0:3], 0 offset:148
	v_cmp_lt_u32_e32 vcc, 6, v0
	s_waitcnt vmcnt(20) lgkmcnt(1)
	v_fma_f64 v[93:94], v[101:102], v[93:94], 0
	s_waitcnt vmcnt(18)
	v_fma_f64 v[93:94], v[103:104], v[95:96], v[93:94]
	buffer_load_dword v102, off, s[0:3], 0 offset:156
	buffer_load_dword v103, off, s[0:3], 0 offset:176
	;; [unrolled: 1-line block ×7, first 2 shown]
	s_waitcnt vmcnt(23) lgkmcnt(0)
	v_fma_f64 v[93:94], v[105:106], v[97:98], v[93:94]
	s_waitcnt vmcnt(21)
	v_fma_f64 v[104:105], v[107:108], v[99:100], v[93:94]
	ds_read_b128 v[93:96], v92 offset:464
	ds_read_b128 v[97:100], v92 offset:480
	s_waitcnt vmcnt(19) lgkmcnt(1)
	v_fma_f64 v[93:94], v[109:110], v[93:94], v[104:105]
	buffer_load_dword v104, off, s[0:3], 0 offset:180
	s_waitcnt vmcnt(18)
	v_fma_f64 v[93:94], v[111:112], v[95:96], v[93:94]
	buffer_load_dword v106, off, s[0:3], 0 offset:188
	buffer_load_dword v107, off, s[0:3], 0 offset:208
	;; [unrolled: 1-line block ×8, first 2 shown]
	s_waitcnt vmcnt(24) lgkmcnt(0)
	v_fma_f64 v[93:94], v[113:114], v[97:98], v[93:94]
	s_waitcnt vmcnt(19)
	v_fma_f64 v[113:114], v[115:116], v[99:100], v[93:94]
	ds_read_b128 v[93:96], v92 offset:496
	ds_read_b128 v[97:100], v92 offset:512
	s_waitcnt vmcnt(18) lgkmcnt(1)
	v_fma_f64 v[93:94], v[121:122], v[93:94], v[113:114]
	s_waitcnt vmcnt(17)
	v_fma_f64 v[93:94], v[119:120], v[95:96], v[93:94]
	buffer_load_dword v114, off, s[0:3], 0 offset:220
	buffer_load_dword v115, off, s[0:3], 0 offset:240
	;; [unrolled: 1-line block ×7, first 2 shown]
	s_waitcnt vmcnt(23) lgkmcnt(0)
	v_fma_f64 v[93:94], v[117:118], v[97:98], v[93:94]
	s_waitcnt vmcnt(18)
	v_fma_f64 v[101:102], v[101:102], v[99:100], v[93:94]
	ds_read_b128 v[93:96], v92 offset:528
	ds_read_b128 v[97:100], v92 offset:544
	buffer_load_dword v116, off, s[0:3], 0 offset:244
	s_waitcnt vmcnt(18) lgkmcnt(1)
	v_fma_f64 v[93:94], v[125:126], v[93:94], v[101:102]
	s_waitcnt vmcnt(17)
	v_fma_f64 v[93:94], v[123:124], v[95:96], v[93:94]
	buffer_load_dword v102, off, s[0:3], 0 offset:252
	buffer_load_dword v117, off, s[0:3], 0 offset:272
	;; [unrolled: 1-line block ×7, first 2 shown]
	s_waitcnt vmcnt(23) lgkmcnt(0)
	v_fma_f64 v[93:94], v[103:104], v[97:98], v[93:94]
	s_waitcnt vmcnt(18)
	v_fma_f64 v[103:104], v[105:106], v[99:100], v[93:94]
	ds_read_b128 v[93:96], v92 offset:560
	ds_read_b128 v[97:100], v92 offset:576
	buffer_load_dword v118, off, s[0:3], 0 offset:276
	s_waitcnt vmcnt(18) lgkmcnt(1)
	v_fma_f64 v[93:94], v[111:112], v[93:94], v[103:104]
	s_waitcnt vmcnt(17)
	v_fma_f64 v[93:94], v[109:110], v[95:96], v[93:94]
	buffer_load_dword v104, off, s[0:3], 0 offset:284
	buffer_load_dword v105, off, s[0:3], 0 offset:304
	;; [unrolled: 1-line block ×7, first 2 shown]
	s_waitcnt vmcnt(23) lgkmcnt(0)
	v_fma_f64 v[93:94], v[107:108], v[97:98], v[93:94]
	s_waitcnt vmcnt(18)
	v_fma_f64 v[106:107], v[113:114], v[99:100], v[93:94]
	ds_read_b128 v[93:96], v92 offset:592
	ds_read_b128 v[97:100], v92 offset:608
	s_waitcnt vmcnt(17) lgkmcnt(1)
	v_fma_f64 v[93:94], v[121:122], v[93:94], v[106:107]
	buffer_load_dword v106, off, s[0:3], 0 offset:308
	s_waitcnt vmcnt(17)
	v_fma_f64 v[93:94], v[119:120], v[95:96], v[93:94]
	buffer_load_dword v108, off, s[0:3], 0 offset:316
	buffer_load_dword v113, off, s[0:3], 0 offset:336
	;; [unrolled: 1-line block ×7, first 2 shown]
	s_waitcnt vmcnt(23) lgkmcnt(0)
	v_fma_f64 v[93:94], v[115:116], v[97:98], v[93:94]
	s_waitcnt vmcnt(18)
	v_fma_f64 v[101:102], v[101:102], v[99:100], v[93:94]
	ds_read_b128 v[93:96], v92 offset:624
	ds_read_b128 v[97:100], v92 offset:640
	buffer_load_dword v114, off, s[0:3], 0 offset:340
	s_waitcnt vmcnt(18) lgkmcnt(1)
	v_fma_f64 v[93:94], v[125:126], v[93:94], v[101:102]
	buffer_load_dword v102, off, s[0:3], 0 offset:348
	buffer_load_dword v115, off, s[0:3], 0 offset:352
	;; [unrolled: 1-line block ×4, first 2 shown]
	s_waitcnt vmcnt(21)
	v_fma_f64 v[93:94], v[123:124], v[95:96], v[93:94]
	s_waitcnt vmcnt(20) lgkmcnt(0)
	v_fma_f64 v[93:94], v[117:118], v[97:98], v[93:94]
	buffer_load_dword v117, off, s[0:3], 0 offset:56
	buffer_load_dword v118, off, s[0:3], 0 offset:60
	s_waitcnt vmcnt(17)
	v_fma_f64 v[103:104], v[103:104], v[99:100], v[93:94]
	ds_read_b128 v[93:96], v92 offset:656
	ds_read_b128 v[97:100], v92 offset:672
	s_waitcnt vmcnt(16) lgkmcnt(1)
	v_fma_f64 v[93:94], v[111:112], v[93:94], v[103:104]
	s_waitcnt vmcnt(15)
	v_fma_f64 v[93:94], v[109:110], v[95:96], v[93:94]
	s_waitcnt vmcnt(14) lgkmcnt(0)
	v_fma_f64 v[93:94], v[105:106], v[97:98], v[93:94]
	s_waitcnt vmcnt(9)
	v_fma_f64 v[103:104], v[107:108], v[99:100], v[93:94]
	ds_read_b128 v[93:96], v92 offset:688
	ds_read_b128 v[97:100], v92 offset:704
	s_waitcnt vmcnt(8) lgkmcnt(1)
	v_fma_f64 v[93:94], v[121:122], v[93:94], v[103:104]
	s_waitcnt vmcnt(7)
	v_fma_f64 v[93:94], v[119:120], v[95:96], v[93:94]
	ds_read_b64 v[95:96], v92 offset:720
	s_waitcnt vmcnt(6) lgkmcnt(1)
	v_fma_f64 v[93:94], v[113:114], v[97:98], v[93:94]
	s_waitcnt vmcnt(3)
	v_fma_f64 v[93:94], v[101:102], v[99:100], v[93:94]
	s_waitcnt vmcnt(2) lgkmcnt(0)
	v_fma_f64 v[93:94], v[115:116], v[95:96], v[93:94]
	s_waitcnt vmcnt(0)
	v_add_f64 v[93:94], v[117:118], -v[93:94]
	buffer_store_dword v94, off, s[0:3], 0 offset:60
	buffer_store_dword v93, off, s[0:3], 0 offset:56
	s_and_saveexec_b64 s[4:5], vcc
	s_cbranch_execz .LBB108_265
; %bb.264:
	buffer_load_dword v93, off, s[0:3], 0 offset:48
	buffer_load_dword v94, off, s[0:3], 0 offset:52
	s_waitcnt vmcnt(0)
	ds_write_b64 v91, v[93:94]
	buffer_store_dword v92, off, s[0:3], 0 offset:48
	buffer_store_dword v92, off, s[0:3], 0 offset:52
.LBB108_265:
	s_or_b64 exec, exec, s[4:5]
	s_waitcnt lgkmcnt(0)
	; wave barrier
	buffer_load_dword v101, off, s[0:3], 0 offset:56
	buffer_load_dword v102, off, s[0:3], 0 offset:60
	;; [unrolled: 1-line block ×22, first 2 shown]
	ds_read2_b64 v[93:96], v92 offset0:53 offset1:54
	ds_read2_b64 v[97:100], v92 offset0:55 offset1:56
	v_cmp_lt_u32_e32 vcc, 5, v0
	s_waitcnt vmcnt(20) lgkmcnt(1)
	v_fma_f64 v[93:94], v[101:102], v[93:94], 0
	s_waitcnt vmcnt(18)
	v_fma_f64 v[93:94], v[103:104], v[95:96], v[93:94]
	buffer_load_dword v102, off, s[0:3], 0 offset:148
	buffer_load_dword v103, off, s[0:3], 0 offset:168
	;; [unrolled: 1-line block ×7, first 2 shown]
	s_waitcnt vmcnt(23) lgkmcnt(0)
	v_fma_f64 v[93:94], v[105:106], v[97:98], v[93:94]
	s_waitcnt vmcnt(21)
	v_fma_f64 v[104:105], v[107:108], v[99:100], v[93:94]
	ds_read2_b64 v[93:96], v92 offset0:57 offset1:58
	ds_read2_b64 v[97:100], v92 offset0:59 offset1:60
	s_waitcnt vmcnt(19) lgkmcnt(1)
	v_fma_f64 v[93:94], v[109:110], v[93:94], v[104:105]
	buffer_load_dword v104, off, s[0:3], 0 offset:172
	s_waitcnt vmcnt(18)
	v_fma_f64 v[93:94], v[111:112], v[95:96], v[93:94]
	buffer_load_dword v106, off, s[0:3], 0 offset:180
	buffer_load_dword v107, off, s[0:3], 0 offset:200
	;; [unrolled: 1-line block ×8, first 2 shown]
	s_waitcnt vmcnt(24) lgkmcnt(0)
	v_fma_f64 v[93:94], v[113:114], v[97:98], v[93:94]
	s_waitcnt vmcnt(19)
	v_fma_f64 v[113:114], v[115:116], v[99:100], v[93:94]
	ds_read2_b64 v[93:96], v92 offset0:61 offset1:62
	ds_read2_b64 v[97:100], v92 offset0:63 offset1:64
	s_waitcnt vmcnt(18) lgkmcnt(1)
	v_fma_f64 v[93:94], v[121:122], v[93:94], v[113:114]
	s_waitcnt vmcnt(17)
	v_fma_f64 v[93:94], v[119:120], v[95:96], v[93:94]
	buffer_load_dword v114, off, s[0:3], 0 offset:212
	buffer_load_dword v115, off, s[0:3], 0 offset:232
	;; [unrolled: 1-line block ×8, first 2 shown]
	s_waitcnt vmcnt(24) lgkmcnt(0)
	v_fma_f64 v[93:94], v[117:118], v[97:98], v[93:94]
	s_waitcnt vmcnt(19)
	v_fma_f64 v[101:102], v[101:102], v[99:100], v[93:94]
	ds_read2_b64 v[93:96], v92 offset0:65 offset1:66
	ds_read2_b64 v[97:100], v92 offset0:67 offset1:68
	s_waitcnt vmcnt(18) lgkmcnt(1)
	v_fma_f64 v[93:94], v[125:126], v[93:94], v[101:102]
	s_waitcnt vmcnt(17)
	v_fma_f64 v[93:94], v[123:124], v[95:96], v[93:94]
	buffer_load_dword v102, off, s[0:3], 0 offset:244
	buffer_load_dword v117, off, s[0:3], 0 offset:264
	;; [unrolled: 1-line block ×7, first 2 shown]
	s_waitcnt vmcnt(23) lgkmcnt(0)
	v_fma_f64 v[93:94], v[103:104], v[97:98], v[93:94]
	s_waitcnt vmcnt(18)
	v_fma_f64 v[103:104], v[105:106], v[99:100], v[93:94]
	ds_read2_b64 v[93:96], v92 offset0:69 offset1:70
	ds_read2_b64 v[97:100], v92 offset0:71 offset1:72
	buffer_load_dword v118, off, s[0:3], 0 offset:268
	s_waitcnt vmcnt(18) lgkmcnt(1)
	v_fma_f64 v[93:94], v[111:112], v[93:94], v[103:104]
	s_waitcnt vmcnt(17)
	v_fma_f64 v[93:94], v[109:110], v[95:96], v[93:94]
	buffer_load_dword v104, off, s[0:3], 0 offset:276
	buffer_load_dword v105, off, s[0:3], 0 offset:296
	;; [unrolled: 1-line block ×7, first 2 shown]
	s_waitcnt vmcnt(23) lgkmcnt(0)
	v_fma_f64 v[93:94], v[107:108], v[97:98], v[93:94]
	s_waitcnt vmcnt(18)
	v_fma_f64 v[106:107], v[113:114], v[99:100], v[93:94]
	ds_read2_b64 v[93:96], v92 offset0:73 offset1:74
	ds_read2_b64 v[97:100], v92 offset0:75 offset1:76
	s_waitcnt vmcnt(17) lgkmcnt(1)
	v_fma_f64 v[93:94], v[121:122], v[93:94], v[106:107]
	buffer_load_dword v106, off, s[0:3], 0 offset:300
	s_waitcnt vmcnt(17)
	v_fma_f64 v[93:94], v[119:120], v[95:96], v[93:94]
	buffer_load_dword v108, off, s[0:3], 0 offset:308
	buffer_load_dword v113, off, s[0:3], 0 offset:328
	;; [unrolled: 1-line block ×8, first 2 shown]
	s_waitcnt vmcnt(24) lgkmcnt(0)
	v_fma_f64 v[93:94], v[115:116], v[97:98], v[93:94]
	s_waitcnt vmcnt(19)
	v_fma_f64 v[101:102], v[101:102], v[99:100], v[93:94]
	ds_read2_b64 v[93:96], v92 offset0:77 offset1:78
	ds_read2_b64 v[97:100], v92 offset0:79 offset1:80
	s_waitcnt vmcnt(18) lgkmcnt(1)
	v_fma_f64 v[93:94], v[125:126], v[93:94], v[101:102]
	s_waitcnt vmcnt(17)
	v_fma_f64 v[93:94], v[123:124], v[95:96], v[93:94]
	buffer_load_dword v102, off, s[0:3], 0 offset:340
	buffer_load_dword v115, off, s[0:3], 0 offset:352
	buffer_load_dword v123, off, s[0:3], 0 offset:344
	buffer_load_dword v101, off, s[0:3], 0 offset:336
	buffer_load_dword v124, off, s[0:3], 0 offset:348
	buffer_load_dword v116, off, s[0:3], 0 offset:356
	s_waitcnt vmcnt(22) lgkmcnt(0)
	v_fma_f64 v[93:94], v[117:118], v[97:98], v[93:94]
	s_waitcnt vmcnt(17)
	v_fma_f64 v[103:104], v[103:104], v[99:100], v[93:94]
	ds_read2_b64 v[93:96], v92 offset0:81 offset1:82
	buffer_load_dword v117, off, s[0:3], 0 offset:48
	buffer_load_dword v118, off, s[0:3], 0 offset:52
	ds_read2_b64 v[97:100], v92 offset0:83 offset1:84
	s_waitcnt vmcnt(18) lgkmcnt(1)
	v_fma_f64 v[93:94], v[111:112], v[93:94], v[103:104]
	s_waitcnt vmcnt(17)
	v_fma_f64 v[93:94], v[109:110], v[95:96], v[93:94]
	s_waitcnt vmcnt(16) lgkmcnt(0)
	v_fma_f64 v[93:94], v[105:106], v[97:98], v[93:94]
	s_waitcnt vmcnt(11)
	v_fma_f64 v[103:104], v[107:108], v[99:100], v[93:94]
	ds_read2_b64 v[93:96], v92 offset0:85 offset1:86
	ds_read2_b64 v[97:100], v92 offset0:87 offset1:88
	s_waitcnt vmcnt(10) lgkmcnt(1)
	v_fma_f64 v[93:94], v[121:122], v[93:94], v[103:104]
	s_waitcnt vmcnt(9)
	v_fma_f64 v[93:94], v[119:120], v[95:96], v[93:94]
	s_waitcnt vmcnt(8) lgkmcnt(0)
	v_fma_f64 v[93:94], v[113:114], v[97:98], v[93:94]
	s_waitcnt vmcnt(4)
	v_fma_f64 v[96:97], v[101:102], v[99:100], v[93:94]
	ds_read2_b64 v[92:95], v92 offset0:89 offset1:90
	s_waitcnt vmcnt(3) lgkmcnt(0)
	v_fma_f64 v[92:93], v[123:124], v[92:93], v[96:97]
	s_waitcnt vmcnt(2)
	v_fma_f64 v[92:93], v[115:116], v[94:95], v[92:93]
	s_waitcnt vmcnt(0)
	v_add_f64 v[92:93], v[117:118], -v[92:93]
	buffer_store_dword v93, off, s[0:3], 0 offset:52
	buffer_store_dword v92, off, s[0:3], 0 offset:48
	s_and_saveexec_b64 s[4:5], vcc
	s_cbranch_execz .LBB108_267
; %bb.266:
	buffer_load_dword v92, off, s[0:3], 0 offset:40
	buffer_load_dword v93, off, s[0:3], 0 offset:44
	v_mov_b32_e32 v94, 0
	buffer_store_dword v94, off, s[0:3], 0 offset:40
	buffer_store_dword v94, off, s[0:3], 0 offset:44
	s_waitcnt vmcnt(2)
	ds_write_b64 v91, v[92:93]
.LBB108_267:
	s_or_b64 exec, exec, s[4:5]
	s_waitcnt lgkmcnt(0)
	; wave barrier
	buffer_load_dword v101, off, s[0:3], 0 offset:48
	buffer_load_dword v102, off, s[0:3], 0 offset:52
	;; [unrolled: 1-line block ×22, first 2 shown]
	v_mov_b32_e32 v92, 0
	ds_read_b128 v[93:96], v92 offset:416
	ds_read_b128 v[97:100], v92 offset:432
	v_cmp_lt_u32_e32 vcc, 4, v0
	s_waitcnt vmcnt(20) lgkmcnt(1)
	v_fma_f64 v[93:94], v[101:102], v[93:94], 0
	s_waitcnt vmcnt(18)
	v_fma_f64 v[93:94], v[103:104], v[95:96], v[93:94]
	buffer_load_dword v102, off, s[0:3], 0 offset:140
	buffer_load_dword v103, off, s[0:3], 0 offset:160
	;; [unrolled: 1-line block ×7, first 2 shown]
	s_waitcnt vmcnt(23) lgkmcnt(0)
	v_fma_f64 v[93:94], v[105:106], v[97:98], v[93:94]
	s_waitcnt vmcnt(21)
	v_fma_f64 v[104:105], v[107:108], v[99:100], v[93:94]
	ds_read_b128 v[93:96], v92 offset:448
	ds_read_b128 v[97:100], v92 offset:464
	s_waitcnt vmcnt(19) lgkmcnt(1)
	v_fma_f64 v[93:94], v[109:110], v[93:94], v[104:105]
	buffer_load_dword v104, off, s[0:3], 0 offset:164
	s_waitcnt vmcnt(18)
	v_fma_f64 v[93:94], v[111:112], v[95:96], v[93:94]
	buffer_load_dword v106, off, s[0:3], 0 offset:172
	buffer_load_dword v107, off, s[0:3], 0 offset:192
	;; [unrolled: 1-line block ×8, first 2 shown]
	s_waitcnt vmcnt(24) lgkmcnt(0)
	v_fma_f64 v[93:94], v[113:114], v[97:98], v[93:94]
	s_waitcnt vmcnt(19)
	v_fma_f64 v[113:114], v[115:116], v[99:100], v[93:94]
	ds_read_b128 v[93:96], v92 offset:480
	ds_read_b128 v[97:100], v92 offset:496
	s_waitcnt vmcnt(18) lgkmcnt(1)
	v_fma_f64 v[93:94], v[121:122], v[93:94], v[113:114]
	s_waitcnt vmcnt(17)
	v_fma_f64 v[93:94], v[119:120], v[95:96], v[93:94]
	buffer_load_dword v114, off, s[0:3], 0 offset:204
	buffer_load_dword v115, off, s[0:3], 0 offset:224
	;; [unrolled: 1-line block ×8, first 2 shown]
	s_waitcnt vmcnt(24) lgkmcnt(0)
	v_fma_f64 v[93:94], v[117:118], v[97:98], v[93:94]
	s_waitcnt vmcnt(19)
	v_fma_f64 v[101:102], v[101:102], v[99:100], v[93:94]
	ds_read_b128 v[93:96], v92 offset:512
	ds_read_b128 v[97:100], v92 offset:528
	s_waitcnt vmcnt(18) lgkmcnt(1)
	v_fma_f64 v[93:94], v[125:126], v[93:94], v[101:102]
	s_waitcnt vmcnt(17)
	v_fma_f64 v[93:94], v[123:124], v[95:96], v[93:94]
	buffer_load_dword v102, off, s[0:3], 0 offset:236
	buffer_load_dword v117, off, s[0:3], 0 offset:256
	;; [unrolled: 1-line block ×7, first 2 shown]
	s_waitcnt vmcnt(23) lgkmcnt(0)
	v_fma_f64 v[93:94], v[103:104], v[97:98], v[93:94]
	s_waitcnt vmcnt(18)
	v_fma_f64 v[103:104], v[105:106], v[99:100], v[93:94]
	ds_read_b128 v[93:96], v92 offset:544
	ds_read_b128 v[97:100], v92 offset:560
	buffer_load_dword v118, off, s[0:3], 0 offset:260
	s_waitcnt vmcnt(18) lgkmcnt(1)
	v_fma_f64 v[93:94], v[111:112], v[93:94], v[103:104]
	s_waitcnt vmcnt(17)
	v_fma_f64 v[93:94], v[109:110], v[95:96], v[93:94]
	buffer_load_dword v104, off, s[0:3], 0 offset:268
	buffer_load_dword v105, off, s[0:3], 0 offset:288
	;; [unrolled: 1-line block ×7, first 2 shown]
	s_waitcnt vmcnt(23) lgkmcnt(0)
	v_fma_f64 v[93:94], v[107:108], v[97:98], v[93:94]
	s_waitcnt vmcnt(18)
	v_fma_f64 v[106:107], v[113:114], v[99:100], v[93:94]
	ds_read_b128 v[93:96], v92 offset:576
	ds_read_b128 v[97:100], v92 offset:592
	s_waitcnt vmcnt(17) lgkmcnt(1)
	v_fma_f64 v[93:94], v[121:122], v[93:94], v[106:107]
	buffer_load_dword v106, off, s[0:3], 0 offset:292
	s_waitcnt vmcnt(17)
	v_fma_f64 v[93:94], v[119:120], v[95:96], v[93:94]
	buffer_load_dword v108, off, s[0:3], 0 offset:300
	buffer_load_dword v113, off, s[0:3], 0 offset:320
	;; [unrolled: 1-line block ×8, first 2 shown]
	s_waitcnt vmcnt(24) lgkmcnt(0)
	v_fma_f64 v[93:94], v[115:116], v[97:98], v[93:94]
	s_waitcnt vmcnt(19)
	v_fma_f64 v[101:102], v[101:102], v[99:100], v[93:94]
	ds_read_b128 v[93:96], v92 offset:608
	ds_read_b128 v[97:100], v92 offset:624
	s_waitcnt vmcnt(18) lgkmcnt(1)
	v_fma_f64 v[93:94], v[125:126], v[93:94], v[101:102]
	s_waitcnt vmcnt(17)
	v_fma_f64 v[93:94], v[123:124], v[95:96], v[93:94]
	buffer_load_dword v102, off, s[0:3], 0 offset:332
	buffer_load_dword v115, off, s[0:3], 0 offset:352
	;; [unrolled: 1-line block ×8, first 2 shown]
	s_waitcnt vmcnt(24) lgkmcnt(0)
	v_fma_f64 v[93:94], v[117:118], v[97:98], v[93:94]
	s_waitcnt vmcnt(19)
	v_fma_f64 v[103:104], v[103:104], v[99:100], v[93:94]
	ds_read_b128 v[93:96], v92 offset:640
	ds_read_b128 v[97:100], v92 offset:656
	s_waitcnt vmcnt(18) lgkmcnt(1)
	v_fma_f64 v[93:94], v[111:112], v[93:94], v[103:104]
	buffer_load_dword v103, off, s[0:3], 0 offset:40
	buffer_load_dword v104, off, s[0:3], 0 offset:44
	s_waitcnt vmcnt(19)
	v_fma_f64 v[93:94], v[109:110], v[95:96], v[93:94]
	s_waitcnt vmcnt(18) lgkmcnt(0)
	v_fma_f64 v[93:94], v[105:106], v[97:98], v[93:94]
	s_waitcnt vmcnt(13)
	v_fma_f64 v[105:106], v[107:108], v[99:100], v[93:94]
	ds_read_b128 v[93:96], v92 offset:672
	ds_read_b128 v[97:100], v92 offset:688
	s_waitcnt vmcnt(12) lgkmcnt(1)
	v_fma_f64 v[93:94], v[121:122], v[93:94], v[105:106]
	s_waitcnt vmcnt(11)
	v_fma_f64 v[93:94], v[119:120], v[95:96], v[93:94]
	s_waitcnt vmcnt(10) lgkmcnt(0)
	v_fma_f64 v[93:94], v[113:114], v[97:98], v[93:94]
	s_waitcnt vmcnt(5)
	v_fma_f64 v[97:98], v[101:102], v[99:100], v[93:94]
	ds_read_b128 v[93:96], v92 offset:704
	ds_read_b64 v[99:100], v92 offset:720
	s_waitcnt vmcnt(4) lgkmcnt(1)
	v_fma_f64 v[93:94], v[125:126], v[93:94], v[97:98]
	s_waitcnt vmcnt(3)
	v_fma_f64 v[93:94], v[123:124], v[95:96], v[93:94]
	s_waitcnt vmcnt(2) lgkmcnt(0)
	v_fma_f64 v[93:94], v[115:116], v[99:100], v[93:94]
	s_waitcnt vmcnt(0)
	v_add_f64 v[93:94], v[103:104], -v[93:94]
	buffer_store_dword v94, off, s[0:3], 0 offset:44
	buffer_store_dword v93, off, s[0:3], 0 offset:40
	s_and_saveexec_b64 s[4:5], vcc
	s_cbranch_execz .LBB108_269
; %bb.268:
	buffer_load_dword v93, off, s[0:3], 0 offset:32
	buffer_load_dword v94, off, s[0:3], 0 offset:36
	s_waitcnt vmcnt(0)
	ds_write_b64 v91, v[93:94]
	buffer_store_dword v92, off, s[0:3], 0 offset:32
	buffer_store_dword v92, off, s[0:3], 0 offset:36
.LBB108_269:
	s_or_b64 exec, exec, s[4:5]
	s_waitcnt lgkmcnt(0)
	; wave barrier
	buffer_load_dword v101, off, s[0:3], 0 offset:40
	buffer_load_dword v102, off, s[0:3], 0 offset:44
	buffer_load_dword v103, off, s[0:3], 0 offset:48
	buffer_load_dword v104, off, s[0:3], 0 offset:52
	buffer_load_dword v105, off, s[0:3], 0 offset:56
	buffer_load_dword v106, off, s[0:3], 0 offset:60
	buffer_load_dword v107, off, s[0:3], 0 offset:64
	buffer_load_dword v108, off, s[0:3], 0 offset:68
	buffer_load_dword v109, off, s[0:3], 0 offset:72
	buffer_load_dword v110, off, s[0:3], 0 offset:76
	buffer_load_dword v111, off, s[0:3], 0 offset:80
	buffer_load_dword v112, off, s[0:3], 0 offset:84
	buffer_load_dword v113, off, s[0:3], 0 offset:88
	buffer_load_dword v114, off, s[0:3], 0 offset:92
	buffer_load_dword v116, off, s[0:3], 0 offset:100
	buffer_load_dword v117, off, s[0:3], 0 offset:120
	buffer_load_dword v119, off, s[0:3], 0 offset:112
	buffer_load_dword v121, off, s[0:3], 0 offset:104
	buffer_load_dword v115, off, s[0:3], 0 offset:96
	buffer_load_dword v122, off, s[0:3], 0 offset:108
	buffer_load_dword v120, off, s[0:3], 0 offset:116
	buffer_load_dword v118, off, s[0:3], 0 offset:124
	ds_read2_b64 v[93:96], v92 offset0:51 offset1:52
	ds_read2_b64 v[97:100], v92 offset0:53 offset1:54
	v_cmp_lt_u32_e32 vcc, 3, v0
	s_waitcnt vmcnt(20) lgkmcnt(1)
	v_fma_f64 v[93:94], v[101:102], v[93:94], 0
	s_waitcnt vmcnt(18)
	v_fma_f64 v[93:94], v[103:104], v[95:96], v[93:94]
	buffer_load_dword v102, off, s[0:3], 0 offset:132
	buffer_load_dword v103, off, s[0:3], 0 offset:152
	buffer_load_dword v123, off, s[0:3], 0 offset:144
	buffer_load_dword v125, off, s[0:3], 0 offset:136
	buffer_load_dword v101, off, s[0:3], 0 offset:128
	buffer_load_dword v126, off, s[0:3], 0 offset:140
	buffer_load_dword v124, off, s[0:3], 0 offset:148
	s_waitcnt vmcnt(23) lgkmcnt(0)
	v_fma_f64 v[93:94], v[105:106], v[97:98], v[93:94]
	s_waitcnt vmcnt(21)
	v_fma_f64 v[104:105], v[107:108], v[99:100], v[93:94]
	ds_read2_b64 v[93:96], v92 offset0:55 offset1:56
	ds_read2_b64 v[97:100], v92 offset0:57 offset1:58
	s_waitcnt vmcnt(19) lgkmcnt(1)
	v_fma_f64 v[93:94], v[109:110], v[93:94], v[104:105]
	buffer_load_dword v104, off, s[0:3], 0 offset:156
	s_waitcnt vmcnt(18)
	v_fma_f64 v[93:94], v[111:112], v[95:96], v[93:94]
	buffer_load_dword v106, off, s[0:3], 0 offset:164
	buffer_load_dword v107, off, s[0:3], 0 offset:184
	;; [unrolled: 1-line block ×8, first 2 shown]
	s_waitcnt vmcnt(24) lgkmcnt(0)
	v_fma_f64 v[93:94], v[113:114], v[97:98], v[93:94]
	s_waitcnt vmcnt(19)
	v_fma_f64 v[113:114], v[115:116], v[99:100], v[93:94]
	ds_read2_b64 v[93:96], v92 offset0:59 offset1:60
	ds_read2_b64 v[97:100], v92 offset0:61 offset1:62
	s_waitcnt vmcnt(18) lgkmcnt(1)
	v_fma_f64 v[93:94], v[121:122], v[93:94], v[113:114]
	s_waitcnt vmcnt(17)
	v_fma_f64 v[93:94], v[119:120], v[95:96], v[93:94]
	buffer_load_dword v114, off, s[0:3], 0 offset:196
	buffer_load_dword v115, off, s[0:3], 0 offset:216
	;; [unrolled: 1-line block ×8, first 2 shown]
	s_waitcnt vmcnt(24) lgkmcnt(0)
	v_fma_f64 v[93:94], v[117:118], v[97:98], v[93:94]
	s_waitcnt vmcnt(19)
	v_fma_f64 v[101:102], v[101:102], v[99:100], v[93:94]
	ds_read2_b64 v[93:96], v92 offset0:63 offset1:64
	ds_read2_b64 v[97:100], v92 offset0:65 offset1:66
	s_waitcnt vmcnt(18) lgkmcnt(1)
	v_fma_f64 v[93:94], v[125:126], v[93:94], v[101:102]
	s_waitcnt vmcnt(17)
	v_fma_f64 v[93:94], v[123:124], v[95:96], v[93:94]
	buffer_load_dword v102, off, s[0:3], 0 offset:228
	buffer_load_dword v117, off, s[0:3], 0 offset:248
	buffer_load_dword v123, off, s[0:3], 0 offset:240
	buffer_load_dword v125, off, s[0:3], 0 offset:232
	buffer_load_dword v101, off, s[0:3], 0 offset:224
	buffer_load_dword v126, off, s[0:3], 0 offset:236
	buffer_load_dword v124, off, s[0:3], 0 offset:244
	s_waitcnt vmcnt(23) lgkmcnt(0)
	v_fma_f64 v[93:94], v[103:104], v[97:98], v[93:94]
	s_waitcnt vmcnt(18)
	v_fma_f64 v[103:104], v[105:106], v[99:100], v[93:94]
	ds_read2_b64 v[93:96], v92 offset0:67 offset1:68
	ds_read2_b64 v[97:100], v92 offset0:69 offset1:70
	buffer_load_dword v118, off, s[0:3], 0 offset:252
	s_waitcnt vmcnt(18) lgkmcnt(1)
	v_fma_f64 v[93:94], v[111:112], v[93:94], v[103:104]
	s_waitcnt vmcnt(17)
	v_fma_f64 v[93:94], v[109:110], v[95:96], v[93:94]
	buffer_load_dword v104, off, s[0:3], 0 offset:260
	buffer_load_dword v105, off, s[0:3], 0 offset:280
	;; [unrolled: 1-line block ×7, first 2 shown]
	s_waitcnt vmcnt(23) lgkmcnt(0)
	v_fma_f64 v[93:94], v[107:108], v[97:98], v[93:94]
	s_waitcnt vmcnt(18)
	v_fma_f64 v[106:107], v[113:114], v[99:100], v[93:94]
	ds_read2_b64 v[93:96], v92 offset0:71 offset1:72
	ds_read2_b64 v[97:100], v92 offset0:73 offset1:74
	s_waitcnt vmcnt(17) lgkmcnt(1)
	v_fma_f64 v[93:94], v[121:122], v[93:94], v[106:107]
	buffer_load_dword v106, off, s[0:3], 0 offset:284
	s_waitcnt vmcnt(17)
	v_fma_f64 v[93:94], v[119:120], v[95:96], v[93:94]
	buffer_load_dword v108, off, s[0:3], 0 offset:292
	buffer_load_dword v113, off, s[0:3], 0 offset:312
	;; [unrolled: 1-line block ×8, first 2 shown]
	s_waitcnt vmcnt(24) lgkmcnt(0)
	v_fma_f64 v[93:94], v[115:116], v[97:98], v[93:94]
	s_waitcnt vmcnt(19)
	v_fma_f64 v[101:102], v[101:102], v[99:100], v[93:94]
	ds_read2_b64 v[93:96], v92 offset0:75 offset1:76
	ds_read2_b64 v[97:100], v92 offset0:77 offset1:78
	s_waitcnt vmcnt(18) lgkmcnt(1)
	v_fma_f64 v[93:94], v[125:126], v[93:94], v[101:102]
	s_waitcnt vmcnt(17)
	v_fma_f64 v[93:94], v[123:124], v[95:96], v[93:94]
	buffer_load_dword v102, off, s[0:3], 0 offset:324
	buffer_load_dword v115, off, s[0:3], 0 offset:344
	;; [unrolled: 1-line block ×8, first 2 shown]
	s_waitcnt vmcnt(24) lgkmcnt(0)
	v_fma_f64 v[93:94], v[117:118], v[97:98], v[93:94]
	s_waitcnt vmcnt(19)
	v_fma_f64 v[103:104], v[103:104], v[99:100], v[93:94]
	ds_read2_b64 v[93:96], v92 offset0:79 offset1:80
	ds_read2_b64 v[97:100], v92 offset0:81 offset1:82
	s_waitcnt vmcnt(18) lgkmcnt(1)
	v_fma_f64 v[93:94], v[111:112], v[93:94], v[103:104]
	buffer_load_dword v104, off, s[0:3], 0 offset:356
	buffer_load_dword v103, off, s[0:3], 0 offset:352
	s_waitcnt vmcnt(19)
	v_fma_f64 v[93:94], v[109:110], v[95:96], v[93:94]
	buffer_load_dword v109, off, s[0:3], 0 offset:32
	buffer_load_dword v110, off, s[0:3], 0 offset:36
	s_waitcnt vmcnt(20) lgkmcnt(0)
	v_fma_f64 v[93:94], v[105:106], v[97:98], v[93:94]
	s_waitcnt vmcnt(15)
	v_fma_f64 v[105:106], v[107:108], v[99:100], v[93:94]
	ds_read2_b64 v[93:96], v92 offset0:83 offset1:84
	ds_read2_b64 v[97:100], v92 offset0:85 offset1:86
	s_waitcnt vmcnt(14) lgkmcnt(1)
	v_fma_f64 v[93:94], v[121:122], v[93:94], v[105:106]
	s_waitcnt vmcnt(13)
	v_fma_f64 v[93:94], v[119:120], v[95:96], v[93:94]
	s_waitcnt vmcnt(12) lgkmcnt(0)
	v_fma_f64 v[93:94], v[113:114], v[97:98], v[93:94]
	s_waitcnt vmcnt(7)
	v_fma_f64 v[101:102], v[101:102], v[99:100], v[93:94]
	ds_read2_b64 v[93:96], v92 offset0:87 offset1:88
	ds_read2_b64 v[97:100], v92 offset0:89 offset1:90
	s_waitcnt vmcnt(6) lgkmcnt(1)
	v_fma_f64 v[92:93], v[125:126], v[93:94], v[101:102]
	s_waitcnt vmcnt(5)
	v_fma_f64 v[92:93], v[123:124], v[95:96], v[92:93]
	s_waitcnt vmcnt(4) lgkmcnt(0)
	v_fma_f64 v[92:93], v[115:116], v[97:98], v[92:93]
	s_waitcnt vmcnt(2)
	v_fma_f64 v[92:93], v[103:104], v[99:100], v[92:93]
	s_waitcnt vmcnt(0)
	v_add_f64 v[92:93], v[109:110], -v[92:93]
	buffer_store_dword v93, off, s[0:3], 0 offset:36
	buffer_store_dword v92, off, s[0:3], 0 offset:32
	s_and_saveexec_b64 s[4:5], vcc
	s_cbranch_execz .LBB108_271
; %bb.270:
	buffer_load_dword v92, off, s[0:3], 0 offset:24
	buffer_load_dword v93, off, s[0:3], 0 offset:28
	v_mov_b32_e32 v94, 0
	buffer_store_dword v94, off, s[0:3], 0 offset:24
	buffer_store_dword v94, off, s[0:3], 0 offset:28
	s_waitcnt vmcnt(2)
	ds_write_b64 v91, v[92:93]
.LBB108_271:
	s_or_b64 exec, exec, s[4:5]
	s_waitcnt lgkmcnt(0)
	; wave barrier
	buffer_load_dword v101, off, s[0:3], 0 offset:32
	buffer_load_dword v102, off, s[0:3], 0 offset:36
	;; [unrolled: 1-line block ×22, first 2 shown]
	v_mov_b32_e32 v92, 0
	ds_read_b128 v[93:96], v92 offset:400
	ds_read_b128 v[97:100], v92 offset:416
	v_cmp_lt_u32_e32 vcc, 2, v0
	s_waitcnt vmcnt(20) lgkmcnt(1)
	v_fma_f64 v[93:94], v[101:102], v[93:94], 0
	s_waitcnt vmcnt(18)
	v_fma_f64 v[93:94], v[103:104], v[95:96], v[93:94]
	buffer_load_dword v102, off, s[0:3], 0 offset:124
	buffer_load_dword v103, off, s[0:3], 0 offset:144
	;; [unrolled: 1-line block ×7, first 2 shown]
	s_waitcnt vmcnt(23) lgkmcnt(0)
	v_fma_f64 v[93:94], v[105:106], v[97:98], v[93:94]
	s_waitcnt vmcnt(21)
	v_fma_f64 v[104:105], v[107:108], v[99:100], v[93:94]
	ds_read_b128 v[93:96], v92 offset:432
	ds_read_b128 v[97:100], v92 offset:448
	s_waitcnt vmcnt(19) lgkmcnt(1)
	v_fma_f64 v[93:94], v[109:110], v[93:94], v[104:105]
	buffer_load_dword v104, off, s[0:3], 0 offset:148
	s_waitcnt vmcnt(18)
	v_fma_f64 v[93:94], v[111:112], v[95:96], v[93:94]
	buffer_load_dword v106, off, s[0:3], 0 offset:156
	buffer_load_dword v107, off, s[0:3], 0 offset:176
	;; [unrolled: 1-line block ×7, first 2 shown]
	s_waitcnt vmcnt(23) lgkmcnt(0)
	v_fma_f64 v[93:94], v[113:114], v[97:98], v[93:94]
	s_waitcnt vmcnt(18)
	v_fma_f64 v[113:114], v[115:116], v[99:100], v[93:94]
	ds_read_b128 v[93:96], v92 offset:464
	ds_read_b128 v[97:100], v92 offset:480
	buffer_load_dword v108, off, s[0:3], 0 offset:180
	s_waitcnt vmcnt(18) lgkmcnt(1)
	v_fma_f64 v[93:94], v[121:122], v[93:94], v[113:114]
	s_waitcnt vmcnt(17)
	v_fma_f64 v[93:94], v[119:120], v[95:96], v[93:94]
	buffer_load_dword v114, off, s[0:3], 0 offset:188
	buffer_load_dword v115, off, s[0:3], 0 offset:208
	;; [unrolled: 1-line block ×8, first 2 shown]
	s_waitcnt vmcnt(24) lgkmcnt(0)
	v_fma_f64 v[93:94], v[117:118], v[97:98], v[93:94]
	s_waitcnt vmcnt(19)
	v_fma_f64 v[101:102], v[101:102], v[99:100], v[93:94]
	ds_read_b128 v[93:96], v92 offset:496
	ds_read_b128 v[97:100], v92 offset:512
	s_waitcnt vmcnt(18) lgkmcnt(1)
	v_fma_f64 v[93:94], v[125:126], v[93:94], v[101:102]
	s_waitcnt vmcnt(17)
	v_fma_f64 v[93:94], v[123:124], v[95:96], v[93:94]
	buffer_load_dword v102, off, s[0:3], 0 offset:220
	buffer_load_dword v117, off, s[0:3], 0 offset:240
	;; [unrolled: 1-line block ×7, first 2 shown]
	s_waitcnt vmcnt(23) lgkmcnt(0)
	v_fma_f64 v[93:94], v[103:104], v[97:98], v[93:94]
	s_waitcnt vmcnt(18)
	v_fma_f64 v[103:104], v[105:106], v[99:100], v[93:94]
	ds_read_b128 v[93:96], v92 offset:528
	ds_read_b128 v[97:100], v92 offset:544
	buffer_load_dword v118, off, s[0:3], 0 offset:244
	s_waitcnt vmcnt(18) lgkmcnt(1)
	v_fma_f64 v[93:94], v[111:112], v[93:94], v[103:104]
	s_waitcnt vmcnt(17)
	v_fma_f64 v[93:94], v[109:110], v[95:96], v[93:94]
	buffer_load_dword v104, off, s[0:3], 0 offset:252
	buffer_load_dword v105, off, s[0:3], 0 offset:272
	;; [unrolled: 1-line block ×7, first 2 shown]
	s_waitcnt vmcnt(23) lgkmcnt(0)
	v_fma_f64 v[93:94], v[107:108], v[97:98], v[93:94]
	s_waitcnt vmcnt(18)
	v_fma_f64 v[106:107], v[113:114], v[99:100], v[93:94]
	ds_read_b128 v[93:96], v92 offset:560
	ds_read_b128 v[97:100], v92 offset:576
	s_waitcnt vmcnt(17) lgkmcnt(1)
	v_fma_f64 v[93:94], v[121:122], v[93:94], v[106:107]
	buffer_load_dword v106, off, s[0:3], 0 offset:276
	s_waitcnt vmcnt(17)
	v_fma_f64 v[93:94], v[119:120], v[95:96], v[93:94]
	buffer_load_dword v108, off, s[0:3], 0 offset:284
	buffer_load_dword v113, off, s[0:3], 0 offset:304
	;; [unrolled: 1-line block ×8, first 2 shown]
	s_waitcnt vmcnt(24) lgkmcnt(0)
	v_fma_f64 v[93:94], v[115:116], v[97:98], v[93:94]
	s_waitcnt vmcnt(19)
	v_fma_f64 v[101:102], v[101:102], v[99:100], v[93:94]
	ds_read_b128 v[93:96], v92 offset:592
	ds_read_b128 v[97:100], v92 offset:608
	s_waitcnt vmcnt(18) lgkmcnt(1)
	v_fma_f64 v[93:94], v[125:126], v[93:94], v[101:102]
	s_waitcnt vmcnt(17)
	v_fma_f64 v[93:94], v[123:124], v[95:96], v[93:94]
	buffer_load_dword v102, off, s[0:3], 0 offset:316
	buffer_load_dword v115, off, s[0:3], 0 offset:336
	;; [unrolled: 1-line block ×7, first 2 shown]
	s_waitcnt vmcnt(23) lgkmcnt(0)
	v_fma_f64 v[93:94], v[117:118], v[97:98], v[93:94]
	s_waitcnt vmcnt(18)
	v_fma_f64 v[103:104], v[103:104], v[99:100], v[93:94]
	ds_read_b128 v[93:96], v92 offset:624
	ds_read_b128 v[97:100], v92 offset:640
	buffer_load_dword v116, off, s[0:3], 0 offset:340
	s_waitcnt vmcnt(18) lgkmcnt(1)
	v_fma_f64 v[93:94], v[111:112], v[93:94], v[103:104]
	s_waitcnt vmcnt(17)
	v_fma_f64 v[93:94], v[109:110], v[95:96], v[93:94]
	buffer_load_dword v104, off, s[0:3], 0 offset:348
	buffer_load_dword v109, off, s[0:3], 0 offset:352
	;; [unrolled: 1-line block ×4, first 2 shown]
	s_waitcnt vmcnt(20) lgkmcnt(0)
	v_fma_f64 v[93:94], v[105:106], v[97:98], v[93:94]
	buffer_load_dword v105, off, s[0:3], 0 offset:24
	buffer_load_dword v106, off, s[0:3], 0 offset:28
	s_waitcnt vmcnt(17)
	v_fma_f64 v[107:108], v[107:108], v[99:100], v[93:94]
	ds_read_b128 v[93:96], v92 offset:656
	ds_read_b128 v[97:100], v92 offset:672
	s_waitcnt vmcnt(16) lgkmcnt(1)
	v_fma_f64 v[93:94], v[121:122], v[93:94], v[107:108]
	s_waitcnt vmcnt(15)
	v_fma_f64 v[93:94], v[119:120], v[95:96], v[93:94]
	s_waitcnt vmcnt(14) lgkmcnt(0)
	v_fma_f64 v[93:94], v[113:114], v[97:98], v[93:94]
	s_waitcnt vmcnt(9)
	v_fma_f64 v[101:102], v[101:102], v[99:100], v[93:94]
	ds_read_b128 v[93:96], v92 offset:688
	ds_read_b128 v[97:100], v92 offset:704
	s_waitcnt vmcnt(8) lgkmcnt(1)
	v_fma_f64 v[93:94], v[125:126], v[93:94], v[101:102]
	s_waitcnt vmcnt(7)
	v_fma_f64 v[93:94], v[123:124], v[95:96], v[93:94]
	ds_read_b64 v[95:96], v92 offset:720
	s_waitcnt vmcnt(6) lgkmcnt(1)
	v_fma_f64 v[93:94], v[115:116], v[97:98], v[93:94]
	s_waitcnt vmcnt(3)
	v_fma_f64 v[93:94], v[103:104], v[99:100], v[93:94]
	s_waitcnt vmcnt(2) lgkmcnt(0)
	v_fma_f64 v[93:94], v[109:110], v[95:96], v[93:94]
	s_waitcnt vmcnt(0)
	v_add_f64 v[93:94], v[105:106], -v[93:94]
	buffer_store_dword v94, off, s[0:3], 0 offset:28
	buffer_store_dword v93, off, s[0:3], 0 offset:24
	s_and_saveexec_b64 s[4:5], vcc
	s_cbranch_execz .LBB108_273
; %bb.272:
	buffer_load_dword v93, off, s[0:3], 0 offset:16
	buffer_load_dword v94, off, s[0:3], 0 offset:20
	s_waitcnt vmcnt(0)
	ds_write_b64 v91, v[93:94]
	buffer_store_dword v92, off, s[0:3], 0 offset:16
	buffer_store_dword v92, off, s[0:3], 0 offset:20
.LBB108_273:
	s_or_b64 exec, exec, s[4:5]
	s_waitcnt lgkmcnt(0)
	; wave barrier
	buffer_load_dword v101, off, s[0:3], 0 offset:24
	buffer_load_dword v102, off, s[0:3], 0 offset:28
	;; [unrolled: 1-line block ×22, first 2 shown]
	ds_read2_b64 v[93:96], v92 offset0:49 offset1:50
	ds_read2_b64 v[97:100], v92 offset0:51 offset1:52
	v_cmp_lt_u32_e32 vcc, 1, v0
	s_waitcnt vmcnt(20) lgkmcnt(1)
	v_fma_f64 v[93:94], v[101:102], v[93:94], 0
	s_waitcnt vmcnt(18)
	v_fma_f64 v[93:94], v[103:104], v[95:96], v[93:94]
	buffer_load_dword v102, off, s[0:3], 0 offset:116
	buffer_load_dword v103, off, s[0:3], 0 offset:136
	;; [unrolled: 1-line block ×7, first 2 shown]
	s_waitcnt vmcnt(23) lgkmcnt(0)
	v_fma_f64 v[93:94], v[105:106], v[97:98], v[93:94]
	s_waitcnt vmcnt(21)
	v_fma_f64 v[104:105], v[107:108], v[99:100], v[93:94]
	ds_read2_b64 v[93:96], v92 offset0:53 offset1:54
	ds_read2_b64 v[97:100], v92 offset0:55 offset1:56
	s_waitcnt vmcnt(19) lgkmcnt(1)
	v_fma_f64 v[93:94], v[109:110], v[93:94], v[104:105]
	buffer_load_dword v104, off, s[0:3], 0 offset:140
	s_waitcnt vmcnt(18)
	v_fma_f64 v[93:94], v[111:112], v[95:96], v[93:94]
	buffer_load_dword v106, off, s[0:3], 0 offset:148
	buffer_load_dword v107, off, s[0:3], 0 offset:168
	;; [unrolled: 1-line block ×7, first 2 shown]
	s_waitcnt vmcnt(23) lgkmcnt(0)
	v_fma_f64 v[93:94], v[113:114], v[97:98], v[93:94]
	s_waitcnt vmcnt(18)
	v_fma_f64 v[113:114], v[115:116], v[99:100], v[93:94]
	ds_read2_b64 v[93:96], v92 offset0:57 offset1:58
	ds_read2_b64 v[97:100], v92 offset0:59 offset1:60
	buffer_load_dword v108, off, s[0:3], 0 offset:172
	s_waitcnt vmcnt(18) lgkmcnt(1)
	v_fma_f64 v[93:94], v[121:122], v[93:94], v[113:114]
	s_waitcnt vmcnt(17)
	v_fma_f64 v[93:94], v[119:120], v[95:96], v[93:94]
	buffer_load_dword v114, off, s[0:3], 0 offset:180
	buffer_load_dword v115, off, s[0:3], 0 offset:200
	;; [unrolled: 1-line block ×8, first 2 shown]
	s_waitcnt vmcnt(24) lgkmcnt(0)
	v_fma_f64 v[93:94], v[117:118], v[97:98], v[93:94]
	s_waitcnt vmcnt(19)
	v_fma_f64 v[101:102], v[101:102], v[99:100], v[93:94]
	ds_read2_b64 v[93:96], v92 offset0:61 offset1:62
	ds_read2_b64 v[97:100], v92 offset0:63 offset1:64
	s_waitcnt vmcnt(18) lgkmcnt(1)
	v_fma_f64 v[93:94], v[125:126], v[93:94], v[101:102]
	s_waitcnt vmcnt(17)
	v_fma_f64 v[93:94], v[123:124], v[95:96], v[93:94]
	buffer_load_dword v102, off, s[0:3], 0 offset:212
	buffer_load_dword v117, off, s[0:3], 0 offset:232
	;; [unrolled: 1-line block ×8, first 2 shown]
	s_waitcnt vmcnt(24) lgkmcnt(0)
	v_fma_f64 v[93:94], v[103:104], v[97:98], v[93:94]
	s_waitcnt vmcnt(19)
	v_fma_f64 v[103:104], v[105:106], v[99:100], v[93:94]
	ds_read2_b64 v[93:96], v92 offset0:65 offset1:66
	ds_read2_b64 v[97:100], v92 offset0:67 offset1:68
	s_waitcnt vmcnt(18) lgkmcnt(1)
	v_fma_f64 v[93:94], v[111:112], v[93:94], v[103:104]
	s_waitcnt vmcnt(17)
	v_fma_f64 v[93:94], v[109:110], v[95:96], v[93:94]
	buffer_load_dword v104, off, s[0:3], 0 offset:244
	buffer_load_dword v105, off, s[0:3], 0 offset:264
	;; [unrolled: 1-line block ×7, first 2 shown]
	s_waitcnt vmcnt(23) lgkmcnt(0)
	v_fma_f64 v[93:94], v[107:108], v[97:98], v[93:94]
	s_waitcnt vmcnt(18)
	v_fma_f64 v[106:107], v[113:114], v[99:100], v[93:94]
	ds_read2_b64 v[93:96], v92 offset0:69 offset1:70
	ds_read2_b64 v[97:100], v92 offset0:71 offset1:72
	s_waitcnt vmcnt(17) lgkmcnt(1)
	v_fma_f64 v[93:94], v[121:122], v[93:94], v[106:107]
	buffer_load_dword v106, off, s[0:3], 0 offset:268
	s_waitcnt vmcnt(17)
	v_fma_f64 v[93:94], v[119:120], v[95:96], v[93:94]
	buffer_load_dword v108, off, s[0:3], 0 offset:276
	buffer_load_dword v113, off, s[0:3], 0 offset:296
	;; [unrolled: 1-line block ×8, first 2 shown]
	s_waitcnt vmcnt(24) lgkmcnt(0)
	v_fma_f64 v[93:94], v[115:116], v[97:98], v[93:94]
	s_waitcnt vmcnt(19)
	v_fma_f64 v[101:102], v[101:102], v[99:100], v[93:94]
	ds_read2_b64 v[93:96], v92 offset0:73 offset1:74
	ds_read2_b64 v[97:100], v92 offset0:75 offset1:76
	s_waitcnt vmcnt(18) lgkmcnt(1)
	v_fma_f64 v[93:94], v[125:126], v[93:94], v[101:102]
	s_waitcnt vmcnt(17)
	v_fma_f64 v[93:94], v[123:124], v[95:96], v[93:94]
	buffer_load_dword v102, off, s[0:3], 0 offset:308
	buffer_load_dword v115, off, s[0:3], 0 offset:328
	;; [unrolled: 1-line block ×8, first 2 shown]
	s_waitcnt vmcnt(24) lgkmcnt(0)
	v_fma_f64 v[93:94], v[117:118], v[97:98], v[93:94]
	s_waitcnt vmcnt(19)
	v_fma_f64 v[103:104], v[103:104], v[99:100], v[93:94]
	ds_read2_b64 v[93:96], v92 offset0:77 offset1:78
	ds_read2_b64 v[97:100], v92 offset0:79 offset1:80
	s_waitcnt vmcnt(18) lgkmcnt(1)
	v_fma_f64 v[93:94], v[111:112], v[93:94], v[103:104]
	s_waitcnt vmcnt(17)
	v_fma_f64 v[93:94], v[109:110], v[95:96], v[93:94]
	buffer_load_dword v104, off, s[0:3], 0 offset:340
	buffer_load_dword v109, off, s[0:3], 0 offset:352
	buffer_load_dword v111, off, s[0:3], 0 offset:344
	buffer_load_dword v103, off, s[0:3], 0 offset:336
	buffer_load_dword v112, off, s[0:3], 0 offset:348
	buffer_load_dword v110, off, s[0:3], 0 offset:356
	s_waitcnt vmcnt(22) lgkmcnt(0)
	v_fma_f64 v[93:94], v[105:106], v[97:98], v[93:94]
	s_waitcnt vmcnt(17)
	v_fma_f64 v[105:106], v[107:108], v[99:100], v[93:94]
	ds_read2_b64 v[93:96], v92 offset0:81 offset1:82
	buffer_load_dword v107, off, s[0:3], 0 offset:16
	buffer_load_dword v108, off, s[0:3], 0 offset:20
	ds_read2_b64 v[97:100], v92 offset0:83 offset1:84
	s_waitcnt vmcnt(18) lgkmcnt(1)
	v_fma_f64 v[93:94], v[121:122], v[93:94], v[105:106]
	s_waitcnt vmcnt(17)
	v_fma_f64 v[93:94], v[119:120], v[95:96], v[93:94]
	s_waitcnt vmcnt(16) lgkmcnt(0)
	v_fma_f64 v[93:94], v[113:114], v[97:98], v[93:94]
	s_waitcnt vmcnt(11)
	v_fma_f64 v[101:102], v[101:102], v[99:100], v[93:94]
	ds_read2_b64 v[93:96], v92 offset0:85 offset1:86
	ds_read2_b64 v[97:100], v92 offset0:87 offset1:88
	s_waitcnt vmcnt(10) lgkmcnt(1)
	v_fma_f64 v[93:94], v[125:126], v[93:94], v[101:102]
	s_waitcnt vmcnt(9)
	v_fma_f64 v[93:94], v[123:124], v[95:96], v[93:94]
	s_waitcnt vmcnt(8) lgkmcnt(0)
	v_fma_f64 v[93:94], v[115:116], v[97:98], v[93:94]
	s_waitcnt vmcnt(4)
	v_fma_f64 v[96:97], v[103:104], v[99:100], v[93:94]
	ds_read2_b64 v[92:95], v92 offset0:89 offset1:90
	s_waitcnt vmcnt(3) lgkmcnt(0)
	v_fma_f64 v[92:93], v[111:112], v[92:93], v[96:97]
	s_waitcnt vmcnt(2)
	v_fma_f64 v[92:93], v[109:110], v[94:95], v[92:93]
	s_waitcnt vmcnt(0)
	v_add_f64 v[92:93], v[107:108], -v[92:93]
	buffer_store_dword v93, off, s[0:3], 0 offset:20
	buffer_store_dword v92, off, s[0:3], 0 offset:16
	s_and_saveexec_b64 s[4:5], vcc
	s_cbranch_execz .LBB108_275
; %bb.274:
	buffer_load_dword v92, off, s[0:3], 0 offset:8
	buffer_load_dword v93, off, s[0:3], 0 offset:12
	v_mov_b32_e32 v94, 0
	buffer_store_dword v94, off, s[0:3], 0 offset:8
	buffer_store_dword v94, off, s[0:3], 0 offset:12
	s_waitcnt vmcnt(2)
	ds_write_b64 v91, v[92:93]
.LBB108_275:
	s_or_b64 exec, exec, s[4:5]
	s_waitcnt lgkmcnt(0)
	; wave barrier
	buffer_load_dword v102, off, s[0:3], 0 offset:16
	buffer_load_dword v103, off, s[0:3], 0 offset:20
	;; [unrolled: 1-line block ×22, first 2 shown]
	v_mov_b32_e32 v93, 0
	ds_read_b128 v[94:97], v93 offset:384
	ds_read_b128 v[98:101], v93 offset:400
	v_cmp_ne_u32_e32 vcc, 0, v0
	s_waitcnt vmcnt(20) lgkmcnt(1)
	v_fma_f64 v[94:95], v[102:103], v[94:95], 0
	s_waitcnt vmcnt(18)
	v_fma_f64 v[94:95], v[104:105], v[96:97], v[94:95]
	buffer_load_dword v103, off, s[0:3], 0 offset:108
	buffer_load_dword v104, off, s[0:3], 0 offset:128
	;; [unrolled: 1-line block ×7, first 2 shown]
	s_waitcnt vmcnt(23) lgkmcnt(0)
	v_fma_f64 v[94:95], v[106:107], v[98:99], v[94:95]
	s_waitcnt vmcnt(21)
	v_fma_f64 v[105:106], v[108:109], v[100:101], v[94:95]
	ds_read_b128 v[94:97], v93 offset:416
	ds_read_b128 v[98:101], v93 offset:432
	s_waitcnt vmcnt(19) lgkmcnt(1)
	v_fma_f64 v[94:95], v[110:111], v[94:95], v[105:106]
	buffer_load_dword v105, off, s[0:3], 0 offset:132
	s_waitcnt vmcnt(18)
	v_fma_f64 v[94:95], v[112:113], v[96:97], v[94:95]
	buffer_load_dword v107, off, s[0:3], 0 offset:140
	buffer_load_dword v108, off, s[0:3], 0 offset:160
	;; [unrolled: 1-line block ×7, first 2 shown]
	s_waitcnt vmcnt(23) lgkmcnt(0)
	v_fma_f64 v[94:95], v[114:115], v[98:99], v[94:95]
	s_waitcnt vmcnt(18)
	v_fma_f64 v[114:115], v[116:117], v[100:101], v[94:95]
	ds_read_b128 v[94:97], v93 offset:448
	ds_read_b128 v[98:101], v93 offset:464
	buffer_load_dword v109, off, s[0:3], 0 offset:164
	s_waitcnt vmcnt(18) lgkmcnt(1)
	v_fma_f64 v[94:95], v[122:123], v[94:95], v[114:115]
	s_waitcnt vmcnt(17)
	v_fma_f64 v[94:95], v[120:121], v[96:97], v[94:95]
	buffer_load_dword v115, off, s[0:3], 0 offset:172
	buffer_load_dword v116, off, s[0:3], 0 offset:192
	;; [unrolled: 1-line block ×8, first 2 shown]
	s_waitcnt vmcnt(24) lgkmcnt(0)
	v_fma_f64 v[94:95], v[118:119], v[98:99], v[94:95]
	s_waitcnt vmcnt(19)
	v_fma_f64 v[102:103], v[102:103], v[100:101], v[94:95]
	ds_read_b128 v[94:97], v93 offset:480
	ds_read_b128 v[98:101], v93 offset:496
	s_waitcnt vmcnt(18) lgkmcnt(1)
	v_fma_f64 v[94:95], v[126:127], v[94:95], v[102:103]
	s_waitcnt vmcnt(17)
	v_fma_f64 v[94:95], v[124:125], v[96:97], v[94:95]
	buffer_load_dword v103, off, s[0:3], 0 offset:204
	buffer_load_dword v118, off, s[0:3], 0 offset:224
	;; [unrolled: 1-line block ×8, first 2 shown]
	s_waitcnt vmcnt(24) lgkmcnt(0)
	v_fma_f64 v[94:95], v[104:105], v[98:99], v[94:95]
	s_waitcnt vmcnt(19)
	v_fma_f64 v[104:105], v[106:107], v[100:101], v[94:95]
	ds_read_b128 v[94:97], v93 offset:512
	ds_read_b128 v[98:101], v93 offset:528
	s_waitcnt vmcnt(18) lgkmcnt(1)
	v_fma_f64 v[94:95], v[112:113], v[94:95], v[104:105]
	s_waitcnt vmcnt(17)
	v_fma_f64 v[94:95], v[110:111], v[96:97], v[94:95]
	buffer_load_dword v105, off, s[0:3], 0 offset:236
	buffer_load_dword v106, off, s[0:3], 0 offset:256
	;; [unrolled: 1-line block ×7, first 2 shown]
	s_waitcnt vmcnt(23) lgkmcnt(0)
	v_fma_f64 v[94:95], v[108:109], v[98:99], v[94:95]
	s_waitcnt vmcnt(18)
	v_fma_f64 v[107:108], v[114:115], v[100:101], v[94:95]
	ds_read_b128 v[94:97], v93 offset:544
	ds_read_b128 v[98:101], v93 offset:560
	s_waitcnt vmcnt(17) lgkmcnt(1)
	v_fma_f64 v[94:95], v[122:123], v[94:95], v[107:108]
	buffer_load_dword v107, off, s[0:3], 0 offset:260
	s_waitcnt vmcnt(17)
	v_fma_f64 v[94:95], v[120:121], v[96:97], v[94:95]
	buffer_load_dword v109, off, s[0:3], 0 offset:268
	buffer_load_dword v114, off, s[0:3], 0 offset:288
	buffer_load_dword v120, off, s[0:3], 0 offset:280
	buffer_load_dword v122, off, s[0:3], 0 offset:272
	buffer_load_dword v108, off, s[0:3], 0 offset:264
	buffer_load_dword v123, off, s[0:3], 0 offset:276
	buffer_load_dword v121, off, s[0:3], 0 offset:284
	buffer_load_dword v115, off, s[0:3], 0 offset:292
	s_waitcnt vmcnt(24) lgkmcnt(0)
	v_fma_f64 v[94:95], v[116:117], v[98:99], v[94:95]
	s_waitcnt vmcnt(19)
	v_fma_f64 v[102:103], v[102:103], v[100:101], v[94:95]
	ds_read_b128 v[94:97], v93 offset:576
	ds_read_b128 v[98:101], v93 offset:592
	s_waitcnt vmcnt(18) lgkmcnt(1)
	v_fma_f64 v[94:95], v[126:127], v[94:95], v[102:103]
	s_waitcnt vmcnt(17)
	v_fma_f64 v[94:95], v[124:125], v[96:97], v[94:95]
	buffer_load_dword v103, off, s[0:3], 0 offset:300
	buffer_load_dword v116, off, s[0:3], 0 offset:320
	buffer_load_dword v124, off, s[0:3], 0 offset:312
	buffer_load_dword v126, off, s[0:3], 0 offset:304
	buffer_load_dword v102, off, s[0:3], 0 offset:296
	buffer_load_dword v127, off, s[0:3], 0 offset:308
	buffer_load_dword v125, off, s[0:3], 0 offset:316
	buffer_load_dword v117, off, s[0:3], 0 offset:324
	s_waitcnt vmcnt(24) lgkmcnt(0)
	v_fma_f64 v[94:95], v[118:119], v[98:99], v[94:95]
	s_waitcnt vmcnt(19)
	v_fma_f64 v[104:105], v[104:105], v[100:101], v[94:95]
	ds_read_b128 v[94:97], v93 offset:608
	ds_read_b128 v[98:101], v93 offset:624
	s_waitcnt vmcnt(18) lgkmcnt(1)
	v_fma_f64 v[94:95], v[112:113], v[94:95], v[104:105]
	;; [unrolled: 18-line block ×3, first 2 shown]
	buffer_load_dword v106, off, s[0:3], 0 offset:8
	buffer_load_dword v107, off, s[0:3], 0 offset:12
	s_waitcnt vmcnt(19)
	v_fma_f64 v[94:95], v[120:121], v[96:97], v[94:95]
	s_waitcnt vmcnt(18) lgkmcnt(0)
	v_fma_f64 v[94:95], v[114:115], v[98:99], v[94:95]
	s_waitcnt vmcnt(13)
	v_fma_f64 v[102:103], v[102:103], v[100:101], v[94:95]
	ds_read_b128 v[94:97], v93 offset:672
	ds_read_b128 v[98:101], v93 offset:688
	s_waitcnt vmcnt(12) lgkmcnt(1)
	v_fma_f64 v[94:95], v[126:127], v[94:95], v[102:103]
	s_waitcnt vmcnt(11)
	v_fma_f64 v[94:95], v[124:125], v[96:97], v[94:95]
	s_waitcnt vmcnt(10) lgkmcnt(0)
	v_fma_f64 v[94:95], v[116:117], v[98:99], v[94:95]
	s_waitcnt vmcnt(5)
	v_fma_f64 v[98:99], v[104:105], v[100:101], v[94:95]
	ds_read_b128 v[94:97], v93 offset:704
	ds_read_b64 v[100:101], v93 offset:720
	s_waitcnt vmcnt(4) lgkmcnt(1)
	v_fma_f64 v[94:95], v[118:119], v[94:95], v[98:99]
	s_waitcnt vmcnt(3)
	v_fma_f64 v[94:95], v[112:113], v[96:97], v[94:95]
	s_waitcnt vmcnt(2) lgkmcnt(0)
	v_fma_f64 v[94:95], v[110:111], v[100:101], v[94:95]
	s_waitcnt vmcnt(0)
	v_add_f64 v[94:95], v[106:107], -v[94:95]
	buffer_store_dword v95, off, s[0:3], 0 offset:12
	buffer_store_dword v94, off, s[0:3], 0 offset:8
	s_and_saveexec_b64 s[4:5], vcc
	s_cbranch_execz .LBB108_277
; %bb.276:
	buffer_load_dword v94, off, s[0:3], 0
	buffer_load_dword v95, off, s[0:3], 0 offset:4
	s_waitcnt vmcnt(0)
	ds_write_b64 v91, v[94:95]
	buffer_store_dword v93, off, s[0:3], 0
	buffer_store_dword v93, off, s[0:3], 0 offset:4
.LBB108_277:
	s_or_b64 exec, exec, s[4:5]
	s_waitcnt lgkmcnt(0)
	; wave barrier
	buffer_load_dword v91, off, s[0:3], 0 offset:8
	buffer_load_dword v92, off, s[0:3], 0 offset:12
	;; [unrolled: 1-line block ×22, first 2 shown]
	ds_read2_b64 v[94:97], v93 offset0:47 offset1:48
	ds_read2_b64 v[98:101], v93 offset0:49 offset1:50
	s_and_b64 vcc, exec, s[14:15]
	s_waitcnt vmcnt(20) lgkmcnt(1)
	v_fma_f64 v[91:92], v[91:92], v[94:95], 0
	s_waitcnt vmcnt(18)
	v_fma_f64 v[91:92], v[102:103], v[96:97], v[91:92]
	buffer_load_dword v103, off, s[0:3], 0 offset:100
	buffer_load_dword v122, off, s[0:3], 0 offset:120
	;; [unrolled: 1-line block ×8, first 2 shown]
	ds_read2_b64 v[94:97], v93 offset0:51 offset1:52
	s_waitcnt vmcnt(24) lgkmcnt(1)
	v_fma_f64 v[91:92], v[104:105], v[98:99], v[91:92]
	s_waitcnt vmcnt(22)
	v_fma_f64 v[91:92], v[106:107], v[100:101], v[91:92]
	ds_read2_b64 v[98:101], v93 offset0:53 offset1:54
	s_waitcnt vmcnt(20) lgkmcnt(1)
	v_fma_f64 v[91:92], v[108:109], v[94:95], v[91:92]
	s_waitcnt vmcnt(18)
	v_fma_f64 v[91:92], v[110:111], v[96:97], v[91:92]
	buffer_load_dword v105, off, s[0:3], 0 offset:132
	buffer_load_dword v106, off, s[0:3], 0 offset:152
	;; [unrolled: 1-line block ×7, first 2 shown]
	s_waitcnt vmcnt(23) lgkmcnt(0)
	v_fma_f64 v[91:92], v[112:113], v[98:99], v[91:92]
	s_waitcnt vmcnt(18)
	v_fma_f64 v[91:92], v[114:115], v[100:101], v[91:92]
	ds_read2_b64 v[94:97], v93 offset0:55 offset1:56
	ds_read2_b64 v[98:101], v93 offset0:57 offset1:58
	buffer_load_dword v107, off, s[0:3], 0 offset:156
	s_waitcnt vmcnt(18) lgkmcnt(1)
	v_fma_f64 v[91:92], v[120:121], v[94:95], v[91:92]
	s_waitcnt vmcnt(17)
	v_fma_f64 v[91:92], v[118:119], v[96:97], v[91:92]
	buffer_load_dword v113, off, s[0:3], 0 offset:164
	buffer_load_dword v114, off, s[0:3], 0 offset:184
	;; [unrolled: 1-line block ×8, first 2 shown]
	ds_read2_b64 v[94:97], v93 offset0:59 offset1:60
	s_waitcnt vmcnt(24) lgkmcnt(1)
	v_fma_f64 v[91:92], v[116:117], v[98:99], v[91:92]
	s_waitcnt vmcnt(19)
	v_fma_f64 v[91:92], v[102:103], v[100:101], v[91:92]
	ds_read2_b64 v[98:101], v93 offset0:61 offset1:62
	s_waitcnt vmcnt(18) lgkmcnt(1)
	v_fma_f64 v[91:92], v[126:127], v[94:95], v[91:92]
	s_waitcnt vmcnt(17)
	v_fma_f64 v[91:92], v[124:125], v[96:97], v[91:92]
	buffer_load_dword v103, off, s[0:3], 0 offset:196
	buffer_load_dword v116, off, s[0:3], 0 offset:216
	;; [unrolled: 1-line block ×8, first 2 shown]
	ds_read2_b64 v[94:97], v93 offset0:63 offset1:64
	s_waitcnt vmcnt(24) lgkmcnt(1)
	v_fma_f64 v[91:92], v[122:123], v[98:99], v[91:92]
	s_waitcnt vmcnt(19)
	v_fma_f64 v[91:92], v[104:105], v[100:101], v[91:92]
	ds_read2_b64 v[98:101], v93 offset0:65 offset1:66
	s_waitcnt vmcnt(18) lgkmcnt(1)
	v_fma_f64 v[91:92], v[110:111], v[94:95], v[91:92]
	s_waitcnt vmcnt(17)
	v_fma_f64 v[91:92], v[108:109], v[96:97], v[91:92]
	buffer_load_dword v105, off, s[0:3], 0 offset:228
	buffer_load_dword v108, off, s[0:3], 0 offset:248
	;; [unrolled: 1-line block ×7, first 2 shown]
	s_waitcnt vmcnt(23) lgkmcnt(0)
	v_fma_f64 v[91:92], v[106:107], v[98:99], v[91:92]
	s_waitcnt vmcnt(18)
	v_fma_f64 v[91:92], v[112:113], v[100:101], v[91:92]
	ds_read2_b64 v[94:97], v93 offset0:67 offset1:68
	ds_read2_b64 v[98:101], v93 offset0:69 offset1:70
	buffer_load_dword v109, off, s[0:3], 0 offset:252
	s_waitcnt vmcnt(18) lgkmcnt(1)
	v_fma_f64 v[91:92], v[120:121], v[94:95], v[91:92]
	s_waitcnt vmcnt(17)
	v_fma_f64 v[91:92], v[118:119], v[96:97], v[91:92]
	buffer_load_dword v107, off, s[0:3], 0 offset:260
	buffer_load_dword v112, off, s[0:3], 0 offset:280
	buffer_load_dword v118, off, s[0:3], 0 offset:272
	buffer_load_dword v120, off, s[0:3], 0 offset:264
	buffer_load_dword v106, off, s[0:3], 0 offset:256
	buffer_load_dword v121, off, s[0:3], 0 offset:268
	buffer_load_dword v119, off, s[0:3], 0 offset:276
	buffer_load_dword v113, off, s[0:3], 0 offset:284
	ds_read2_b64 v[94:97], v93 offset0:71 offset1:72
	s_waitcnt vmcnt(24) lgkmcnt(1)
	v_fma_f64 v[91:92], v[114:115], v[98:99], v[91:92]
	s_waitcnt vmcnt(19)
	v_fma_f64 v[91:92], v[102:103], v[100:101], v[91:92]
	ds_read2_b64 v[98:101], v93 offset0:73 offset1:74
	s_waitcnt vmcnt(18) lgkmcnt(1)
	v_fma_f64 v[91:92], v[126:127], v[94:95], v[91:92]
	s_waitcnt vmcnt(17)
	v_fma_f64 v[91:92], v[124:125], v[96:97], v[91:92]
	buffer_load_dword v103, off, s[0:3], 0 offset:292
	buffer_load_dword v114, off, s[0:3], 0 offset:312
	;; [unrolled: 1-line block ×8, first 2 shown]
	ds_read2_b64 v[94:97], v93 offset0:75 offset1:76
	s_waitcnt vmcnt(24) lgkmcnt(1)
	v_fma_f64 v[91:92], v[116:117], v[98:99], v[91:92]
	s_waitcnt vmcnt(19)
	v_fma_f64 v[91:92], v[104:105], v[100:101], v[91:92]
	ds_read2_b64 v[98:101], v93 offset0:77 offset1:78
	s_waitcnt vmcnt(18) lgkmcnt(1)
	v_fma_f64 v[91:92], v[122:123], v[94:95], v[91:92]
	s_waitcnt vmcnt(17)
	v_fma_f64 v[94:95], v[110:111], v[96:97], v[91:92]
	buffer_load_dword v105, off, s[0:3], 0 offset:324
	buffer_load_dword v91, off, s[0:3], 0 offset:344
	;; [unrolled: 1-line block ×8, first 2 shown]
	s_waitcnt vmcnt(24) lgkmcnt(0)
	v_fma_f64 v[94:95], v[108:109], v[98:99], v[94:95]
	s_waitcnt vmcnt(19)
	v_fma_f64 v[106:107], v[106:107], v[100:101], v[94:95]
	ds_read2_b64 v[94:97], v93 offset0:79 offset1:80
	ds_read2_b64 v[98:101], v93 offset0:81 offset1:82
	s_waitcnt vmcnt(18) lgkmcnt(1)
	v_fma_f64 v[94:95], v[120:121], v[94:95], v[106:107]
	buffer_load_dword v107, off, s[0:3], 0 offset:356
	buffer_load_dword v106, off, s[0:3], 0 offset:352
	buffer_load_dword v108, off, s[0:3], 0
	buffer_load_dword v109, off, s[0:3], 0 offset:4
	s_waitcnt vmcnt(21)
	v_fma_f64 v[94:95], v[118:119], v[96:97], v[94:95]
	s_waitcnt vmcnt(20) lgkmcnt(0)
	v_fma_f64 v[94:95], v[112:113], v[98:99], v[94:95]
	s_waitcnt vmcnt(15)
	v_fma_f64 v[102:103], v[102:103], v[100:101], v[94:95]
	ds_read2_b64 v[94:97], v93 offset0:83 offset1:84
	ds_read2_b64 v[98:101], v93 offset0:85 offset1:86
	s_waitcnt vmcnt(14) lgkmcnt(1)
	v_fma_f64 v[94:95], v[126:127], v[94:95], v[102:103]
	s_waitcnt vmcnt(13)
	v_fma_f64 v[94:95], v[124:125], v[96:97], v[94:95]
	s_waitcnt vmcnt(12) lgkmcnt(0)
	v_fma_f64 v[94:95], v[114:115], v[98:99], v[94:95]
	s_waitcnt vmcnt(7)
	v_fma_f64 v[102:103], v[104:105], v[100:101], v[94:95]
	ds_read2_b64 v[94:97], v93 offset0:87 offset1:88
	ds_read2_b64 v[98:101], v93 offset0:89 offset1:90
	s_waitcnt vmcnt(6) lgkmcnt(1)
	v_fma_f64 v[93:94], v[116:117], v[94:95], v[102:103]
	s_waitcnt vmcnt(5)
	v_fma_f64 v[93:94], v[110:111], v[96:97], v[93:94]
	s_waitcnt vmcnt(4) lgkmcnt(0)
	v_fma_f64 v[93:94], v[91:92], v[98:99], v[93:94]
	s_waitcnt vmcnt(2)
	v_fma_f64 v[93:94], v[106:107], v[100:101], v[93:94]
	s_waitcnt vmcnt(0)
	v_add_f64 v[93:94], v[108:109], -v[93:94]
	buffer_store_dword v94, off, s[0:3], 0 offset:4
	buffer_store_dword v93, off, s[0:3], 0
	s_cbranch_vccz .LBB108_366
; %bb.278:
	v_mov_b32_e32 v0, 0
	global_load_dword v93, v0, s[12:13] offset:172
	s_waitcnt vmcnt(0)
	v_add_u32_e32 v93, -1, v93
	v_cmp_ne_u32_e32 vcc, 43, v93
	s_cbranch_vccz .LBB108_280
; %bb.279:
	v_lshlrev_b32_e32 v93, 3, v93
	buffer_load_dword v94, v93, s[0:3], 0 offen
	buffer_load_dword v95, v93, s[0:3], 0 offen offset:4
	s_waitcnt vmcnt(1)
	buffer_store_dword v94, off, s[0:3], 0 offset:344
	s_waitcnt vmcnt(1)
	buffer_store_dword v95, off, s[0:3], 0 offset:348
	buffer_store_dword v91, v93, s[0:3], 0 offen
	buffer_store_dword v92, v93, s[0:3], 0 offen offset:4
.LBB108_280:
	global_load_dword v0, v0, s[12:13] offset:168
	s_waitcnt vmcnt(0)
	v_add_u32_e32 v0, -1, v0
	v_cmp_eq_u32_e32 vcc, 42, v0
	s_cbranch_vccnz .LBB108_282
; %bb.281:
	v_lshlrev_b32_e32 v0, 3, v0
	buffer_load_dword v91, v0, s[0:3], 0 offen
	buffer_load_dword v92, v0, s[0:3], 0 offen offset:4
	buffer_load_dword v93, off, s[0:3], 0 offset:340
	buffer_load_dword v94, off, s[0:3], 0 offset:336
	s_waitcnt vmcnt(3)
	buffer_store_dword v91, off, s[0:3], 0 offset:336
	s_waitcnt vmcnt(3)
	buffer_store_dword v92, off, s[0:3], 0 offset:340
	s_waitcnt vmcnt(3)
	buffer_store_dword v93, v0, s[0:3], 0 offen offset:4
	s_waitcnt vmcnt(3)
	buffer_store_dword v94, v0, s[0:3], 0 offen
.LBB108_282:
	v_mov_b32_e32 v0, 0
	global_load_dword v91, v0, s[12:13] offset:164
	s_waitcnt vmcnt(0)
	v_add_u32_e32 v91, -1, v91
	v_cmp_eq_u32_e32 vcc, 41, v91
	s_cbranch_vccnz .LBB108_284
; %bb.283:
	v_lshlrev_b32_e32 v91, 3, v91
	buffer_load_dword v92, v91, s[0:3], 0 offen
	buffer_load_dword v93, v91, s[0:3], 0 offen offset:4
	buffer_load_dword v94, off, s[0:3], 0 offset:328
	buffer_load_dword v95, off, s[0:3], 0 offset:332
	s_waitcnt vmcnt(3)
	buffer_store_dword v92, off, s[0:3], 0 offset:328
	s_waitcnt vmcnt(3)
	buffer_store_dword v93, off, s[0:3], 0 offset:332
	s_waitcnt vmcnt(3)
	buffer_store_dword v94, v91, s[0:3], 0 offen
	s_waitcnt vmcnt(3)
	buffer_store_dword v95, v91, s[0:3], 0 offen offset:4
.LBB108_284:
	global_load_dword v0, v0, s[12:13] offset:160
	s_waitcnt vmcnt(0)
	v_add_u32_e32 v0, -1, v0
	v_cmp_eq_u32_e32 vcc, 40, v0
	s_cbranch_vccnz .LBB108_286
; %bb.285:
	v_lshlrev_b32_e32 v0, 3, v0
	buffer_load_dword v91, v0, s[0:3], 0 offen
	buffer_load_dword v92, v0, s[0:3], 0 offen offset:4
	buffer_load_dword v93, off, s[0:3], 0 offset:324
	buffer_load_dword v94, off, s[0:3], 0 offset:320
	s_waitcnt vmcnt(3)
	buffer_store_dword v91, off, s[0:3], 0 offset:320
	s_waitcnt vmcnt(3)
	buffer_store_dword v92, off, s[0:3], 0 offset:324
	s_waitcnt vmcnt(3)
	buffer_store_dword v93, v0, s[0:3], 0 offen offset:4
	s_waitcnt vmcnt(3)
	buffer_store_dword v94, v0, s[0:3], 0 offen
.LBB108_286:
	v_mov_b32_e32 v0, 0
	global_load_dword v91, v0, s[12:13] offset:156
	s_waitcnt vmcnt(0)
	v_add_u32_e32 v91, -1, v91
	v_cmp_eq_u32_e32 vcc, 39, v91
	s_cbranch_vccnz .LBB108_288
; %bb.287:
	v_lshlrev_b32_e32 v91, 3, v91
	buffer_load_dword v92, v91, s[0:3], 0 offen
	buffer_load_dword v93, v91, s[0:3], 0 offen offset:4
	buffer_load_dword v94, off, s[0:3], 0 offset:312
	buffer_load_dword v95, off, s[0:3], 0 offset:316
	s_waitcnt vmcnt(3)
	buffer_store_dword v92, off, s[0:3], 0 offset:312
	s_waitcnt vmcnt(3)
	buffer_store_dword v93, off, s[0:3], 0 offset:316
	s_waitcnt vmcnt(3)
	buffer_store_dword v94, v91, s[0:3], 0 offen
	s_waitcnt vmcnt(3)
	buffer_store_dword v95, v91, s[0:3], 0 offen offset:4
.LBB108_288:
	;; [unrolled: 41-line block ×21, first 2 shown]
	global_load_dword v0, v0, s[12:13]
	s_nop 0
	buffer_load_dword v93, off, s[0:3], 0
	buffer_load_dword v94, off, s[0:3], 0 offset:4
	s_waitcnt vmcnt(2)
	v_add_u32_e32 v0, -1, v0
	v_cmp_eq_u32_e32 vcc, 0, v0
	s_cbranch_vccnz .LBB108_366
; %bb.365:
	v_lshlrev_b32_e32 v0, 3, v0
	buffer_load_dword v91, v0, s[0:3], 0 offen offset:4
	buffer_load_dword v92, v0, s[0:3], 0 offen
	s_waitcnt vmcnt(1)
	buffer_store_dword v91, off, s[0:3], 0 offset:4
	s_waitcnt vmcnt(1)
	buffer_store_dword v92, off, s[0:3], 0
	buffer_store_dword v94, v0, s[0:3], 0 offen offset:4
	buffer_store_dword v93, v0, s[0:3], 0 offen
	buffer_load_dword v93, off, s[0:3], 0
	s_nop 0
	buffer_load_dword v94, off, s[0:3], 0 offset:4
.LBB108_366:
	s_waitcnt vmcnt(0)
	flat_store_dwordx2 v[1:2], v[93:94]
	buffer_load_dword v0, off, s[0:3], 0 offset:8
	s_nop 0
	buffer_load_dword v1, off, s[0:3], 0 offset:12
	s_waitcnt vmcnt(0)
	flat_store_dwordx2 v[3:4], v[0:1]
	buffer_load_dword v0, off, s[0:3], 0 offset:16
	s_nop 0
	buffer_load_dword v1, off, s[0:3], 0 offset:20
	s_waitcnt vmcnt(0)
	flat_store_dwordx2 v[5:6], v[0:1]
	buffer_load_dword v0, off, s[0:3], 0 offset:24
	s_nop 0
	buffer_load_dword v1, off, s[0:3], 0 offset:28
	s_waitcnt vmcnt(0)
	flat_store_dwordx2 v[7:8], v[0:1]
	buffer_load_dword v0, off, s[0:3], 0 offset:32
	s_nop 0
	buffer_load_dword v1, off, s[0:3], 0 offset:36
	s_waitcnt vmcnt(0)
	flat_store_dwordx2 v[9:10], v[0:1]
	buffer_load_dword v0, off, s[0:3], 0 offset:40
	s_nop 0
	buffer_load_dword v1, off, s[0:3], 0 offset:44
	s_waitcnt vmcnt(0)
	flat_store_dwordx2 v[11:12], v[0:1]
	buffer_load_dword v0, off, s[0:3], 0 offset:48
	s_nop 0
	buffer_load_dword v1, off, s[0:3], 0 offset:52
	s_waitcnt vmcnt(0)
	flat_store_dwordx2 v[13:14], v[0:1]
	buffer_load_dword v0, off, s[0:3], 0 offset:56
	s_nop 0
	buffer_load_dword v1, off, s[0:3], 0 offset:60
	s_waitcnt vmcnt(0)
	flat_store_dwordx2 v[15:16], v[0:1]
	buffer_load_dword v0, off, s[0:3], 0 offset:64
	s_nop 0
	buffer_load_dword v1, off, s[0:3], 0 offset:68
	s_waitcnt vmcnt(0)
	flat_store_dwordx2 v[17:18], v[0:1]
	buffer_load_dword v0, off, s[0:3], 0 offset:72
	s_nop 0
	buffer_load_dword v1, off, s[0:3], 0 offset:76
	s_waitcnt vmcnt(0)
	flat_store_dwordx2 v[19:20], v[0:1]
	buffer_load_dword v0, off, s[0:3], 0 offset:80
	s_nop 0
	buffer_load_dword v1, off, s[0:3], 0 offset:84
	s_waitcnt vmcnt(0)
	flat_store_dwordx2 v[21:22], v[0:1]
	buffer_load_dword v0, off, s[0:3], 0 offset:88
	s_nop 0
	buffer_load_dword v1, off, s[0:3], 0 offset:92
	s_waitcnt vmcnt(0)
	flat_store_dwordx2 v[23:24], v[0:1]
	buffer_load_dword v0, off, s[0:3], 0 offset:96
	s_nop 0
	buffer_load_dword v1, off, s[0:3], 0 offset:100
	s_waitcnt vmcnt(0)
	flat_store_dwordx2 v[25:26], v[0:1]
	buffer_load_dword v0, off, s[0:3], 0 offset:104
	s_nop 0
	buffer_load_dword v1, off, s[0:3], 0 offset:108
	s_waitcnt vmcnt(0)
	flat_store_dwordx2 v[27:28], v[0:1]
	buffer_load_dword v0, off, s[0:3], 0 offset:112
	s_nop 0
	buffer_load_dword v1, off, s[0:3], 0 offset:116
	s_waitcnt vmcnt(0)
	flat_store_dwordx2 v[29:30], v[0:1]
	buffer_load_dword v0, off, s[0:3], 0 offset:120
	s_nop 0
	buffer_load_dword v1, off, s[0:3], 0 offset:124
	s_waitcnt vmcnt(0)
	flat_store_dwordx2 v[31:32], v[0:1]
	buffer_load_dword v0, off, s[0:3], 0 offset:128
	s_nop 0
	buffer_load_dword v1, off, s[0:3], 0 offset:132
	s_waitcnt vmcnt(0)
	flat_store_dwordx2 v[33:34], v[0:1]
	buffer_load_dword v0, off, s[0:3], 0 offset:136
	s_nop 0
	buffer_load_dword v1, off, s[0:3], 0 offset:140
	s_waitcnt vmcnt(0)
	flat_store_dwordx2 v[35:36], v[0:1]
	buffer_load_dword v0, off, s[0:3], 0 offset:144
	s_nop 0
	buffer_load_dword v1, off, s[0:3], 0 offset:148
	s_waitcnt vmcnt(0)
	flat_store_dwordx2 v[37:38], v[0:1]
	buffer_load_dword v0, off, s[0:3], 0 offset:152
	s_nop 0
	buffer_load_dword v1, off, s[0:3], 0 offset:156
	s_waitcnt vmcnt(0)
	flat_store_dwordx2 v[39:40], v[0:1]
	buffer_load_dword v0, off, s[0:3], 0 offset:160
	s_nop 0
	buffer_load_dword v1, off, s[0:3], 0 offset:164
	s_waitcnt vmcnt(0)
	flat_store_dwordx2 v[41:42], v[0:1]
	buffer_load_dword v0, off, s[0:3], 0 offset:168
	s_nop 0
	buffer_load_dword v1, off, s[0:3], 0 offset:172
	s_waitcnt vmcnt(0)
	flat_store_dwordx2 v[43:44], v[0:1]
	buffer_load_dword v0, off, s[0:3], 0 offset:176
	s_nop 0
	buffer_load_dword v1, off, s[0:3], 0 offset:180
	s_waitcnt vmcnt(0)
	flat_store_dwordx2 v[45:46], v[0:1]
	buffer_load_dword v0, off, s[0:3], 0 offset:184
	s_nop 0
	buffer_load_dword v1, off, s[0:3], 0 offset:188
	s_waitcnt vmcnt(0)
	flat_store_dwordx2 v[47:48], v[0:1]
	buffer_load_dword v0, off, s[0:3], 0 offset:192
	s_nop 0
	buffer_load_dword v1, off, s[0:3], 0 offset:196
	s_waitcnt vmcnt(0)
	flat_store_dwordx2 v[49:50], v[0:1]
	buffer_load_dword v0, off, s[0:3], 0 offset:200
	s_nop 0
	buffer_load_dword v1, off, s[0:3], 0 offset:204
	s_waitcnt vmcnt(0)
	flat_store_dwordx2 v[51:52], v[0:1]
	buffer_load_dword v0, off, s[0:3], 0 offset:208
	s_nop 0
	buffer_load_dword v1, off, s[0:3], 0 offset:212
	s_waitcnt vmcnt(0)
	flat_store_dwordx2 v[53:54], v[0:1]
	buffer_load_dword v0, off, s[0:3], 0 offset:216
	s_nop 0
	buffer_load_dword v1, off, s[0:3], 0 offset:220
	s_waitcnt vmcnt(0)
	flat_store_dwordx2 v[55:56], v[0:1]
	buffer_load_dword v0, off, s[0:3], 0 offset:224
	s_nop 0
	buffer_load_dword v1, off, s[0:3], 0 offset:228
	s_waitcnt vmcnt(0)
	flat_store_dwordx2 v[57:58], v[0:1]
	buffer_load_dword v0, off, s[0:3], 0 offset:232
	s_nop 0
	buffer_load_dword v1, off, s[0:3], 0 offset:236
	s_waitcnt vmcnt(0)
	flat_store_dwordx2 v[59:60], v[0:1]
	buffer_load_dword v0, off, s[0:3], 0 offset:240
	s_nop 0
	buffer_load_dword v1, off, s[0:3], 0 offset:244
	s_waitcnt vmcnt(0)
	flat_store_dwordx2 v[61:62], v[0:1]
	buffer_load_dword v0, off, s[0:3], 0 offset:248
	s_nop 0
	buffer_load_dword v1, off, s[0:3], 0 offset:252
	s_waitcnt vmcnt(0)
	flat_store_dwordx2 v[63:64], v[0:1]
	buffer_load_dword v0, off, s[0:3], 0 offset:256
	s_nop 0
	buffer_load_dword v1, off, s[0:3], 0 offset:260
	s_waitcnt vmcnt(0)
	flat_store_dwordx2 v[65:66], v[0:1]
	buffer_load_dword v0, off, s[0:3], 0 offset:264
	s_nop 0
	buffer_load_dword v1, off, s[0:3], 0 offset:268
	s_waitcnt vmcnt(0)
	flat_store_dwordx2 v[67:68], v[0:1]
	buffer_load_dword v0, off, s[0:3], 0 offset:272
	s_nop 0
	buffer_load_dword v1, off, s[0:3], 0 offset:276
	s_waitcnt vmcnt(0)
	flat_store_dwordx2 v[69:70], v[0:1]
	buffer_load_dword v0, off, s[0:3], 0 offset:280
	s_nop 0
	buffer_load_dword v1, off, s[0:3], 0 offset:284
	s_waitcnt vmcnt(0)
	flat_store_dwordx2 v[71:72], v[0:1]
	buffer_load_dword v0, off, s[0:3], 0 offset:288
	s_nop 0
	buffer_load_dword v1, off, s[0:3], 0 offset:292
	s_waitcnt vmcnt(0)
	flat_store_dwordx2 v[73:74], v[0:1]
	buffer_load_dword v0, off, s[0:3], 0 offset:296
	s_nop 0
	buffer_load_dword v1, off, s[0:3], 0 offset:300
	s_waitcnt vmcnt(0)
	flat_store_dwordx2 v[75:76], v[0:1]
	buffer_load_dword v0, off, s[0:3], 0 offset:304
	s_nop 0
	buffer_load_dword v1, off, s[0:3], 0 offset:308
	s_waitcnt vmcnt(0)
	flat_store_dwordx2 v[77:78], v[0:1]
	buffer_load_dword v0, off, s[0:3], 0 offset:312
	s_nop 0
	buffer_load_dword v1, off, s[0:3], 0 offset:316
	s_waitcnt vmcnt(0)
	flat_store_dwordx2 v[79:80], v[0:1]
	buffer_load_dword v0, off, s[0:3], 0 offset:320
	s_nop 0
	buffer_load_dword v1, off, s[0:3], 0 offset:324
	s_waitcnt vmcnt(0)
	flat_store_dwordx2 v[81:82], v[0:1]
	buffer_load_dword v0, off, s[0:3], 0 offset:328
	s_nop 0
	buffer_load_dword v1, off, s[0:3], 0 offset:332
	s_waitcnt vmcnt(0)
	flat_store_dwordx2 v[83:84], v[0:1]
	buffer_load_dword v0, off, s[0:3], 0 offset:336
	s_nop 0
	buffer_load_dword v1, off, s[0:3], 0 offset:340
	s_waitcnt vmcnt(0)
	flat_store_dwordx2 v[85:86], v[0:1]
	buffer_load_dword v0, off, s[0:3], 0 offset:344
	s_nop 0
	buffer_load_dword v1, off, s[0:3], 0 offset:348
	s_waitcnt vmcnt(0)
	flat_store_dwordx2 v[87:88], v[0:1]
	buffer_load_dword v0, off, s[0:3], 0 offset:352
	s_nop 0
	buffer_load_dword v1, off, s[0:3], 0 offset:356
	s_waitcnt vmcnt(0)
	flat_store_dwordx2 v[89:90], v[0:1]
	s_endpgm
	.section	.rodata,"a",@progbits
	.p2align	6, 0x0
	.amdhsa_kernel _ZN9rocsolver6v33100L18getri_kernel_smallILi45EdPKPdEEvT1_iilPiilS6_bb
		.amdhsa_group_segment_fixed_size 728
		.amdhsa_private_segment_fixed_size 368
		.amdhsa_kernarg_size 60
		.amdhsa_user_sgpr_count 6
		.amdhsa_user_sgpr_private_segment_buffer 1
		.amdhsa_user_sgpr_dispatch_ptr 0
		.amdhsa_user_sgpr_queue_ptr 0
		.amdhsa_user_sgpr_kernarg_segment_ptr 1
		.amdhsa_user_sgpr_dispatch_id 0
		.amdhsa_user_sgpr_flat_scratch_init 0
		.amdhsa_user_sgpr_private_segment_size 0
		.amdhsa_uses_dynamic_stack 0
		.amdhsa_system_sgpr_private_segment_wavefront_offset 1
		.amdhsa_system_sgpr_workgroup_id_x 1
		.amdhsa_system_sgpr_workgroup_id_y 0
		.amdhsa_system_sgpr_workgroup_id_z 0
		.amdhsa_system_sgpr_workgroup_info 0
		.amdhsa_system_vgpr_workitem_id 0
		.amdhsa_next_free_vgpr 128
		.amdhsa_next_free_sgpr 21
		.amdhsa_reserve_vcc 1
		.amdhsa_reserve_flat_scratch 0
		.amdhsa_float_round_mode_32 0
		.amdhsa_float_round_mode_16_64 0
		.amdhsa_float_denorm_mode_32 3
		.amdhsa_float_denorm_mode_16_64 3
		.amdhsa_dx10_clamp 1
		.amdhsa_ieee_mode 1
		.amdhsa_fp16_overflow 0
		.amdhsa_exception_fp_ieee_invalid_op 0
		.amdhsa_exception_fp_denorm_src 0
		.amdhsa_exception_fp_ieee_div_zero 0
		.amdhsa_exception_fp_ieee_overflow 0
		.amdhsa_exception_fp_ieee_underflow 0
		.amdhsa_exception_fp_ieee_inexact 0
		.amdhsa_exception_int_div_zero 0
	.end_amdhsa_kernel
	.section	.text._ZN9rocsolver6v33100L18getri_kernel_smallILi45EdPKPdEEvT1_iilPiilS6_bb,"axG",@progbits,_ZN9rocsolver6v33100L18getri_kernel_smallILi45EdPKPdEEvT1_iilPiilS6_bb,comdat
.Lfunc_end108:
	.size	_ZN9rocsolver6v33100L18getri_kernel_smallILi45EdPKPdEEvT1_iilPiilS6_bb, .Lfunc_end108-_ZN9rocsolver6v33100L18getri_kernel_smallILi45EdPKPdEEvT1_iilPiilS6_bb
                                        ; -- End function
	.set _ZN9rocsolver6v33100L18getri_kernel_smallILi45EdPKPdEEvT1_iilPiilS6_bb.num_vgpr, 128
	.set _ZN9rocsolver6v33100L18getri_kernel_smallILi45EdPKPdEEvT1_iilPiilS6_bb.num_agpr, 0
	.set _ZN9rocsolver6v33100L18getri_kernel_smallILi45EdPKPdEEvT1_iilPiilS6_bb.numbered_sgpr, 21
	.set _ZN9rocsolver6v33100L18getri_kernel_smallILi45EdPKPdEEvT1_iilPiilS6_bb.num_named_barrier, 0
	.set _ZN9rocsolver6v33100L18getri_kernel_smallILi45EdPKPdEEvT1_iilPiilS6_bb.private_seg_size, 368
	.set _ZN9rocsolver6v33100L18getri_kernel_smallILi45EdPKPdEEvT1_iilPiilS6_bb.uses_vcc, 1
	.set _ZN9rocsolver6v33100L18getri_kernel_smallILi45EdPKPdEEvT1_iilPiilS6_bb.uses_flat_scratch, 0
	.set _ZN9rocsolver6v33100L18getri_kernel_smallILi45EdPKPdEEvT1_iilPiilS6_bb.has_dyn_sized_stack, 0
	.set _ZN9rocsolver6v33100L18getri_kernel_smallILi45EdPKPdEEvT1_iilPiilS6_bb.has_recursion, 0
	.set _ZN9rocsolver6v33100L18getri_kernel_smallILi45EdPKPdEEvT1_iilPiilS6_bb.has_indirect_call, 0
	.section	.AMDGPU.csdata,"",@progbits
; Kernel info:
; codeLenInByte = 54144
; TotalNumSgprs: 25
; NumVgprs: 128
; ScratchSize: 368
; MemoryBound: 1
; FloatMode: 240
; IeeeMode: 1
; LDSByteSize: 728 bytes/workgroup (compile time only)
; SGPRBlocks: 3
; VGPRBlocks: 31
; NumSGPRsForWavesPerEU: 25
; NumVGPRsForWavesPerEU: 128
; Occupancy: 2
; WaveLimiterHint : 1
; COMPUTE_PGM_RSRC2:SCRATCH_EN: 1
; COMPUTE_PGM_RSRC2:USER_SGPR: 6
; COMPUTE_PGM_RSRC2:TRAP_HANDLER: 0
; COMPUTE_PGM_RSRC2:TGID_X_EN: 1
; COMPUTE_PGM_RSRC2:TGID_Y_EN: 0
; COMPUTE_PGM_RSRC2:TGID_Z_EN: 0
; COMPUTE_PGM_RSRC2:TIDIG_COMP_CNT: 0
	.section	.text._ZN9rocsolver6v33100L18getri_kernel_smallILi46EdPKPdEEvT1_iilPiilS6_bb,"axG",@progbits,_ZN9rocsolver6v33100L18getri_kernel_smallILi46EdPKPdEEvT1_iilPiilS6_bb,comdat
	.globl	_ZN9rocsolver6v33100L18getri_kernel_smallILi46EdPKPdEEvT1_iilPiilS6_bb ; -- Begin function _ZN9rocsolver6v33100L18getri_kernel_smallILi46EdPKPdEEvT1_iilPiilS6_bb
	.p2align	8
	.type	_ZN9rocsolver6v33100L18getri_kernel_smallILi46EdPKPdEEvT1_iilPiilS6_bb,@function
_ZN9rocsolver6v33100L18getri_kernel_smallILi46EdPKPdEEvT1_iilPiilS6_bb: ; @_ZN9rocsolver6v33100L18getri_kernel_smallILi46EdPKPdEEvT1_iilPiilS6_bb
; %bb.0:
	s_add_u32 s0, s0, s7
	s_addc_u32 s1, s1, 0
	v_cmp_gt_u32_e32 vcc, 46, v0
	s_and_saveexec_b64 s[8:9], vcc
	s_cbranch_execz .LBB109_192
; %bb.1:
	s_load_dword s18, s[4:5], 0x38
	s_load_dwordx2 s[12:13], s[4:5], 0x0
	s_load_dwordx4 s[8:11], s[4:5], 0x28
	s_waitcnt lgkmcnt(0)
	s_bitcmp1_b32 s18, 8
	s_cselect_b64 s[14:15], -1, 0
	s_ashr_i32 s7, s6, 31
	s_lshl_b64 s[16:17], s[6:7], 3
	s_add_u32 s12, s12, s16
	s_addc_u32 s13, s13, s17
	s_load_dwordx2 s[16:17], s[12:13], 0x0
	s_bfe_u32 s12, s18, 0x10008
	s_cmp_eq_u32 s12, 0
                                        ; implicit-def: $sgpr12_sgpr13
	s_cbranch_scc1 .LBB109_3
; %bb.2:
	s_load_dword s12, s[4:5], 0x20
	s_load_dwordx2 s[18:19], s[4:5], 0x18
	s_mul_i32 s13, s8, s7
	s_mul_hi_u32 s20, s8, s6
	s_add_i32 s20, s20, s13
	s_mul_i32 s9, s9, s6
	s_add_i32 s9, s20, s9
	s_mul_i32 s8, s8, s6
	s_waitcnt lgkmcnt(0)
	s_ashr_i32 s13, s12, 31
	s_lshl_b64 s[8:9], s[8:9], 2
	s_add_u32 s18, s18, s8
	s_addc_u32 s19, s19, s9
	s_lshl_b64 s[8:9], s[12:13], 2
	s_add_u32 s12, s18, s8
	s_addc_u32 s13, s19, s9
.LBB109_3:
	s_load_dwordx2 s[8:9], s[4:5], 0x8
	s_load_dword s18, s[4:5], 0x38
	v_lshlrev_b32_e32 v95, 3, v0
	s_waitcnt lgkmcnt(0)
	s_ashr_i32 s5, s8, 31
	s_mov_b32 s4, s8
	s_lshl_b64 s[4:5], s[4:5], 3
	s_add_u32 s4, s16, s4
	s_addc_u32 s5, s17, s5
	v_mov_b32_e32 v2, s5
	v_add_co_u32_e32 v1, vcc, s4, v95
	v_addc_co_u32_e32 v2, vcc, 0, v2, vcc
	flat_load_dwordx2 v[5:6], v[1:2]
	s_mov_b32 s16, s9
	s_ashr_i32 s17, s9, 31
	s_lshl_b64 s[16:17], s[16:17], 3
	v_mov_b32_e32 v4, s17
	v_add_co_u32_e32 v3, vcc, s16, v1
	v_addc_co_u32_e32 v4, vcc, v2, v4, vcc
	s_add_i32 s8, s9, s9
	v_add_u32_e32 v9, s8, v0
	v_ashrrev_i32_e32 v10, 31, v9
	v_mov_b32_e32 v11, s5
	v_add_u32_e32 v12, s9, v9
	v_ashrrev_i32_e32 v13, 31, v12
	v_mov_b32_e32 v14, s5
	v_mov_b32_e32 v15, s5
	v_mov_b32_e32 v17, s5
	v_mov_b32_e32 v20, s5
	v_mov_b32_e32 v21, s5
	v_mov_b32_e32 v23, s5
	v_mov_b32_e32 v26, s5
	v_mov_b32_e32 v27, s5
	v_mov_b32_e32 v29, s5
	v_mov_b32_e32 v32, s5
	v_mov_b32_e32 v33, s5
	v_mov_b32_e32 v35, s5
	v_mov_b32_e32 v38, s5
	v_mov_b32_e32 v39, s5
	v_mov_b32_e32 v41, s5
	v_mov_b32_e32 v44, s5
	v_mov_b32_e32 v45, s5
	v_mov_b32_e32 v47, s5
	v_mov_b32_e32 v50, s5
	v_mov_b32_e32 v51, s5
	v_mov_b32_e32 v53, s5
	v_mov_b32_e32 v56, s5
	v_mov_b32_e32 v57, s5
	v_mov_b32_e32 v59, s5
	v_mov_b32_e32 v62, s5
	v_mov_b32_e32 v63, s5
	v_mov_b32_e32 v65, s5
	v_mov_b32_e32 v68, s5
	v_mov_b32_e32 v69, s5
	v_mov_b32_e32 v71, s5
	v_mov_b32_e32 v74, s5
	v_mov_b32_e32 v75, s5
	v_mov_b32_e32 v77, s5
	v_mov_b32_e32 v80, s5
	v_mov_b32_e32 v81, s5
	v_mov_b32_e32 v83, s5
	v_mov_b32_e32 v86, s5
	v_mov_b32_e32 v87, s5
	v_mov_b32_e32 v89, s5
	v_mov_b32_e32 v92, s5
	v_mov_b32_e32 v93, s5
	v_mov_b32_e32 v96, s5
	s_bitcmp0_b32 s18, 0
	s_waitcnt vmcnt(0) lgkmcnt(0)
	buffer_store_dword v6, off, s[0:3], 0 offset:4
	buffer_store_dword v5, off, s[0:3], 0
	flat_load_dwordx2 v[7:8], v[3:4]
	v_lshlrev_b64 v[5:6], 3, v[9:10]
	s_waitcnt vmcnt(0) lgkmcnt(0)
	buffer_store_dword v8, off, s[0:3], 0 offset:12
	buffer_store_dword v7, off, s[0:3], 0 offset:8
	v_add_co_u32_e32 v5, vcc, s4, v5
	v_addc_co_u32_e32 v6, vcc, v11, v6, vcc
	flat_load_dwordx2 v[10:11], v[5:6]
	v_lshlrev_b64 v[7:8], 3, v[12:13]
	s_waitcnt vmcnt(0) lgkmcnt(0)
	buffer_store_dword v11, off, s[0:3], 0 offset:20
	buffer_store_dword v10, off, s[0:3], 0 offset:16
	v_add_co_u32_e32 v7, vcc, s4, v7
	v_addc_co_u32_e32 v8, vcc, v14, v8, vcc
	flat_load_dwordx2 v[13:14], v[7:8]
	v_add_u32_e32 v11, s9, v12
	v_ashrrev_i32_e32 v12, 31, v11
	v_lshlrev_b64 v[9:10], 3, v[11:12]
	s_waitcnt vmcnt(0) lgkmcnt(0)
	buffer_store_dword v14, off, s[0:3], 0 offset:28
	buffer_store_dword v13, off, s[0:3], 0 offset:24
	v_add_co_u32_e32 v9, vcc, s4, v9
	v_addc_co_u32_e32 v10, vcc, v15, v10, vcc
	flat_load_dwordx2 v[13:14], v[9:10]
	v_add_u32_e32 v15, s9, v11
	v_ashrrev_i32_e32 v16, 31, v15
	v_lshlrev_b64 v[11:12], 3, v[15:16]
	v_add_u32_e32 v18, s9, v15
	v_add_co_u32_e32 v11, vcc, s4, v11
	v_addc_co_u32_e32 v12, vcc, v17, v12, vcc
	v_ashrrev_i32_e32 v19, 31, v18
	s_waitcnt vmcnt(0) lgkmcnt(0)
	buffer_store_dword v14, off, s[0:3], 0 offset:36
	buffer_store_dword v13, off, s[0:3], 0 offset:32
	flat_load_dwordx2 v[16:17], v[11:12]
	v_lshlrev_b64 v[13:14], 3, v[18:19]
	s_waitcnt vmcnt(0) lgkmcnt(0)
	buffer_store_dword v17, off, s[0:3], 0 offset:44
	buffer_store_dword v16, off, s[0:3], 0 offset:40
	v_add_co_u32_e32 v13, vcc, s4, v13
	v_addc_co_u32_e32 v14, vcc, v20, v14, vcc
	flat_load_dwordx2 v[19:20], v[13:14]
	v_add_u32_e32 v17, s9, v18
	v_ashrrev_i32_e32 v18, 31, v17
	v_lshlrev_b64 v[15:16], 3, v[17:18]
	s_waitcnt vmcnt(0) lgkmcnt(0)
	buffer_store_dword v20, off, s[0:3], 0 offset:52
	buffer_store_dword v19, off, s[0:3], 0 offset:48
	v_add_co_u32_e32 v15, vcc, s4, v15
	v_addc_co_u32_e32 v16, vcc, v21, v16, vcc
	flat_load_dwordx2 v[19:20], v[15:16]
	v_add_u32_e32 v21, s9, v17
	v_ashrrev_i32_e32 v22, 31, v21
	v_lshlrev_b64 v[17:18], 3, v[21:22]
	v_add_u32_e32 v24, s9, v21
	v_add_co_u32_e32 v17, vcc, s4, v17
	v_addc_co_u32_e32 v18, vcc, v23, v18, vcc
	v_ashrrev_i32_e32 v25, 31, v24
	s_waitcnt vmcnt(0) lgkmcnt(0)
	buffer_store_dword v20, off, s[0:3], 0 offset:60
	buffer_store_dword v19, off, s[0:3], 0 offset:56
	;; [unrolled: 27-line block ×7, first 2 shown]
	flat_load_dwordx2 v[52:53], v[47:48]
	v_lshlrev_b64 v[49:50], 3, v[54:55]
	s_waitcnt vmcnt(0) lgkmcnt(0)
	buffer_store_dword v53, off, s[0:3], 0 offset:188
	buffer_store_dword v52, off, s[0:3], 0 offset:184
	v_add_co_u32_e32 v49, vcc, s4, v49
	v_addc_co_u32_e32 v50, vcc, v56, v50, vcc
	flat_load_dwordx2 v[55:56], v[49:50]
	v_add_u32_e32 v53, s9, v54
	v_ashrrev_i32_e32 v54, 31, v53
	v_lshlrev_b64 v[51:52], 3, v[53:54]
	s_waitcnt vmcnt(0) lgkmcnt(0)
	buffer_store_dword v56, off, s[0:3], 0 offset:196
	buffer_store_dword v55, off, s[0:3], 0 offset:192
	v_add_co_u32_e32 v51, vcc, s4, v51
	v_addc_co_u32_e32 v52, vcc, v57, v52, vcc
	flat_load_dwordx2 v[55:56], v[51:52]
	v_add_u32_e32 v57, s9, v53
	v_ashrrev_i32_e32 v58, 31, v57
	v_lshlrev_b64 v[53:54], 3, v[57:58]
	v_add_u32_e32 v60, s9, v57
	v_add_co_u32_e32 v53, vcc, s4, v53
	v_addc_co_u32_e32 v54, vcc, v59, v54, vcc
	s_waitcnt vmcnt(0) lgkmcnt(0)
	buffer_store_dword v56, off, s[0:3], 0 offset:204
	buffer_store_dword v55, off, s[0:3], 0 offset:200
	flat_load_dwordx2 v[58:59], v[53:54]
	v_ashrrev_i32_e32 v61, 31, v60
	v_lshlrev_b64 v[55:56], 3, v[60:61]
	s_waitcnt vmcnt(0) lgkmcnt(0)
	buffer_store_dword v59, off, s[0:3], 0 offset:212
	buffer_store_dword v58, off, s[0:3], 0 offset:208
	v_add_co_u32_e32 v55, vcc, s4, v55
	v_addc_co_u32_e32 v56, vcc, v62, v56, vcc
	flat_load_dwordx2 v[61:62], v[55:56]
	v_add_u32_e32 v59, s9, v60
	v_ashrrev_i32_e32 v60, 31, v59
	v_lshlrev_b64 v[57:58], 3, v[59:60]
	s_waitcnt vmcnt(0) lgkmcnt(0)
	buffer_store_dword v62, off, s[0:3], 0 offset:220
	buffer_store_dword v61, off, s[0:3], 0 offset:216
	v_add_co_u32_e32 v57, vcc, s4, v57
	v_addc_co_u32_e32 v58, vcc, v63, v58, vcc
	flat_load_dwordx2 v[61:62], v[57:58]
	v_add_u32_e32 v63, s9, v59
	;; [unrolled: 9-line block ×18, first 2 shown]
	v_ashrrev_i32_e32 v92, 31, v91
	v_lshlrev_b64 v[91:92], 3, v[91:92]
	v_mov_b32_e32 v94, s5
	v_add_co_u32_e32 v91, vcc, s4, v91
	v_addc_co_u32_e32 v92, vcc, v94, v92, vcc
	s_waitcnt vmcnt(0) lgkmcnt(0)
	buffer_store_dword v97, off, s[0:3], 0 offset:356
	buffer_store_dword v96, off, s[0:3], 0 offset:352
	flat_load_dwordx2 v[93:94], v[91:92]
	s_mov_b64 s[8:9], -1
	s_waitcnt vmcnt(0) lgkmcnt(0)
	buffer_store_dword v94, off, s[0:3], 0 offset:364
	buffer_store_dword v93, off, s[0:3], 0 offset:360
	s_cbranch_scc1 .LBB109_190
; %bb.4:
	v_cmp_eq_u32_e64 s[4:5], 0, v0
	s_and_saveexec_b64 s[8:9], s[4:5]
; %bb.5:
	v_mov_b32_e32 v93, 0
	ds_write_b32 v93, v93 offset:736
; %bb.6:
	s_or_b64 exec, exec, s[8:9]
	v_mov_b32_e32 v93, 0
	v_lshl_add_u32 v93, v0, 3, v93
	s_waitcnt lgkmcnt(0)
	; wave barrier
	buffer_load_dword v96, v93, s[0:3], 0 offen
	buffer_load_dword v97, v93, s[0:3], 0 offen offset:4
	s_waitcnt vmcnt(0)
	v_cmp_eq_f64_e32 vcc, 0, v[96:97]
	s_and_saveexec_b64 s[16:17], vcc
	s_cbranch_execz .LBB109_10
; %bb.7:
	v_mov_b32_e32 v94, 0
	ds_read_b32 v97, v94 offset:736
	v_add_u32_e32 v96, 1, v0
	s_waitcnt lgkmcnt(0)
	v_readfirstlane_b32 s8, v97
	s_cmp_eq_u32 s8, 0
	s_cselect_b64 s[18:19], -1, 0
	v_cmp_gt_i32_e32 vcc, s8, v96
	s_or_b64 s[18:19], s[18:19], vcc
	s_and_b64 exec, exec, s[18:19]
	s_cbranch_execz .LBB109_10
; %bb.8:
	s_mov_b64 s[18:19], 0
	v_mov_b32_e32 v97, s8
.LBB109_9:                              ; =>This Inner Loop Header: Depth=1
	ds_cmpst_rtn_b32 v97, v94, v97, v96 offset:736
	s_waitcnt lgkmcnt(0)
	v_cmp_ne_u32_e32 vcc, 0, v97
	v_cmp_le_i32_e64 s[8:9], v97, v96
	s_and_b64 s[8:9], vcc, s[8:9]
	s_and_b64 s[8:9], exec, s[8:9]
	s_or_b64 s[18:19], s[8:9], s[18:19]
	s_andn2_b64 exec, exec, s[18:19]
	s_cbranch_execnz .LBB109_9
.LBB109_10:
	s_or_b64 exec, exec, s[16:17]
	v_mov_b32_e32 v96, 0
	; wave barrier
	ds_read_b32 v94, v96 offset:736
	s_and_saveexec_b64 s[8:9], s[4:5]
	s_cbranch_execz .LBB109_12
; %bb.11:
	s_lshl_b64 s[16:17], s[6:7], 2
	s_add_u32 s16, s10, s16
	s_addc_u32 s17, s11, s17
	s_waitcnt lgkmcnt(0)
	global_store_dword v96, v94, s[16:17]
.LBB109_12:
	s_or_b64 exec, exec, s[8:9]
	s_waitcnt lgkmcnt(0)
	v_cmp_ne_u32_e32 vcc, 0, v94
	s_mov_b64 s[8:9], 0
	s_cbranch_vccnz .LBB109_190
; %bb.13:
	buffer_load_dword v96, v93, s[0:3], 0 offen
	buffer_load_dword v97, v93, s[0:3], 0 offen offset:4
	s_waitcnt vmcnt(0)
	v_div_scale_f64 v[98:99], s[8:9], v[96:97], v[96:97], 1.0
	v_rcp_f64_e32 v[100:101], v[98:99]
	v_fma_f64 v[102:103], -v[98:99], v[100:101], 1.0
	v_fma_f64 v[100:101], v[100:101], v[102:103], v[100:101]
	v_div_scale_f64 v[102:103], vcc, 1.0, v[96:97], 1.0
	v_fma_f64 v[104:105], -v[98:99], v[100:101], 1.0
	v_fma_f64 v[100:101], v[100:101], v[104:105], v[100:101]
	v_mul_f64 v[104:105], v[102:103], v[100:101]
	v_fma_f64 v[98:99], -v[98:99], v[104:105], v[102:103]
	v_div_fmas_f64 v[98:99], v[98:99], v[100:101], v[104:105]
	v_div_fixup_f64 v[97:98], v[98:99], v[96:97], 1.0
	v_add_u32_e32 v96, 0x170, v95
	buffer_store_dword v98, v93, s[0:3], 0 offen offset:4
	buffer_store_dword v97, v93, s[0:3], 0 offen
	buffer_load_dword v100, off, s[0:3], 0 offset:12
	buffer_load_dword v99, off, s[0:3], 0 offset:8
	v_xor_b32_e32 v98, 0x80000000, v98
	s_waitcnt vmcnt(0)
	ds_write2_b64 v95, v[97:98], v[99:100] offset1:46
	s_waitcnt lgkmcnt(0)
	; wave barrier
	s_and_saveexec_b64 s[8:9], s[4:5]
	s_cbranch_execz .LBB109_15
; %bb.14:
	buffer_load_dword v97, v93, s[0:3], 0 offen
	buffer_load_dword v98, v93, s[0:3], 0 offen offset:4
	ds_read_b64 v[99:100], v96
	v_mov_b32_e32 v94, 0
	ds_read_b64 v[101:102], v94 offset:8
	s_waitcnt vmcnt(0) lgkmcnt(1)
	v_fma_f64 v[97:98], v[97:98], v[99:100], 0
	s_waitcnt lgkmcnt(0)
	v_mul_f64 v[97:98], v[97:98], v[101:102]
	buffer_store_dword v97, off, s[0:3], 0 offset:8
	buffer_store_dword v98, off, s[0:3], 0 offset:12
.LBB109_15:
	s_or_b64 exec, exec, s[8:9]
	; wave barrier
	buffer_load_dword v97, off, s[0:3], 0 offset:16
	buffer_load_dword v98, off, s[0:3], 0 offset:20
	v_cmp_gt_u32_e32 vcc, 2, v0
	s_waitcnt vmcnt(0)
	ds_write_b64 v96, v[97:98]
	s_waitcnt lgkmcnt(0)
	; wave barrier
	s_and_saveexec_b64 s[8:9], vcc
	s_cbranch_execz .LBB109_17
; %bb.16:
	buffer_load_dword v97, v93, s[0:3], 0 offen
	buffer_load_dword v98, v93, s[0:3], 0 offen offset:4
                                        ; kill: killed $vgpr93
	s_nop 0
	buffer_load_dword v93, off, s[0:3], 0 offset:8
	buffer_load_dword v94, off, s[0:3], 0 offset:12
	ds_read_b64 v[99:100], v96
	s_waitcnt vmcnt(2) lgkmcnt(0)
	v_fma_f64 v[101:102], v[97:98], v[99:100], 0
	v_mov_b32_e32 v97, 0
	ds_read2_b64 v[97:100], v97 offset0:2 offset1:47
	s_waitcnt vmcnt(0) lgkmcnt(0)
	v_fma_f64 v[93:94], v[93:94], v[99:100], v[101:102]
	v_cndmask_b32_e64 v94, v102, v94, s[4:5]
	v_cndmask_b32_e64 v93, v101, v93, s[4:5]
	v_mul_f64 v[93:94], v[93:94], v[97:98]
	buffer_store_dword v94, off, s[0:3], 0 offset:20
	buffer_store_dword v93, off, s[0:3], 0 offset:16
.LBB109_17:
	s_or_b64 exec, exec, s[8:9]
	; wave barrier
	buffer_load_dword v93, off, s[0:3], 0 offset:24
	buffer_load_dword v94, off, s[0:3], 0 offset:28
	v_cmp_gt_u32_e32 vcc, 3, v0
	v_add_u32_e32 v97, -1, v0
	s_waitcnt vmcnt(0)
	ds_write_b64 v96, v[93:94]
	s_waitcnt lgkmcnt(0)
	; wave barrier
	s_and_saveexec_b64 s[4:5], vcc
	s_cbranch_execz .LBB109_21
; %bb.18:
	v_mov_b32_e32 v93, 0
	v_add_u32_e32 v98, -1, v0
	v_add_u32_e32 v99, 0x170, v95
	v_mov_b32_e32 v100, v95
	v_mov_b32_e32 v94, 0
	s_mov_b64 s[8:9], 0
.LBB109_19:                             ; =>This Inner Loop Header: Depth=1
	buffer_load_dword v101, v100, s[0:3], 0 offen
	buffer_load_dword v102, v100, s[0:3], 0 offen offset:4
	ds_read_b64 v[103:104], v99
	v_add_u32_e32 v98, 1, v98
	v_cmp_lt_u32_e32 vcc, 1, v98
	v_add_u32_e32 v99, 8, v99
	s_or_b64 s[8:9], vcc, s[8:9]
	v_add_u32_e32 v100, 8, v100
	s_waitcnt vmcnt(0) lgkmcnt(0)
	v_fma_f64 v[93:94], v[101:102], v[103:104], v[93:94]
	s_andn2_b64 exec, exec, s[8:9]
	s_cbranch_execnz .LBB109_19
; %bb.20:
	s_or_b64 exec, exec, s[8:9]
	v_mov_b32_e32 v98, 0
	ds_read_b64 v[98:99], v98 offset:24
	s_waitcnt lgkmcnt(0)
	v_mul_f64 v[93:94], v[93:94], v[98:99]
	buffer_store_dword v94, off, s[0:3], 0 offset:28
	buffer_store_dword v93, off, s[0:3], 0 offset:24
.LBB109_21:
	s_or_b64 exec, exec, s[4:5]
	; wave barrier
	buffer_load_dword v93, off, s[0:3], 0 offset:32
	buffer_load_dword v94, off, s[0:3], 0 offset:36
	v_cmp_gt_u32_e32 vcc, 4, v0
	s_waitcnt vmcnt(0)
	ds_write_b64 v96, v[93:94]
	s_waitcnt lgkmcnt(0)
	; wave barrier
	s_and_saveexec_b64 s[4:5], vcc
	s_cbranch_execz .LBB109_25
; %bb.22:
	v_mov_b32_e32 v93, 0
	v_add_u32_e32 v98, -1, v0
	v_add_u32_e32 v99, 0x170, v95
	v_mov_b32_e32 v100, v95
	v_mov_b32_e32 v94, 0
	s_mov_b64 s[8:9], 0
.LBB109_23:                             ; =>This Inner Loop Header: Depth=1
	buffer_load_dword v101, v100, s[0:3], 0 offen
	buffer_load_dword v102, v100, s[0:3], 0 offen offset:4
	ds_read_b64 v[103:104], v99
	v_add_u32_e32 v98, 1, v98
	v_cmp_lt_u32_e32 vcc, 2, v98
	v_add_u32_e32 v99, 8, v99
	s_or_b64 s[8:9], vcc, s[8:9]
	v_add_u32_e32 v100, 8, v100
	s_waitcnt vmcnt(0) lgkmcnt(0)
	v_fma_f64 v[93:94], v[101:102], v[103:104], v[93:94]
	s_andn2_b64 exec, exec, s[8:9]
	s_cbranch_execnz .LBB109_23
; %bb.24:
	s_or_b64 exec, exec, s[8:9]
	v_mov_b32_e32 v98, 0
	ds_read_b64 v[98:99], v98 offset:32
	s_waitcnt lgkmcnt(0)
	v_mul_f64 v[93:94], v[93:94], v[98:99]
	buffer_store_dword v94, off, s[0:3], 0 offset:36
	buffer_store_dword v93, off, s[0:3], 0 offset:32
.LBB109_25:
	s_or_b64 exec, exec, s[4:5]
	; wave barrier
	buffer_load_dword v93, off, s[0:3], 0 offset:40
	buffer_load_dword v94, off, s[0:3], 0 offset:44
	v_cmp_gt_u32_e32 vcc, 5, v0
	;; [unrolled: 40-line block ×21, first 2 shown]
	s_waitcnt vmcnt(0)
	ds_write_b64 v96, v[93:94]
	s_waitcnt lgkmcnt(0)
	; wave barrier
	s_and_saveexec_b64 s[4:5], vcc
	s_cbranch_execz .LBB109_105
; %bb.102:
	v_mov_b32_e32 v93, 0
	v_add_u32_e32 v98, -1, v0
	v_add_u32_e32 v99, 0x170, v95
	v_mov_b32_e32 v100, v95
	v_mov_b32_e32 v94, 0
	s_mov_b64 s[8:9], 0
.LBB109_103:                            ; =>This Inner Loop Header: Depth=1
	buffer_load_dword v101, v100, s[0:3], 0 offen
	buffer_load_dword v102, v100, s[0:3], 0 offen offset:4
	ds_read_b64 v[103:104], v99
	v_add_u32_e32 v98, 1, v98
	v_cmp_lt_u32_e32 vcc, 22, v98
	v_add_u32_e32 v99, 8, v99
	s_or_b64 s[8:9], vcc, s[8:9]
	v_add_u32_e32 v100, 8, v100
	s_waitcnt vmcnt(0) lgkmcnt(0)
	v_fma_f64 v[93:94], v[101:102], v[103:104], v[93:94]
	s_andn2_b64 exec, exec, s[8:9]
	s_cbranch_execnz .LBB109_103
; %bb.104:
	s_or_b64 exec, exec, s[8:9]
	v_mov_b32_e32 v98, 0
	ds_read_b64 v[98:99], v98 offset:192
	s_waitcnt lgkmcnt(0)
	v_mul_f64 v[93:94], v[93:94], v[98:99]
	buffer_store_dword v94, off, s[0:3], 0 offset:196
	buffer_store_dword v93, off, s[0:3], 0 offset:192
.LBB109_105:
	s_or_b64 exec, exec, s[4:5]
	; wave barrier
	buffer_load_dword v93, off, s[0:3], 0 offset:200
	buffer_load_dword v94, off, s[0:3], 0 offset:204
	v_cmp_gt_u32_e32 vcc, 25, v0
	s_waitcnt vmcnt(0)
	ds_write_b64 v96, v[93:94]
	s_waitcnt lgkmcnt(0)
	; wave barrier
	s_and_saveexec_b64 s[4:5], vcc
	s_cbranch_execz .LBB109_109
; %bb.106:
	v_mov_b32_e32 v93, 0
	v_add_u32_e32 v98, -1, v0
	v_add_u32_e32 v99, 0x170, v95
	v_mov_b32_e32 v100, v95
	v_mov_b32_e32 v94, 0
	s_mov_b64 s[8:9], 0
.LBB109_107:                            ; =>This Inner Loop Header: Depth=1
	buffer_load_dword v101, v100, s[0:3], 0 offen
	buffer_load_dword v102, v100, s[0:3], 0 offen offset:4
	ds_read_b64 v[103:104], v99
	v_add_u32_e32 v98, 1, v98
	v_cmp_lt_u32_e32 vcc, 23, v98
	v_add_u32_e32 v99, 8, v99
	s_or_b64 s[8:9], vcc, s[8:9]
	v_add_u32_e32 v100, 8, v100
	s_waitcnt vmcnt(0) lgkmcnt(0)
	v_fma_f64 v[93:94], v[101:102], v[103:104], v[93:94]
	s_andn2_b64 exec, exec, s[8:9]
	s_cbranch_execnz .LBB109_107
; %bb.108:
	s_or_b64 exec, exec, s[8:9]
	v_mov_b32_e32 v98, 0
	ds_read_b64 v[98:99], v98 offset:200
	s_waitcnt lgkmcnt(0)
	v_mul_f64 v[93:94], v[93:94], v[98:99]
	buffer_store_dword v94, off, s[0:3], 0 offset:204
	buffer_store_dword v93, off, s[0:3], 0 offset:200
.LBB109_109:
	s_or_b64 exec, exec, s[4:5]
	; wave barrier
	buffer_load_dword v93, off, s[0:3], 0 offset:208
	buffer_load_dword v94, off, s[0:3], 0 offset:212
	v_cmp_gt_u32_e32 vcc, 26, v0
	;; [unrolled: 40-line block ×20, first 2 shown]
	s_waitcnt vmcnt(0)
	ds_write_b64 v96, v[93:94]
	s_waitcnt lgkmcnt(0)
	; wave barrier
	s_and_saveexec_b64 s[4:5], vcc
	s_cbranch_execz .LBB109_185
; %bb.182:
	v_mov_b32_e32 v93, 0
	v_add_u32_e32 v98, -1, v0
	v_add_u32_e32 v99, 0x170, v95
	v_mov_b32_e32 v100, v95
	v_mov_b32_e32 v94, 0
	s_mov_b64 s[8:9], 0
.LBB109_183:                            ; =>This Inner Loop Header: Depth=1
	buffer_load_dword v101, v100, s[0:3], 0 offen
	buffer_load_dword v102, v100, s[0:3], 0 offen offset:4
	ds_read_b64 v[103:104], v99
	v_add_u32_e32 v98, 1, v98
	v_cmp_lt_u32_e32 vcc, 42, v98
	v_add_u32_e32 v99, 8, v99
	s_or_b64 s[8:9], vcc, s[8:9]
	v_add_u32_e32 v100, 8, v100
	s_waitcnt vmcnt(0) lgkmcnt(0)
	v_fma_f64 v[93:94], v[101:102], v[103:104], v[93:94]
	s_andn2_b64 exec, exec, s[8:9]
	s_cbranch_execnz .LBB109_183
; %bb.184:
	s_or_b64 exec, exec, s[8:9]
	v_mov_b32_e32 v98, 0
	ds_read_b64 v[98:99], v98 offset:352
	s_waitcnt lgkmcnt(0)
	v_mul_f64 v[93:94], v[93:94], v[98:99]
	buffer_store_dword v94, off, s[0:3], 0 offset:356
	buffer_store_dword v93, off, s[0:3], 0 offset:352
.LBB109_185:
	s_or_b64 exec, exec, s[4:5]
	; wave barrier
	buffer_load_dword v93, off, s[0:3], 0 offset:360
	buffer_load_dword v94, off, s[0:3], 0 offset:364
	v_cmp_ne_u32_e32 vcc, 45, v0
	s_waitcnt vmcnt(0)
	ds_write_b64 v96, v[93:94]
	s_waitcnt lgkmcnt(0)
	; wave barrier
	s_and_saveexec_b64 s[4:5], vcc
	s_cbranch_execz .LBB109_189
; %bb.186:
	v_mov_b32_e32 v93, 0
	v_add_u32_e32 v96, 0x170, v95
	v_mov_b32_e32 v94, 0
	s_mov_b64 s[8:9], 0
.LBB109_187:                            ; =>This Inner Loop Header: Depth=1
	buffer_load_dword v98, v95, s[0:3], 0 offen
	buffer_load_dword v99, v95, s[0:3], 0 offen offset:4
	ds_read_b64 v[100:101], v96
	v_add_u32_e32 v97, 1, v97
	v_cmp_lt_u32_e32 vcc, 43, v97
	v_add_u32_e32 v96, 8, v96
	s_or_b64 s[8:9], vcc, s[8:9]
	v_add_u32_e32 v95, 8, v95
	s_waitcnt vmcnt(0) lgkmcnt(0)
	v_fma_f64 v[93:94], v[98:99], v[100:101], v[93:94]
	s_andn2_b64 exec, exec, s[8:9]
	s_cbranch_execnz .LBB109_187
; %bb.188:
	s_or_b64 exec, exec, s[8:9]
	v_mov_b32_e32 v95, 0
	ds_read_b64 v[95:96], v95 offset:360
	s_waitcnt lgkmcnt(0)
	v_mul_f64 v[93:94], v[93:94], v[95:96]
	buffer_store_dword v94, off, s[0:3], 0 offset:364
	buffer_store_dword v93, off, s[0:3], 0 offset:360
.LBB109_189:
	s_or_b64 exec, exec, s[4:5]
	s_mov_b64 s[8:9], -1
	; wave barrier
.LBB109_190:
	s_and_b64 vcc, exec, s[8:9]
	s_cbranch_vccz .LBB109_192
; %bb.191:
	s_lshl_b64 s[4:5], s[6:7], 2
	s_add_u32 s4, s10, s4
	s_addc_u32 s5, s11, s5
	v_mov_b32_e32 v93, 0
	global_load_dword v93, v93, s[4:5]
	s_waitcnt vmcnt(0)
	v_cmp_ne_u32_e32 vcc, 0, v93
	s_cbranch_vccz .LBB109_193
.LBB109_192:
	s_endpgm
.LBB109_193:
	v_mov_b32_e32 v93, 0x170
	v_lshl_add_u32 v93, v0, 3, v93
	v_cmp_eq_u32_e32 vcc, 45, v0
	s_and_saveexec_b64 s[4:5], vcc
	s_cbranch_execz .LBB109_195
; %bb.194:
	buffer_load_dword v94, off, s[0:3], 0 offset:352
	buffer_load_dword v95, off, s[0:3], 0 offset:356
	v_mov_b32_e32 v96, 0
	buffer_store_dword v96, off, s[0:3], 0 offset:352
	buffer_store_dword v96, off, s[0:3], 0 offset:356
	s_waitcnt vmcnt(2)
	ds_write_b64 v93, v[94:95]
.LBB109_195:
	s_or_b64 exec, exec, s[4:5]
	s_waitcnt lgkmcnt(0)
	; wave barrier
	buffer_load_dword v95, off, s[0:3], 0 offset:360
	buffer_load_dword v96, off, s[0:3], 0 offset:364
	;; [unrolled: 1-line block ×4, first 2 shown]
	v_mov_b32_e32 v94, 0
	ds_read_b64 v[99:100], v94 offset:728
	v_cmp_lt_u32_e32 vcc, 43, v0
	s_waitcnt vmcnt(2) lgkmcnt(0)
	v_fma_f64 v[95:96], v[95:96], v[99:100], 0
	s_waitcnt vmcnt(0)
	v_add_f64 v[95:96], v[97:98], -v[95:96]
	buffer_store_dword v95, off, s[0:3], 0 offset:352
	buffer_store_dword v96, off, s[0:3], 0 offset:356
	s_and_saveexec_b64 s[4:5], vcc
	s_cbranch_execz .LBB109_197
; %bb.196:
	buffer_load_dword v95, off, s[0:3], 0 offset:344
	buffer_load_dword v96, off, s[0:3], 0 offset:348
	s_waitcnt vmcnt(0)
	ds_write_b64 v93, v[95:96]
	buffer_store_dword v94, off, s[0:3], 0 offset:344
	buffer_store_dword v94, off, s[0:3], 0 offset:348
.LBB109_197:
	s_or_b64 exec, exec, s[4:5]
	s_waitcnt lgkmcnt(0)
	; wave barrier
	buffer_load_dword v98, off, s[0:3], 0 offset:352
	buffer_load_dword v99, off, s[0:3], 0 offset:356
	;; [unrolled: 1-line block ×6, first 2 shown]
	ds_read_b128 v[94:97], v94 offset:720
	v_cmp_lt_u32_e32 vcc, 42, v0
	s_waitcnt vmcnt(4) lgkmcnt(0)
	v_fma_f64 v[94:95], v[98:99], v[94:95], 0
	s_waitcnt vmcnt(2)
	v_fma_f64 v[94:95], v[100:101], v[96:97], v[94:95]
	s_waitcnt vmcnt(0)
	v_add_f64 v[94:95], v[102:103], -v[94:95]
	buffer_store_dword v94, off, s[0:3], 0 offset:344
	buffer_store_dword v95, off, s[0:3], 0 offset:348
	s_and_saveexec_b64 s[4:5], vcc
	s_cbranch_execz .LBB109_199
; %bb.198:
	buffer_load_dword v94, off, s[0:3], 0 offset:336
	buffer_load_dword v95, off, s[0:3], 0 offset:340
	v_mov_b32_e32 v96, 0
	buffer_store_dword v96, off, s[0:3], 0 offset:336
	buffer_store_dword v96, off, s[0:3], 0 offset:340
	s_waitcnt vmcnt(2)
	ds_write_b64 v93, v[94:95]
.LBB109_199:
	s_or_b64 exec, exec, s[4:5]
	s_waitcnt lgkmcnt(0)
	; wave barrier
	buffer_load_dword v99, off, s[0:3], 0 offset:344
	buffer_load_dword v100, off, s[0:3], 0 offset:348
	;; [unrolled: 1-line block ×8, first 2 shown]
	v_mov_b32_e32 v94, 0
	ds_read2_b64 v[95:98], v94 offset0:89 offset1:90
	ds_read_b64 v[107:108], v94 offset:728
	v_cmp_lt_u32_e32 vcc, 41, v0
	s_waitcnt vmcnt(6) lgkmcnt(1)
	v_fma_f64 v[95:96], v[99:100], v[95:96], 0
	s_waitcnt vmcnt(4)
	v_fma_f64 v[95:96], v[101:102], v[97:98], v[95:96]
	s_waitcnt vmcnt(2) lgkmcnt(0)
	v_fma_f64 v[95:96], v[103:104], v[107:108], v[95:96]
	s_waitcnt vmcnt(0)
	v_add_f64 v[95:96], v[105:106], -v[95:96]
	buffer_store_dword v95, off, s[0:3], 0 offset:336
	buffer_store_dword v96, off, s[0:3], 0 offset:340
	s_and_saveexec_b64 s[4:5], vcc
	s_cbranch_execz .LBB109_201
; %bb.200:
	buffer_load_dword v95, off, s[0:3], 0 offset:328
	buffer_load_dword v96, off, s[0:3], 0 offset:332
	s_waitcnt vmcnt(0)
	ds_write_b64 v93, v[95:96]
	buffer_store_dword v94, off, s[0:3], 0 offset:328
	buffer_store_dword v94, off, s[0:3], 0 offset:332
.LBB109_201:
	s_or_b64 exec, exec, s[4:5]
	s_waitcnt lgkmcnt(0)
	; wave barrier
	buffer_load_dword v103, off, s[0:3], 0 offset:336
	buffer_load_dword v104, off, s[0:3], 0 offset:340
	;; [unrolled: 1-line block ×10, first 2 shown]
	ds_read_b128 v[95:98], v94 offset:704
	ds_read_b128 v[99:102], v94 offset:720
	v_cmp_lt_u32_e32 vcc, 40, v0
	s_waitcnt vmcnt(8) lgkmcnt(1)
	v_fma_f64 v[94:95], v[103:104], v[95:96], 0
	s_waitcnt vmcnt(6)
	v_fma_f64 v[94:95], v[105:106], v[97:98], v[94:95]
	s_waitcnt vmcnt(4) lgkmcnt(0)
	v_fma_f64 v[94:95], v[107:108], v[99:100], v[94:95]
	s_waitcnt vmcnt(2)
	v_fma_f64 v[94:95], v[109:110], v[101:102], v[94:95]
	s_waitcnt vmcnt(0)
	v_add_f64 v[94:95], v[111:112], -v[94:95]
	buffer_store_dword v94, off, s[0:3], 0 offset:328
	buffer_store_dword v95, off, s[0:3], 0 offset:332
	s_and_saveexec_b64 s[4:5], vcc
	s_cbranch_execz .LBB109_203
; %bb.202:
	buffer_load_dword v94, off, s[0:3], 0 offset:320
	buffer_load_dword v95, off, s[0:3], 0 offset:324
	v_mov_b32_e32 v96, 0
	buffer_store_dword v96, off, s[0:3], 0 offset:320
	buffer_store_dword v96, off, s[0:3], 0 offset:324
	s_waitcnt vmcnt(2)
	ds_write_b64 v93, v[94:95]
.LBB109_203:
	s_or_b64 exec, exec, s[4:5]
	s_waitcnt lgkmcnt(0)
	; wave barrier
	buffer_load_dword v103, off, s[0:3], 0 offset:328
	buffer_load_dword v104, off, s[0:3], 0 offset:332
	;; [unrolled: 1-line block ×12, first 2 shown]
	v_mov_b32_e32 v94, 0
	ds_read2_b64 v[95:98], v94 offset0:87 offset1:88
	ds_read2_b64 v[99:102], v94 offset0:89 offset1:90
	v_cmp_lt_u32_e32 vcc, 39, v0
	s_waitcnt vmcnt(10) lgkmcnt(1)
	v_fma_f64 v[95:96], v[103:104], v[95:96], 0
	s_waitcnt vmcnt(8)
	v_fma_f64 v[95:96], v[105:106], v[97:98], v[95:96]
	ds_read_b64 v[97:98], v94 offset:728
	s_waitcnt vmcnt(6) lgkmcnt(1)
	v_fma_f64 v[95:96], v[107:108], v[99:100], v[95:96]
	s_waitcnt vmcnt(4)
	v_fma_f64 v[95:96], v[109:110], v[101:102], v[95:96]
	s_waitcnt vmcnt(2) lgkmcnt(0)
	v_fma_f64 v[95:96], v[111:112], v[97:98], v[95:96]
	s_waitcnt vmcnt(0)
	v_add_f64 v[95:96], v[113:114], -v[95:96]
	buffer_store_dword v95, off, s[0:3], 0 offset:320
	buffer_store_dword v96, off, s[0:3], 0 offset:324
	s_and_saveexec_b64 s[4:5], vcc
	s_cbranch_execz .LBB109_205
; %bb.204:
	buffer_load_dword v95, off, s[0:3], 0 offset:312
	buffer_load_dword v96, off, s[0:3], 0 offset:316
	s_waitcnt vmcnt(0)
	ds_write_b64 v93, v[95:96]
	buffer_store_dword v94, off, s[0:3], 0 offset:312
	buffer_store_dword v94, off, s[0:3], 0 offset:316
.LBB109_205:
	s_or_b64 exec, exec, s[4:5]
	s_waitcnt lgkmcnt(0)
	; wave barrier
	buffer_load_dword v103, off, s[0:3], 0 offset:320
	buffer_load_dword v104, off, s[0:3], 0 offset:324
	;; [unrolled: 1-line block ×14, first 2 shown]
	ds_read_b128 v[95:98], v94 offset:688
	ds_read_b128 v[99:102], v94 offset:704
	v_cmp_lt_u32_e32 vcc, 38, v0
	s_waitcnt vmcnt(12) lgkmcnt(1)
	v_fma_f64 v[95:96], v[103:104], v[95:96], 0
	s_waitcnt vmcnt(10)
	v_fma_f64 v[95:96], v[105:106], v[97:98], v[95:96]
	s_waitcnt vmcnt(8) lgkmcnt(0)
	v_fma_f64 v[95:96], v[107:108], v[99:100], v[95:96]
	s_waitcnt vmcnt(6)
	v_fma_f64 v[98:99], v[109:110], v[101:102], v[95:96]
	ds_read_b128 v[94:97], v94 offset:720
	s_waitcnt vmcnt(4) lgkmcnt(0)
	v_fma_f64 v[94:95], v[111:112], v[94:95], v[98:99]
	s_waitcnt vmcnt(2)
	v_fma_f64 v[94:95], v[113:114], v[96:97], v[94:95]
	s_waitcnt vmcnt(0)
	v_add_f64 v[94:95], v[115:116], -v[94:95]
	buffer_store_dword v94, off, s[0:3], 0 offset:312
	buffer_store_dword v95, off, s[0:3], 0 offset:316
	s_and_saveexec_b64 s[4:5], vcc
	s_cbranch_execz .LBB109_207
; %bb.206:
	buffer_load_dword v94, off, s[0:3], 0 offset:304
	buffer_load_dword v95, off, s[0:3], 0 offset:308
	v_mov_b32_e32 v96, 0
	buffer_store_dword v96, off, s[0:3], 0 offset:304
	buffer_store_dword v96, off, s[0:3], 0 offset:308
	s_waitcnt vmcnt(2)
	ds_write_b64 v93, v[94:95]
.LBB109_207:
	s_or_b64 exec, exec, s[4:5]
	s_waitcnt lgkmcnt(0)
	; wave barrier
	buffer_load_dword v103, off, s[0:3], 0 offset:312
	buffer_load_dword v104, off, s[0:3], 0 offset:316
	;; [unrolled: 1-line block ×16, first 2 shown]
	v_mov_b32_e32 v94, 0
	ds_read2_b64 v[95:98], v94 offset0:85 offset1:86
	ds_read2_b64 v[99:102], v94 offset0:87 offset1:88
	v_cmp_lt_u32_e32 vcc, 37, v0
	s_waitcnt vmcnt(14) lgkmcnt(1)
	v_fma_f64 v[95:96], v[103:104], v[95:96], 0
	s_waitcnt vmcnt(12)
	v_fma_f64 v[95:96], v[105:106], v[97:98], v[95:96]
	s_waitcnt vmcnt(10) lgkmcnt(0)
	v_fma_f64 v[95:96], v[107:108], v[99:100], v[95:96]
	s_waitcnt vmcnt(8)
	v_fma_f64 v[99:100], v[109:110], v[101:102], v[95:96]
	ds_read2_b64 v[95:98], v94 offset0:89 offset1:90
	ds_read_b64 v[101:102], v94 offset:728
	s_waitcnt vmcnt(6) lgkmcnt(1)
	v_fma_f64 v[95:96], v[111:112], v[95:96], v[99:100]
	s_waitcnt vmcnt(4)
	v_fma_f64 v[95:96], v[113:114], v[97:98], v[95:96]
	s_waitcnt vmcnt(2) lgkmcnt(0)
	v_fma_f64 v[95:96], v[115:116], v[101:102], v[95:96]
	s_waitcnt vmcnt(0)
	v_add_f64 v[95:96], v[117:118], -v[95:96]
	buffer_store_dword v95, off, s[0:3], 0 offset:304
	buffer_store_dword v96, off, s[0:3], 0 offset:308
	s_and_saveexec_b64 s[4:5], vcc
	s_cbranch_execz .LBB109_209
; %bb.208:
	buffer_load_dword v95, off, s[0:3], 0 offset:296
	buffer_load_dword v96, off, s[0:3], 0 offset:300
	s_waitcnt vmcnt(0)
	ds_write_b64 v93, v[95:96]
	buffer_store_dword v94, off, s[0:3], 0 offset:296
	buffer_store_dword v94, off, s[0:3], 0 offset:300
.LBB109_209:
	s_or_b64 exec, exec, s[4:5]
	s_waitcnt lgkmcnt(0)
	; wave barrier
	buffer_load_dword v103, off, s[0:3], 0 offset:304
	buffer_load_dword v104, off, s[0:3], 0 offset:308
	;; [unrolled: 1-line block ×18, first 2 shown]
	ds_read_b128 v[95:98], v94 offset:672
	ds_read_b128 v[99:102], v94 offset:688
	v_cmp_lt_u32_e32 vcc, 36, v0
	s_waitcnt vmcnt(16) lgkmcnt(1)
	v_fma_f64 v[95:96], v[103:104], v[95:96], 0
	s_waitcnt vmcnt(14)
	v_fma_f64 v[95:96], v[105:106], v[97:98], v[95:96]
	s_waitcnt vmcnt(12) lgkmcnt(0)
	v_fma_f64 v[95:96], v[107:108], v[99:100], v[95:96]
	s_waitcnt vmcnt(10)
	v_fma_f64 v[103:104], v[109:110], v[101:102], v[95:96]
	ds_read_b128 v[95:98], v94 offset:704
	ds_read_b128 v[99:102], v94 offset:720
	s_waitcnt vmcnt(8) lgkmcnt(1)
	v_fma_f64 v[94:95], v[111:112], v[95:96], v[103:104]
	s_waitcnt vmcnt(6)
	v_fma_f64 v[94:95], v[113:114], v[97:98], v[94:95]
	s_waitcnt vmcnt(4) lgkmcnt(0)
	v_fma_f64 v[94:95], v[115:116], v[99:100], v[94:95]
	s_waitcnt vmcnt(2)
	v_fma_f64 v[94:95], v[117:118], v[101:102], v[94:95]
	s_waitcnt vmcnt(0)
	v_add_f64 v[94:95], v[119:120], -v[94:95]
	buffer_store_dword v94, off, s[0:3], 0 offset:296
	buffer_store_dword v95, off, s[0:3], 0 offset:300
	s_and_saveexec_b64 s[4:5], vcc
	s_cbranch_execz .LBB109_211
; %bb.210:
	buffer_load_dword v94, off, s[0:3], 0 offset:288
	buffer_load_dword v95, off, s[0:3], 0 offset:292
	v_mov_b32_e32 v96, 0
	buffer_store_dword v96, off, s[0:3], 0 offset:288
	buffer_store_dword v96, off, s[0:3], 0 offset:292
	s_waitcnt vmcnt(2)
	ds_write_b64 v93, v[94:95]
.LBB109_211:
	s_or_b64 exec, exec, s[4:5]
	s_waitcnt lgkmcnt(0)
	; wave barrier
	buffer_load_dword v103, off, s[0:3], 0 offset:296
	buffer_load_dword v104, off, s[0:3], 0 offset:300
	;; [unrolled: 1-line block ×20, first 2 shown]
	v_mov_b32_e32 v94, 0
	ds_read2_b64 v[95:98], v94 offset0:83 offset1:84
	ds_read2_b64 v[99:102], v94 offset0:85 offset1:86
	v_cmp_lt_u32_e32 vcc, 35, v0
	s_waitcnt vmcnt(18) lgkmcnt(1)
	v_fma_f64 v[95:96], v[103:104], v[95:96], 0
	s_waitcnt vmcnt(16)
	v_fma_f64 v[95:96], v[105:106], v[97:98], v[95:96]
	s_waitcnt vmcnt(14) lgkmcnt(0)
	v_fma_f64 v[95:96], v[107:108], v[99:100], v[95:96]
	s_waitcnt vmcnt(12)
	v_fma_f64 v[103:104], v[109:110], v[101:102], v[95:96]
	ds_read2_b64 v[95:98], v94 offset0:87 offset1:88
	ds_read2_b64 v[99:102], v94 offset0:89 offset1:90
	s_waitcnt vmcnt(10) lgkmcnt(1)
	v_fma_f64 v[95:96], v[111:112], v[95:96], v[103:104]
	s_waitcnt vmcnt(8)
	v_fma_f64 v[95:96], v[113:114], v[97:98], v[95:96]
	ds_read_b64 v[97:98], v94 offset:728
	s_waitcnt vmcnt(6) lgkmcnt(1)
	v_fma_f64 v[95:96], v[115:116], v[99:100], v[95:96]
	s_waitcnt vmcnt(3)
	v_fma_f64 v[95:96], v[117:118], v[101:102], v[95:96]
	s_waitcnt vmcnt(2) lgkmcnt(0)
	v_fma_f64 v[95:96], v[119:120], v[97:98], v[95:96]
	s_waitcnt vmcnt(0)
	v_add_f64 v[95:96], v[121:122], -v[95:96]
	buffer_store_dword v95, off, s[0:3], 0 offset:288
	buffer_store_dword v96, off, s[0:3], 0 offset:292
	s_and_saveexec_b64 s[4:5], vcc
	s_cbranch_execz .LBB109_213
; %bb.212:
	buffer_load_dword v95, off, s[0:3], 0 offset:280
	buffer_load_dword v96, off, s[0:3], 0 offset:284
	s_waitcnt vmcnt(0)
	ds_write_b64 v93, v[95:96]
	buffer_store_dword v94, off, s[0:3], 0 offset:280
	buffer_store_dword v94, off, s[0:3], 0 offset:284
.LBB109_213:
	s_or_b64 exec, exec, s[4:5]
	s_waitcnt lgkmcnt(0)
	; wave barrier
	buffer_load_dword v103, off, s[0:3], 0 offset:288
	buffer_load_dword v104, off, s[0:3], 0 offset:292
	;; [unrolled: 1-line block ×20, first 2 shown]
	ds_read_b128 v[95:98], v94 offset:656
	buffer_load_dword v123, off, s[0:3], 0 offset:280
	buffer_load_dword v124, off, s[0:3], 0 offset:284
	ds_read_b128 v[99:102], v94 offset:672
	v_cmp_lt_u32_e32 vcc, 34, v0
	s_waitcnt vmcnt(20) lgkmcnt(1)
	v_fma_f64 v[95:96], v[103:104], v[95:96], 0
	s_waitcnt vmcnt(18)
	v_fma_f64 v[95:96], v[105:106], v[97:98], v[95:96]
	s_waitcnt vmcnt(16) lgkmcnt(0)
	v_fma_f64 v[95:96], v[107:108], v[99:100], v[95:96]
	s_waitcnt vmcnt(14)
	v_fma_f64 v[103:104], v[109:110], v[101:102], v[95:96]
	ds_read_b128 v[95:98], v94 offset:688
	ds_read_b128 v[99:102], v94 offset:704
	s_waitcnt vmcnt(12) lgkmcnt(1)
	v_fma_f64 v[95:96], v[111:112], v[95:96], v[103:104]
	s_waitcnt vmcnt(10)
	v_fma_f64 v[95:96], v[113:114], v[97:98], v[95:96]
	s_waitcnt vmcnt(8) lgkmcnt(0)
	v_fma_f64 v[95:96], v[115:116], v[99:100], v[95:96]
	s_waitcnt vmcnt(4)
	v_fma_f64 v[98:99], v[117:118], v[101:102], v[95:96]
	ds_read_b128 v[94:97], v94 offset:720
	s_waitcnt vmcnt(3) lgkmcnt(0)
	v_fma_f64 v[94:95], v[121:122], v[94:95], v[98:99]
	s_waitcnt vmcnt(2)
	v_fma_f64 v[94:95], v[119:120], v[96:97], v[94:95]
	s_waitcnt vmcnt(0)
	v_add_f64 v[94:95], v[123:124], -v[94:95]
	buffer_store_dword v94, off, s[0:3], 0 offset:280
	buffer_store_dword v95, off, s[0:3], 0 offset:284
	s_and_saveexec_b64 s[4:5], vcc
	s_cbranch_execz .LBB109_215
; %bb.214:
	buffer_load_dword v94, off, s[0:3], 0 offset:272
	buffer_load_dword v95, off, s[0:3], 0 offset:276
	v_mov_b32_e32 v96, 0
	buffer_store_dword v96, off, s[0:3], 0 offset:272
	buffer_store_dword v96, off, s[0:3], 0 offset:276
	s_waitcnt vmcnt(2)
	ds_write_b64 v93, v[94:95]
.LBB109_215:
	s_or_b64 exec, exec, s[4:5]
	s_waitcnt lgkmcnt(0)
	; wave barrier
	buffer_load_dword v103, off, s[0:3], 0 offset:280
	buffer_load_dword v104, off, s[0:3], 0 offset:284
	;; [unrolled: 1-line block ×21, first 2 shown]
	v_mov_b32_e32 v94, 0
	ds_read2_b64 v[95:98], v94 offset0:81 offset1:82
	ds_read2_b64 v[99:102], v94 offset0:83 offset1:84
	buffer_load_dword v120, off, s[0:3], 0 offset:364
	v_cmp_lt_u32_e32 vcc, 33, v0
	s_waitcnt vmcnt(20) lgkmcnt(1)
	v_fma_f64 v[95:96], v[103:104], v[95:96], 0
	buffer_load_dword v103, off, s[0:3], 0 offset:272
	buffer_load_dword v104, off, s[0:3], 0 offset:276
	s_waitcnt vmcnt(20)
	v_fma_f64 v[95:96], v[105:106], v[97:98], v[95:96]
	s_waitcnt vmcnt(18) lgkmcnt(0)
	v_fma_f64 v[95:96], v[107:108], v[99:100], v[95:96]
	s_waitcnt vmcnt(16)
	v_fma_f64 v[105:106], v[109:110], v[101:102], v[95:96]
	ds_read2_b64 v[95:98], v94 offset0:85 offset1:86
	ds_read2_b64 v[99:102], v94 offset0:87 offset1:88
	s_waitcnt vmcnt(14) lgkmcnt(1)
	v_fma_f64 v[95:96], v[111:112], v[95:96], v[105:106]
	s_waitcnt vmcnt(12)
	v_fma_f64 v[95:96], v[113:114], v[97:98], v[95:96]
	s_waitcnt vmcnt(10) lgkmcnt(0)
	v_fma_f64 v[95:96], v[115:116], v[99:100], v[95:96]
	s_waitcnt vmcnt(5)
	v_fma_f64 v[99:100], v[117:118], v[101:102], v[95:96]
	ds_read2_b64 v[95:98], v94 offset0:89 offset1:90
	ds_read_b64 v[101:102], v94 offset:728
	s_waitcnt vmcnt(4) lgkmcnt(1)
	v_fma_f64 v[95:96], v[123:124], v[95:96], v[99:100]
	s_waitcnt vmcnt(3)
	v_fma_f64 v[95:96], v[121:122], v[97:98], v[95:96]
	s_waitcnt vmcnt(2) lgkmcnt(0)
	v_fma_f64 v[95:96], v[119:120], v[101:102], v[95:96]
	s_waitcnt vmcnt(0)
	v_add_f64 v[95:96], v[103:104], -v[95:96]
	buffer_store_dword v96, off, s[0:3], 0 offset:276
	buffer_store_dword v95, off, s[0:3], 0 offset:272
	s_and_saveexec_b64 s[4:5], vcc
	s_cbranch_execz .LBB109_217
; %bb.216:
	buffer_load_dword v95, off, s[0:3], 0 offset:264
	buffer_load_dword v96, off, s[0:3], 0 offset:268
	s_waitcnt vmcnt(0)
	ds_write_b64 v93, v[95:96]
	buffer_store_dword v94, off, s[0:3], 0 offset:264
	buffer_store_dword v94, off, s[0:3], 0 offset:268
.LBB109_217:
	s_or_b64 exec, exec, s[4:5]
	s_waitcnt lgkmcnt(0)
	; wave barrier
	buffer_load_dword v103, off, s[0:3], 0 offset:272
	buffer_load_dword v104, off, s[0:3], 0 offset:276
	;; [unrolled: 1-line block ×21, first 2 shown]
	ds_read_b128 v[95:98], v94 offset:640
	ds_read_b128 v[99:102], v94 offset:656
	buffer_load_dword v120, off, s[0:3], 0 offset:356
	v_cmp_lt_u32_e32 vcc, 32, v0
	s_waitcnt vmcnt(20) lgkmcnt(1)
	v_fma_f64 v[95:96], v[103:104], v[95:96], 0
	buffer_load_dword v104, off, s[0:3], 0 offset:364
	buffer_load_dword v103, off, s[0:3], 0 offset:360
	s_waitcnt vmcnt(20)
	v_fma_f64 v[95:96], v[105:106], v[97:98], v[95:96]
	buffer_load_dword v105, off, s[0:3], 0 offset:264
	buffer_load_dword v106, off, s[0:3], 0 offset:268
	s_waitcnt vmcnt(20) lgkmcnt(0)
	v_fma_f64 v[95:96], v[107:108], v[99:100], v[95:96]
	s_waitcnt vmcnt(18)
	v_fma_f64 v[107:108], v[109:110], v[101:102], v[95:96]
	ds_read_b128 v[95:98], v94 offset:672
	ds_read_b128 v[99:102], v94 offset:688
	s_waitcnt vmcnt(16) lgkmcnt(1)
	v_fma_f64 v[95:96], v[111:112], v[95:96], v[107:108]
	s_waitcnt vmcnt(14)
	v_fma_f64 v[95:96], v[113:114], v[97:98], v[95:96]
	s_waitcnt vmcnt(12) lgkmcnt(0)
	v_fma_f64 v[95:96], v[115:116], v[99:100], v[95:96]
	s_waitcnt vmcnt(7)
	v_fma_f64 v[107:108], v[117:118], v[101:102], v[95:96]
	ds_read_b128 v[95:98], v94 offset:704
	ds_read_b128 v[99:102], v94 offset:720
	s_waitcnt vmcnt(6) lgkmcnt(1)
	v_fma_f64 v[94:95], v[123:124], v[95:96], v[107:108]
	s_waitcnt vmcnt(5)
	v_fma_f64 v[94:95], v[121:122], v[97:98], v[94:95]
	s_waitcnt vmcnt(4) lgkmcnt(0)
	v_fma_f64 v[94:95], v[119:120], v[99:100], v[94:95]
	s_waitcnt vmcnt(2)
	v_fma_f64 v[94:95], v[103:104], v[101:102], v[94:95]
	s_waitcnt vmcnt(0)
	v_add_f64 v[94:95], v[105:106], -v[94:95]
	buffer_store_dword v95, off, s[0:3], 0 offset:268
	buffer_store_dword v94, off, s[0:3], 0 offset:264
	s_and_saveexec_b64 s[4:5], vcc
	s_cbranch_execz .LBB109_219
; %bb.218:
	buffer_load_dword v94, off, s[0:3], 0 offset:256
	buffer_load_dword v95, off, s[0:3], 0 offset:260
	v_mov_b32_e32 v96, 0
	buffer_store_dword v96, off, s[0:3], 0 offset:256
	buffer_store_dword v96, off, s[0:3], 0 offset:260
	s_waitcnt vmcnt(2)
	ds_write_b64 v93, v[94:95]
.LBB109_219:
	s_or_b64 exec, exec, s[4:5]
	s_waitcnt lgkmcnt(0)
	; wave barrier
	buffer_load_dword v103, off, s[0:3], 0 offset:264
	buffer_load_dword v104, off, s[0:3], 0 offset:268
	;; [unrolled: 1-line block ×21, first 2 shown]
	v_mov_b32_e32 v94, 0
	ds_read2_b64 v[95:98], v94 offset0:79 offset1:80
	ds_read2_b64 v[99:102], v94 offset0:81 offset1:82
	buffer_load_dword v120, off, s[0:3], 0 offset:348
	v_cmp_lt_u32_e32 vcc, 31, v0
	s_waitcnt vmcnt(20) lgkmcnt(1)
	v_fma_f64 v[95:96], v[103:104], v[95:96], 0
	s_waitcnt vmcnt(18)
	v_fma_f64 v[95:96], v[105:106], v[97:98], v[95:96]
	buffer_load_dword v104, off, s[0:3], 0 offset:356
	buffer_load_dword v105, off, s[0:3], 0 offset:360
	;; [unrolled: 1-line block ×4, first 2 shown]
	s_waitcnt vmcnt(20) lgkmcnt(0)
	v_fma_f64 v[95:96], v[107:108], v[99:100], v[95:96]
	buffer_load_dword v107, off, s[0:3], 0 offset:256
	buffer_load_dword v108, off, s[0:3], 0 offset:260
	s_waitcnt vmcnt(20)
	v_fma_f64 v[109:110], v[109:110], v[101:102], v[95:96]
	ds_read2_b64 v[95:98], v94 offset0:83 offset1:84
	ds_read2_b64 v[99:102], v94 offset0:85 offset1:86
	s_waitcnt vmcnt(18) lgkmcnt(1)
	v_fma_f64 v[95:96], v[111:112], v[95:96], v[109:110]
	s_waitcnt vmcnt(16)
	v_fma_f64 v[95:96], v[113:114], v[97:98], v[95:96]
	s_waitcnt vmcnt(14) lgkmcnt(0)
	v_fma_f64 v[95:96], v[115:116], v[99:100], v[95:96]
	s_waitcnt vmcnt(9)
	v_fma_f64 v[109:110], v[117:118], v[101:102], v[95:96]
	ds_read2_b64 v[95:98], v94 offset0:87 offset1:88
	ds_read2_b64 v[99:102], v94 offset0:89 offset1:90
	s_waitcnt vmcnt(8) lgkmcnt(1)
	v_fma_f64 v[95:96], v[123:124], v[95:96], v[109:110]
	s_waitcnt vmcnt(7)
	v_fma_f64 v[95:96], v[121:122], v[97:98], v[95:96]
	ds_read_b64 v[97:98], v94 offset:728
	s_waitcnt vmcnt(6) lgkmcnt(1)
	v_fma_f64 v[95:96], v[119:120], v[99:100], v[95:96]
	s_waitcnt vmcnt(3)
	v_fma_f64 v[95:96], v[103:104], v[101:102], v[95:96]
	s_waitcnt vmcnt(2) lgkmcnt(0)
	v_fma_f64 v[95:96], v[105:106], v[97:98], v[95:96]
	s_waitcnt vmcnt(0)
	v_add_f64 v[95:96], v[107:108], -v[95:96]
	buffer_store_dword v96, off, s[0:3], 0 offset:260
	buffer_store_dword v95, off, s[0:3], 0 offset:256
	s_and_saveexec_b64 s[4:5], vcc
	s_cbranch_execz .LBB109_221
; %bb.220:
	buffer_load_dword v95, off, s[0:3], 0 offset:248
	buffer_load_dword v96, off, s[0:3], 0 offset:252
	s_waitcnt vmcnt(0)
	ds_write_b64 v93, v[95:96]
	buffer_store_dword v94, off, s[0:3], 0 offset:248
	buffer_store_dword v94, off, s[0:3], 0 offset:252
.LBB109_221:
	s_or_b64 exec, exec, s[4:5]
	s_waitcnt lgkmcnt(0)
	; wave barrier
	buffer_load_dword v99, off, s[0:3], 0 offset:256
	buffer_load_dword v100, off, s[0:3], 0 offset:260
	;; [unrolled: 1-line block ×20, first 2 shown]
	ds_read_b128 v[95:98], v94 offset:624
	buffer_load_dword v119, off, s[0:3], 0 offset:336
	buffer_load_dword v120, off, s[0:3], 0 offset:340
	v_cmp_lt_u32_e32 vcc, 30, v0
	s_waitcnt vmcnt(20) lgkmcnt(0)
	v_fma_f64 v[95:96], v[99:100], v[95:96], 0
	buffer_load_dword v100, off, s[0:3], 0 offset:348
	buffer_load_dword v99, off, s[0:3], 0 offset:344
	s_waitcnt vmcnt(20)
	v_fma_f64 v[101:102], v[101:102], v[97:98], v[95:96]
	ds_read_b128 v[95:98], v94 offset:640
	buffer_load_dword v121, off, s[0:3], 0 offset:352
	buffer_load_dword v122, off, s[0:3], 0 offset:356
	s_waitcnt vmcnt(20) lgkmcnt(0)
	v_fma_f64 v[95:96], v[103:104], v[95:96], v[101:102]
	buffer_load_dword v101, off, s[0:3], 0 offset:360
	buffer_load_dword v102, off, s[0:3], 0 offset:364
	s_waitcnt vmcnt(20)
	v_fma_f64 v[103:104], v[105:106], v[97:98], v[95:96]
	ds_read_b128 v[95:98], v94 offset:656
	buffer_load_dword v105, off, s[0:3], 0 offset:248
	buffer_load_dword v106, off, s[0:3], 0 offset:252
	s_waitcnt vmcnt(20) lgkmcnt(0)
	v_fma_f64 v[95:96], v[107:108], v[95:96], v[103:104]
	s_waitcnt vmcnt(18)
	v_fma_f64 v[103:104], v[109:110], v[97:98], v[95:96]
	ds_read_b128 v[95:98], v94 offset:672
	s_waitcnt vmcnt(16) lgkmcnt(0)
	v_fma_f64 v[95:96], v[111:112], v[95:96], v[103:104]
	s_waitcnt vmcnt(14)
	v_fma_f64 v[103:104], v[113:114], v[97:98], v[95:96]
	ds_read_b128 v[95:98], v94 offset:688
	;; [unrolled: 5-line block ×4, first 2 shown]
	s_waitcnt vmcnt(4) lgkmcnt(0)
	v_fma_f64 v[94:95], v[121:122], v[94:95], v[98:99]
	s_waitcnt vmcnt(2)
	v_fma_f64 v[94:95], v[101:102], v[96:97], v[94:95]
	s_waitcnt vmcnt(0)
	v_add_f64 v[94:95], v[105:106], -v[94:95]
	buffer_store_dword v95, off, s[0:3], 0 offset:252
	buffer_store_dword v94, off, s[0:3], 0 offset:248
	s_and_saveexec_b64 s[4:5], vcc
	s_cbranch_execz .LBB109_223
; %bb.222:
	buffer_load_dword v94, off, s[0:3], 0 offset:240
	buffer_load_dword v95, off, s[0:3], 0 offset:244
	v_mov_b32_e32 v96, 0
	buffer_store_dword v96, off, s[0:3], 0 offset:240
	buffer_store_dword v96, off, s[0:3], 0 offset:244
	s_waitcnt vmcnt(2)
	ds_write_b64 v93, v[94:95]
.LBB109_223:
	s_or_b64 exec, exec, s[4:5]
	s_waitcnt lgkmcnt(0)
	; wave barrier
	buffer_load_dword v99, off, s[0:3], 0 offset:248
	buffer_load_dword v100, off, s[0:3], 0 offset:252
	;; [unrolled: 1-line block ×20, first 2 shown]
	v_mov_b32_e32 v94, 0
	ds_read2_b64 v[95:98], v94 offset0:77 offset1:78
	buffer_load_dword v119, off, s[0:3], 0 offset:328
	buffer_load_dword v120, off, s[0:3], 0 offset:332
	v_cmp_lt_u32_e32 vcc, 29, v0
	s_waitcnt vmcnt(20) lgkmcnt(0)
	v_fma_f64 v[95:96], v[99:100], v[95:96], 0
	buffer_load_dword v100, off, s[0:3], 0 offset:340
	buffer_load_dword v99, off, s[0:3], 0 offset:336
	s_waitcnt vmcnt(20)
	v_fma_f64 v[101:102], v[101:102], v[97:98], v[95:96]
	ds_read2_b64 v[95:98], v94 offset0:79 offset1:80
	buffer_load_dword v121, off, s[0:3], 0 offset:344
	buffer_load_dword v122, off, s[0:3], 0 offset:348
	s_waitcnt vmcnt(20) lgkmcnt(0)
	v_fma_f64 v[95:96], v[103:104], v[95:96], v[101:102]
	buffer_load_dword v101, off, s[0:3], 0 offset:352
	buffer_load_dword v102, off, s[0:3], 0 offset:356
	s_waitcnt vmcnt(20)
	v_fma_f64 v[103:104], v[105:106], v[97:98], v[95:96]
	ds_read2_b64 v[95:98], v94 offset0:81 offset1:82
	buffer_load_dword v105, off, s[0:3], 0 offset:360
	buffer_load_dword v106, off, s[0:3], 0 offset:364
	s_waitcnt vmcnt(20) lgkmcnt(0)
	v_fma_f64 v[95:96], v[107:108], v[95:96], v[103:104]
	buffer_load_dword v103, off, s[0:3], 0 offset:240
	buffer_load_dword v104, off, s[0:3], 0 offset:244
	s_waitcnt vmcnt(20)
	v_fma_f64 v[107:108], v[109:110], v[97:98], v[95:96]
	ds_read2_b64 v[95:98], v94 offset0:83 offset1:84
	s_waitcnt vmcnt(18) lgkmcnt(0)
	v_fma_f64 v[95:96], v[111:112], v[95:96], v[107:108]
	s_waitcnt vmcnt(16)
	v_fma_f64 v[107:108], v[113:114], v[97:98], v[95:96]
	ds_read2_b64 v[95:98], v94 offset0:85 offset1:86
	s_waitcnt vmcnt(14) lgkmcnt(0)
	v_fma_f64 v[95:96], v[115:116], v[95:96], v[107:108]
	s_waitcnt vmcnt(12)
	v_fma_f64 v[107:108], v[117:118], v[97:98], v[95:96]
	ds_read2_b64 v[95:98], v94 offset0:87 offset1:88
	s_waitcnt vmcnt(10) lgkmcnt(0)
	v_fma_f64 v[95:96], v[119:120], v[95:96], v[107:108]
	s_waitcnt vmcnt(8)
	v_fma_f64 v[99:100], v[99:100], v[97:98], v[95:96]
	ds_read2_b64 v[95:98], v94 offset0:89 offset1:90
	s_waitcnt vmcnt(6) lgkmcnt(0)
	v_fma_f64 v[95:96], v[121:122], v[95:96], v[99:100]
	s_waitcnt vmcnt(4)
	v_fma_f64 v[95:96], v[101:102], v[97:98], v[95:96]
	ds_read_b64 v[97:98], v94 offset:728
	s_waitcnt vmcnt(2) lgkmcnt(0)
	v_fma_f64 v[95:96], v[105:106], v[97:98], v[95:96]
	s_waitcnt vmcnt(0)
	v_add_f64 v[95:96], v[103:104], -v[95:96]
	buffer_store_dword v96, off, s[0:3], 0 offset:244
	buffer_store_dword v95, off, s[0:3], 0 offset:240
	s_and_saveexec_b64 s[4:5], vcc
	s_cbranch_execz .LBB109_225
; %bb.224:
	buffer_load_dword v95, off, s[0:3], 0 offset:232
	buffer_load_dword v96, off, s[0:3], 0 offset:236
	s_waitcnt vmcnt(0)
	ds_write_b64 v93, v[95:96]
	buffer_store_dword v94, off, s[0:3], 0 offset:232
	buffer_store_dword v94, off, s[0:3], 0 offset:236
.LBB109_225:
	s_or_b64 exec, exec, s[4:5]
	s_waitcnt lgkmcnt(0)
	; wave barrier
	buffer_load_dword v99, off, s[0:3], 0 offset:240
	buffer_load_dword v100, off, s[0:3], 0 offset:244
	;; [unrolled: 1-line block ×20, first 2 shown]
	ds_read_b128 v[95:98], v94 offset:608
	buffer_load_dword v119, off, s[0:3], 0 offset:320
	buffer_load_dword v120, off, s[0:3], 0 offset:324
	v_cmp_lt_u32_e32 vcc, 28, v0
	s_waitcnt vmcnt(20) lgkmcnt(0)
	v_fma_f64 v[95:96], v[99:100], v[95:96], 0
	buffer_load_dword v100, off, s[0:3], 0 offset:332
	buffer_load_dword v99, off, s[0:3], 0 offset:328
	s_waitcnt vmcnt(20)
	v_fma_f64 v[101:102], v[101:102], v[97:98], v[95:96]
	ds_read_b128 v[95:98], v94 offset:624
	buffer_load_dword v121, off, s[0:3], 0 offset:336
	buffer_load_dword v122, off, s[0:3], 0 offset:340
	s_waitcnt vmcnt(20) lgkmcnt(0)
	v_fma_f64 v[95:96], v[103:104], v[95:96], v[101:102]
	buffer_load_dword v101, off, s[0:3], 0 offset:344
	buffer_load_dword v102, off, s[0:3], 0 offset:348
	s_waitcnt vmcnt(20)
	v_fma_f64 v[103:104], v[105:106], v[97:98], v[95:96]
	ds_read_b128 v[95:98], v94 offset:640
	buffer_load_dword v105, off, s[0:3], 0 offset:352
	buffer_load_dword v106, off, s[0:3], 0 offset:356
	;; [unrolled: 9-line block ×3, first 2 shown]
	s_waitcnt vmcnt(20) lgkmcnt(0)
	v_fma_f64 v[95:96], v[111:112], v[95:96], v[107:108]
	s_waitcnt vmcnt(18)
	v_fma_f64 v[107:108], v[113:114], v[97:98], v[95:96]
	ds_read_b128 v[95:98], v94 offset:672
	s_waitcnt vmcnt(16) lgkmcnt(0)
	v_fma_f64 v[95:96], v[115:116], v[95:96], v[107:108]
	s_waitcnt vmcnt(14)
	v_fma_f64 v[107:108], v[117:118], v[97:98], v[95:96]
	ds_read_b128 v[95:98], v94 offset:688
	;; [unrolled: 5-line block ×4, first 2 shown]
	s_waitcnt vmcnt(4) lgkmcnt(0)
	v_fma_f64 v[94:95], v[105:106], v[94:95], v[98:99]
	s_waitcnt vmcnt(2)
	v_fma_f64 v[94:95], v[103:104], v[96:97], v[94:95]
	s_waitcnt vmcnt(0)
	v_add_f64 v[94:95], v[109:110], -v[94:95]
	buffer_store_dword v95, off, s[0:3], 0 offset:236
	buffer_store_dword v94, off, s[0:3], 0 offset:232
	s_and_saveexec_b64 s[4:5], vcc
	s_cbranch_execz .LBB109_227
; %bb.226:
	buffer_load_dword v94, off, s[0:3], 0 offset:224
	buffer_load_dword v95, off, s[0:3], 0 offset:228
	v_mov_b32_e32 v96, 0
	buffer_store_dword v96, off, s[0:3], 0 offset:224
	buffer_store_dword v96, off, s[0:3], 0 offset:228
	s_waitcnt vmcnt(2)
	ds_write_b64 v93, v[94:95]
.LBB109_227:
	s_or_b64 exec, exec, s[4:5]
	s_waitcnt lgkmcnt(0)
	; wave barrier
	buffer_load_dword v103, off, s[0:3], 0 offset:232
	buffer_load_dword v104, off, s[0:3], 0 offset:236
	;; [unrolled: 1-line block ×22, first 2 shown]
	v_mov_b32_e32 v94, 0
	ds_read2_b64 v[95:98], v94 offset0:75 offset1:76
	ds_read2_b64 v[99:102], v94 offset0:77 offset1:78
	v_cmp_lt_u32_e32 vcc, 27, v0
	s_waitcnt vmcnt(20) lgkmcnt(1)
	v_fma_f64 v[95:96], v[103:104], v[95:96], 0
	s_waitcnt vmcnt(18)
	v_fma_f64 v[95:96], v[105:106], v[97:98], v[95:96]
	buffer_load_dword v104, off, s[0:3], 0 offset:324
	buffer_load_dword v105, off, s[0:3], 0 offset:344
	buffer_load_dword v125, off, s[0:3], 0 offset:336
	buffer_load_dword v127, off, s[0:3], 0 offset:328
	buffer_load_dword v103, off, s[0:3], 0 offset:320
	buffer_load_dword v128, off, s[0:3], 0 offset:332
	buffer_load_dword v126, off, s[0:3], 0 offset:340
	s_waitcnt vmcnt(23) lgkmcnt(0)
	v_fma_f64 v[95:96], v[107:108], v[99:100], v[95:96]
	s_waitcnt vmcnt(21)
	v_fma_f64 v[106:107], v[109:110], v[101:102], v[95:96]
	ds_read2_b64 v[95:98], v94 offset0:79 offset1:80
	ds_read2_b64 v[99:102], v94 offset0:81 offset1:82
	s_waitcnt vmcnt(19) lgkmcnt(1)
	v_fma_f64 v[95:96], v[111:112], v[95:96], v[106:107]
	buffer_load_dword v106, off, s[0:3], 0 offset:348
	buffer_load_dword v108, off, s[0:3], 0 offset:356
	;; [unrolled: 1-line block ×7, first 2 shown]
	s_waitcnt vmcnt(24)
	v_fma_f64 v[95:96], v[113:114], v[97:98], v[95:96]
	s_waitcnt vmcnt(22) lgkmcnt(0)
	v_fma_f64 v[95:96], v[115:116], v[99:100], v[95:96]
	s_waitcnt vmcnt(17)
	v_fma_f64 v[113:114], v[117:118], v[101:102], v[95:96]
	ds_read2_b64 v[95:98], v94 offset0:83 offset1:84
	ds_read2_b64 v[99:102], v94 offset0:85 offset1:86
	s_waitcnt vmcnt(16) lgkmcnt(1)
	v_fma_f64 v[95:96], v[123:124], v[95:96], v[113:114]
	s_waitcnt vmcnt(15)
	v_fma_f64 v[95:96], v[121:122], v[97:98], v[95:96]
	s_waitcnt vmcnt(14) lgkmcnt(0)
	v_fma_f64 v[95:96], v[119:120], v[99:100], v[95:96]
	s_waitcnt vmcnt(9)
	v_fma_f64 v[103:104], v[103:104], v[101:102], v[95:96]
	ds_read2_b64 v[95:98], v94 offset0:87 offset1:88
	ds_read2_b64 v[99:102], v94 offset0:89 offset1:90
	s_waitcnt vmcnt(8) lgkmcnt(1)
	v_fma_f64 v[95:96], v[127:128], v[95:96], v[103:104]
	s_waitcnt vmcnt(7)
	v_fma_f64 v[95:96], v[125:126], v[97:98], v[95:96]
	ds_read_b64 v[97:98], v94 offset:728
	s_waitcnt vmcnt(6) lgkmcnt(1)
	v_fma_f64 v[95:96], v[105:106], v[99:100], v[95:96]
	s_waitcnt vmcnt(3)
	v_fma_f64 v[95:96], v[107:108], v[101:102], v[95:96]
	s_waitcnt vmcnt(2) lgkmcnt(0)
	v_fma_f64 v[95:96], v[109:110], v[97:98], v[95:96]
	s_waitcnt vmcnt(0)
	v_add_f64 v[95:96], v[111:112], -v[95:96]
	buffer_store_dword v96, off, s[0:3], 0 offset:228
	buffer_store_dword v95, off, s[0:3], 0 offset:224
	s_and_saveexec_b64 s[4:5], vcc
	s_cbranch_execz .LBB109_229
; %bb.228:
	buffer_load_dword v95, off, s[0:3], 0 offset:216
	buffer_load_dword v96, off, s[0:3], 0 offset:220
	s_waitcnt vmcnt(0)
	ds_write_b64 v93, v[95:96]
	buffer_store_dword v94, off, s[0:3], 0 offset:216
	buffer_store_dword v94, off, s[0:3], 0 offset:220
.LBB109_229:
	s_or_b64 exec, exec, s[4:5]
	s_waitcnt lgkmcnt(0)
	; wave barrier
	buffer_load_dword v99, off, s[0:3], 0 offset:224
	buffer_load_dword v100, off, s[0:3], 0 offset:228
	;; [unrolled: 1-line block ×20, first 2 shown]
	ds_read_b128 v[95:98], v94 offset:592
	buffer_load_dword v119, off, s[0:3], 0 offset:304
	buffer_load_dword v120, off, s[0:3], 0 offset:308
	v_cmp_lt_u32_e32 vcc, 26, v0
	s_waitcnt vmcnt(20) lgkmcnt(0)
	v_fma_f64 v[95:96], v[99:100], v[95:96], 0
	buffer_load_dword v100, off, s[0:3], 0 offset:316
	buffer_load_dword v99, off, s[0:3], 0 offset:312
	s_waitcnt vmcnt(20)
	v_fma_f64 v[101:102], v[101:102], v[97:98], v[95:96]
	ds_read_b128 v[95:98], v94 offset:608
	buffer_load_dword v121, off, s[0:3], 0 offset:320
	buffer_load_dword v122, off, s[0:3], 0 offset:324
	s_waitcnt vmcnt(20) lgkmcnt(0)
	v_fma_f64 v[95:96], v[103:104], v[95:96], v[101:102]
	buffer_load_dword v101, off, s[0:3], 0 offset:328
	buffer_load_dword v102, off, s[0:3], 0 offset:332
	s_waitcnt vmcnt(20)
	v_fma_f64 v[103:104], v[105:106], v[97:98], v[95:96]
	ds_read_b128 v[95:98], v94 offset:624
	buffer_load_dword v105, off, s[0:3], 0 offset:336
	buffer_load_dword v106, off, s[0:3], 0 offset:340
	;; [unrolled: 9-line block ×4, first 2 shown]
	s_waitcnt vmcnt(20) lgkmcnt(0)
	v_fma_f64 v[95:96], v[115:116], v[95:96], v[111:112]
	s_waitcnt vmcnt(18)
	v_fma_f64 v[111:112], v[117:118], v[97:98], v[95:96]
	ds_read_b128 v[95:98], v94 offset:672
	s_waitcnt vmcnt(16) lgkmcnt(0)
	v_fma_f64 v[95:96], v[119:120], v[95:96], v[111:112]
	s_waitcnt vmcnt(14)
	v_fma_f64 v[99:100], v[99:100], v[97:98], v[95:96]
	ds_read_b128 v[95:98], v94 offset:688
	;; [unrolled: 5-line block ×4, first 2 shown]
	s_waitcnt vmcnt(4) lgkmcnt(0)
	v_fma_f64 v[94:95], v[109:110], v[94:95], v[98:99]
	s_waitcnt vmcnt(2)
	v_fma_f64 v[94:95], v[107:108], v[96:97], v[94:95]
	s_waitcnt vmcnt(0)
	v_add_f64 v[94:95], v[113:114], -v[94:95]
	buffer_store_dword v95, off, s[0:3], 0 offset:220
	buffer_store_dword v94, off, s[0:3], 0 offset:216
	s_and_saveexec_b64 s[4:5], vcc
	s_cbranch_execz .LBB109_231
; %bb.230:
	buffer_load_dword v94, off, s[0:3], 0 offset:208
	buffer_load_dword v95, off, s[0:3], 0 offset:212
	v_mov_b32_e32 v96, 0
	buffer_store_dword v96, off, s[0:3], 0 offset:208
	buffer_store_dword v96, off, s[0:3], 0 offset:212
	s_waitcnt vmcnt(2)
	ds_write_b64 v93, v[94:95]
.LBB109_231:
	s_or_b64 exec, exec, s[4:5]
	s_waitcnt lgkmcnt(0)
	; wave barrier
	buffer_load_dword v99, off, s[0:3], 0 offset:216
	buffer_load_dword v100, off, s[0:3], 0 offset:220
	;; [unrolled: 1-line block ×20, first 2 shown]
	v_mov_b32_e32 v94, 0
	ds_read2_b64 v[95:98], v94 offset0:73 offset1:74
	buffer_load_dword v119, off, s[0:3], 0 offset:296
	buffer_load_dword v120, off, s[0:3], 0 offset:300
	v_cmp_lt_u32_e32 vcc, 25, v0
	s_waitcnt vmcnt(20) lgkmcnt(0)
	v_fma_f64 v[95:96], v[99:100], v[95:96], 0
	buffer_load_dword v100, off, s[0:3], 0 offset:308
	buffer_load_dword v99, off, s[0:3], 0 offset:304
	s_waitcnt vmcnt(20)
	v_fma_f64 v[101:102], v[101:102], v[97:98], v[95:96]
	ds_read2_b64 v[95:98], v94 offset0:75 offset1:76
	buffer_load_dword v121, off, s[0:3], 0 offset:312
	buffer_load_dword v122, off, s[0:3], 0 offset:316
	s_waitcnt vmcnt(20) lgkmcnt(0)
	v_fma_f64 v[95:96], v[103:104], v[95:96], v[101:102]
	buffer_load_dword v101, off, s[0:3], 0 offset:320
	buffer_load_dword v102, off, s[0:3], 0 offset:324
	s_waitcnt vmcnt(20)
	v_fma_f64 v[103:104], v[105:106], v[97:98], v[95:96]
	ds_read2_b64 v[95:98], v94 offset0:77 offset1:78
	buffer_load_dword v105, off, s[0:3], 0 offset:328
	buffer_load_dword v106, off, s[0:3], 0 offset:332
	;; [unrolled: 9-line block ×4, first 2 shown]
	s_waitcnt vmcnt(20) lgkmcnt(0)
	v_fma_f64 v[95:96], v[115:116], v[95:96], v[111:112]
	buffer_load_dword v111, off, s[0:3], 0 offset:208
	buffer_load_dword v112, off, s[0:3], 0 offset:212
	s_waitcnt vmcnt(20)
	v_fma_f64 v[115:116], v[117:118], v[97:98], v[95:96]
	ds_read2_b64 v[95:98], v94 offset0:83 offset1:84
	s_waitcnt vmcnt(18) lgkmcnt(0)
	v_fma_f64 v[95:96], v[119:120], v[95:96], v[115:116]
	s_waitcnt vmcnt(16)
	v_fma_f64 v[99:100], v[99:100], v[97:98], v[95:96]
	ds_read2_b64 v[95:98], v94 offset0:85 offset1:86
	s_waitcnt vmcnt(14) lgkmcnt(0)
	v_fma_f64 v[95:96], v[121:122], v[95:96], v[99:100]
	s_waitcnt vmcnt(12)
	v_fma_f64 v[99:100], v[101:102], v[97:98], v[95:96]
	ds_read2_b64 v[95:98], v94 offset0:87 offset1:88
	s_waitcnt vmcnt(10) lgkmcnt(0)
	v_fma_f64 v[95:96], v[105:106], v[95:96], v[99:100]
	s_waitcnt vmcnt(8)
	v_fma_f64 v[99:100], v[103:104], v[97:98], v[95:96]
	ds_read2_b64 v[95:98], v94 offset0:89 offset1:90
	s_waitcnt vmcnt(6) lgkmcnt(0)
	v_fma_f64 v[95:96], v[109:110], v[95:96], v[99:100]
	s_waitcnt vmcnt(4)
	v_fma_f64 v[95:96], v[107:108], v[97:98], v[95:96]
	ds_read_b64 v[97:98], v94 offset:728
	s_waitcnt vmcnt(2) lgkmcnt(0)
	v_fma_f64 v[95:96], v[113:114], v[97:98], v[95:96]
	s_waitcnt vmcnt(0)
	v_add_f64 v[95:96], v[111:112], -v[95:96]
	buffer_store_dword v96, off, s[0:3], 0 offset:212
	buffer_store_dword v95, off, s[0:3], 0 offset:208
	s_and_saveexec_b64 s[4:5], vcc
	s_cbranch_execz .LBB109_233
; %bb.232:
	buffer_load_dword v95, off, s[0:3], 0 offset:200
	buffer_load_dword v96, off, s[0:3], 0 offset:204
	s_waitcnt vmcnt(0)
	ds_write_b64 v93, v[95:96]
	buffer_store_dword v94, off, s[0:3], 0 offset:200
	buffer_store_dword v94, off, s[0:3], 0 offset:204
.LBB109_233:
	s_or_b64 exec, exec, s[4:5]
	s_waitcnt lgkmcnt(0)
	; wave barrier
	buffer_load_dword v99, off, s[0:3], 0 offset:208
	buffer_load_dword v100, off, s[0:3], 0 offset:212
	;; [unrolled: 1-line block ×20, first 2 shown]
	ds_read_b128 v[95:98], v94 offset:576
	buffer_load_dword v119, off, s[0:3], 0 offset:288
	buffer_load_dword v120, off, s[0:3], 0 offset:292
	v_cmp_lt_u32_e32 vcc, 24, v0
	s_waitcnt vmcnt(20) lgkmcnt(0)
	v_fma_f64 v[95:96], v[99:100], v[95:96], 0
	buffer_load_dword v100, off, s[0:3], 0 offset:300
	buffer_load_dword v99, off, s[0:3], 0 offset:296
	s_waitcnt vmcnt(20)
	v_fma_f64 v[101:102], v[101:102], v[97:98], v[95:96]
	ds_read_b128 v[95:98], v94 offset:592
	buffer_load_dword v121, off, s[0:3], 0 offset:304
	buffer_load_dword v122, off, s[0:3], 0 offset:308
	s_waitcnt vmcnt(20) lgkmcnt(0)
	v_fma_f64 v[95:96], v[103:104], v[95:96], v[101:102]
	buffer_load_dword v101, off, s[0:3], 0 offset:312
	buffer_load_dword v102, off, s[0:3], 0 offset:316
	s_waitcnt vmcnt(20)
	v_fma_f64 v[103:104], v[105:106], v[97:98], v[95:96]
	ds_read_b128 v[95:98], v94 offset:608
	buffer_load_dword v105, off, s[0:3], 0 offset:320
	buffer_load_dword v106, off, s[0:3], 0 offset:324
	s_waitcnt vmcnt(20) lgkmcnt(0)
	v_fma_f64 v[95:96], v[107:108], v[95:96], v[103:104]
	buffer_load_dword v104, off, s[0:3], 0 offset:332
	buffer_load_dword v103, off, s[0:3], 0 offset:328
	s_waitcnt vmcnt(20)
	v_fma_f64 v[107:108], v[109:110], v[97:98], v[95:96]
	ds_read_b128 v[95:98], v94 offset:624
	buffer_load_dword v109, off, s[0:3], 0 offset:336
	buffer_load_dword v110, off, s[0:3], 0 offset:340
	s_waitcnt vmcnt(20) lgkmcnt(0)
	v_fma_f64 v[95:96], v[111:112], v[95:96], v[107:108]
	buffer_load_dword v107, off, s[0:3], 0 offset:344
	buffer_load_dword v108, off, s[0:3], 0 offset:348
	s_waitcnt vmcnt(20)
	v_fma_f64 v[111:112], v[113:114], v[97:98], v[95:96]
	ds_read_b128 v[95:98], v94 offset:640
	buffer_load_dword v113, off, s[0:3], 0 offset:352
	buffer_load_dword v114, off, s[0:3], 0 offset:356
	s_waitcnt vmcnt(20) lgkmcnt(0)
	v_fma_f64 v[95:96], v[115:116], v[95:96], v[111:112]
	buffer_load_dword v112, off, s[0:3], 0 offset:364
	buffer_load_dword v111, off, s[0:3], 0 offset:360
	s_waitcnt vmcnt(20)
	v_fma_f64 v[115:116], v[117:118], v[97:98], v[95:96]
	ds_read_b128 v[95:98], v94 offset:656
	buffer_load_dword v117, off, s[0:3], 0 offset:200
	buffer_load_dword v118, off, s[0:3], 0 offset:204
	s_waitcnt vmcnt(20) lgkmcnt(0)
	v_fma_f64 v[95:96], v[119:120], v[95:96], v[115:116]
	s_waitcnt vmcnt(18)
	v_fma_f64 v[99:100], v[99:100], v[97:98], v[95:96]
	ds_read_b128 v[95:98], v94 offset:672
	s_waitcnt vmcnt(16) lgkmcnt(0)
	v_fma_f64 v[95:96], v[121:122], v[95:96], v[99:100]
	s_waitcnt vmcnt(14)
	v_fma_f64 v[99:100], v[101:102], v[97:98], v[95:96]
	ds_read_b128 v[95:98], v94 offset:688
	;; [unrolled: 5-line block ×4, first 2 shown]
	s_waitcnt vmcnt(4) lgkmcnt(0)
	v_fma_f64 v[94:95], v[113:114], v[94:95], v[98:99]
	s_waitcnt vmcnt(2)
	v_fma_f64 v[94:95], v[111:112], v[96:97], v[94:95]
	s_waitcnt vmcnt(0)
	v_add_f64 v[94:95], v[117:118], -v[94:95]
	buffer_store_dword v95, off, s[0:3], 0 offset:204
	buffer_store_dword v94, off, s[0:3], 0 offset:200
	s_and_saveexec_b64 s[4:5], vcc
	s_cbranch_execz .LBB109_235
; %bb.234:
	buffer_load_dword v94, off, s[0:3], 0 offset:192
	buffer_load_dword v95, off, s[0:3], 0 offset:196
	v_mov_b32_e32 v96, 0
	buffer_store_dword v96, off, s[0:3], 0 offset:192
	buffer_store_dword v96, off, s[0:3], 0 offset:196
	s_waitcnt vmcnt(2)
	ds_write_b64 v93, v[94:95]
.LBB109_235:
	s_or_b64 exec, exec, s[4:5]
	s_waitcnt lgkmcnt(0)
	; wave barrier
	buffer_load_dword v103, off, s[0:3], 0 offset:200
	buffer_load_dword v104, off, s[0:3], 0 offset:204
	;; [unrolled: 1-line block ×21, first 2 shown]
	v_mov_b32_e32 v94, 0
	ds_read2_b64 v[95:98], v94 offset0:71 offset1:72
	ds_read2_b64 v[99:102], v94 offset0:73 offset1:74
	buffer_load_dword v120, off, s[0:3], 0 offset:284
	v_cmp_lt_u32_e32 vcc, 23, v0
	s_waitcnt vmcnt(20) lgkmcnt(1)
	v_fma_f64 v[95:96], v[103:104], v[95:96], 0
	s_waitcnt vmcnt(18)
	v_fma_f64 v[95:96], v[105:106], v[97:98], v[95:96]
	buffer_load_dword v104, off, s[0:3], 0 offset:292
	buffer_load_dword v105, off, s[0:3], 0 offset:312
	;; [unrolled: 1-line block ×7, first 2 shown]
	s_waitcnt vmcnt(23) lgkmcnt(0)
	v_fma_f64 v[95:96], v[107:108], v[99:100], v[95:96]
	s_waitcnt vmcnt(21)
	v_fma_f64 v[106:107], v[109:110], v[101:102], v[95:96]
	ds_read2_b64 v[95:98], v94 offset0:75 offset1:76
	ds_read2_b64 v[99:102], v94 offset0:77 offset1:78
	s_waitcnt vmcnt(19) lgkmcnt(1)
	v_fma_f64 v[95:96], v[111:112], v[95:96], v[106:107]
	buffer_load_dword v106, off, s[0:3], 0 offset:316
	s_waitcnt vmcnt(18)
	v_fma_f64 v[95:96], v[113:114], v[97:98], v[95:96]
	buffer_load_dword v108, off, s[0:3], 0 offset:324
	buffer_load_dword v109, off, s[0:3], 0 offset:344
	;; [unrolled: 1-line block ×7, first 2 shown]
	s_waitcnt vmcnt(23) lgkmcnt(0)
	v_fma_f64 v[95:96], v[115:116], v[99:100], v[95:96]
	s_waitcnt vmcnt(18)
	v_fma_f64 v[115:116], v[117:118], v[101:102], v[95:96]
	ds_read2_b64 v[95:98], v94 offset0:79 offset1:80
	ds_read2_b64 v[99:102], v94 offset0:81 offset1:82
	buffer_load_dword v110, off, s[0:3], 0 offset:348
	s_waitcnt vmcnt(18) lgkmcnt(1)
	v_fma_f64 v[95:96], v[123:124], v[95:96], v[115:116]
	buffer_load_dword v116, off, s[0:3], 0 offset:356
	buffer_load_dword v117, off, s[0:3], 0 offset:360
	;; [unrolled: 1-line block ×4, first 2 shown]
	s_waitcnt vmcnt(21)
	v_fma_f64 v[95:96], v[121:122], v[97:98], v[95:96]
	s_waitcnt vmcnt(20) lgkmcnt(0)
	v_fma_f64 v[95:96], v[119:120], v[99:100], v[95:96]
	buffer_load_dword v119, off, s[0:3], 0 offset:192
	buffer_load_dword v120, off, s[0:3], 0 offset:196
	s_waitcnt vmcnt(17)
	v_fma_f64 v[103:104], v[103:104], v[101:102], v[95:96]
	ds_read2_b64 v[95:98], v94 offset0:83 offset1:84
	ds_read2_b64 v[99:102], v94 offset0:85 offset1:86
	s_waitcnt vmcnt(16) lgkmcnt(1)
	v_fma_f64 v[95:96], v[127:128], v[95:96], v[103:104]
	s_waitcnt vmcnt(15)
	v_fma_f64 v[95:96], v[125:126], v[97:98], v[95:96]
	s_waitcnt vmcnt(14) lgkmcnt(0)
	v_fma_f64 v[95:96], v[105:106], v[99:100], v[95:96]
	s_waitcnt vmcnt(9)
	v_fma_f64 v[103:104], v[107:108], v[101:102], v[95:96]
	ds_read2_b64 v[95:98], v94 offset0:87 offset1:88
	ds_read2_b64 v[99:102], v94 offset0:89 offset1:90
	s_waitcnt vmcnt(8) lgkmcnt(1)
	v_fma_f64 v[95:96], v[113:114], v[95:96], v[103:104]
	s_waitcnt vmcnt(7)
	v_fma_f64 v[95:96], v[111:112], v[97:98], v[95:96]
	ds_read_b64 v[97:98], v94 offset:728
	s_waitcnt vmcnt(6) lgkmcnt(1)
	v_fma_f64 v[95:96], v[109:110], v[99:100], v[95:96]
	s_waitcnt vmcnt(3)
	v_fma_f64 v[95:96], v[115:116], v[101:102], v[95:96]
	s_waitcnt vmcnt(2) lgkmcnt(0)
	v_fma_f64 v[95:96], v[117:118], v[97:98], v[95:96]
	s_waitcnt vmcnt(0)
	v_add_f64 v[95:96], v[119:120], -v[95:96]
	buffer_store_dword v96, off, s[0:3], 0 offset:196
	buffer_store_dword v95, off, s[0:3], 0 offset:192
	s_and_saveexec_b64 s[4:5], vcc
	s_cbranch_execz .LBB109_237
; %bb.236:
	buffer_load_dword v95, off, s[0:3], 0 offset:184
	buffer_load_dword v96, off, s[0:3], 0 offset:188
	s_waitcnt vmcnt(0)
	ds_write_b64 v93, v[95:96]
	buffer_store_dword v94, off, s[0:3], 0 offset:184
	buffer_store_dword v94, off, s[0:3], 0 offset:188
.LBB109_237:
	s_or_b64 exec, exec, s[4:5]
	s_waitcnt lgkmcnt(0)
	; wave barrier
	buffer_load_dword v99, off, s[0:3], 0 offset:192
	buffer_load_dword v100, off, s[0:3], 0 offset:196
	;; [unrolled: 1-line block ×20, first 2 shown]
	ds_read_b128 v[95:98], v94 offset:560
	buffer_load_dword v119, off, s[0:3], 0 offset:272
	buffer_load_dword v120, off, s[0:3], 0 offset:276
	v_cmp_lt_u32_e32 vcc, 22, v0
	s_waitcnt vmcnt(20) lgkmcnt(0)
	v_fma_f64 v[95:96], v[99:100], v[95:96], 0
	buffer_load_dword v100, off, s[0:3], 0 offset:284
	buffer_load_dword v99, off, s[0:3], 0 offset:280
	s_waitcnt vmcnt(20)
	v_fma_f64 v[101:102], v[101:102], v[97:98], v[95:96]
	ds_read_b128 v[95:98], v94 offset:576
	buffer_load_dword v121, off, s[0:3], 0 offset:288
	buffer_load_dword v122, off, s[0:3], 0 offset:292
	s_waitcnt vmcnt(20) lgkmcnt(0)
	v_fma_f64 v[95:96], v[103:104], v[95:96], v[101:102]
	buffer_load_dword v101, off, s[0:3], 0 offset:296
	buffer_load_dword v102, off, s[0:3], 0 offset:300
	s_waitcnt vmcnt(20)
	v_fma_f64 v[103:104], v[105:106], v[97:98], v[95:96]
	ds_read_b128 v[95:98], v94 offset:592
	buffer_load_dword v105, off, s[0:3], 0 offset:304
	buffer_load_dword v106, off, s[0:3], 0 offset:308
	s_waitcnt vmcnt(20) lgkmcnt(0)
	v_fma_f64 v[95:96], v[107:108], v[95:96], v[103:104]
	buffer_load_dword v104, off, s[0:3], 0 offset:316
	buffer_load_dword v103, off, s[0:3], 0 offset:312
	s_waitcnt vmcnt(20)
	v_fma_f64 v[107:108], v[109:110], v[97:98], v[95:96]
	ds_read_b128 v[95:98], v94 offset:608
	buffer_load_dword v109, off, s[0:3], 0 offset:320
	buffer_load_dword v110, off, s[0:3], 0 offset:324
	s_waitcnt vmcnt(20) lgkmcnt(0)
	v_fma_f64 v[95:96], v[111:112], v[95:96], v[107:108]
	buffer_load_dword v107, off, s[0:3], 0 offset:328
	buffer_load_dword v108, off, s[0:3], 0 offset:332
	s_waitcnt vmcnt(20)
	v_fma_f64 v[111:112], v[113:114], v[97:98], v[95:96]
	ds_read_b128 v[95:98], v94 offset:624
	buffer_load_dword v113, off, s[0:3], 0 offset:336
	buffer_load_dword v114, off, s[0:3], 0 offset:340
	s_waitcnt vmcnt(20) lgkmcnt(0)
	v_fma_f64 v[95:96], v[115:116], v[95:96], v[111:112]
	buffer_load_dword v112, off, s[0:3], 0 offset:348
	buffer_load_dword v111, off, s[0:3], 0 offset:344
	s_waitcnt vmcnt(20)
	v_fma_f64 v[115:116], v[117:118], v[97:98], v[95:96]
	ds_read_b128 v[95:98], v94 offset:640
	buffer_load_dword v117, off, s[0:3], 0 offset:352
	buffer_load_dword v118, off, s[0:3], 0 offset:356
	s_waitcnt vmcnt(20) lgkmcnt(0)
	v_fma_f64 v[95:96], v[119:120], v[95:96], v[115:116]
	buffer_load_dword v115, off, s[0:3], 0 offset:360
	buffer_load_dword v116, off, s[0:3], 0 offset:364
	s_waitcnt vmcnt(20)
	v_fma_f64 v[99:100], v[99:100], v[97:98], v[95:96]
	ds_read_b128 v[95:98], v94 offset:656
	buffer_load_dword v119, off, s[0:3], 0 offset:184
	buffer_load_dword v120, off, s[0:3], 0 offset:188
	s_waitcnt vmcnt(20) lgkmcnt(0)
	v_fma_f64 v[95:96], v[121:122], v[95:96], v[99:100]
	s_waitcnt vmcnt(18)
	v_fma_f64 v[99:100], v[101:102], v[97:98], v[95:96]
	ds_read_b128 v[95:98], v94 offset:672
	s_waitcnt vmcnt(16) lgkmcnt(0)
	v_fma_f64 v[95:96], v[105:106], v[95:96], v[99:100]
	s_waitcnt vmcnt(14)
	v_fma_f64 v[99:100], v[103:104], v[97:98], v[95:96]
	ds_read_b128 v[95:98], v94 offset:688
	s_waitcnt vmcnt(12) lgkmcnt(0)
	v_fma_f64 v[95:96], v[109:110], v[95:96], v[99:100]
	s_waitcnt vmcnt(10)
	v_fma_f64 v[99:100], v[107:108], v[97:98], v[95:96]
	ds_read_b128 v[95:98], v94 offset:704
	s_waitcnt vmcnt(8) lgkmcnt(0)
	v_fma_f64 v[95:96], v[113:114], v[95:96], v[99:100]
	s_waitcnt vmcnt(6)
	v_fma_f64 v[98:99], v[111:112], v[97:98], v[95:96]
	ds_read_b128 v[94:97], v94 offset:720
	s_waitcnt vmcnt(4) lgkmcnt(0)
	v_fma_f64 v[94:95], v[117:118], v[94:95], v[98:99]
	s_waitcnt vmcnt(2)
	v_fma_f64 v[94:95], v[115:116], v[96:97], v[94:95]
	s_waitcnt vmcnt(0)
	v_add_f64 v[94:95], v[119:120], -v[94:95]
	buffer_store_dword v95, off, s[0:3], 0 offset:188
	buffer_store_dword v94, off, s[0:3], 0 offset:184
	s_and_saveexec_b64 s[4:5], vcc
	s_cbranch_execz .LBB109_239
; %bb.238:
	buffer_load_dword v94, off, s[0:3], 0 offset:176
	buffer_load_dword v95, off, s[0:3], 0 offset:180
	v_mov_b32_e32 v96, 0
	buffer_store_dword v96, off, s[0:3], 0 offset:176
	buffer_store_dword v96, off, s[0:3], 0 offset:180
	s_waitcnt vmcnt(2)
	ds_write_b64 v93, v[94:95]
.LBB109_239:
	s_or_b64 exec, exec, s[4:5]
	s_waitcnt lgkmcnt(0)
	; wave barrier
	buffer_load_dword v99, off, s[0:3], 0 offset:184
	buffer_load_dword v100, off, s[0:3], 0 offset:188
	buffer_load_dword v101, off, s[0:3], 0 offset:192
	buffer_load_dword v102, off, s[0:3], 0 offset:196
	buffer_load_dword v103, off, s[0:3], 0 offset:200
	buffer_load_dword v104, off, s[0:3], 0 offset:204
	buffer_load_dword v105, off, s[0:3], 0 offset:208
	buffer_load_dword v106, off, s[0:3], 0 offset:212
	buffer_load_dword v107, off, s[0:3], 0 offset:216
	buffer_load_dword v108, off, s[0:3], 0 offset:220
	buffer_load_dword v109, off, s[0:3], 0 offset:224
	buffer_load_dword v110, off, s[0:3], 0 offset:228
	buffer_load_dword v111, off, s[0:3], 0 offset:232
	buffer_load_dword v112, off, s[0:3], 0 offset:236
	buffer_load_dword v114, off, s[0:3], 0 offset:244
	buffer_load_dword v113, off, s[0:3], 0 offset:240
	buffer_load_dword v115, off, s[0:3], 0 offset:248
	buffer_load_dword v116, off, s[0:3], 0 offset:252
	buffer_load_dword v117, off, s[0:3], 0 offset:256
	buffer_load_dword v118, off, s[0:3], 0 offset:260
	v_mov_b32_e32 v94, 0
	ds_read2_b64 v[95:98], v94 offset0:69 offset1:70
	buffer_load_dword v119, off, s[0:3], 0 offset:264
	buffer_load_dword v120, off, s[0:3], 0 offset:268
	v_cmp_lt_u32_e32 vcc, 21, v0
	s_waitcnt vmcnt(20) lgkmcnt(0)
	v_fma_f64 v[95:96], v[99:100], v[95:96], 0
	buffer_load_dword v100, off, s[0:3], 0 offset:276
	buffer_load_dword v99, off, s[0:3], 0 offset:272
	s_waitcnt vmcnt(20)
	v_fma_f64 v[101:102], v[101:102], v[97:98], v[95:96]
	ds_read2_b64 v[95:98], v94 offset0:71 offset1:72
	buffer_load_dword v121, off, s[0:3], 0 offset:280
	buffer_load_dword v122, off, s[0:3], 0 offset:284
	s_waitcnt vmcnt(20) lgkmcnt(0)
	v_fma_f64 v[95:96], v[103:104], v[95:96], v[101:102]
	buffer_load_dword v101, off, s[0:3], 0 offset:288
	buffer_load_dword v102, off, s[0:3], 0 offset:292
	s_waitcnt vmcnt(20)
	v_fma_f64 v[103:104], v[105:106], v[97:98], v[95:96]
	ds_read2_b64 v[95:98], v94 offset0:73 offset1:74
	buffer_load_dword v105, off, s[0:3], 0 offset:296
	buffer_load_dword v106, off, s[0:3], 0 offset:300
	;; [unrolled: 9-line block ×6, first 2 shown]
	s_waitcnt vmcnt(20) lgkmcnt(0)
	v_fma_f64 v[95:96], v[121:122], v[95:96], v[99:100]
	buffer_load_dword v99, off, s[0:3], 0 offset:176
	buffer_load_dword v100, off, s[0:3], 0 offset:180
	s_waitcnt vmcnt(20)
	v_fma_f64 v[101:102], v[101:102], v[97:98], v[95:96]
	ds_read2_b64 v[95:98], v94 offset0:83 offset1:84
	s_waitcnt vmcnt(18) lgkmcnt(0)
	v_fma_f64 v[95:96], v[105:106], v[95:96], v[101:102]
	s_waitcnt vmcnt(16)
	v_fma_f64 v[101:102], v[103:104], v[97:98], v[95:96]
	ds_read2_b64 v[95:98], v94 offset0:85 offset1:86
	s_waitcnt vmcnt(14) lgkmcnt(0)
	v_fma_f64 v[95:96], v[109:110], v[95:96], v[101:102]
	;; [unrolled: 5-line block ×4, first 2 shown]
	s_waitcnt vmcnt(4)
	v_fma_f64 v[95:96], v[115:116], v[97:98], v[95:96]
	ds_read_b64 v[97:98], v94 offset:728
	s_waitcnt vmcnt(2) lgkmcnt(0)
	v_fma_f64 v[95:96], v[119:120], v[97:98], v[95:96]
	s_waitcnt vmcnt(0)
	v_add_f64 v[95:96], v[99:100], -v[95:96]
	buffer_store_dword v96, off, s[0:3], 0 offset:180
	buffer_store_dword v95, off, s[0:3], 0 offset:176
	s_and_saveexec_b64 s[4:5], vcc
	s_cbranch_execz .LBB109_241
; %bb.240:
	buffer_load_dword v95, off, s[0:3], 0 offset:168
	buffer_load_dword v96, off, s[0:3], 0 offset:172
	s_waitcnt vmcnt(0)
	ds_write_b64 v93, v[95:96]
	buffer_store_dword v94, off, s[0:3], 0 offset:168
	buffer_store_dword v94, off, s[0:3], 0 offset:172
.LBB109_241:
	s_or_b64 exec, exec, s[4:5]
	s_waitcnt lgkmcnt(0)
	; wave barrier
	buffer_load_dword v99, off, s[0:3], 0 offset:176
	buffer_load_dword v100, off, s[0:3], 0 offset:180
	;; [unrolled: 1-line block ×20, first 2 shown]
	ds_read_b128 v[95:98], v94 offset:544
	buffer_load_dword v119, off, s[0:3], 0 offset:256
	buffer_load_dword v120, off, s[0:3], 0 offset:260
	v_cmp_lt_u32_e32 vcc, 20, v0
	s_waitcnt vmcnt(20) lgkmcnt(0)
	v_fma_f64 v[95:96], v[99:100], v[95:96], 0
	buffer_load_dword v100, off, s[0:3], 0 offset:268
	buffer_load_dword v99, off, s[0:3], 0 offset:264
	s_waitcnt vmcnt(20)
	v_fma_f64 v[101:102], v[101:102], v[97:98], v[95:96]
	ds_read_b128 v[95:98], v94 offset:560
	buffer_load_dword v121, off, s[0:3], 0 offset:272
	buffer_load_dword v122, off, s[0:3], 0 offset:276
	s_waitcnt vmcnt(20) lgkmcnt(0)
	v_fma_f64 v[95:96], v[103:104], v[95:96], v[101:102]
	buffer_load_dword v101, off, s[0:3], 0 offset:280
	buffer_load_dword v102, off, s[0:3], 0 offset:284
	s_waitcnt vmcnt(20)
	v_fma_f64 v[103:104], v[105:106], v[97:98], v[95:96]
	ds_read_b128 v[95:98], v94 offset:576
	buffer_load_dword v105, off, s[0:3], 0 offset:288
	buffer_load_dword v106, off, s[0:3], 0 offset:292
	;; [unrolled: 9-line block ×7, first 2 shown]
	s_waitcnt vmcnt(20) lgkmcnt(0)
	v_fma_f64 v[95:96], v[105:106], v[95:96], v[101:102]
	s_waitcnt vmcnt(18)
	v_fma_f64 v[101:102], v[103:104], v[97:98], v[95:96]
	ds_read_b128 v[95:98], v94 offset:672
	s_waitcnt vmcnt(16) lgkmcnt(0)
	v_fma_f64 v[95:96], v[109:110], v[95:96], v[101:102]
	s_waitcnt vmcnt(14)
	v_fma_f64 v[101:102], v[107:108], v[97:98], v[95:96]
	ds_read_b128 v[95:98], v94 offset:688
	;; [unrolled: 5-line block ×4, first 2 shown]
	s_waitcnt vmcnt(4) lgkmcnt(0)
	v_fma_f64 v[94:95], v[119:120], v[94:95], v[101:102]
	s_waitcnt vmcnt(2)
	v_fma_f64 v[94:95], v[99:100], v[96:97], v[94:95]
	s_waitcnt vmcnt(0)
	v_add_f64 v[94:95], v[121:122], -v[94:95]
	buffer_store_dword v95, off, s[0:3], 0 offset:172
	buffer_store_dword v94, off, s[0:3], 0 offset:168
	s_and_saveexec_b64 s[4:5], vcc
	s_cbranch_execz .LBB109_243
; %bb.242:
	buffer_load_dword v94, off, s[0:3], 0 offset:160
	buffer_load_dword v95, off, s[0:3], 0 offset:164
	v_mov_b32_e32 v96, 0
	buffer_store_dword v96, off, s[0:3], 0 offset:160
	buffer_store_dword v96, off, s[0:3], 0 offset:164
	s_waitcnt vmcnt(2)
	ds_write_b64 v93, v[94:95]
.LBB109_243:
	s_or_b64 exec, exec, s[4:5]
	s_waitcnt lgkmcnt(0)
	; wave barrier
	buffer_load_dword v103, off, s[0:3], 0 offset:168
	buffer_load_dword v104, off, s[0:3], 0 offset:172
	buffer_load_dword v105, off, s[0:3], 0 offset:176
	buffer_load_dword v106, off, s[0:3], 0 offset:180
	buffer_load_dword v107, off, s[0:3], 0 offset:184
	buffer_load_dword v108, off, s[0:3], 0 offset:188
	buffer_load_dword v109, off, s[0:3], 0 offset:192
	buffer_load_dword v110, off, s[0:3], 0 offset:196
	buffer_load_dword v111, off, s[0:3], 0 offset:200
	buffer_load_dword v112, off, s[0:3], 0 offset:204
	buffer_load_dword v113, off, s[0:3], 0 offset:208
	buffer_load_dword v114, off, s[0:3], 0 offset:212
	buffer_load_dword v115, off, s[0:3], 0 offset:216
	buffer_load_dword v116, off, s[0:3], 0 offset:220
	buffer_load_dword v118, off, s[0:3], 0 offset:228
	buffer_load_dword v119, off, s[0:3], 0 offset:248
	buffer_load_dword v121, off, s[0:3], 0 offset:240
	buffer_load_dword v123, off, s[0:3], 0 offset:232
	buffer_load_dword v117, off, s[0:3], 0 offset:224
	buffer_load_dword v124, off, s[0:3], 0 offset:236
	buffer_load_dword v122, off, s[0:3], 0 offset:244
	v_mov_b32_e32 v94, 0
	ds_read2_b64 v[95:98], v94 offset0:67 offset1:68
	ds_read2_b64 v[99:102], v94 offset0:69 offset1:70
	buffer_load_dword v120, off, s[0:3], 0 offset:252
	v_cmp_lt_u32_e32 vcc, 19, v0
	s_waitcnt vmcnt(20) lgkmcnt(1)
	v_fma_f64 v[95:96], v[103:104], v[95:96], 0
	s_waitcnt vmcnt(18)
	v_fma_f64 v[95:96], v[105:106], v[97:98], v[95:96]
	buffer_load_dword v104, off, s[0:3], 0 offset:260
	buffer_load_dword v105, off, s[0:3], 0 offset:280
	;; [unrolled: 1-line block ×7, first 2 shown]
	s_waitcnt vmcnt(23) lgkmcnt(0)
	v_fma_f64 v[95:96], v[107:108], v[99:100], v[95:96]
	s_waitcnt vmcnt(21)
	v_fma_f64 v[106:107], v[109:110], v[101:102], v[95:96]
	ds_read2_b64 v[95:98], v94 offset0:71 offset1:72
	ds_read2_b64 v[99:102], v94 offset0:73 offset1:74
	s_waitcnt vmcnt(19) lgkmcnt(1)
	v_fma_f64 v[95:96], v[111:112], v[95:96], v[106:107]
	buffer_load_dword v106, off, s[0:3], 0 offset:284
	s_waitcnt vmcnt(18)
	v_fma_f64 v[95:96], v[113:114], v[97:98], v[95:96]
	buffer_load_dword v108, off, s[0:3], 0 offset:292
	buffer_load_dword v109, off, s[0:3], 0 offset:312
	;; [unrolled: 1-line block ×8, first 2 shown]
	s_waitcnt vmcnt(24) lgkmcnt(0)
	v_fma_f64 v[95:96], v[115:116], v[99:100], v[95:96]
	s_waitcnt vmcnt(19)
	v_fma_f64 v[115:116], v[117:118], v[101:102], v[95:96]
	ds_read2_b64 v[95:98], v94 offset0:75 offset1:76
	ds_read2_b64 v[99:102], v94 offset0:77 offset1:78
	s_waitcnt vmcnt(18) lgkmcnt(1)
	v_fma_f64 v[95:96], v[123:124], v[95:96], v[115:116]
	s_waitcnt vmcnt(17)
	v_fma_f64 v[95:96], v[121:122], v[97:98], v[95:96]
	buffer_load_dword v116, off, s[0:3], 0 offset:324
	buffer_load_dword v117, off, s[0:3], 0 offset:344
	;; [unrolled: 1-line block ×7, first 2 shown]
	s_waitcnt vmcnt(23) lgkmcnt(0)
	v_fma_f64 v[95:96], v[119:120], v[99:100], v[95:96]
	s_waitcnt vmcnt(18)
	v_fma_f64 v[103:104], v[103:104], v[101:102], v[95:96]
	ds_read2_b64 v[95:98], v94 offset0:79 offset1:80
	ds_read2_b64 v[99:102], v94 offset0:81 offset1:82
	buffer_load_dword v118, off, s[0:3], 0 offset:348
	s_waitcnt vmcnt(18) lgkmcnt(1)
	v_fma_f64 v[95:96], v[127:128], v[95:96], v[103:104]
	buffer_load_dword v104, off, s[0:3], 0 offset:356
	buffer_load_dword v119, off, s[0:3], 0 offset:360
	;; [unrolled: 1-line block ×4, first 2 shown]
	s_waitcnt vmcnt(21)
	v_fma_f64 v[95:96], v[125:126], v[97:98], v[95:96]
	s_waitcnt vmcnt(20) lgkmcnt(0)
	v_fma_f64 v[95:96], v[105:106], v[99:100], v[95:96]
	buffer_load_dword v105, off, s[0:3], 0 offset:160
	buffer_load_dword v106, off, s[0:3], 0 offset:164
	s_waitcnt vmcnt(17)
	v_fma_f64 v[107:108], v[107:108], v[101:102], v[95:96]
	ds_read2_b64 v[95:98], v94 offset0:83 offset1:84
	ds_read2_b64 v[99:102], v94 offset0:85 offset1:86
	s_waitcnt vmcnt(16) lgkmcnt(1)
	v_fma_f64 v[95:96], v[113:114], v[95:96], v[107:108]
	s_waitcnt vmcnt(15)
	v_fma_f64 v[95:96], v[111:112], v[97:98], v[95:96]
	s_waitcnt vmcnt(14) lgkmcnt(0)
	v_fma_f64 v[95:96], v[109:110], v[99:100], v[95:96]
	s_waitcnt vmcnt(9)
	v_fma_f64 v[107:108], v[115:116], v[101:102], v[95:96]
	ds_read2_b64 v[95:98], v94 offset0:87 offset1:88
	ds_read2_b64 v[99:102], v94 offset0:89 offset1:90
	s_waitcnt vmcnt(8) lgkmcnt(1)
	v_fma_f64 v[95:96], v[123:124], v[95:96], v[107:108]
	s_waitcnt vmcnt(7)
	v_fma_f64 v[95:96], v[121:122], v[97:98], v[95:96]
	ds_read_b64 v[97:98], v94 offset:728
	s_waitcnt vmcnt(6) lgkmcnt(1)
	v_fma_f64 v[95:96], v[117:118], v[99:100], v[95:96]
	s_waitcnt vmcnt(3)
	v_fma_f64 v[95:96], v[103:104], v[101:102], v[95:96]
	s_waitcnt vmcnt(2) lgkmcnt(0)
	v_fma_f64 v[95:96], v[119:120], v[97:98], v[95:96]
	s_waitcnt vmcnt(0)
	v_add_f64 v[95:96], v[105:106], -v[95:96]
	buffer_store_dword v96, off, s[0:3], 0 offset:164
	buffer_store_dword v95, off, s[0:3], 0 offset:160
	s_and_saveexec_b64 s[4:5], vcc
	s_cbranch_execz .LBB109_245
; %bb.244:
	buffer_load_dword v95, off, s[0:3], 0 offset:152
	buffer_load_dword v96, off, s[0:3], 0 offset:156
	s_waitcnt vmcnt(0)
	ds_write_b64 v93, v[95:96]
	buffer_store_dword v94, off, s[0:3], 0 offset:152
	buffer_store_dword v94, off, s[0:3], 0 offset:156
.LBB109_245:
	s_or_b64 exec, exec, s[4:5]
	s_waitcnt lgkmcnt(0)
	; wave barrier
	buffer_load_dword v99, off, s[0:3], 0 offset:160
	buffer_load_dword v100, off, s[0:3], 0 offset:164
	;; [unrolled: 1-line block ×20, first 2 shown]
	ds_read_b128 v[95:98], v94 offset:528
	buffer_load_dword v119, off, s[0:3], 0 offset:240
	buffer_load_dword v120, off, s[0:3], 0 offset:244
	v_cmp_lt_u32_e32 vcc, 18, v0
	s_waitcnt vmcnt(20) lgkmcnt(0)
	v_fma_f64 v[95:96], v[99:100], v[95:96], 0
	buffer_load_dword v100, off, s[0:3], 0 offset:252
	buffer_load_dword v99, off, s[0:3], 0 offset:248
	s_waitcnt vmcnt(20)
	v_fma_f64 v[101:102], v[101:102], v[97:98], v[95:96]
	ds_read_b128 v[95:98], v94 offset:544
	buffer_load_dword v121, off, s[0:3], 0 offset:256
	buffer_load_dword v122, off, s[0:3], 0 offset:260
	s_waitcnt vmcnt(20) lgkmcnt(0)
	v_fma_f64 v[95:96], v[103:104], v[95:96], v[101:102]
	buffer_load_dword v101, off, s[0:3], 0 offset:264
	buffer_load_dword v102, off, s[0:3], 0 offset:268
	s_waitcnt vmcnt(20)
	v_fma_f64 v[103:104], v[105:106], v[97:98], v[95:96]
	ds_read_b128 v[95:98], v94 offset:560
	buffer_load_dword v105, off, s[0:3], 0 offset:272
	buffer_load_dword v106, off, s[0:3], 0 offset:276
	;; [unrolled: 9-line block ×8, first 2 shown]
	s_waitcnt vmcnt(20) lgkmcnt(0)
	v_fma_f64 v[95:96], v[109:110], v[95:96], v[103:104]
	s_waitcnt vmcnt(18)
	v_fma_f64 v[103:104], v[107:108], v[97:98], v[95:96]
	ds_read_b128 v[95:98], v94 offset:672
	s_waitcnt vmcnt(16) lgkmcnt(0)
	v_fma_f64 v[95:96], v[113:114], v[95:96], v[103:104]
	s_waitcnt vmcnt(14)
	v_fma_f64 v[103:104], v[111:112], v[97:98], v[95:96]
	ds_read_b128 v[95:98], v94 offset:688
	;; [unrolled: 5-line block ×4, first 2 shown]
	s_waitcnt vmcnt(4) lgkmcnt(0)
	v_fma_f64 v[94:95], v[121:122], v[94:95], v[98:99]
	s_waitcnt vmcnt(2)
	v_fma_f64 v[94:95], v[101:102], v[96:97], v[94:95]
	s_waitcnt vmcnt(0)
	v_add_f64 v[94:95], v[105:106], -v[94:95]
	buffer_store_dword v95, off, s[0:3], 0 offset:156
	buffer_store_dword v94, off, s[0:3], 0 offset:152
	s_and_saveexec_b64 s[4:5], vcc
	s_cbranch_execz .LBB109_247
; %bb.246:
	buffer_load_dword v94, off, s[0:3], 0 offset:144
	buffer_load_dword v95, off, s[0:3], 0 offset:148
	v_mov_b32_e32 v96, 0
	buffer_store_dword v96, off, s[0:3], 0 offset:144
	buffer_store_dword v96, off, s[0:3], 0 offset:148
	s_waitcnt vmcnt(2)
	ds_write_b64 v93, v[94:95]
.LBB109_247:
	s_or_b64 exec, exec, s[4:5]
	s_waitcnt lgkmcnt(0)
	; wave barrier
	buffer_load_dword v99, off, s[0:3], 0 offset:152
	buffer_load_dword v100, off, s[0:3], 0 offset:156
	;; [unrolled: 1-line block ×20, first 2 shown]
	v_mov_b32_e32 v94, 0
	ds_read2_b64 v[95:98], v94 offset0:65 offset1:66
	buffer_load_dword v119, off, s[0:3], 0 offset:232
	buffer_load_dword v120, off, s[0:3], 0 offset:236
	v_cmp_lt_u32_e32 vcc, 17, v0
	s_waitcnt vmcnt(20) lgkmcnt(0)
	v_fma_f64 v[95:96], v[99:100], v[95:96], 0
	buffer_load_dword v100, off, s[0:3], 0 offset:244
	buffer_load_dword v99, off, s[0:3], 0 offset:240
	s_waitcnt vmcnt(20)
	v_fma_f64 v[101:102], v[101:102], v[97:98], v[95:96]
	ds_read2_b64 v[95:98], v94 offset0:67 offset1:68
	buffer_load_dword v121, off, s[0:3], 0 offset:248
	buffer_load_dword v122, off, s[0:3], 0 offset:252
	s_waitcnt vmcnt(20) lgkmcnt(0)
	v_fma_f64 v[95:96], v[103:104], v[95:96], v[101:102]
	buffer_load_dword v101, off, s[0:3], 0 offset:256
	buffer_load_dword v102, off, s[0:3], 0 offset:260
	s_waitcnt vmcnt(20)
	v_fma_f64 v[103:104], v[105:106], v[97:98], v[95:96]
	ds_read2_b64 v[95:98], v94 offset0:69 offset1:70
	buffer_load_dword v105, off, s[0:3], 0 offset:264
	buffer_load_dword v106, off, s[0:3], 0 offset:268
	;; [unrolled: 9-line block ×8, first 2 shown]
	s_waitcnt vmcnt(20) lgkmcnt(0)
	v_fma_f64 v[95:96], v[109:110], v[95:96], v[103:104]
	buffer_load_dword v103, off, s[0:3], 0 offset:144
	buffer_load_dword v104, off, s[0:3], 0 offset:148
	s_waitcnt vmcnt(20)
	v_fma_f64 v[107:108], v[107:108], v[97:98], v[95:96]
	ds_read2_b64 v[95:98], v94 offset0:83 offset1:84
	s_waitcnt vmcnt(18) lgkmcnt(0)
	v_fma_f64 v[95:96], v[113:114], v[95:96], v[107:108]
	s_waitcnt vmcnt(16)
	v_fma_f64 v[107:108], v[111:112], v[97:98], v[95:96]
	ds_read2_b64 v[95:98], v94 offset0:85 offset1:86
	s_waitcnt vmcnt(14) lgkmcnt(0)
	v_fma_f64 v[95:96], v[117:118], v[95:96], v[107:108]
	;; [unrolled: 5-line block ×4, first 2 shown]
	s_waitcnt vmcnt(4)
	v_fma_f64 v[95:96], v[101:102], v[97:98], v[95:96]
	ds_read_b64 v[97:98], v94 offset:728
	s_waitcnt vmcnt(2) lgkmcnt(0)
	v_fma_f64 v[95:96], v[105:106], v[97:98], v[95:96]
	s_waitcnt vmcnt(0)
	v_add_f64 v[95:96], v[103:104], -v[95:96]
	buffer_store_dword v96, off, s[0:3], 0 offset:148
	buffer_store_dword v95, off, s[0:3], 0 offset:144
	s_and_saveexec_b64 s[4:5], vcc
	s_cbranch_execz .LBB109_249
; %bb.248:
	buffer_load_dword v95, off, s[0:3], 0 offset:136
	buffer_load_dword v96, off, s[0:3], 0 offset:140
	s_waitcnt vmcnt(0)
	ds_write_b64 v93, v[95:96]
	buffer_store_dword v94, off, s[0:3], 0 offset:136
	buffer_store_dword v94, off, s[0:3], 0 offset:140
.LBB109_249:
	s_or_b64 exec, exec, s[4:5]
	s_waitcnt lgkmcnt(0)
	; wave barrier
	buffer_load_dword v99, off, s[0:3], 0 offset:144
	buffer_load_dword v100, off, s[0:3], 0 offset:148
	;; [unrolled: 1-line block ×20, first 2 shown]
	ds_read_b128 v[95:98], v94 offset:512
	buffer_load_dword v119, off, s[0:3], 0 offset:224
	buffer_load_dword v120, off, s[0:3], 0 offset:228
	v_cmp_lt_u32_e32 vcc, 16, v0
	s_waitcnt vmcnt(20) lgkmcnt(0)
	v_fma_f64 v[95:96], v[99:100], v[95:96], 0
	buffer_load_dword v100, off, s[0:3], 0 offset:236
	buffer_load_dword v99, off, s[0:3], 0 offset:232
	s_waitcnt vmcnt(20)
	v_fma_f64 v[101:102], v[101:102], v[97:98], v[95:96]
	ds_read_b128 v[95:98], v94 offset:528
	buffer_load_dword v121, off, s[0:3], 0 offset:240
	buffer_load_dword v122, off, s[0:3], 0 offset:244
	s_waitcnt vmcnt(20) lgkmcnt(0)
	v_fma_f64 v[95:96], v[103:104], v[95:96], v[101:102]
	buffer_load_dword v101, off, s[0:3], 0 offset:248
	buffer_load_dword v102, off, s[0:3], 0 offset:252
	s_waitcnt vmcnt(20)
	v_fma_f64 v[103:104], v[105:106], v[97:98], v[95:96]
	ds_read_b128 v[95:98], v94 offset:544
	buffer_load_dword v105, off, s[0:3], 0 offset:256
	buffer_load_dword v106, off, s[0:3], 0 offset:260
	;; [unrolled: 9-line block ×9, first 2 shown]
	s_waitcnt vmcnt(20) lgkmcnt(0)
	v_fma_f64 v[95:96], v[113:114], v[95:96], v[107:108]
	s_waitcnt vmcnt(18)
	v_fma_f64 v[107:108], v[111:112], v[97:98], v[95:96]
	ds_read_b128 v[95:98], v94 offset:672
	s_waitcnt vmcnt(16) lgkmcnt(0)
	v_fma_f64 v[95:96], v[117:118], v[95:96], v[107:108]
	s_waitcnt vmcnt(14)
	v_fma_f64 v[107:108], v[115:116], v[97:98], v[95:96]
	ds_read_b128 v[95:98], v94 offset:688
	;; [unrolled: 5-line block ×4, first 2 shown]
	s_waitcnt vmcnt(4) lgkmcnt(0)
	v_fma_f64 v[94:95], v[105:106], v[94:95], v[98:99]
	s_waitcnt vmcnt(2)
	v_fma_f64 v[94:95], v[103:104], v[96:97], v[94:95]
	s_waitcnt vmcnt(0)
	v_add_f64 v[94:95], v[109:110], -v[94:95]
	buffer_store_dword v95, off, s[0:3], 0 offset:140
	buffer_store_dword v94, off, s[0:3], 0 offset:136
	s_and_saveexec_b64 s[4:5], vcc
	s_cbranch_execz .LBB109_251
; %bb.250:
	buffer_load_dword v94, off, s[0:3], 0 offset:128
	buffer_load_dword v95, off, s[0:3], 0 offset:132
	v_mov_b32_e32 v96, 0
	buffer_store_dword v96, off, s[0:3], 0 offset:128
	buffer_store_dword v96, off, s[0:3], 0 offset:132
	s_waitcnt vmcnt(2)
	ds_write_b64 v93, v[94:95]
.LBB109_251:
	s_or_b64 exec, exec, s[4:5]
	s_waitcnt lgkmcnt(0)
	; wave barrier
	buffer_load_dword v103, off, s[0:3], 0 offset:136
	buffer_load_dword v104, off, s[0:3], 0 offset:140
	;; [unrolled: 1-line block ×22, first 2 shown]
	v_mov_b32_e32 v94, 0
	ds_read2_b64 v[95:98], v94 offset0:63 offset1:64
	ds_read2_b64 v[99:102], v94 offset0:65 offset1:66
	v_cmp_lt_u32_e32 vcc, 15, v0
	s_waitcnt vmcnt(20) lgkmcnt(1)
	v_fma_f64 v[95:96], v[103:104], v[95:96], 0
	s_waitcnt vmcnt(18)
	v_fma_f64 v[95:96], v[105:106], v[97:98], v[95:96]
	buffer_load_dword v104, off, s[0:3], 0 offset:228
	buffer_load_dword v105, off, s[0:3], 0 offset:248
	;; [unrolled: 1-line block ×7, first 2 shown]
	s_waitcnt vmcnt(23) lgkmcnt(0)
	v_fma_f64 v[95:96], v[107:108], v[99:100], v[95:96]
	s_waitcnt vmcnt(21)
	v_fma_f64 v[106:107], v[109:110], v[101:102], v[95:96]
	ds_read2_b64 v[95:98], v94 offset0:67 offset1:68
	ds_read2_b64 v[99:102], v94 offset0:69 offset1:70
	s_waitcnt vmcnt(19) lgkmcnt(1)
	v_fma_f64 v[95:96], v[111:112], v[95:96], v[106:107]
	buffer_load_dword v106, off, s[0:3], 0 offset:252
	s_waitcnt vmcnt(18)
	v_fma_f64 v[95:96], v[113:114], v[97:98], v[95:96]
	buffer_load_dword v108, off, s[0:3], 0 offset:260
	buffer_load_dword v109, off, s[0:3], 0 offset:280
	;; [unrolled: 1-line block ×7, first 2 shown]
	s_waitcnt vmcnt(23) lgkmcnt(0)
	v_fma_f64 v[95:96], v[115:116], v[99:100], v[95:96]
	s_waitcnt vmcnt(18)
	v_fma_f64 v[115:116], v[117:118], v[101:102], v[95:96]
	ds_read2_b64 v[95:98], v94 offset0:71 offset1:72
	ds_read2_b64 v[99:102], v94 offset0:73 offset1:74
	buffer_load_dword v110, off, s[0:3], 0 offset:284
	s_waitcnt vmcnt(18) lgkmcnt(1)
	v_fma_f64 v[95:96], v[123:124], v[95:96], v[115:116]
	s_waitcnt vmcnt(17)
	v_fma_f64 v[95:96], v[121:122], v[97:98], v[95:96]
	buffer_load_dword v116, off, s[0:3], 0 offset:292
	buffer_load_dword v117, off, s[0:3], 0 offset:312
	;; [unrolled: 1-line block ×8, first 2 shown]
	s_waitcnt vmcnt(24) lgkmcnt(0)
	v_fma_f64 v[95:96], v[119:120], v[99:100], v[95:96]
	s_waitcnt vmcnt(19)
	v_fma_f64 v[103:104], v[103:104], v[101:102], v[95:96]
	ds_read2_b64 v[95:98], v94 offset0:75 offset1:76
	ds_read2_b64 v[99:102], v94 offset0:77 offset1:78
	s_waitcnt vmcnt(18) lgkmcnt(1)
	v_fma_f64 v[95:96], v[127:128], v[95:96], v[103:104]
	s_waitcnt vmcnt(17)
	v_fma_f64 v[95:96], v[125:126], v[97:98], v[95:96]
	buffer_load_dword v104, off, s[0:3], 0 offset:324
	buffer_load_dword v119, off, s[0:3], 0 offset:344
	;; [unrolled: 1-line block ×7, first 2 shown]
	s_waitcnt vmcnt(23) lgkmcnt(0)
	v_fma_f64 v[95:96], v[105:106], v[99:100], v[95:96]
	s_waitcnt vmcnt(18)
	v_fma_f64 v[105:106], v[107:108], v[101:102], v[95:96]
	ds_read2_b64 v[95:98], v94 offset0:79 offset1:80
	ds_read2_b64 v[99:102], v94 offset0:81 offset1:82
	buffer_load_dword v120, off, s[0:3], 0 offset:348
	s_waitcnt vmcnt(18) lgkmcnt(1)
	v_fma_f64 v[95:96], v[113:114], v[95:96], v[105:106]
	buffer_load_dword v106, off, s[0:3], 0 offset:356
	buffer_load_dword v107, off, s[0:3], 0 offset:360
	buffer_load_dword v105, off, s[0:3], 0 offset:352
	buffer_load_dword v108, off, s[0:3], 0 offset:364
	s_waitcnt vmcnt(21)
	v_fma_f64 v[95:96], v[111:112], v[97:98], v[95:96]
	s_waitcnt vmcnt(20) lgkmcnt(0)
	v_fma_f64 v[95:96], v[109:110], v[99:100], v[95:96]
	buffer_load_dword v109, off, s[0:3], 0 offset:128
	buffer_load_dword v110, off, s[0:3], 0 offset:132
	s_waitcnt vmcnt(17)
	v_fma_f64 v[111:112], v[115:116], v[101:102], v[95:96]
	ds_read2_b64 v[95:98], v94 offset0:83 offset1:84
	ds_read2_b64 v[99:102], v94 offset0:85 offset1:86
	s_waitcnt vmcnt(16) lgkmcnt(1)
	v_fma_f64 v[95:96], v[123:124], v[95:96], v[111:112]
	s_waitcnt vmcnt(15)
	v_fma_f64 v[95:96], v[121:122], v[97:98], v[95:96]
	s_waitcnt vmcnt(14) lgkmcnt(0)
	v_fma_f64 v[95:96], v[117:118], v[99:100], v[95:96]
	s_waitcnt vmcnt(9)
	v_fma_f64 v[103:104], v[103:104], v[101:102], v[95:96]
	ds_read2_b64 v[95:98], v94 offset0:87 offset1:88
	ds_read2_b64 v[99:102], v94 offset0:89 offset1:90
	s_waitcnt vmcnt(8) lgkmcnt(1)
	v_fma_f64 v[95:96], v[127:128], v[95:96], v[103:104]
	s_waitcnt vmcnt(7)
	v_fma_f64 v[95:96], v[125:126], v[97:98], v[95:96]
	ds_read_b64 v[97:98], v94 offset:728
	s_waitcnt vmcnt(6) lgkmcnt(1)
	v_fma_f64 v[95:96], v[119:120], v[99:100], v[95:96]
	s_waitcnt vmcnt(3)
	v_fma_f64 v[95:96], v[105:106], v[101:102], v[95:96]
	s_waitcnt vmcnt(2) lgkmcnt(0)
	v_fma_f64 v[95:96], v[107:108], v[97:98], v[95:96]
	s_waitcnt vmcnt(0)
	v_add_f64 v[95:96], v[109:110], -v[95:96]
	buffer_store_dword v96, off, s[0:3], 0 offset:132
	buffer_store_dword v95, off, s[0:3], 0 offset:128
	s_and_saveexec_b64 s[4:5], vcc
	s_cbranch_execz .LBB109_253
; %bb.252:
	buffer_load_dword v95, off, s[0:3], 0 offset:120
	buffer_load_dword v96, off, s[0:3], 0 offset:124
	s_waitcnt vmcnt(0)
	ds_write_b64 v93, v[95:96]
	buffer_store_dword v94, off, s[0:3], 0 offset:120
	buffer_store_dword v94, off, s[0:3], 0 offset:124
.LBB109_253:
	s_or_b64 exec, exec, s[4:5]
	s_waitcnt lgkmcnt(0)
	; wave barrier
	buffer_load_dword v99, off, s[0:3], 0 offset:128
	buffer_load_dword v100, off, s[0:3], 0 offset:132
	;; [unrolled: 1-line block ×20, first 2 shown]
	ds_read_b128 v[95:98], v94 offset:496
	buffer_load_dword v119, off, s[0:3], 0 offset:208
	buffer_load_dword v120, off, s[0:3], 0 offset:212
	v_cmp_lt_u32_e32 vcc, 14, v0
	s_waitcnt vmcnt(20) lgkmcnt(0)
	v_fma_f64 v[95:96], v[99:100], v[95:96], 0
	buffer_load_dword v100, off, s[0:3], 0 offset:220
	buffer_load_dword v99, off, s[0:3], 0 offset:216
	s_waitcnt vmcnt(20)
	v_fma_f64 v[101:102], v[101:102], v[97:98], v[95:96]
	ds_read_b128 v[95:98], v94 offset:512
	buffer_load_dword v121, off, s[0:3], 0 offset:224
	buffer_load_dword v122, off, s[0:3], 0 offset:228
	s_waitcnt vmcnt(20) lgkmcnt(0)
	v_fma_f64 v[95:96], v[103:104], v[95:96], v[101:102]
	buffer_load_dword v101, off, s[0:3], 0 offset:232
	buffer_load_dword v102, off, s[0:3], 0 offset:236
	s_waitcnt vmcnt(20)
	v_fma_f64 v[103:104], v[105:106], v[97:98], v[95:96]
	ds_read_b128 v[95:98], v94 offset:528
	buffer_load_dword v105, off, s[0:3], 0 offset:240
	buffer_load_dword v106, off, s[0:3], 0 offset:244
	;; [unrolled: 9-line block ×10, first 2 shown]
	s_waitcnt vmcnt(20) lgkmcnt(0)
	v_fma_f64 v[95:96], v[117:118], v[95:96], v[111:112]
	s_waitcnt vmcnt(18)
	v_fma_f64 v[111:112], v[115:116], v[97:98], v[95:96]
	ds_read_b128 v[95:98], v94 offset:672
	s_waitcnt vmcnt(16) lgkmcnt(0)
	v_fma_f64 v[95:96], v[119:120], v[95:96], v[111:112]
	s_waitcnt vmcnt(14)
	v_fma_f64 v[99:100], v[99:100], v[97:98], v[95:96]
	ds_read_b128 v[95:98], v94 offset:688
	;; [unrolled: 5-line block ×4, first 2 shown]
	s_waitcnt vmcnt(4) lgkmcnt(0)
	v_fma_f64 v[94:95], v[109:110], v[94:95], v[98:99]
	s_waitcnt vmcnt(2)
	v_fma_f64 v[94:95], v[107:108], v[96:97], v[94:95]
	s_waitcnt vmcnt(0)
	v_add_f64 v[94:95], v[113:114], -v[94:95]
	buffer_store_dword v95, off, s[0:3], 0 offset:124
	buffer_store_dword v94, off, s[0:3], 0 offset:120
	s_and_saveexec_b64 s[4:5], vcc
	s_cbranch_execz .LBB109_255
; %bb.254:
	buffer_load_dword v94, off, s[0:3], 0 offset:112
	buffer_load_dword v95, off, s[0:3], 0 offset:116
	v_mov_b32_e32 v96, 0
	buffer_store_dword v96, off, s[0:3], 0 offset:112
	buffer_store_dword v96, off, s[0:3], 0 offset:116
	s_waitcnt vmcnt(2)
	ds_write_b64 v93, v[94:95]
.LBB109_255:
	s_or_b64 exec, exec, s[4:5]
	s_waitcnt lgkmcnt(0)
	; wave barrier
	buffer_load_dword v99, off, s[0:3], 0 offset:120
	buffer_load_dword v100, off, s[0:3], 0 offset:124
	;; [unrolled: 1-line block ×20, first 2 shown]
	v_mov_b32_e32 v94, 0
	ds_read2_b64 v[95:98], v94 offset0:61 offset1:62
	buffer_load_dword v119, off, s[0:3], 0 offset:200
	buffer_load_dword v120, off, s[0:3], 0 offset:204
	v_cmp_lt_u32_e32 vcc, 13, v0
	s_waitcnt vmcnt(20) lgkmcnt(0)
	v_fma_f64 v[95:96], v[99:100], v[95:96], 0
	buffer_load_dword v100, off, s[0:3], 0 offset:212
	buffer_load_dword v99, off, s[0:3], 0 offset:208
	s_waitcnt vmcnt(20)
	v_fma_f64 v[101:102], v[101:102], v[97:98], v[95:96]
	ds_read2_b64 v[95:98], v94 offset0:63 offset1:64
	buffer_load_dword v121, off, s[0:3], 0 offset:216
	buffer_load_dword v122, off, s[0:3], 0 offset:220
	s_waitcnt vmcnt(20) lgkmcnt(0)
	v_fma_f64 v[95:96], v[103:104], v[95:96], v[101:102]
	buffer_load_dword v101, off, s[0:3], 0 offset:224
	buffer_load_dword v102, off, s[0:3], 0 offset:228
	s_waitcnt vmcnt(20)
	v_fma_f64 v[103:104], v[105:106], v[97:98], v[95:96]
	ds_read2_b64 v[95:98], v94 offset0:65 offset1:66
	buffer_load_dword v105, off, s[0:3], 0 offset:232
	buffer_load_dword v106, off, s[0:3], 0 offset:236
	;; [unrolled: 9-line block ×10, first 2 shown]
	s_waitcnt vmcnt(20) lgkmcnt(0)
	v_fma_f64 v[95:96], v[117:118], v[95:96], v[111:112]
	buffer_load_dword v111, off, s[0:3], 0 offset:112
	buffer_load_dword v112, off, s[0:3], 0 offset:116
	s_waitcnt vmcnt(20)
	v_fma_f64 v[115:116], v[115:116], v[97:98], v[95:96]
	ds_read2_b64 v[95:98], v94 offset0:83 offset1:84
	s_waitcnt vmcnt(18) lgkmcnt(0)
	v_fma_f64 v[95:96], v[119:120], v[95:96], v[115:116]
	s_waitcnt vmcnt(16)
	v_fma_f64 v[99:100], v[99:100], v[97:98], v[95:96]
	ds_read2_b64 v[95:98], v94 offset0:85 offset1:86
	s_waitcnt vmcnt(14) lgkmcnt(0)
	v_fma_f64 v[95:96], v[121:122], v[95:96], v[99:100]
	;; [unrolled: 5-line block ×4, first 2 shown]
	s_waitcnt vmcnt(4)
	v_fma_f64 v[95:96], v[107:108], v[97:98], v[95:96]
	ds_read_b64 v[97:98], v94 offset:728
	s_waitcnt vmcnt(2) lgkmcnt(0)
	v_fma_f64 v[95:96], v[113:114], v[97:98], v[95:96]
	s_waitcnt vmcnt(0)
	v_add_f64 v[95:96], v[111:112], -v[95:96]
	buffer_store_dword v96, off, s[0:3], 0 offset:116
	buffer_store_dword v95, off, s[0:3], 0 offset:112
	s_and_saveexec_b64 s[4:5], vcc
	s_cbranch_execz .LBB109_257
; %bb.256:
	buffer_load_dword v95, off, s[0:3], 0 offset:104
	buffer_load_dword v96, off, s[0:3], 0 offset:108
	s_waitcnt vmcnt(0)
	ds_write_b64 v93, v[95:96]
	buffer_store_dword v94, off, s[0:3], 0 offset:104
	buffer_store_dword v94, off, s[0:3], 0 offset:108
.LBB109_257:
	s_or_b64 exec, exec, s[4:5]
	s_waitcnt lgkmcnt(0)
	; wave barrier
	buffer_load_dword v99, off, s[0:3], 0 offset:112
	buffer_load_dword v100, off, s[0:3], 0 offset:116
	;; [unrolled: 1-line block ×20, first 2 shown]
	ds_read_b128 v[95:98], v94 offset:480
	buffer_load_dword v119, off, s[0:3], 0 offset:192
	buffer_load_dword v120, off, s[0:3], 0 offset:196
	v_cmp_lt_u32_e32 vcc, 12, v0
	s_waitcnt vmcnt(20) lgkmcnt(0)
	v_fma_f64 v[95:96], v[99:100], v[95:96], 0
	buffer_load_dword v100, off, s[0:3], 0 offset:204
	buffer_load_dword v99, off, s[0:3], 0 offset:200
	s_waitcnt vmcnt(20)
	v_fma_f64 v[101:102], v[101:102], v[97:98], v[95:96]
	ds_read_b128 v[95:98], v94 offset:496
	buffer_load_dword v121, off, s[0:3], 0 offset:208
	buffer_load_dword v122, off, s[0:3], 0 offset:212
	s_waitcnt vmcnt(20) lgkmcnt(0)
	v_fma_f64 v[95:96], v[103:104], v[95:96], v[101:102]
	buffer_load_dword v101, off, s[0:3], 0 offset:216
	buffer_load_dword v102, off, s[0:3], 0 offset:220
	s_waitcnt vmcnt(20)
	v_fma_f64 v[103:104], v[105:106], v[97:98], v[95:96]
	ds_read_b128 v[95:98], v94 offset:512
	buffer_load_dword v105, off, s[0:3], 0 offset:224
	buffer_load_dword v106, off, s[0:3], 0 offset:228
	;; [unrolled: 9-line block ×11, first 2 shown]
	s_waitcnt vmcnt(20) lgkmcnt(0)
	v_fma_f64 v[95:96], v[119:120], v[95:96], v[115:116]
	s_waitcnt vmcnt(18)
	v_fma_f64 v[99:100], v[99:100], v[97:98], v[95:96]
	ds_read_b128 v[95:98], v94 offset:672
	s_waitcnt vmcnt(16) lgkmcnt(0)
	v_fma_f64 v[95:96], v[121:122], v[95:96], v[99:100]
	s_waitcnt vmcnt(14)
	v_fma_f64 v[99:100], v[101:102], v[97:98], v[95:96]
	ds_read_b128 v[95:98], v94 offset:688
	s_waitcnt vmcnt(12) lgkmcnt(0)
	v_fma_f64 v[95:96], v[105:106], v[95:96], v[99:100]
	s_waitcnt vmcnt(10)
	v_fma_f64 v[99:100], v[103:104], v[97:98], v[95:96]
	ds_read_b128 v[95:98], v94 offset:704
	s_waitcnt vmcnt(8) lgkmcnt(0)
	v_fma_f64 v[95:96], v[109:110], v[95:96], v[99:100]
	s_waitcnt vmcnt(6)
	v_fma_f64 v[98:99], v[107:108], v[97:98], v[95:96]
	ds_read_b128 v[94:97], v94 offset:720
	s_waitcnt vmcnt(4) lgkmcnt(0)
	v_fma_f64 v[94:95], v[113:114], v[94:95], v[98:99]
	s_waitcnt vmcnt(2)
	v_fma_f64 v[94:95], v[111:112], v[96:97], v[94:95]
	s_waitcnt vmcnt(0)
	v_add_f64 v[94:95], v[117:118], -v[94:95]
	buffer_store_dword v95, off, s[0:3], 0 offset:108
	buffer_store_dword v94, off, s[0:3], 0 offset:104
	s_and_saveexec_b64 s[4:5], vcc
	s_cbranch_execz .LBB109_259
; %bb.258:
	buffer_load_dword v94, off, s[0:3], 0 offset:96
	buffer_load_dword v95, off, s[0:3], 0 offset:100
	v_mov_b32_e32 v96, 0
	buffer_store_dword v96, off, s[0:3], 0 offset:96
	buffer_store_dword v96, off, s[0:3], 0 offset:100
	s_waitcnt vmcnt(2)
	ds_write_b64 v93, v[94:95]
.LBB109_259:
	s_or_b64 exec, exec, s[4:5]
	s_waitcnt lgkmcnt(0)
	; wave barrier
	buffer_load_dword v103, off, s[0:3], 0 offset:104
	buffer_load_dword v104, off, s[0:3], 0 offset:108
	;; [unrolled: 1-line block ×21, first 2 shown]
	v_mov_b32_e32 v94, 0
	ds_read2_b64 v[95:98], v94 offset0:59 offset1:60
	ds_read2_b64 v[99:102], v94 offset0:61 offset1:62
	buffer_load_dword v120, off, s[0:3], 0 offset:188
	v_cmp_lt_u32_e32 vcc, 11, v0
	s_waitcnt vmcnt(20) lgkmcnt(1)
	v_fma_f64 v[95:96], v[103:104], v[95:96], 0
	s_waitcnt vmcnt(18)
	v_fma_f64 v[95:96], v[105:106], v[97:98], v[95:96]
	buffer_load_dword v104, off, s[0:3], 0 offset:196
	buffer_load_dword v105, off, s[0:3], 0 offset:216
	;; [unrolled: 1-line block ×7, first 2 shown]
	s_waitcnt vmcnt(23) lgkmcnt(0)
	v_fma_f64 v[95:96], v[107:108], v[99:100], v[95:96]
	s_waitcnt vmcnt(21)
	v_fma_f64 v[106:107], v[109:110], v[101:102], v[95:96]
	ds_read2_b64 v[95:98], v94 offset0:63 offset1:64
	ds_read2_b64 v[99:102], v94 offset0:65 offset1:66
	s_waitcnt vmcnt(19) lgkmcnt(1)
	v_fma_f64 v[95:96], v[111:112], v[95:96], v[106:107]
	buffer_load_dword v106, off, s[0:3], 0 offset:220
	s_waitcnt vmcnt(18)
	v_fma_f64 v[95:96], v[113:114], v[97:98], v[95:96]
	buffer_load_dword v108, off, s[0:3], 0 offset:228
	buffer_load_dword v109, off, s[0:3], 0 offset:248
	;; [unrolled: 1-line block ×7, first 2 shown]
	s_waitcnt vmcnt(23) lgkmcnt(0)
	v_fma_f64 v[95:96], v[115:116], v[99:100], v[95:96]
	s_waitcnt vmcnt(18)
	v_fma_f64 v[115:116], v[117:118], v[101:102], v[95:96]
	ds_read2_b64 v[95:98], v94 offset0:67 offset1:68
	ds_read2_b64 v[99:102], v94 offset0:69 offset1:70
	buffer_load_dword v110, off, s[0:3], 0 offset:252
	s_waitcnt vmcnt(18) lgkmcnt(1)
	v_fma_f64 v[95:96], v[123:124], v[95:96], v[115:116]
	s_waitcnt vmcnt(17)
	v_fma_f64 v[95:96], v[121:122], v[97:98], v[95:96]
	buffer_load_dword v116, off, s[0:3], 0 offset:260
	buffer_load_dword v117, off, s[0:3], 0 offset:280
	;; [unrolled: 1-line block ×7, first 2 shown]
	s_waitcnt vmcnt(23) lgkmcnt(0)
	v_fma_f64 v[95:96], v[119:120], v[99:100], v[95:96]
	s_waitcnt vmcnt(18)
	v_fma_f64 v[103:104], v[103:104], v[101:102], v[95:96]
	ds_read2_b64 v[95:98], v94 offset0:71 offset1:72
	ds_read2_b64 v[99:102], v94 offset0:73 offset1:74
	buffer_load_dword v118, off, s[0:3], 0 offset:284
	s_waitcnt vmcnt(18) lgkmcnt(1)
	v_fma_f64 v[95:96], v[127:128], v[95:96], v[103:104]
	s_waitcnt vmcnt(17)
	v_fma_f64 v[95:96], v[125:126], v[97:98], v[95:96]
	buffer_load_dword v104, off, s[0:3], 0 offset:292
	buffer_load_dword v119, off, s[0:3], 0 offset:312
	;; [unrolled: 1-line block ×8, first 2 shown]
	s_waitcnt vmcnt(24) lgkmcnt(0)
	v_fma_f64 v[95:96], v[105:106], v[99:100], v[95:96]
	s_waitcnt vmcnt(19)
	v_fma_f64 v[105:106], v[107:108], v[101:102], v[95:96]
	ds_read2_b64 v[95:98], v94 offset0:75 offset1:76
	ds_read2_b64 v[99:102], v94 offset0:77 offset1:78
	s_waitcnt vmcnt(18) lgkmcnt(1)
	v_fma_f64 v[95:96], v[113:114], v[95:96], v[105:106]
	s_waitcnt vmcnt(17)
	v_fma_f64 v[95:96], v[111:112], v[97:98], v[95:96]
	buffer_load_dword v106, off, s[0:3], 0 offset:324
	buffer_load_dword v107, off, s[0:3], 0 offset:344
	;; [unrolled: 1-line block ×7, first 2 shown]
	s_waitcnt vmcnt(23) lgkmcnt(0)
	v_fma_f64 v[95:96], v[109:110], v[99:100], v[95:96]
	s_waitcnt vmcnt(18)
	v_fma_f64 v[108:109], v[115:116], v[101:102], v[95:96]
	ds_read2_b64 v[95:98], v94 offset0:79 offset1:80
	ds_read2_b64 v[99:102], v94 offset0:81 offset1:82
	s_waitcnt vmcnt(17) lgkmcnt(1)
	v_fma_f64 v[95:96], v[123:124], v[95:96], v[108:109]
	buffer_load_dword v108, off, s[0:3], 0 offset:348
	buffer_load_dword v110, off, s[0:3], 0 offset:356
	;; [unrolled: 1-line block ×5, first 2 shown]
	s_waitcnt vmcnt(21)
	v_fma_f64 v[95:96], v[121:122], v[97:98], v[95:96]
	s_waitcnt vmcnt(20) lgkmcnt(0)
	v_fma_f64 v[95:96], v[117:118], v[99:100], v[95:96]
	buffer_load_dword v117, off, s[0:3], 0 offset:96
	buffer_load_dword v118, off, s[0:3], 0 offset:100
	s_waitcnt vmcnt(17)
	v_fma_f64 v[103:104], v[103:104], v[101:102], v[95:96]
	ds_read2_b64 v[95:98], v94 offset0:83 offset1:84
	ds_read2_b64 v[99:102], v94 offset0:85 offset1:86
	s_waitcnt vmcnt(16) lgkmcnt(1)
	v_fma_f64 v[95:96], v[127:128], v[95:96], v[103:104]
	s_waitcnt vmcnt(15)
	v_fma_f64 v[95:96], v[125:126], v[97:98], v[95:96]
	s_waitcnt vmcnt(14) lgkmcnt(0)
	v_fma_f64 v[95:96], v[119:120], v[99:100], v[95:96]
	s_waitcnt vmcnt(9)
	v_fma_f64 v[103:104], v[105:106], v[101:102], v[95:96]
	ds_read2_b64 v[95:98], v94 offset0:87 offset1:88
	ds_read2_b64 v[99:102], v94 offset0:89 offset1:90
	s_waitcnt vmcnt(8) lgkmcnt(1)
	v_fma_f64 v[95:96], v[113:114], v[95:96], v[103:104]
	s_waitcnt vmcnt(7)
	v_fma_f64 v[95:96], v[111:112], v[97:98], v[95:96]
	ds_read_b64 v[97:98], v94 offset:728
	s_waitcnt vmcnt(6) lgkmcnt(1)
	v_fma_f64 v[95:96], v[107:108], v[99:100], v[95:96]
	s_waitcnt vmcnt(3)
	v_fma_f64 v[95:96], v[109:110], v[101:102], v[95:96]
	s_waitcnt vmcnt(2) lgkmcnt(0)
	v_fma_f64 v[95:96], v[115:116], v[97:98], v[95:96]
	s_waitcnt vmcnt(0)
	v_add_f64 v[95:96], v[117:118], -v[95:96]
	buffer_store_dword v96, off, s[0:3], 0 offset:100
	buffer_store_dword v95, off, s[0:3], 0 offset:96
	s_and_saveexec_b64 s[4:5], vcc
	s_cbranch_execz .LBB109_261
; %bb.260:
	buffer_load_dword v95, off, s[0:3], 0 offset:88
	buffer_load_dword v96, off, s[0:3], 0 offset:92
	s_waitcnt vmcnt(0)
	ds_write_b64 v93, v[95:96]
	buffer_store_dword v94, off, s[0:3], 0 offset:88
	buffer_store_dword v94, off, s[0:3], 0 offset:92
.LBB109_261:
	s_or_b64 exec, exec, s[4:5]
	s_waitcnt lgkmcnt(0)
	; wave barrier
	buffer_load_dword v99, off, s[0:3], 0 offset:96
	buffer_load_dword v100, off, s[0:3], 0 offset:100
	;; [unrolled: 1-line block ×20, first 2 shown]
	ds_read_b128 v[95:98], v94 offset:464
	buffer_load_dword v119, off, s[0:3], 0 offset:176
	buffer_load_dword v120, off, s[0:3], 0 offset:180
	v_cmp_lt_u32_e32 vcc, 10, v0
	s_waitcnt vmcnt(20) lgkmcnt(0)
	v_fma_f64 v[95:96], v[99:100], v[95:96], 0
	buffer_load_dword v100, off, s[0:3], 0 offset:188
	buffer_load_dword v99, off, s[0:3], 0 offset:184
	s_waitcnt vmcnt(20)
	v_fma_f64 v[101:102], v[101:102], v[97:98], v[95:96]
	ds_read_b128 v[95:98], v94 offset:480
	buffer_load_dword v121, off, s[0:3], 0 offset:192
	buffer_load_dword v122, off, s[0:3], 0 offset:196
	s_waitcnt vmcnt(20) lgkmcnt(0)
	v_fma_f64 v[95:96], v[103:104], v[95:96], v[101:102]
	buffer_load_dword v101, off, s[0:3], 0 offset:200
	buffer_load_dword v102, off, s[0:3], 0 offset:204
	s_waitcnt vmcnt(20)
	v_fma_f64 v[103:104], v[105:106], v[97:98], v[95:96]
	ds_read_b128 v[95:98], v94 offset:496
	buffer_load_dword v105, off, s[0:3], 0 offset:208
	buffer_load_dword v106, off, s[0:3], 0 offset:212
	;; [unrolled: 9-line block ×12, first 2 shown]
	s_waitcnt vmcnt(20) lgkmcnt(0)
	v_fma_f64 v[95:96], v[121:122], v[95:96], v[99:100]
	s_waitcnt vmcnt(18)
	v_fma_f64 v[99:100], v[101:102], v[97:98], v[95:96]
	ds_read_b128 v[95:98], v94 offset:672
	s_waitcnt vmcnt(16) lgkmcnt(0)
	v_fma_f64 v[95:96], v[105:106], v[95:96], v[99:100]
	s_waitcnt vmcnt(14)
	v_fma_f64 v[99:100], v[103:104], v[97:98], v[95:96]
	ds_read_b128 v[95:98], v94 offset:688
	;; [unrolled: 5-line block ×4, first 2 shown]
	s_waitcnt vmcnt(4) lgkmcnt(0)
	v_fma_f64 v[94:95], v[117:118], v[94:95], v[98:99]
	s_waitcnt vmcnt(2)
	v_fma_f64 v[94:95], v[115:116], v[96:97], v[94:95]
	s_waitcnt vmcnt(0)
	v_add_f64 v[94:95], v[119:120], -v[94:95]
	buffer_store_dword v95, off, s[0:3], 0 offset:92
	buffer_store_dword v94, off, s[0:3], 0 offset:88
	s_and_saveexec_b64 s[4:5], vcc
	s_cbranch_execz .LBB109_263
; %bb.262:
	buffer_load_dword v94, off, s[0:3], 0 offset:80
	buffer_load_dword v95, off, s[0:3], 0 offset:84
	v_mov_b32_e32 v96, 0
	buffer_store_dword v96, off, s[0:3], 0 offset:80
	buffer_store_dword v96, off, s[0:3], 0 offset:84
	s_waitcnt vmcnt(2)
	ds_write_b64 v93, v[94:95]
.LBB109_263:
	s_or_b64 exec, exec, s[4:5]
	s_waitcnt lgkmcnt(0)
	; wave barrier
	buffer_load_dword v99, off, s[0:3], 0 offset:88
	buffer_load_dword v100, off, s[0:3], 0 offset:92
	buffer_load_dword v101, off, s[0:3], 0 offset:96
	buffer_load_dword v102, off, s[0:3], 0 offset:100
	buffer_load_dword v103, off, s[0:3], 0 offset:104
	buffer_load_dword v104, off, s[0:3], 0 offset:108
	buffer_load_dword v105, off, s[0:3], 0 offset:112
	buffer_load_dword v106, off, s[0:3], 0 offset:116
	buffer_load_dword v107, off, s[0:3], 0 offset:120
	buffer_load_dword v108, off, s[0:3], 0 offset:124
	buffer_load_dword v109, off, s[0:3], 0 offset:128
	buffer_load_dword v110, off, s[0:3], 0 offset:132
	buffer_load_dword v111, off, s[0:3], 0 offset:136
	buffer_load_dword v112, off, s[0:3], 0 offset:140
	buffer_load_dword v114, off, s[0:3], 0 offset:148
	buffer_load_dword v113, off, s[0:3], 0 offset:144
	buffer_load_dword v115, off, s[0:3], 0 offset:152
	buffer_load_dword v116, off, s[0:3], 0 offset:156
	buffer_load_dword v117, off, s[0:3], 0 offset:160
	buffer_load_dword v118, off, s[0:3], 0 offset:164
	v_mov_b32_e32 v94, 0
	ds_read2_b64 v[95:98], v94 offset0:57 offset1:58
	buffer_load_dword v119, off, s[0:3], 0 offset:168
	buffer_load_dword v120, off, s[0:3], 0 offset:172
	v_cmp_lt_u32_e32 vcc, 9, v0
	s_waitcnt vmcnt(20) lgkmcnt(0)
	v_fma_f64 v[95:96], v[99:100], v[95:96], 0
	buffer_load_dword v100, off, s[0:3], 0 offset:180
	buffer_load_dword v99, off, s[0:3], 0 offset:176
	s_waitcnt vmcnt(20)
	v_fma_f64 v[101:102], v[101:102], v[97:98], v[95:96]
	ds_read2_b64 v[95:98], v94 offset0:59 offset1:60
	buffer_load_dword v121, off, s[0:3], 0 offset:184
	buffer_load_dword v122, off, s[0:3], 0 offset:188
	s_waitcnt vmcnt(20) lgkmcnt(0)
	v_fma_f64 v[95:96], v[103:104], v[95:96], v[101:102]
	buffer_load_dword v101, off, s[0:3], 0 offset:192
	buffer_load_dword v102, off, s[0:3], 0 offset:196
	s_waitcnt vmcnt(20)
	v_fma_f64 v[103:104], v[105:106], v[97:98], v[95:96]
	ds_read2_b64 v[95:98], v94 offset0:61 offset1:62
	buffer_load_dword v105, off, s[0:3], 0 offset:200
	buffer_load_dword v106, off, s[0:3], 0 offset:204
	s_waitcnt vmcnt(20) lgkmcnt(0)
	v_fma_f64 v[95:96], v[107:108], v[95:96], v[103:104]
	buffer_load_dword v104, off, s[0:3], 0 offset:212
	buffer_load_dword v103, off, s[0:3], 0 offset:208
	s_waitcnt vmcnt(20)
	v_fma_f64 v[107:108], v[109:110], v[97:98], v[95:96]
	ds_read2_b64 v[95:98], v94 offset0:63 offset1:64
	buffer_load_dword v109, off, s[0:3], 0 offset:216
	buffer_load_dword v110, off, s[0:3], 0 offset:220
	s_waitcnt vmcnt(20) lgkmcnt(0)
	v_fma_f64 v[95:96], v[111:112], v[95:96], v[107:108]
	buffer_load_dword v107, off, s[0:3], 0 offset:224
	buffer_load_dword v108, off, s[0:3], 0 offset:228
	s_waitcnt vmcnt(20)
	v_fma_f64 v[111:112], v[113:114], v[97:98], v[95:96]
	ds_read2_b64 v[95:98], v94 offset0:65 offset1:66
	buffer_load_dword v113, off, s[0:3], 0 offset:232
	buffer_load_dword v114, off, s[0:3], 0 offset:236
	s_waitcnt vmcnt(20) lgkmcnt(0)
	v_fma_f64 v[95:96], v[115:116], v[95:96], v[111:112]
	buffer_load_dword v112, off, s[0:3], 0 offset:244
	buffer_load_dword v111, off, s[0:3], 0 offset:240
	s_waitcnt vmcnt(20)
	v_fma_f64 v[115:116], v[117:118], v[97:98], v[95:96]
	ds_read2_b64 v[95:98], v94 offset0:67 offset1:68
	buffer_load_dword v117, off, s[0:3], 0 offset:248
	buffer_load_dword v118, off, s[0:3], 0 offset:252
	s_waitcnt vmcnt(20) lgkmcnt(0)
	v_fma_f64 v[95:96], v[119:120], v[95:96], v[115:116]
	buffer_load_dword v115, off, s[0:3], 0 offset:256
	buffer_load_dword v116, off, s[0:3], 0 offset:260
	s_waitcnt vmcnt(20)
	v_fma_f64 v[99:100], v[99:100], v[97:98], v[95:96]
	ds_read2_b64 v[95:98], v94 offset0:69 offset1:70
	buffer_load_dword v119, off, s[0:3], 0 offset:264
	buffer_load_dword v120, off, s[0:3], 0 offset:268
	s_waitcnt vmcnt(20) lgkmcnt(0)
	v_fma_f64 v[95:96], v[121:122], v[95:96], v[99:100]
	buffer_load_dword v100, off, s[0:3], 0 offset:276
	buffer_load_dword v99, off, s[0:3], 0 offset:272
	s_waitcnt vmcnt(20)
	v_fma_f64 v[101:102], v[101:102], v[97:98], v[95:96]
	ds_read2_b64 v[95:98], v94 offset0:71 offset1:72
	buffer_load_dword v121, off, s[0:3], 0 offset:280
	buffer_load_dword v122, off, s[0:3], 0 offset:284
	s_waitcnt vmcnt(20) lgkmcnt(0)
	v_fma_f64 v[95:96], v[105:106], v[95:96], v[101:102]
	buffer_load_dword v101, off, s[0:3], 0 offset:288
	buffer_load_dword v102, off, s[0:3], 0 offset:292
	s_waitcnt vmcnt(20)
	v_fma_f64 v[103:104], v[103:104], v[97:98], v[95:96]
	ds_read2_b64 v[95:98], v94 offset0:73 offset1:74
	buffer_load_dword v105, off, s[0:3], 0 offset:296
	buffer_load_dword v106, off, s[0:3], 0 offset:300
	s_waitcnt vmcnt(20) lgkmcnt(0)
	v_fma_f64 v[95:96], v[109:110], v[95:96], v[103:104]
	buffer_load_dword v104, off, s[0:3], 0 offset:308
	buffer_load_dword v103, off, s[0:3], 0 offset:304
	s_waitcnt vmcnt(20)
	v_fma_f64 v[107:108], v[107:108], v[97:98], v[95:96]
	ds_read2_b64 v[95:98], v94 offset0:75 offset1:76
	buffer_load_dword v109, off, s[0:3], 0 offset:312
	buffer_load_dword v110, off, s[0:3], 0 offset:316
	s_waitcnt vmcnt(20) lgkmcnt(0)
	v_fma_f64 v[95:96], v[113:114], v[95:96], v[107:108]
	buffer_load_dword v107, off, s[0:3], 0 offset:320
	buffer_load_dword v108, off, s[0:3], 0 offset:324
	s_waitcnt vmcnt(20)
	v_fma_f64 v[111:112], v[111:112], v[97:98], v[95:96]
	ds_read2_b64 v[95:98], v94 offset0:77 offset1:78
	buffer_load_dword v113, off, s[0:3], 0 offset:328
	buffer_load_dword v114, off, s[0:3], 0 offset:332
	s_waitcnt vmcnt(20) lgkmcnt(0)
	v_fma_f64 v[95:96], v[117:118], v[95:96], v[111:112]
	buffer_load_dword v112, off, s[0:3], 0 offset:340
	buffer_load_dword v111, off, s[0:3], 0 offset:336
	s_waitcnt vmcnt(20)
	v_fma_f64 v[115:116], v[115:116], v[97:98], v[95:96]
	ds_read2_b64 v[95:98], v94 offset0:79 offset1:80
	buffer_load_dword v117, off, s[0:3], 0 offset:344
	buffer_load_dword v118, off, s[0:3], 0 offset:348
	s_waitcnt vmcnt(20) lgkmcnt(0)
	v_fma_f64 v[95:96], v[119:120], v[95:96], v[115:116]
	buffer_load_dword v115, off, s[0:3], 0 offset:352
	buffer_load_dword v116, off, s[0:3], 0 offset:356
	s_waitcnt vmcnt(20)
	v_fma_f64 v[99:100], v[99:100], v[97:98], v[95:96]
	ds_read2_b64 v[95:98], v94 offset0:81 offset1:82
	buffer_load_dword v119, off, s[0:3], 0 offset:360
	buffer_load_dword v120, off, s[0:3], 0 offset:364
	s_waitcnt vmcnt(20) lgkmcnt(0)
	v_fma_f64 v[95:96], v[121:122], v[95:96], v[99:100]
	buffer_load_dword v99, off, s[0:3], 0 offset:80
	buffer_load_dword v100, off, s[0:3], 0 offset:84
	s_waitcnt vmcnt(20)
	v_fma_f64 v[101:102], v[101:102], v[97:98], v[95:96]
	ds_read2_b64 v[95:98], v94 offset0:83 offset1:84
	s_waitcnt vmcnt(18) lgkmcnt(0)
	v_fma_f64 v[95:96], v[105:106], v[95:96], v[101:102]
	s_waitcnt vmcnt(16)
	v_fma_f64 v[101:102], v[103:104], v[97:98], v[95:96]
	ds_read2_b64 v[95:98], v94 offset0:85 offset1:86
	s_waitcnt vmcnt(14) lgkmcnt(0)
	v_fma_f64 v[95:96], v[109:110], v[95:96], v[101:102]
	;; [unrolled: 5-line block ×4, first 2 shown]
	s_waitcnt vmcnt(4)
	v_fma_f64 v[95:96], v[115:116], v[97:98], v[95:96]
	ds_read_b64 v[97:98], v94 offset:728
	s_waitcnt vmcnt(2) lgkmcnt(0)
	v_fma_f64 v[95:96], v[119:120], v[97:98], v[95:96]
	s_waitcnt vmcnt(0)
	v_add_f64 v[95:96], v[99:100], -v[95:96]
	buffer_store_dword v96, off, s[0:3], 0 offset:84
	buffer_store_dword v95, off, s[0:3], 0 offset:80
	s_and_saveexec_b64 s[4:5], vcc
	s_cbranch_execz .LBB109_265
; %bb.264:
	buffer_load_dword v95, off, s[0:3], 0 offset:72
	buffer_load_dword v96, off, s[0:3], 0 offset:76
	s_waitcnt vmcnt(0)
	ds_write_b64 v93, v[95:96]
	buffer_store_dword v94, off, s[0:3], 0 offset:72
	buffer_store_dword v94, off, s[0:3], 0 offset:76
.LBB109_265:
	s_or_b64 exec, exec, s[4:5]
	s_waitcnt lgkmcnt(0)
	; wave barrier
	buffer_load_dword v99, off, s[0:3], 0 offset:80
	buffer_load_dword v100, off, s[0:3], 0 offset:84
	;; [unrolled: 1-line block ×20, first 2 shown]
	ds_read_b128 v[95:98], v94 offset:448
	buffer_load_dword v119, off, s[0:3], 0 offset:160
	buffer_load_dword v120, off, s[0:3], 0 offset:164
	v_cmp_lt_u32_e32 vcc, 8, v0
	s_waitcnt vmcnt(20) lgkmcnt(0)
	v_fma_f64 v[95:96], v[99:100], v[95:96], 0
	buffer_load_dword v100, off, s[0:3], 0 offset:172
	buffer_load_dword v99, off, s[0:3], 0 offset:168
	s_waitcnt vmcnt(20)
	v_fma_f64 v[101:102], v[101:102], v[97:98], v[95:96]
	ds_read_b128 v[95:98], v94 offset:464
	buffer_load_dword v121, off, s[0:3], 0 offset:176
	buffer_load_dword v122, off, s[0:3], 0 offset:180
	s_waitcnt vmcnt(20) lgkmcnt(0)
	v_fma_f64 v[95:96], v[103:104], v[95:96], v[101:102]
	buffer_load_dword v101, off, s[0:3], 0 offset:184
	buffer_load_dword v102, off, s[0:3], 0 offset:188
	s_waitcnt vmcnt(20)
	v_fma_f64 v[103:104], v[105:106], v[97:98], v[95:96]
	ds_read_b128 v[95:98], v94 offset:480
	buffer_load_dword v105, off, s[0:3], 0 offset:192
	buffer_load_dword v106, off, s[0:3], 0 offset:196
	;; [unrolled: 9-line block ×13, first 2 shown]
	s_waitcnt vmcnt(20) lgkmcnt(0)
	v_fma_f64 v[95:96], v[105:106], v[95:96], v[101:102]
	s_waitcnt vmcnt(18)
	v_fma_f64 v[101:102], v[103:104], v[97:98], v[95:96]
	ds_read_b128 v[95:98], v94 offset:672
	s_waitcnt vmcnt(16) lgkmcnt(0)
	v_fma_f64 v[95:96], v[109:110], v[95:96], v[101:102]
	s_waitcnt vmcnt(14)
	v_fma_f64 v[101:102], v[107:108], v[97:98], v[95:96]
	ds_read_b128 v[95:98], v94 offset:688
	;; [unrolled: 5-line block ×4, first 2 shown]
	s_waitcnt vmcnt(4) lgkmcnt(0)
	v_fma_f64 v[94:95], v[119:120], v[94:95], v[101:102]
	s_waitcnt vmcnt(2)
	v_fma_f64 v[94:95], v[99:100], v[96:97], v[94:95]
	s_waitcnt vmcnt(0)
	v_add_f64 v[94:95], v[121:122], -v[94:95]
	buffer_store_dword v95, off, s[0:3], 0 offset:76
	buffer_store_dword v94, off, s[0:3], 0 offset:72
	s_and_saveexec_b64 s[4:5], vcc
	s_cbranch_execz .LBB109_267
; %bb.266:
	buffer_load_dword v94, off, s[0:3], 0 offset:64
	buffer_load_dword v95, off, s[0:3], 0 offset:68
	v_mov_b32_e32 v96, 0
	buffer_store_dword v96, off, s[0:3], 0 offset:64
	buffer_store_dword v96, off, s[0:3], 0 offset:68
	s_waitcnt vmcnt(2)
	ds_write_b64 v93, v[94:95]
.LBB109_267:
	s_or_b64 exec, exec, s[4:5]
	s_waitcnt lgkmcnt(0)
	; wave barrier
	buffer_load_dword v103, off, s[0:3], 0 offset:72
	buffer_load_dword v104, off, s[0:3], 0 offset:76
	;; [unrolled: 1-line block ×21, first 2 shown]
	v_mov_b32_e32 v94, 0
	ds_read2_b64 v[95:98], v94 offset0:55 offset1:56
	ds_read2_b64 v[99:102], v94 offset0:57 offset1:58
	buffer_load_dword v120, off, s[0:3], 0 offset:156
	v_cmp_lt_u32_e32 vcc, 7, v0
	s_waitcnt vmcnt(20) lgkmcnt(1)
	v_fma_f64 v[95:96], v[103:104], v[95:96], 0
	s_waitcnt vmcnt(18)
	v_fma_f64 v[95:96], v[105:106], v[97:98], v[95:96]
	buffer_load_dword v104, off, s[0:3], 0 offset:164
	buffer_load_dword v105, off, s[0:3], 0 offset:184
	;; [unrolled: 1-line block ×7, first 2 shown]
	s_waitcnt vmcnt(23) lgkmcnt(0)
	v_fma_f64 v[95:96], v[107:108], v[99:100], v[95:96]
	s_waitcnt vmcnt(21)
	v_fma_f64 v[106:107], v[109:110], v[101:102], v[95:96]
	ds_read2_b64 v[95:98], v94 offset0:59 offset1:60
	ds_read2_b64 v[99:102], v94 offset0:61 offset1:62
	s_waitcnt vmcnt(19) lgkmcnt(1)
	v_fma_f64 v[95:96], v[111:112], v[95:96], v[106:107]
	buffer_load_dword v106, off, s[0:3], 0 offset:188
	s_waitcnt vmcnt(18)
	v_fma_f64 v[95:96], v[113:114], v[97:98], v[95:96]
	buffer_load_dword v108, off, s[0:3], 0 offset:196
	buffer_load_dword v109, off, s[0:3], 0 offset:216
	;; [unrolled: 1-line block ×8, first 2 shown]
	s_waitcnt vmcnt(24) lgkmcnt(0)
	v_fma_f64 v[95:96], v[115:116], v[99:100], v[95:96]
	s_waitcnt vmcnt(19)
	v_fma_f64 v[115:116], v[117:118], v[101:102], v[95:96]
	ds_read2_b64 v[95:98], v94 offset0:63 offset1:64
	ds_read2_b64 v[99:102], v94 offset0:65 offset1:66
	s_waitcnt vmcnt(18) lgkmcnt(1)
	v_fma_f64 v[95:96], v[123:124], v[95:96], v[115:116]
	s_waitcnt vmcnt(17)
	v_fma_f64 v[95:96], v[121:122], v[97:98], v[95:96]
	buffer_load_dword v116, off, s[0:3], 0 offset:228
	buffer_load_dword v117, off, s[0:3], 0 offset:248
	;; [unrolled: 1-line block ×7, first 2 shown]
	s_waitcnt vmcnt(23) lgkmcnt(0)
	v_fma_f64 v[95:96], v[119:120], v[99:100], v[95:96]
	s_waitcnt vmcnt(18)
	v_fma_f64 v[103:104], v[103:104], v[101:102], v[95:96]
	ds_read2_b64 v[95:98], v94 offset0:67 offset1:68
	ds_read2_b64 v[99:102], v94 offset0:69 offset1:70
	buffer_load_dword v118, off, s[0:3], 0 offset:252
	s_waitcnt vmcnt(18) lgkmcnt(1)
	v_fma_f64 v[95:96], v[127:128], v[95:96], v[103:104]
	s_waitcnt vmcnt(17)
	v_fma_f64 v[95:96], v[125:126], v[97:98], v[95:96]
	buffer_load_dword v104, off, s[0:3], 0 offset:260
	buffer_load_dword v119, off, s[0:3], 0 offset:280
	;; [unrolled: 1-line block ×7, first 2 shown]
	s_waitcnt vmcnt(23) lgkmcnt(0)
	v_fma_f64 v[95:96], v[105:106], v[99:100], v[95:96]
	s_waitcnt vmcnt(18)
	v_fma_f64 v[105:106], v[107:108], v[101:102], v[95:96]
	ds_read2_b64 v[95:98], v94 offset0:71 offset1:72
	ds_read2_b64 v[99:102], v94 offset0:73 offset1:74
	buffer_load_dword v120, off, s[0:3], 0 offset:284
	s_waitcnt vmcnt(18) lgkmcnt(1)
	v_fma_f64 v[95:96], v[113:114], v[95:96], v[105:106]
	s_waitcnt vmcnt(17)
	v_fma_f64 v[95:96], v[111:112], v[97:98], v[95:96]
	buffer_load_dword v106, off, s[0:3], 0 offset:292
	buffer_load_dword v107, off, s[0:3], 0 offset:312
	;; [unrolled: 1-line block ×7, first 2 shown]
	s_waitcnt vmcnt(23) lgkmcnt(0)
	v_fma_f64 v[95:96], v[109:110], v[99:100], v[95:96]
	s_waitcnt vmcnt(18)
	v_fma_f64 v[108:109], v[115:116], v[101:102], v[95:96]
	ds_read2_b64 v[95:98], v94 offset0:75 offset1:76
	ds_read2_b64 v[99:102], v94 offset0:77 offset1:78
	s_waitcnt vmcnt(17) lgkmcnt(1)
	v_fma_f64 v[95:96], v[123:124], v[95:96], v[108:109]
	buffer_load_dword v108, off, s[0:3], 0 offset:316
	s_waitcnt vmcnt(17)
	v_fma_f64 v[95:96], v[121:122], v[97:98], v[95:96]
	buffer_load_dword v110, off, s[0:3], 0 offset:324
	buffer_load_dword v115, off, s[0:3], 0 offset:344
	;; [unrolled: 1-line block ×7, first 2 shown]
	s_waitcnt vmcnt(23) lgkmcnt(0)
	v_fma_f64 v[95:96], v[117:118], v[99:100], v[95:96]
	s_waitcnt vmcnt(18)
	v_fma_f64 v[103:104], v[103:104], v[101:102], v[95:96]
	ds_read2_b64 v[95:98], v94 offset0:79 offset1:80
	ds_read2_b64 v[99:102], v94 offset0:81 offset1:82
	buffer_load_dword v116, off, s[0:3], 0 offset:348
	s_waitcnt vmcnt(18) lgkmcnt(1)
	v_fma_f64 v[95:96], v[127:128], v[95:96], v[103:104]
	buffer_load_dword v104, off, s[0:3], 0 offset:356
	buffer_load_dword v117, off, s[0:3], 0 offset:360
	;; [unrolled: 1-line block ×4, first 2 shown]
	s_waitcnt vmcnt(21)
	v_fma_f64 v[95:96], v[125:126], v[97:98], v[95:96]
	s_waitcnt vmcnt(20) lgkmcnt(0)
	v_fma_f64 v[95:96], v[119:120], v[99:100], v[95:96]
	buffer_load_dword v119, off, s[0:3], 0 offset:64
	buffer_load_dword v120, off, s[0:3], 0 offset:68
	s_waitcnt vmcnt(17)
	v_fma_f64 v[105:106], v[105:106], v[101:102], v[95:96]
	ds_read2_b64 v[95:98], v94 offset0:83 offset1:84
	ds_read2_b64 v[99:102], v94 offset0:85 offset1:86
	s_waitcnt vmcnt(16) lgkmcnt(1)
	v_fma_f64 v[95:96], v[113:114], v[95:96], v[105:106]
	s_waitcnt vmcnt(15)
	v_fma_f64 v[95:96], v[111:112], v[97:98], v[95:96]
	s_waitcnt vmcnt(14) lgkmcnt(0)
	v_fma_f64 v[95:96], v[107:108], v[99:100], v[95:96]
	s_waitcnt vmcnt(9)
	v_fma_f64 v[105:106], v[109:110], v[101:102], v[95:96]
	ds_read2_b64 v[95:98], v94 offset0:87 offset1:88
	ds_read2_b64 v[99:102], v94 offset0:89 offset1:90
	s_waitcnt vmcnt(8) lgkmcnt(1)
	v_fma_f64 v[95:96], v[123:124], v[95:96], v[105:106]
	s_waitcnt vmcnt(7)
	v_fma_f64 v[95:96], v[121:122], v[97:98], v[95:96]
	ds_read_b64 v[97:98], v94 offset:728
	s_waitcnt vmcnt(6) lgkmcnt(1)
	v_fma_f64 v[95:96], v[115:116], v[99:100], v[95:96]
	s_waitcnt vmcnt(3)
	v_fma_f64 v[95:96], v[103:104], v[101:102], v[95:96]
	s_waitcnt vmcnt(2) lgkmcnt(0)
	v_fma_f64 v[95:96], v[117:118], v[97:98], v[95:96]
	s_waitcnt vmcnt(0)
	v_add_f64 v[95:96], v[119:120], -v[95:96]
	buffer_store_dword v96, off, s[0:3], 0 offset:68
	buffer_store_dword v95, off, s[0:3], 0 offset:64
	s_and_saveexec_b64 s[4:5], vcc
	s_cbranch_execz .LBB109_269
; %bb.268:
	buffer_load_dword v95, off, s[0:3], 0 offset:56
	buffer_load_dword v96, off, s[0:3], 0 offset:60
	s_waitcnt vmcnt(0)
	ds_write_b64 v93, v[95:96]
	buffer_store_dword v94, off, s[0:3], 0 offset:56
	buffer_store_dword v94, off, s[0:3], 0 offset:60
.LBB109_269:
	s_or_b64 exec, exec, s[4:5]
	s_waitcnt lgkmcnt(0)
	; wave barrier
	buffer_load_dword v99, off, s[0:3], 0 offset:64
	buffer_load_dword v100, off, s[0:3], 0 offset:68
	;; [unrolled: 1-line block ×20, first 2 shown]
	ds_read_b128 v[95:98], v94 offset:432
	buffer_load_dword v119, off, s[0:3], 0 offset:144
	buffer_load_dword v120, off, s[0:3], 0 offset:148
	v_cmp_lt_u32_e32 vcc, 6, v0
	s_waitcnt vmcnt(20) lgkmcnt(0)
	v_fma_f64 v[95:96], v[99:100], v[95:96], 0
	buffer_load_dword v100, off, s[0:3], 0 offset:156
	buffer_load_dword v99, off, s[0:3], 0 offset:152
	s_waitcnt vmcnt(20)
	v_fma_f64 v[101:102], v[101:102], v[97:98], v[95:96]
	ds_read_b128 v[95:98], v94 offset:448
	buffer_load_dword v121, off, s[0:3], 0 offset:160
	buffer_load_dword v122, off, s[0:3], 0 offset:164
	s_waitcnt vmcnt(20) lgkmcnt(0)
	v_fma_f64 v[95:96], v[103:104], v[95:96], v[101:102]
	buffer_load_dword v101, off, s[0:3], 0 offset:168
	buffer_load_dword v102, off, s[0:3], 0 offset:172
	s_waitcnt vmcnt(20)
	v_fma_f64 v[103:104], v[105:106], v[97:98], v[95:96]
	ds_read_b128 v[95:98], v94 offset:464
	buffer_load_dword v105, off, s[0:3], 0 offset:176
	buffer_load_dword v106, off, s[0:3], 0 offset:180
	;; [unrolled: 9-line block ×14, first 2 shown]
	s_waitcnt vmcnt(20) lgkmcnt(0)
	v_fma_f64 v[95:96], v[109:110], v[95:96], v[103:104]
	s_waitcnt vmcnt(18)
	v_fma_f64 v[103:104], v[107:108], v[97:98], v[95:96]
	ds_read_b128 v[95:98], v94 offset:672
	s_waitcnt vmcnt(16) lgkmcnt(0)
	v_fma_f64 v[95:96], v[113:114], v[95:96], v[103:104]
	s_waitcnt vmcnt(14)
	v_fma_f64 v[103:104], v[111:112], v[97:98], v[95:96]
	ds_read_b128 v[95:98], v94 offset:688
	;; [unrolled: 5-line block ×4, first 2 shown]
	s_waitcnt vmcnt(4) lgkmcnt(0)
	v_fma_f64 v[94:95], v[121:122], v[94:95], v[98:99]
	s_waitcnt vmcnt(2)
	v_fma_f64 v[94:95], v[101:102], v[96:97], v[94:95]
	s_waitcnt vmcnt(0)
	v_add_f64 v[94:95], v[105:106], -v[94:95]
	buffer_store_dword v95, off, s[0:3], 0 offset:60
	buffer_store_dword v94, off, s[0:3], 0 offset:56
	s_and_saveexec_b64 s[4:5], vcc
	s_cbranch_execz .LBB109_271
; %bb.270:
	buffer_load_dword v94, off, s[0:3], 0 offset:48
	buffer_load_dword v95, off, s[0:3], 0 offset:52
	v_mov_b32_e32 v96, 0
	buffer_store_dword v96, off, s[0:3], 0 offset:48
	buffer_store_dword v96, off, s[0:3], 0 offset:52
	s_waitcnt vmcnt(2)
	ds_write_b64 v93, v[94:95]
.LBB109_271:
	s_or_b64 exec, exec, s[4:5]
	s_waitcnt lgkmcnt(0)
	; wave barrier
	buffer_load_dword v99, off, s[0:3], 0 offset:56
	buffer_load_dword v100, off, s[0:3], 0 offset:60
	buffer_load_dword v101, off, s[0:3], 0 offset:64
	buffer_load_dword v102, off, s[0:3], 0 offset:68
	buffer_load_dword v103, off, s[0:3], 0 offset:72
	buffer_load_dword v104, off, s[0:3], 0 offset:76
	buffer_load_dword v105, off, s[0:3], 0 offset:80
	buffer_load_dword v106, off, s[0:3], 0 offset:84
	buffer_load_dword v107, off, s[0:3], 0 offset:88
	buffer_load_dword v108, off, s[0:3], 0 offset:92
	buffer_load_dword v109, off, s[0:3], 0 offset:96
	buffer_load_dword v110, off, s[0:3], 0 offset:100
	buffer_load_dword v111, off, s[0:3], 0 offset:104
	buffer_load_dword v112, off, s[0:3], 0 offset:108
	buffer_load_dword v114, off, s[0:3], 0 offset:116
	buffer_load_dword v113, off, s[0:3], 0 offset:112
	buffer_load_dword v115, off, s[0:3], 0 offset:120
	buffer_load_dword v116, off, s[0:3], 0 offset:124
	buffer_load_dword v117, off, s[0:3], 0 offset:128
	buffer_load_dword v118, off, s[0:3], 0 offset:132
	v_mov_b32_e32 v94, 0
	ds_read2_b64 v[95:98], v94 offset0:53 offset1:54
	buffer_load_dword v119, off, s[0:3], 0 offset:136
	buffer_load_dword v120, off, s[0:3], 0 offset:140
	v_cmp_lt_u32_e32 vcc, 5, v0
	s_waitcnt vmcnt(20) lgkmcnt(0)
	v_fma_f64 v[95:96], v[99:100], v[95:96], 0
	buffer_load_dword v100, off, s[0:3], 0 offset:148
	buffer_load_dword v99, off, s[0:3], 0 offset:144
	s_waitcnt vmcnt(20)
	v_fma_f64 v[101:102], v[101:102], v[97:98], v[95:96]
	ds_read2_b64 v[95:98], v94 offset0:55 offset1:56
	buffer_load_dword v121, off, s[0:3], 0 offset:152
	buffer_load_dword v122, off, s[0:3], 0 offset:156
	s_waitcnt vmcnt(20) lgkmcnt(0)
	v_fma_f64 v[95:96], v[103:104], v[95:96], v[101:102]
	buffer_load_dword v101, off, s[0:3], 0 offset:160
	buffer_load_dword v102, off, s[0:3], 0 offset:164
	s_waitcnt vmcnt(20)
	v_fma_f64 v[103:104], v[105:106], v[97:98], v[95:96]
	ds_read2_b64 v[95:98], v94 offset0:57 offset1:58
	buffer_load_dword v105, off, s[0:3], 0 offset:168
	buffer_load_dword v106, off, s[0:3], 0 offset:172
	;; [unrolled: 9-line block ×14, first 2 shown]
	s_waitcnt vmcnt(20) lgkmcnt(0)
	v_fma_f64 v[95:96], v[109:110], v[95:96], v[103:104]
	buffer_load_dword v103, off, s[0:3], 0 offset:48
	buffer_load_dword v104, off, s[0:3], 0 offset:52
	s_waitcnt vmcnt(20)
	v_fma_f64 v[107:108], v[107:108], v[97:98], v[95:96]
	ds_read2_b64 v[95:98], v94 offset0:83 offset1:84
	s_waitcnt vmcnt(18) lgkmcnt(0)
	v_fma_f64 v[95:96], v[113:114], v[95:96], v[107:108]
	s_waitcnt vmcnt(16)
	v_fma_f64 v[107:108], v[111:112], v[97:98], v[95:96]
	ds_read2_b64 v[95:98], v94 offset0:85 offset1:86
	s_waitcnt vmcnt(14) lgkmcnt(0)
	v_fma_f64 v[95:96], v[117:118], v[95:96], v[107:108]
	;; [unrolled: 5-line block ×4, first 2 shown]
	s_waitcnt vmcnt(4)
	v_fma_f64 v[95:96], v[101:102], v[97:98], v[95:96]
	ds_read_b64 v[97:98], v94 offset:728
	s_waitcnt vmcnt(2) lgkmcnt(0)
	v_fma_f64 v[95:96], v[105:106], v[97:98], v[95:96]
	s_waitcnt vmcnt(0)
	v_add_f64 v[95:96], v[103:104], -v[95:96]
	buffer_store_dword v96, off, s[0:3], 0 offset:52
	buffer_store_dword v95, off, s[0:3], 0 offset:48
	s_and_saveexec_b64 s[4:5], vcc
	s_cbranch_execz .LBB109_273
; %bb.272:
	buffer_load_dword v95, off, s[0:3], 0 offset:40
	buffer_load_dword v96, off, s[0:3], 0 offset:44
	s_waitcnt vmcnt(0)
	ds_write_b64 v93, v[95:96]
	buffer_store_dword v94, off, s[0:3], 0 offset:40
	buffer_store_dword v94, off, s[0:3], 0 offset:44
.LBB109_273:
	s_or_b64 exec, exec, s[4:5]
	s_waitcnt lgkmcnt(0)
	; wave barrier
	buffer_load_dword v99, off, s[0:3], 0 offset:48
	buffer_load_dword v100, off, s[0:3], 0 offset:52
	;; [unrolled: 1-line block ×20, first 2 shown]
	ds_read_b128 v[95:98], v94 offset:416
	buffer_load_dword v119, off, s[0:3], 0 offset:128
	buffer_load_dword v120, off, s[0:3], 0 offset:132
	v_cmp_lt_u32_e32 vcc, 4, v0
	s_waitcnt vmcnt(20) lgkmcnt(0)
	v_fma_f64 v[95:96], v[99:100], v[95:96], 0
	buffer_load_dword v100, off, s[0:3], 0 offset:140
	buffer_load_dword v99, off, s[0:3], 0 offset:136
	s_waitcnt vmcnt(20)
	v_fma_f64 v[101:102], v[101:102], v[97:98], v[95:96]
	ds_read_b128 v[95:98], v94 offset:432
	buffer_load_dword v121, off, s[0:3], 0 offset:144
	buffer_load_dword v122, off, s[0:3], 0 offset:148
	s_waitcnt vmcnt(20) lgkmcnt(0)
	v_fma_f64 v[95:96], v[103:104], v[95:96], v[101:102]
	buffer_load_dword v101, off, s[0:3], 0 offset:152
	buffer_load_dword v102, off, s[0:3], 0 offset:156
	s_waitcnt vmcnt(20)
	v_fma_f64 v[103:104], v[105:106], v[97:98], v[95:96]
	ds_read_b128 v[95:98], v94 offset:448
	buffer_load_dword v105, off, s[0:3], 0 offset:160
	buffer_load_dword v106, off, s[0:3], 0 offset:164
	;; [unrolled: 9-line block ×15, first 2 shown]
	s_waitcnt vmcnt(20) lgkmcnt(0)
	v_fma_f64 v[95:96], v[113:114], v[95:96], v[107:108]
	s_waitcnt vmcnt(18)
	v_fma_f64 v[107:108], v[111:112], v[97:98], v[95:96]
	ds_read_b128 v[95:98], v94 offset:672
	s_waitcnt vmcnt(16) lgkmcnt(0)
	v_fma_f64 v[95:96], v[117:118], v[95:96], v[107:108]
	s_waitcnt vmcnt(14)
	v_fma_f64 v[107:108], v[115:116], v[97:98], v[95:96]
	ds_read_b128 v[95:98], v94 offset:688
	;; [unrolled: 5-line block ×4, first 2 shown]
	s_waitcnt vmcnt(4) lgkmcnt(0)
	v_fma_f64 v[94:95], v[105:106], v[94:95], v[98:99]
	s_waitcnt vmcnt(2)
	v_fma_f64 v[94:95], v[103:104], v[96:97], v[94:95]
	s_waitcnt vmcnt(0)
	v_add_f64 v[94:95], v[109:110], -v[94:95]
	buffer_store_dword v95, off, s[0:3], 0 offset:44
	buffer_store_dword v94, off, s[0:3], 0 offset:40
	s_and_saveexec_b64 s[4:5], vcc
	s_cbranch_execz .LBB109_275
; %bb.274:
	buffer_load_dword v94, off, s[0:3], 0 offset:32
	buffer_load_dword v95, off, s[0:3], 0 offset:36
	v_mov_b32_e32 v96, 0
	buffer_store_dword v96, off, s[0:3], 0 offset:32
	buffer_store_dword v96, off, s[0:3], 0 offset:36
	s_waitcnt vmcnt(2)
	ds_write_b64 v93, v[94:95]
.LBB109_275:
	s_or_b64 exec, exec, s[4:5]
	s_waitcnt lgkmcnt(0)
	; wave barrier
	buffer_load_dword v103, off, s[0:3], 0 offset:40
	buffer_load_dword v104, off, s[0:3], 0 offset:44
	buffer_load_dword v105, off, s[0:3], 0 offset:48
	buffer_load_dword v106, off, s[0:3], 0 offset:52
	buffer_load_dword v107, off, s[0:3], 0 offset:56
	buffer_load_dword v108, off, s[0:3], 0 offset:60
	buffer_load_dword v109, off, s[0:3], 0 offset:64
	buffer_load_dword v110, off, s[0:3], 0 offset:68
	buffer_load_dword v111, off, s[0:3], 0 offset:72
	buffer_load_dword v112, off, s[0:3], 0 offset:76
	buffer_load_dword v113, off, s[0:3], 0 offset:80
	buffer_load_dword v114, off, s[0:3], 0 offset:84
	buffer_load_dword v115, off, s[0:3], 0 offset:88
	buffer_load_dword v116, off, s[0:3], 0 offset:92
	buffer_load_dword v118, off, s[0:3], 0 offset:100
	buffer_load_dword v119, off, s[0:3], 0 offset:120
	buffer_load_dword v121, off, s[0:3], 0 offset:112
	buffer_load_dword v123, off, s[0:3], 0 offset:104
	buffer_load_dword v117, off, s[0:3], 0 offset:96
	buffer_load_dword v124, off, s[0:3], 0 offset:108
	buffer_load_dword v122, off, s[0:3], 0 offset:116
	buffer_load_dword v120, off, s[0:3], 0 offset:124
	v_mov_b32_e32 v94, 0
	ds_read2_b64 v[95:98], v94 offset0:51 offset1:52
	ds_read2_b64 v[99:102], v94 offset0:53 offset1:54
	v_cmp_lt_u32_e32 vcc, 3, v0
	s_waitcnt vmcnt(20) lgkmcnt(1)
	v_fma_f64 v[95:96], v[103:104], v[95:96], 0
	s_waitcnt vmcnt(18)
	v_fma_f64 v[95:96], v[105:106], v[97:98], v[95:96]
	buffer_load_dword v104, off, s[0:3], 0 offset:132
	buffer_load_dword v105, off, s[0:3], 0 offset:152
	;; [unrolled: 1-line block ×7, first 2 shown]
	s_waitcnt vmcnt(23) lgkmcnt(0)
	v_fma_f64 v[95:96], v[107:108], v[99:100], v[95:96]
	s_waitcnt vmcnt(21)
	v_fma_f64 v[106:107], v[109:110], v[101:102], v[95:96]
	ds_read2_b64 v[95:98], v94 offset0:55 offset1:56
	ds_read2_b64 v[99:102], v94 offset0:57 offset1:58
	s_waitcnt vmcnt(19) lgkmcnt(1)
	v_fma_f64 v[95:96], v[111:112], v[95:96], v[106:107]
	buffer_load_dword v106, off, s[0:3], 0 offset:156
	s_waitcnt vmcnt(18)
	v_fma_f64 v[95:96], v[113:114], v[97:98], v[95:96]
	buffer_load_dword v108, off, s[0:3], 0 offset:164
	buffer_load_dword v109, off, s[0:3], 0 offset:184
	;; [unrolled: 1-line block ×7, first 2 shown]
	s_waitcnt vmcnt(23) lgkmcnt(0)
	v_fma_f64 v[95:96], v[115:116], v[99:100], v[95:96]
	s_waitcnt vmcnt(18)
	v_fma_f64 v[115:116], v[117:118], v[101:102], v[95:96]
	ds_read2_b64 v[95:98], v94 offset0:59 offset1:60
	ds_read2_b64 v[99:102], v94 offset0:61 offset1:62
	buffer_load_dword v110, off, s[0:3], 0 offset:188
	s_waitcnt vmcnt(18) lgkmcnt(1)
	v_fma_f64 v[95:96], v[123:124], v[95:96], v[115:116]
	s_waitcnt vmcnt(17)
	v_fma_f64 v[95:96], v[121:122], v[97:98], v[95:96]
	buffer_load_dword v116, off, s[0:3], 0 offset:196
	buffer_load_dword v117, off, s[0:3], 0 offset:216
	;; [unrolled: 1-line block ×8, first 2 shown]
	s_waitcnt vmcnt(24) lgkmcnt(0)
	v_fma_f64 v[95:96], v[119:120], v[99:100], v[95:96]
	s_waitcnt vmcnt(19)
	v_fma_f64 v[103:104], v[103:104], v[101:102], v[95:96]
	ds_read2_b64 v[95:98], v94 offset0:63 offset1:64
	ds_read2_b64 v[99:102], v94 offset0:65 offset1:66
	s_waitcnt vmcnt(18) lgkmcnt(1)
	v_fma_f64 v[95:96], v[127:128], v[95:96], v[103:104]
	s_waitcnt vmcnt(17)
	v_fma_f64 v[95:96], v[125:126], v[97:98], v[95:96]
	buffer_load_dword v104, off, s[0:3], 0 offset:228
	buffer_load_dword v119, off, s[0:3], 0 offset:248
	buffer_load_dword v125, off, s[0:3], 0 offset:240
	buffer_load_dword v127, off, s[0:3], 0 offset:232
	buffer_load_dword v103, off, s[0:3], 0 offset:224
	buffer_load_dword v128, off, s[0:3], 0 offset:236
	buffer_load_dword v126, off, s[0:3], 0 offset:244
	s_waitcnt vmcnt(23) lgkmcnt(0)
	v_fma_f64 v[95:96], v[105:106], v[99:100], v[95:96]
	s_waitcnt vmcnt(18)
	v_fma_f64 v[105:106], v[107:108], v[101:102], v[95:96]
	ds_read2_b64 v[95:98], v94 offset0:67 offset1:68
	ds_read2_b64 v[99:102], v94 offset0:69 offset1:70
	buffer_load_dword v120, off, s[0:3], 0 offset:252
	s_waitcnt vmcnt(18) lgkmcnt(1)
	v_fma_f64 v[95:96], v[113:114], v[95:96], v[105:106]
	s_waitcnt vmcnt(17)
	v_fma_f64 v[95:96], v[111:112], v[97:98], v[95:96]
	buffer_load_dword v106, off, s[0:3], 0 offset:260
	buffer_load_dword v107, off, s[0:3], 0 offset:280
	;; [unrolled: 1-line block ×7, first 2 shown]
	s_waitcnt vmcnt(23) lgkmcnt(0)
	v_fma_f64 v[95:96], v[109:110], v[99:100], v[95:96]
	s_waitcnt vmcnt(18)
	v_fma_f64 v[108:109], v[115:116], v[101:102], v[95:96]
	ds_read2_b64 v[95:98], v94 offset0:71 offset1:72
	ds_read2_b64 v[99:102], v94 offset0:73 offset1:74
	s_waitcnt vmcnt(17) lgkmcnt(1)
	v_fma_f64 v[95:96], v[123:124], v[95:96], v[108:109]
	buffer_load_dword v108, off, s[0:3], 0 offset:284
	s_waitcnt vmcnt(17)
	v_fma_f64 v[95:96], v[121:122], v[97:98], v[95:96]
	buffer_load_dword v110, off, s[0:3], 0 offset:292
	buffer_load_dword v115, off, s[0:3], 0 offset:312
	;; [unrolled: 1-line block ×8, first 2 shown]
	s_waitcnt vmcnt(24) lgkmcnt(0)
	v_fma_f64 v[95:96], v[117:118], v[99:100], v[95:96]
	s_waitcnt vmcnt(19)
	v_fma_f64 v[103:104], v[103:104], v[101:102], v[95:96]
	ds_read2_b64 v[95:98], v94 offset0:75 offset1:76
	ds_read2_b64 v[99:102], v94 offset0:77 offset1:78
	s_waitcnt vmcnt(18) lgkmcnt(1)
	v_fma_f64 v[95:96], v[127:128], v[95:96], v[103:104]
	s_waitcnt vmcnt(17)
	v_fma_f64 v[95:96], v[125:126], v[97:98], v[95:96]
	buffer_load_dword v104, off, s[0:3], 0 offset:324
	buffer_load_dword v117, off, s[0:3], 0 offset:344
	buffer_load_dword v125, off, s[0:3], 0 offset:336
	buffer_load_dword v127, off, s[0:3], 0 offset:328
	buffer_load_dword v103, off, s[0:3], 0 offset:320
	buffer_load_dword v128, off, s[0:3], 0 offset:332
	buffer_load_dword v126, off, s[0:3], 0 offset:340
	s_waitcnt vmcnt(23) lgkmcnt(0)
	v_fma_f64 v[95:96], v[119:120], v[99:100], v[95:96]
	s_waitcnt vmcnt(18)
	v_fma_f64 v[105:106], v[105:106], v[101:102], v[95:96]
	ds_read2_b64 v[95:98], v94 offset0:79 offset1:80
	ds_read2_b64 v[99:102], v94 offset0:81 offset1:82
	buffer_load_dword v118, off, s[0:3], 0 offset:348
	s_waitcnt vmcnt(18) lgkmcnt(1)
	v_fma_f64 v[95:96], v[113:114], v[95:96], v[105:106]
	s_waitcnt vmcnt(17)
	v_fma_f64 v[95:96], v[111:112], v[97:98], v[95:96]
	buffer_load_dword v106, off, s[0:3], 0 offset:356
	buffer_load_dword v111, off, s[0:3], 0 offset:360
	;; [unrolled: 1-line block ×4, first 2 shown]
	s_waitcnt vmcnt(20) lgkmcnt(0)
	v_fma_f64 v[95:96], v[107:108], v[99:100], v[95:96]
	buffer_load_dword v107, off, s[0:3], 0 offset:32
	buffer_load_dword v108, off, s[0:3], 0 offset:36
	s_waitcnt vmcnt(17)
	v_fma_f64 v[109:110], v[109:110], v[101:102], v[95:96]
	ds_read2_b64 v[95:98], v94 offset0:83 offset1:84
	ds_read2_b64 v[99:102], v94 offset0:85 offset1:86
	s_waitcnt vmcnt(16) lgkmcnt(1)
	v_fma_f64 v[95:96], v[123:124], v[95:96], v[109:110]
	s_waitcnt vmcnt(15)
	v_fma_f64 v[95:96], v[121:122], v[97:98], v[95:96]
	s_waitcnt vmcnt(14) lgkmcnt(0)
	v_fma_f64 v[95:96], v[115:116], v[99:100], v[95:96]
	s_waitcnt vmcnt(9)
	v_fma_f64 v[103:104], v[103:104], v[101:102], v[95:96]
	ds_read2_b64 v[95:98], v94 offset0:87 offset1:88
	ds_read2_b64 v[99:102], v94 offset0:89 offset1:90
	s_waitcnt vmcnt(8) lgkmcnt(1)
	v_fma_f64 v[95:96], v[127:128], v[95:96], v[103:104]
	s_waitcnt vmcnt(7)
	v_fma_f64 v[95:96], v[125:126], v[97:98], v[95:96]
	ds_read_b64 v[97:98], v94 offset:728
	s_waitcnt vmcnt(6) lgkmcnt(1)
	v_fma_f64 v[95:96], v[117:118], v[99:100], v[95:96]
	s_waitcnt vmcnt(3)
	v_fma_f64 v[95:96], v[105:106], v[101:102], v[95:96]
	s_waitcnt vmcnt(2) lgkmcnt(0)
	v_fma_f64 v[95:96], v[111:112], v[97:98], v[95:96]
	s_waitcnt vmcnt(0)
	v_add_f64 v[95:96], v[107:108], -v[95:96]
	buffer_store_dword v96, off, s[0:3], 0 offset:36
	buffer_store_dword v95, off, s[0:3], 0 offset:32
	s_and_saveexec_b64 s[4:5], vcc
	s_cbranch_execz .LBB109_277
; %bb.276:
	buffer_load_dword v95, off, s[0:3], 0 offset:24
	buffer_load_dword v96, off, s[0:3], 0 offset:28
	s_waitcnt vmcnt(0)
	ds_write_b64 v93, v[95:96]
	buffer_store_dword v94, off, s[0:3], 0 offset:24
	buffer_store_dword v94, off, s[0:3], 0 offset:28
.LBB109_277:
	s_or_b64 exec, exec, s[4:5]
	s_waitcnt lgkmcnt(0)
	; wave barrier
	buffer_load_dword v99, off, s[0:3], 0 offset:32
	buffer_load_dword v100, off, s[0:3], 0 offset:36
	;; [unrolled: 1-line block ×20, first 2 shown]
	ds_read_b128 v[95:98], v94 offset:400
	buffer_load_dword v119, off, s[0:3], 0 offset:112
	buffer_load_dword v120, off, s[0:3], 0 offset:116
	v_cmp_lt_u32_e32 vcc, 2, v0
	s_waitcnt vmcnt(20) lgkmcnt(0)
	v_fma_f64 v[95:96], v[99:100], v[95:96], 0
	buffer_load_dword v100, off, s[0:3], 0 offset:124
	buffer_load_dword v99, off, s[0:3], 0 offset:120
	s_waitcnt vmcnt(20)
	v_fma_f64 v[101:102], v[101:102], v[97:98], v[95:96]
	ds_read_b128 v[95:98], v94 offset:416
	buffer_load_dword v121, off, s[0:3], 0 offset:128
	buffer_load_dword v122, off, s[0:3], 0 offset:132
	s_waitcnt vmcnt(20) lgkmcnt(0)
	v_fma_f64 v[95:96], v[103:104], v[95:96], v[101:102]
	buffer_load_dword v101, off, s[0:3], 0 offset:136
	buffer_load_dword v102, off, s[0:3], 0 offset:140
	s_waitcnt vmcnt(20)
	v_fma_f64 v[103:104], v[105:106], v[97:98], v[95:96]
	ds_read_b128 v[95:98], v94 offset:432
	buffer_load_dword v105, off, s[0:3], 0 offset:144
	buffer_load_dword v106, off, s[0:3], 0 offset:148
	;; [unrolled: 9-line block ×16, first 2 shown]
	s_waitcnt vmcnt(20) lgkmcnt(0)
	v_fma_f64 v[95:96], v[117:118], v[95:96], v[111:112]
	s_waitcnt vmcnt(18)
	v_fma_f64 v[111:112], v[115:116], v[97:98], v[95:96]
	ds_read_b128 v[95:98], v94 offset:672
	s_waitcnt vmcnt(16) lgkmcnt(0)
	v_fma_f64 v[95:96], v[119:120], v[95:96], v[111:112]
	s_waitcnt vmcnt(14)
	v_fma_f64 v[99:100], v[99:100], v[97:98], v[95:96]
	ds_read_b128 v[95:98], v94 offset:688
	;; [unrolled: 5-line block ×4, first 2 shown]
	s_waitcnt vmcnt(4) lgkmcnt(0)
	v_fma_f64 v[94:95], v[109:110], v[94:95], v[98:99]
	s_waitcnt vmcnt(2)
	v_fma_f64 v[94:95], v[107:108], v[96:97], v[94:95]
	s_waitcnt vmcnt(0)
	v_add_f64 v[94:95], v[113:114], -v[94:95]
	buffer_store_dword v95, off, s[0:3], 0 offset:28
	buffer_store_dword v94, off, s[0:3], 0 offset:24
	s_and_saveexec_b64 s[4:5], vcc
	s_cbranch_execz .LBB109_279
; %bb.278:
	buffer_load_dword v94, off, s[0:3], 0 offset:16
	buffer_load_dword v95, off, s[0:3], 0 offset:20
	v_mov_b32_e32 v96, 0
	buffer_store_dword v96, off, s[0:3], 0 offset:16
	buffer_store_dword v96, off, s[0:3], 0 offset:20
	s_waitcnt vmcnt(2)
	ds_write_b64 v93, v[94:95]
.LBB109_279:
	s_or_b64 exec, exec, s[4:5]
	s_waitcnt lgkmcnt(0)
	; wave barrier
	buffer_load_dword v99, off, s[0:3], 0 offset:24
	buffer_load_dword v100, off, s[0:3], 0 offset:28
	;; [unrolled: 1-line block ×20, first 2 shown]
	v_mov_b32_e32 v94, 0
	ds_read2_b64 v[95:98], v94 offset0:49 offset1:50
	buffer_load_dword v119, off, s[0:3], 0 offset:104
	buffer_load_dword v120, off, s[0:3], 0 offset:108
	v_cmp_lt_u32_e32 vcc, 1, v0
	s_waitcnt vmcnt(20) lgkmcnt(0)
	v_fma_f64 v[95:96], v[99:100], v[95:96], 0
	buffer_load_dword v100, off, s[0:3], 0 offset:116
	buffer_load_dword v99, off, s[0:3], 0 offset:112
	s_waitcnt vmcnt(20)
	v_fma_f64 v[101:102], v[101:102], v[97:98], v[95:96]
	ds_read2_b64 v[95:98], v94 offset0:51 offset1:52
	buffer_load_dword v121, off, s[0:3], 0 offset:120
	buffer_load_dword v122, off, s[0:3], 0 offset:124
	s_waitcnt vmcnt(20) lgkmcnt(0)
	v_fma_f64 v[95:96], v[103:104], v[95:96], v[101:102]
	buffer_load_dword v101, off, s[0:3], 0 offset:128
	buffer_load_dword v102, off, s[0:3], 0 offset:132
	s_waitcnt vmcnt(20)
	v_fma_f64 v[103:104], v[105:106], v[97:98], v[95:96]
	ds_read2_b64 v[95:98], v94 offset0:53 offset1:54
	buffer_load_dword v105, off, s[0:3], 0 offset:136
	buffer_load_dword v106, off, s[0:3], 0 offset:140
	s_waitcnt vmcnt(20) lgkmcnt(0)
	v_fma_f64 v[95:96], v[107:108], v[95:96], v[103:104]
	buffer_load_dword v104, off, s[0:3], 0 offset:148
	buffer_load_dword v103, off, s[0:3], 0 offset:144
	s_waitcnt vmcnt(20)
	v_fma_f64 v[107:108], v[109:110], v[97:98], v[95:96]
	ds_read2_b64 v[95:98], v94 offset0:55 offset1:56
	buffer_load_dword v109, off, s[0:3], 0 offset:152
	buffer_load_dword v110, off, s[0:3], 0 offset:156
	s_waitcnt vmcnt(20) lgkmcnt(0)
	v_fma_f64 v[95:96], v[111:112], v[95:96], v[107:108]
	buffer_load_dword v107, off, s[0:3], 0 offset:160
	buffer_load_dword v108, off, s[0:3], 0 offset:164
	s_waitcnt vmcnt(20)
	v_fma_f64 v[111:112], v[113:114], v[97:98], v[95:96]
	ds_read2_b64 v[95:98], v94 offset0:57 offset1:58
	buffer_load_dword v113, off, s[0:3], 0 offset:168
	buffer_load_dword v114, off, s[0:3], 0 offset:172
	s_waitcnt vmcnt(20) lgkmcnt(0)
	v_fma_f64 v[95:96], v[115:116], v[95:96], v[111:112]
	buffer_load_dword v112, off, s[0:3], 0 offset:180
	buffer_load_dword v111, off, s[0:3], 0 offset:176
	s_waitcnt vmcnt(20)
	v_fma_f64 v[115:116], v[117:118], v[97:98], v[95:96]
	ds_read2_b64 v[95:98], v94 offset0:59 offset1:60
	buffer_load_dword v117, off, s[0:3], 0 offset:184
	buffer_load_dword v118, off, s[0:3], 0 offset:188
	s_waitcnt vmcnt(20) lgkmcnt(0)
	v_fma_f64 v[95:96], v[119:120], v[95:96], v[115:116]
	buffer_load_dword v115, off, s[0:3], 0 offset:192
	buffer_load_dword v116, off, s[0:3], 0 offset:196
	s_waitcnt vmcnt(20)
	v_fma_f64 v[99:100], v[99:100], v[97:98], v[95:96]
	ds_read2_b64 v[95:98], v94 offset0:61 offset1:62
	buffer_load_dword v119, off, s[0:3], 0 offset:200
	buffer_load_dword v120, off, s[0:3], 0 offset:204
	s_waitcnt vmcnt(20) lgkmcnt(0)
	v_fma_f64 v[95:96], v[121:122], v[95:96], v[99:100]
	buffer_load_dword v100, off, s[0:3], 0 offset:212
	buffer_load_dword v99, off, s[0:3], 0 offset:208
	s_waitcnt vmcnt(20)
	v_fma_f64 v[101:102], v[101:102], v[97:98], v[95:96]
	ds_read2_b64 v[95:98], v94 offset0:63 offset1:64
	buffer_load_dword v121, off, s[0:3], 0 offset:216
	buffer_load_dword v122, off, s[0:3], 0 offset:220
	s_waitcnt vmcnt(20) lgkmcnt(0)
	v_fma_f64 v[95:96], v[105:106], v[95:96], v[101:102]
	buffer_load_dword v101, off, s[0:3], 0 offset:224
	buffer_load_dword v102, off, s[0:3], 0 offset:228
	s_waitcnt vmcnt(20)
	v_fma_f64 v[103:104], v[103:104], v[97:98], v[95:96]
	ds_read2_b64 v[95:98], v94 offset0:65 offset1:66
	buffer_load_dword v105, off, s[0:3], 0 offset:232
	buffer_load_dword v106, off, s[0:3], 0 offset:236
	s_waitcnt vmcnt(20) lgkmcnt(0)
	v_fma_f64 v[95:96], v[109:110], v[95:96], v[103:104]
	buffer_load_dword v104, off, s[0:3], 0 offset:244
	buffer_load_dword v103, off, s[0:3], 0 offset:240
	s_waitcnt vmcnt(20)
	v_fma_f64 v[107:108], v[107:108], v[97:98], v[95:96]
	ds_read2_b64 v[95:98], v94 offset0:67 offset1:68
	buffer_load_dword v109, off, s[0:3], 0 offset:248
	buffer_load_dword v110, off, s[0:3], 0 offset:252
	s_waitcnt vmcnt(20) lgkmcnt(0)
	v_fma_f64 v[95:96], v[113:114], v[95:96], v[107:108]
	buffer_load_dword v107, off, s[0:3], 0 offset:256
	buffer_load_dword v108, off, s[0:3], 0 offset:260
	s_waitcnt vmcnt(20)
	v_fma_f64 v[111:112], v[111:112], v[97:98], v[95:96]
	ds_read2_b64 v[95:98], v94 offset0:69 offset1:70
	buffer_load_dword v113, off, s[0:3], 0 offset:264
	buffer_load_dword v114, off, s[0:3], 0 offset:268
	s_waitcnt vmcnt(20) lgkmcnt(0)
	v_fma_f64 v[95:96], v[117:118], v[95:96], v[111:112]
	buffer_load_dword v112, off, s[0:3], 0 offset:276
	buffer_load_dword v111, off, s[0:3], 0 offset:272
	s_waitcnt vmcnt(20)
	v_fma_f64 v[115:116], v[115:116], v[97:98], v[95:96]
	ds_read2_b64 v[95:98], v94 offset0:71 offset1:72
	buffer_load_dword v117, off, s[0:3], 0 offset:280
	buffer_load_dword v118, off, s[0:3], 0 offset:284
	s_waitcnt vmcnt(20) lgkmcnt(0)
	v_fma_f64 v[95:96], v[119:120], v[95:96], v[115:116]
	buffer_load_dword v115, off, s[0:3], 0 offset:288
	buffer_load_dword v116, off, s[0:3], 0 offset:292
	s_waitcnt vmcnt(20)
	v_fma_f64 v[99:100], v[99:100], v[97:98], v[95:96]
	ds_read2_b64 v[95:98], v94 offset0:73 offset1:74
	buffer_load_dword v119, off, s[0:3], 0 offset:296
	buffer_load_dword v120, off, s[0:3], 0 offset:300
	s_waitcnt vmcnt(20) lgkmcnt(0)
	v_fma_f64 v[95:96], v[121:122], v[95:96], v[99:100]
	buffer_load_dword v100, off, s[0:3], 0 offset:308
	buffer_load_dword v99, off, s[0:3], 0 offset:304
	s_waitcnt vmcnt(20)
	v_fma_f64 v[101:102], v[101:102], v[97:98], v[95:96]
	ds_read2_b64 v[95:98], v94 offset0:75 offset1:76
	buffer_load_dword v121, off, s[0:3], 0 offset:312
	buffer_load_dword v122, off, s[0:3], 0 offset:316
	s_waitcnt vmcnt(20) lgkmcnt(0)
	v_fma_f64 v[95:96], v[105:106], v[95:96], v[101:102]
	buffer_load_dword v101, off, s[0:3], 0 offset:320
	buffer_load_dword v102, off, s[0:3], 0 offset:324
	s_waitcnt vmcnt(20)
	v_fma_f64 v[103:104], v[103:104], v[97:98], v[95:96]
	ds_read2_b64 v[95:98], v94 offset0:77 offset1:78
	buffer_load_dword v105, off, s[0:3], 0 offset:328
	buffer_load_dword v106, off, s[0:3], 0 offset:332
	s_waitcnt vmcnt(20) lgkmcnt(0)
	v_fma_f64 v[95:96], v[109:110], v[95:96], v[103:104]
	buffer_load_dword v104, off, s[0:3], 0 offset:340
	buffer_load_dword v103, off, s[0:3], 0 offset:336
	s_waitcnt vmcnt(20)
	v_fma_f64 v[107:108], v[107:108], v[97:98], v[95:96]
	ds_read2_b64 v[95:98], v94 offset0:79 offset1:80
	buffer_load_dword v109, off, s[0:3], 0 offset:344
	buffer_load_dword v110, off, s[0:3], 0 offset:348
	s_waitcnt vmcnt(20) lgkmcnt(0)
	v_fma_f64 v[95:96], v[113:114], v[95:96], v[107:108]
	buffer_load_dword v107, off, s[0:3], 0 offset:352
	buffer_load_dword v108, off, s[0:3], 0 offset:356
	s_waitcnt vmcnt(20)
	v_fma_f64 v[111:112], v[111:112], v[97:98], v[95:96]
	ds_read2_b64 v[95:98], v94 offset0:81 offset1:82
	buffer_load_dword v113, off, s[0:3], 0 offset:360
	buffer_load_dword v114, off, s[0:3], 0 offset:364
	s_waitcnt vmcnt(20) lgkmcnt(0)
	v_fma_f64 v[95:96], v[117:118], v[95:96], v[111:112]
	buffer_load_dword v111, off, s[0:3], 0 offset:16
	buffer_load_dword v112, off, s[0:3], 0 offset:20
	s_waitcnt vmcnt(20)
	v_fma_f64 v[115:116], v[115:116], v[97:98], v[95:96]
	ds_read2_b64 v[95:98], v94 offset0:83 offset1:84
	s_waitcnt vmcnt(18) lgkmcnt(0)
	v_fma_f64 v[95:96], v[119:120], v[95:96], v[115:116]
	s_waitcnt vmcnt(16)
	v_fma_f64 v[99:100], v[99:100], v[97:98], v[95:96]
	ds_read2_b64 v[95:98], v94 offset0:85 offset1:86
	s_waitcnt vmcnt(14) lgkmcnt(0)
	v_fma_f64 v[95:96], v[121:122], v[95:96], v[99:100]
	s_waitcnt vmcnt(12)
	v_fma_f64 v[99:100], v[101:102], v[97:98], v[95:96]
	ds_read2_b64 v[95:98], v94 offset0:87 offset1:88
	s_waitcnt vmcnt(10) lgkmcnt(0)
	v_fma_f64 v[95:96], v[105:106], v[95:96], v[99:100]
	s_waitcnt vmcnt(8)
	v_fma_f64 v[99:100], v[103:104], v[97:98], v[95:96]
	ds_read2_b64 v[95:98], v94 offset0:89 offset1:90
	s_waitcnt vmcnt(6) lgkmcnt(0)
	v_fma_f64 v[95:96], v[109:110], v[95:96], v[99:100]
	s_waitcnt vmcnt(4)
	v_fma_f64 v[95:96], v[107:108], v[97:98], v[95:96]
	ds_read_b64 v[97:98], v94 offset:728
	s_waitcnt vmcnt(2) lgkmcnt(0)
	v_fma_f64 v[95:96], v[113:114], v[97:98], v[95:96]
	s_waitcnt vmcnt(0)
	v_add_f64 v[95:96], v[111:112], -v[95:96]
	buffer_store_dword v96, off, s[0:3], 0 offset:20
	buffer_store_dword v95, off, s[0:3], 0 offset:16
	s_and_saveexec_b64 s[4:5], vcc
	s_cbranch_execz .LBB109_281
; %bb.280:
	buffer_load_dword v95, off, s[0:3], 0 offset:8
	buffer_load_dword v96, off, s[0:3], 0 offset:12
	s_waitcnt vmcnt(0)
	ds_write_b64 v93, v[95:96]
	buffer_store_dword v94, off, s[0:3], 0 offset:8
	buffer_store_dword v94, off, s[0:3], 0 offset:12
.LBB109_281:
	s_or_b64 exec, exec, s[4:5]
	s_waitcnt lgkmcnt(0)
	; wave barrier
	buffer_load_dword v99, off, s[0:3], 0 offset:16
	buffer_load_dword v100, off, s[0:3], 0 offset:20
	;; [unrolled: 1-line block ×20, first 2 shown]
	ds_read_b128 v[95:98], v94 offset:384
	buffer_load_dword v119, off, s[0:3], 0 offset:96
	buffer_load_dword v120, off, s[0:3], 0 offset:100
	v_cmp_ne_u32_e32 vcc, 0, v0
	s_waitcnt vmcnt(20) lgkmcnt(0)
	v_fma_f64 v[95:96], v[99:100], v[95:96], 0
	buffer_load_dword v100, off, s[0:3], 0 offset:108
	buffer_load_dword v99, off, s[0:3], 0 offset:104
	s_waitcnt vmcnt(20)
	v_fma_f64 v[101:102], v[101:102], v[97:98], v[95:96]
	ds_read_b128 v[95:98], v94 offset:400
	buffer_load_dword v121, off, s[0:3], 0 offset:112
	buffer_load_dword v122, off, s[0:3], 0 offset:116
	s_waitcnt vmcnt(20) lgkmcnt(0)
	v_fma_f64 v[95:96], v[103:104], v[95:96], v[101:102]
	buffer_load_dword v101, off, s[0:3], 0 offset:120
	buffer_load_dword v102, off, s[0:3], 0 offset:124
	s_waitcnt vmcnt(20)
	v_fma_f64 v[103:104], v[105:106], v[97:98], v[95:96]
	ds_read_b128 v[95:98], v94 offset:416
	buffer_load_dword v105, off, s[0:3], 0 offset:128
	buffer_load_dword v106, off, s[0:3], 0 offset:132
	;; [unrolled: 9-line block ×17, first 2 shown]
	s_waitcnt vmcnt(20) lgkmcnt(0)
	v_fma_f64 v[95:96], v[119:120], v[95:96], v[115:116]
	s_waitcnt vmcnt(18)
	v_fma_f64 v[99:100], v[99:100], v[97:98], v[95:96]
	ds_read_b128 v[95:98], v94 offset:672
	s_waitcnt vmcnt(16) lgkmcnt(0)
	v_fma_f64 v[95:96], v[121:122], v[95:96], v[99:100]
	s_waitcnt vmcnt(14)
	v_fma_f64 v[99:100], v[101:102], v[97:98], v[95:96]
	ds_read_b128 v[95:98], v94 offset:688
	;; [unrolled: 5-line block ×4, first 2 shown]
	s_waitcnt vmcnt(4) lgkmcnt(0)
	v_fma_f64 v[94:95], v[113:114], v[94:95], v[98:99]
	s_waitcnt vmcnt(2)
	v_fma_f64 v[94:95], v[111:112], v[96:97], v[94:95]
	s_waitcnt vmcnt(0)
	v_add_f64 v[94:95], v[117:118], -v[94:95]
	buffer_store_dword v95, off, s[0:3], 0 offset:12
	buffer_store_dword v94, off, s[0:3], 0 offset:8
	s_and_saveexec_b64 s[4:5], vcc
	s_cbranch_execz .LBB109_283
; %bb.282:
	buffer_load_dword v94, off, s[0:3], 0
	buffer_load_dword v95, off, s[0:3], 0 offset:4
	v_mov_b32_e32 v0, 0
	buffer_store_dword v0, off, s[0:3], 0
	buffer_store_dword v0, off, s[0:3], 0 offset:4
	s_waitcnt vmcnt(2)
	ds_write_b64 v93, v[94:95]
.LBB109_283:
	s_or_b64 exec, exec, s[4:5]
	s_waitcnt lgkmcnt(0)
	; wave barrier
	buffer_load_dword v101, off, s[0:3], 0 offset:8
	buffer_load_dword v102, off, s[0:3], 0 offset:12
	;; [unrolled: 1-line block ×21, first 2 shown]
	v_mov_b32_e32 v0, 0
	ds_read2_b64 v[93:96], v0 offset0:47 offset1:48
	ds_read2_b64 v[97:100], v0 offset0:49 offset1:50
	buffer_load_dword v118, off, s[0:3], 0 offset:92
	s_and_b64 vcc, exec, s[14:15]
	s_waitcnt vmcnt(20) lgkmcnt(1)
	v_fma_f64 v[93:94], v[101:102], v[93:94], 0
	s_waitcnt vmcnt(18)
	v_fma_f64 v[93:94], v[103:104], v[95:96], v[93:94]
	buffer_load_dword v102, off, s[0:3], 0 offset:100
	buffer_load_dword v103, off, s[0:3], 0 offset:120
	;; [unrolled: 1-line block ×7, first 2 shown]
	s_waitcnt vmcnt(23) lgkmcnt(0)
	v_fma_f64 v[93:94], v[105:106], v[97:98], v[93:94]
	s_waitcnt vmcnt(21)
	v_fma_f64 v[104:105], v[107:108], v[99:100], v[93:94]
	ds_read2_b64 v[93:96], v0 offset0:51 offset1:52
	ds_read2_b64 v[97:100], v0 offset0:53 offset1:54
	s_waitcnt vmcnt(19) lgkmcnt(1)
	v_fma_f64 v[93:94], v[109:110], v[93:94], v[104:105]
	buffer_load_dword v104, off, s[0:3], 0 offset:124
	s_waitcnt vmcnt(18)
	v_fma_f64 v[93:94], v[111:112], v[95:96], v[93:94]
	buffer_load_dword v106, off, s[0:3], 0 offset:132
	buffer_load_dword v107, off, s[0:3], 0 offset:152
	;; [unrolled: 1-line block ×7, first 2 shown]
	s_waitcnt vmcnt(23) lgkmcnt(0)
	v_fma_f64 v[93:94], v[113:114], v[97:98], v[93:94]
	s_waitcnt vmcnt(18)
	v_fma_f64 v[113:114], v[115:116], v[99:100], v[93:94]
	ds_read2_b64 v[93:96], v0 offset0:55 offset1:56
	ds_read2_b64 v[97:100], v0 offset0:57 offset1:58
	buffer_load_dword v108, off, s[0:3], 0 offset:156
	s_waitcnt vmcnt(18) lgkmcnt(1)
	v_fma_f64 v[93:94], v[121:122], v[93:94], v[113:114]
	s_waitcnt vmcnt(17)
	v_fma_f64 v[93:94], v[119:120], v[95:96], v[93:94]
	buffer_load_dword v114, off, s[0:3], 0 offset:164
	buffer_load_dword v115, off, s[0:3], 0 offset:184
	;; [unrolled: 1-line block ×7, first 2 shown]
	s_waitcnt vmcnt(23) lgkmcnt(0)
	v_fma_f64 v[93:94], v[117:118], v[97:98], v[93:94]
	s_waitcnt vmcnt(18)
	v_fma_f64 v[101:102], v[101:102], v[99:100], v[93:94]
	ds_read2_b64 v[93:96], v0 offset0:59 offset1:60
	ds_read2_b64 v[97:100], v0 offset0:61 offset1:62
	buffer_load_dword v116, off, s[0:3], 0 offset:188
	s_waitcnt vmcnt(18) lgkmcnt(1)
	v_fma_f64 v[93:94], v[125:126], v[93:94], v[101:102]
	s_waitcnt vmcnt(17)
	v_fma_f64 v[93:94], v[123:124], v[95:96], v[93:94]
	buffer_load_dword v102, off, s[0:3], 0 offset:196
	buffer_load_dword v117, off, s[0:3], 0 offset:216
	;; [unrolled: 1-line block ×8, first 2 shown]
	s_waitcnt vmcnt(24) lgkmcnt(0)
	v_fma_f64 v[93:94], v[103:104], v[97:98], v[93:94]
	s_waitcnt vmcnt(19)
	v_fma_f64 v[103:104], v[105:106], v[99:100], v[93:94]
	ds_read2_b64 v[93:96], v0 offset0:63 offset1:64
	ds_read2_b64 v[97:100], v0 offset0:65 offset1:66
	s_waitcnt vmcnt(18) lgkmcnt(1)
	v_fma_f64 v[93:94], v[111:112], v[93:94], v[103:104]
	s_waitcnt vmcnt(17)
	v_fma_f64 v[93:94], v[109:110], v[95:96], v[93:94]
	buffer_load_dword v104, off, s[0:3], 0 offset:228
	buffer_load_dword v105, off, s[0:3], 0 offset:248
	;; [unrolled: 1-line block ×7, first 2 shown]
	s_waitcnt vmcnt(23) lgkmcnt(0)
	v_fma_f64 v[93:94], v[107:108], v[97:98], v[93:94]
	s_waitcnt vmcnt(18)
	v_fma_f64 v[106:107], v[113:114], v[99:100], v[93:94]
	ds_read2_b64 v[93:96], v0 offset0:67 offset1:68
	ds_read2_b64 v[97:100], v0 offset0:69 offset1:70
	s_waitcnt vmcnt(17) lgkmcnt(1)
	v_fma_f64 v[93:94], v[121:122], v[93:94], v[106:107]
	buffer_load_dword v106, off, s[0:3], 0 offset:252
	s_waitcnt vmcnt(17)
	v_fma_f64 v[93:94], v[119:120], v[95:96], v[93:94]
	buffer_load_dword v108, off, s[0:3], 0 offset:260
	buffer_load_dword v113, off, s[0:3], 0 offset:280
	;; [unrolled: 1-line block ×7, first 2 shown]
	s_waitcnt vmcnt(23) lgkmcnt(0)
	v_fma_f64 v[93:94], v[115:116], v[97:98], v[93:94]
	s_waitcnt vmcnt(18)
	v_fma_f64 v[101:102], v[101:102], v[99:100], v[93:94]
	ds_read2_b64 v[93:96], v0 offset0:71 offset1:72
	ds_read2_b64 v[97:100], v0 offset0:73 offset1:74
	buffer_load_dword v114, off, s[0:3], 0 offset:284
	s_waitcnt vmcnt(18) lgkmcnt(1)
	v_fma_f64 v[93:94], v[125:126], v[93:94], v[101:102]
	s_waitcnt vmcnt(17)
	v_fma_f64 v[93:94], v[123:124], v[95:96], v[93:94]
	buffer_load_dword v102, off, s[0:3], 0 offset:292
	buffer_load_dword v115, off, s[0:3], 0 offset:312
	buffer_load_dword v123, off, s[0:3], 0 offset:304
	buffer_load_dword v125, off, s[0:3], 0 offset:296
	buffer_load_dword v101, off, s[0:3], 0 offset:288
	buffer_load_dword v126, off, s[0:3], 0 offset:300
	buffer_load_dword v124, off, s[0:3], 0 offset:308
	buffer_load_dword v116, off, s[0:3], 0 offset:316
	s_waitcnt vmcnt(24) lgkmcnt(0)
	v_fma_f64 v[93:94], v[117:118], v[97:98], v[93:94]
	s_waitcnt vmcnt(19)
	v_fma_f64 v[103:104], v[103:104], v[99:100], v[93:94]
	ds_read2_b64 v[93:96], v0 offset0:75 offset1:76
	ds_read2_b64 v[97:100], v0 offset0:77 offset1:78
	s_waitcnt vmcnt(18) lgkmcnt(1)
	v_fma_f64 v[93:94], v[111:112], v[93:94], v[103:104]
	s_waitcnt vmcnt(17)
	v_fma_f64 v[93:94], v[109:110], v[95:96], v[93:94]
	buffer_load_dword v104, off, s[0:3], 0 offset:324
	buffer_load_dword v109, off, s[0:3], 0 offset:344
	;; [unrolled: 1-line block ×7, first 2 shown]
	s_waitcnt vmcnt(23) lgkmcnt(0)
	v_fma_f64 v[93:94], v[105:106], v[97:98], v[93:94]
	s_waitcnt vmcnt(18)
	v_fma_f64 v[105:106], v[107:108], v[99:100], v[93:94]
	ds_read2_b64 v[93:96], v0 offset0:79 offset1:80
	ds_read2_b64 v[97:100], v0 offset0:81 offset1:82
	buffer_load_dword v110, off, s[0:3], 0 offset:348
	s_waitcnt vmcnt(18) lgkmcnt(1)
	v_fma_f64 v[93:94], v[121:122], v[93:94], v[105:106]
	s_waitcnt vmcnt(17)
	v_fma_f64 v[95:96], v[119:120], v[95:96], v[93:94]
	buffer_load_dword v94, off, s[0:3], 0 offset:356
	buffer_load_dword v105, off, s[0:3], 0 offset:360
	;; [unrolled: 1-line block ×4, first 2 shown]
	buffer_load_dword v107, off, s[0:3], 0
	buffer_load_dword v108, off, s[0:3], 0 offset:4
	s_waitcnt vmcnt(22) lgkmcnt(0)
	v_fma_f64 v[95:96], v[113:114], v[97:98], v[95:96]
	s_waitcnt vmcnt(17)
	v_fma_f64 v[113:114], v[101:102], v[99:100], v[95:96]
	ds_read2_b64 v[95:98], v0 offset0:83 offset1:84
	ds_read2_b64 v[99:102], v0 offset0:85 offset1:86
	s_waitcnt vmcnt(16) lgkmcnt(1)
	v_fma_f64 v[95:96], v[125:126], v[95:96], v[113:114]
	s_waitcnt vmcnt(15)
	v_fma_f64 v[95:96], v[123:124], v[97:98], v[95:96]
	s_waitcnt vmcnt(14) lgkmcnt(0)
	v_fma_f64 v[95:96], v[115:116], v[99:100], v[95:96]
	s_waitcnt vmcnt(9)
	v_fma_f64 v[103:104], v[103:104], v[101:102], v[95:96]
	ds_read2_b64 v[95:98], v0 offset0:87 offset1:88
	ds_read2_b64 v[99:102], v0 offset0:89 offset1:90
	s_waitcnt vmcnt(8) lgkmcnt(1)
	v_fma_f64 v[95:96], v[117:118], v[95:96], v[103:104]
	s_waitcnt vmcnt(7)
	v_fma_f64 v[95:96], v[111:112], v[97:98], v[95:96]
	ds_read_b64 v[97:98], v0 offset:728
	s_waitcnt vmcnt(6) lgkmcnt(1)
	v_fma_f64 v[95:96], v[109:110], v[99:100], v[95:96]
	s_waitcnt vmcnt(3)
	v_fma_f64 v[95:96], v[93:94], v[101:102], v[95:96]
	s_waitcnt vmcnt(2) lgkmcnt(0)
	v_fma_f64 v[95:96], v[105:106], v[97:98], v[95:96]
	s_waitcnt vmcnt(0)
	v_add_f64 v[95:96], v[107:108], -v[95:96]
	buffer_store_dword v96, off, s[0:3], 0 offset:4
	buffer_store_dword v95, off, s[0:3], 0
	s_cbranch_vccz .LBB109_374
; %bb.284:
	global_load_dword v0, v0, s[12:13] offset:176
	s_waitcnt vmcnt(0)
	v_add_u32_e32 v0, -1, v0
	v_cmp_ne_u32_e32 vcc, 44, v0
	s_cbranch_vccz .LBB109_286
; %bb.285:
	v_lshlrev_b32_e32 v0, 3, v0
	buffer_load_dword v95, v0, s[0:3], 0 offen offset:4
	buffer_load_dword v96, v0, s[0:3], 0 offen
	s_waitcnt vmcnt(1)
	buffer_store_dword v95, off, s[0:3], 0 offset:356
	s_waitcnt vmcnt(1)
	buffer_store_dword v96, off, s[0:3], 0 offset:352
	buffer_store_dword v94, v0, s[0:3], 0 offen offset:4
	buffer_store_dword v93, v0, s[0:3], 0 offen
.LBB109_286:
	v_mov_b32_e32 v0, 0
	global_load_dword v93, v0, s[12:13] offset:172
	s_waitcnt vmcnt(0)
	v_add_u32_e32 v93, -1, v93
	v_cmp_eq_u32_e32 vcc, 43, v93
	s_cbranch_vccnz .LBB109_288
; %bb.287:
	v_lshlrev_b32_e32 v93, 3, v93
	buffer_load_dword v94, v93, s[0:3], 0 offen
	buffer_load_dword v95, v93, s[0:3], 0 offen offset:4
	buffer_load_dword v96, off, s[0:3], 0 offset:344
	buffer_load_dword v97, off, s[0:3], 0 offset:348
	s_waitcnt vmcnt(3)
	buffer_store_dword v94, off, s[0:3], 0 offset:344
	s_waitcnt vmcnt(3)
	buffer_store_dword v95, off, s[0:3], 0 offset:348
	s_waitcnt vmcnt(3)
	buffer_store_dword v96, v93, s[0:3], 0 offen
	s_waitcnt vmcnt(3)
	buffer_store_dword v97, v93, s[0:3], 0 offen offset:4
.LBB109_288:
	global_load_dword v0, v0, s[12:13] offset:168
	s_waitcnt vmcnt(0)
	v_add_u32_e32 v0, -1, v0
	v_cmp_eq_u32_e32 vcc, 42, v0
	s_cbranch_vccnz .LBB109_290
; %bb.289:
	v_lshlrev_b32_e32 v0, 3, v0
	buffer_load_dword v93, v0, s[0:3], 0 offen
	buffer_load_dword v94, v0, s[0:3], 0 offen offset:4
	buffer_load_dword v95, off, s[0:3], 0 offset:340
	buffer_load_dword v96, off, s[0:3], 0 offset:336
	s_waitcnt vmcnt(3)
	buffer_store_dword v93, off, s[0:3], 0 offset:336
	s_waitcnt vmcnt(3)
	buffer_store_dword v94, off, s[0:3], 0 offset:340
	s_waitcnt vmcnt(3)
	buffer_store_dword v95, v0, s[0:3], 0 offen offset:4
	s_waitcnt vmcnt(3)
	buffer_store_dword v96, v0, s[0:3], 0 offen
.LBB109_290:
	v_mov_b32_e32 v0, 0
	global_load_dword v93, v0, s[12:13] offset:164
	s_waitcnt vmcnt(0)
	v_add_u32_e32 v93, -1, v93
	v_cmp_eq_u32_e32 vcc, 41, v93
	s_cbranch_vccnz .LBB109_292
; %bb.291:
	v_lshlrev_b32_e32 v93, 3, v93
	buffer_load_dword v94, v93, s[0:3], 0 offen
	buffer_load_dword v95, v93, s[0:3], 0 offen offset:4
	buffer_load_dword v96, off, s[0:3], 0 offset:328
	buffer_load_dword v97, off, s[0:3], 0 offset:332
	s_waitcnt vmcnt(3)
	buffer_store_dword v94, off, s[0:3], 0 offset:328
	s_waitcnt vmcnt(3)
	buffer_store_dword v95, off, s[0:3], 0 offset:332
	s_waitcnt vmcnt(3)
	buffer_store_dword v96, v93, s[0:3], 0 offen
	s_waitcnt vmcnt(3)
	buffer_store_dword v97, v93, s[0:3], 0 offen offset:4
.LBB109_292:
	global_load_dword v0, v0, s[12:13] offset:160
	s_waitcnt vmcnt(0)
	v_add_u32_e32 v0, -1, v0
	v_cmp_eq_u32_e32 vcc, 40, v0
	s_cbranch_vccnz .LBB109_294
; %bb.293:
	v_lshlrev_b32_e32 v0, 3, v0
	buffer_load_dword v93, v0, s[0:3], 0 offen
	buffer_load_dword v94, v0, s[0:3], 0 offen offset:4
	buffer_load_dword v95, off, s[0:3], 0 offset:324
	buffer_load_dword v96, off, s[0:3], 0 offset:320
	s_waitcnt vmcnt(3)
	buffer_store_dword v93, off, s[0:3], 0 offset:320
	s_waitcnt vmcnt(3)
	buffer_store_dword v94, off, s[0:3], 0 offset:324
	s_waitcnt vmcnt(3)
	buffer_store_dword v95, v0, s[0:3], 0 offen offset:4
	s_waitcnt vmcnt(3)
	buffer_store_dword v96, v0, s[0:3], 0 offen
.LBB109_294:
	;; [unrolled: 41-line block ×21, first 2 shown]
	v_mov_b32_e32 v0, 0
	global_load_dword v93, v0, s[12:13] offset:4
	s_waitcnt vmcnt(0)
	v_add_u32_e32 v93, -1, v93
	v_cmp_eq_u32_e32 vcc, 1, v93
	s_cbranch_vccnz .LBB109_372
; %bb.371:
	v_lshlrev_b32_e32 v93, 3, v93
	buffer_load_dword v94, v93, s[0:3], 0 offen
	buffer_load_dword v95, v93, s[0:3], 0 offen offset:4
	buffer_load_dword v96, off, s[0:3], 0 offset:8
	buffer_load_dword v97, off, s[0:3], 0 offset:12
	s_waitcnt vmcnt(3)
	buffer_store_dword v94, off, s[0:3], 0 offset:8
	s_waitcnt vmcnt(3)
	buffer_store_dword v95, off, s[0:3], 0 offset:12
	s_waitcnt vmcnt(3)
	buffer_store_dword v96, v93, s[0:3], 0 offen
	s_waitcnt vmcnt(3)
	buffer_store_dword v97, v93, s[0:3], 0 offen offset:4
.LBB109_372:
	global_load_dword v0, v0, s[12:13]
	s_nop 0
	buffer_load_dword v95, off, s[0:3], 0
	buffer_load_dword v96, off, s[0:3], 0 offset:4
	s_waitcnt vmcnt(2)
	v_add_u32_e32 v0, -1, v0
	v_cmp_eq_u32_e32 vcc, 0, v0
	s_cbranch_vccnz .LBB109_374
; %bb.373:
	v_lshlrev_b32_e32 v0, 3, v0
	buffer_load_dword v93, v0, s[0:3], 0 offen offset:4
	buffer_load_dword v94, v0, s[0:3], 0 offen
	s_waitcnt vmcnt(1)
	buffer_store_dword v93, off, s[0:3], 0 offset:4
	s_waitcnt vmcnt(1)
	buffer_store_dword v94, off, s[0:3], 0
	buffer_store_dword v96, v0, s[0:3], 0 offen offset:4
	buffer_store_dword v95, v0, s[0:3], 0 offen
	buffer_load_dword v95, off, s[0:3], 0
	s_nop 0
	buffer_load_dword v96, off, s[0:3], 0 offset:4
.LBB109_374:
	s_waitcnt vmcnt(0)
	flat_store_dwordx2 v[1:2], v[95:96]
	buffer_load_dword v0, off, s[0:3], 0 offset:8
	s_nop 0
	buffer_load_dword v1, off, s[0:3], 0 offset:12
	s_waitcnt vmcnt(0)
	flat_store_dwordx2 v[3:4], v[0:1]
	buffer_load_dword v0, off, s[0:3], 0 offset:16
	s_nop 0
	buffer_load_dword v1, off, s[0:3], 0 offset:20
	;; [unrolled: 5-line block ×45, first 2 shown]
	s_waitcnt vmcnt(0)
	flat_store_dwordx2 v[91:92], v[0:1]
	s_endpgm
	.section	.rodata,"a",@progbits
	.p2align	6, 0x0
	.amdhsa_kernel _ZN9rocsolver6v33100L18getri_kernel_smallILi46EdPKPdEEvT1_iilPiilS6_bb
		.amdhsa_group_segment_fixed_size 744
		.amdhsa_private_segment_fixed_size 384
		.amdhsa_kernarg_size 60
		.amdhsa_user_sgpr_count 6
		.amdhsa_user_sgpr_private_segment_buffer 1
		.amdhsa_user_sgpr_dispatch_ptr 0
		.amdhsa_user_sgpr_queue_ptr 0
		.amdhsa_user_sgpr_kernarg_segment_ptr 1
		.amdhsa_user_sgpr_dispatch_id 0
		.amdhsa_user_sgpr_flat_scratch_init 0
		.amdhsa_user_sgpr_private_segment_size 0
		.amdhsa_uses_dynamic_stack 0
		.amdhsa_system_sgpr_private_segment_wavefront_offset 1
		.amdhsa_system_sgpr_workgroup_id_x 1
		.amdhsa_system_sgpr_workgroup_id_y 0
		.amdhsa_system_sgpr_workgroup_id_z 0
		.amdhsa_system_sgpr_workgroup_info 0
		.amdhsa_system_vgpr_workitem_id 0
		.amdhsa_next_free_vgpr 129
		.amdhsa_next_free_sgpr 21
		.amdhsa_reserve_vcc 1
		.amdhsa_reserve_flat_scratch 0
		.amdhsa_float_round_mode_32 0
		.amdhsa_float_round_mode_16_64 0
		.amdhsa_float_denorm_mode_32 3
		.amdhsa_float_denorm_mode_16_64 3
		.amdhsa_dx10_clamp 1
		.amdhsa_ieee_mode 1
		.amdhsa_fp16_overflow 0
		.amdhsa_exception_fp_ieee_invalid_op 0
		.amdhsa_exception_fp_denorm_src 0
		.amdhsa_exception_fp_ieee_div_zero 0
		.amdhsa_exception_fp_ieee_overflow 0
		.amdhsa_exception_fp_ieee_underflow 0
		.amdhsa_exception_fp_ieee_inexact 0
		.amdhsa_exception_int_div_zero 0
	.end_amdhsa_kernel
	.section	.text._ZN9rocsolver6v33100L18getri_kernel_smallILi46EdPKPdEEvT1_iilPiilS6_bb,"axG",@progbits,_ZN9rocsolver6v33100L18getri_kernel_smallILi46EdPKPdEEvT1_iilPiilS6_bb,comdat
.Lfunc_end109:
	.size	_ZN9rocsolver6v33100L18getri_kernel_smallILi46EdPKPdEEvT1_iilPiilS6_bb, .Lfunc_end109-_ZN9rocsolver6v33100L18getri_kernel_smallILi46EdPKPdEEvT1_iilPiilS6_bb
                                        ; -- End function
	.set _ZN9rocsolver6v33100L18getri_kernel_smallILi46EdPKPdEEvT1_iilPiilS6_bb.num_vgpr, 129
	.set _ZN9rocsolver6v33100L18getri_kernel_smallILi46EdPKPdEEvT1_iilPiilS6_bb.num_agpr, 0
	.set _ZN9rocsolver6v33100L18getri_kernel_smallILi46EdPKPdEEvT1_iilPiilS6_bb.numbered_sgpr, 21
	.set _ZN9rocsolver6v33100L18getri_kernel_smallILi46EdPKPdEEvT1_iilPiilS6_bb.num_named_barrier, 0
	.set _ZN9rocsolver6v33100L18getri_kernel_smallILi46EdPKPdEEvT1_iilPiilS6_bb.private_seg_size, 384
	.set _ZN9rocsolver6v33100L18getri_kernel_smallILi46EdPKPdEEvT1_iilPiilS6_bb.uses_vcc, 1
	.set _ZN9rocsolver6v33100L18getri_kernel_smallILi46EdPKPdEEvT1_iilPiilS6_bb.uses_flat_scratch, 0
	.set _ZN9rocsolver6v33100L18getri_kernel_smallILi46EdPKPdEEvT1_iilPiilS6_bb.has_dyn_sized_stack, 0
	.set _ZN9rocsolver6v33100L18getri_kernel_smallILi46EdPKPdEEvT1_iilPiilS6_bb.has_recursion, 0
	.set _ZN9rocsolver6v33100L18getri_kernel_smallILi46EdPKPdEEvT1_iilPiilS6_bb.has_indirect_call, 0
	.section	.AMDGPU.csdata,"",@progbits
; Kernel info:
; codeLenInByte = 56088
; TotalNumSgprs: 25
; NumVgprs: 129
; ScratchSize: 384
; MemoryBound: 1
; FloatMode: 240
; IeeeMode: 1
; LDSByteSize: 744 bytes/workgroup (compile time only)
; SGPRBlocks: 3
; VGPRBlocks: 32
; NumSGPRsForWavesPerEU: 25
; NumVGPRsForWavesPerEU: 129
; Occupancy: 1
; WaveLimiterHint : 1
; COMPUTE_PGM_RSRC2:SCRATCH_EN: 1
; COMPUTE_PGM_RSRC2:USER_SGPR: 6
; COMPUTE_PGM_RSRC2:TRAP_HANDLER: 0
; COMPUTE_PGM_RSRC2:TGID_X_EN: 1
; COMPUTE_PGM_RSRC2:TGID_Y_EN: 0
; COMPUTE_PGM_RSRC2:TGID_Z_EN: 0
; COMPUTE_PGM_RSRC2:TIDIG_COMP_CNT: 0
	.section	.text._ZN9rocsolver6v33100L18getri_kernel_smallILi47EdPKPdEEvT1_iilPiilS6_bb,"axG",@progbits,_ZN9rocsolver6v33100L18getri_kernel_smallILi47EdPKPdEEvT1_iilPiilS6_bb,comdat
	.globl	_ZN9rocsolver6v33100L18getri_kernel_smallILi47EdPKPdEEvT1_iilPiilS6_bb ; -- Begin function _ZN9rocsolver6v33100L18getri_kernel_smallILi47EdPKPdEEvT1_iilPiilS6_bb
	.p2align	8
	.type	_ZN9rocsolver6v33100L18getri_kernel_smallILi47EdPKPdEEvT1_iilPiilS6_bb,@function
_ZN9rocsolver6v33100L18getri_kernel_smallILi47EdPKPdEEvT1_iilPiilS6_bb: ; @_ZN9rocsolver6v33100L18getri_kernel_smallILi47EdPKPdEEvT1_iilPiilS6_bb
; %bb.0:
	s_add_u32 s0, s0, s7
	s_addc_u32 s1, s1, 0
	v_cmp_gt_u32_e32 vcc, 47, v0
	s_and_saveexec_b64 s[8:9], vcc
	s_cbranch_execz .LBB110_196
; %bb.1:
	s_load_dword s18, s[4:5], 0x38
	s_load_dwordx2 s[12:13], s[4:5], 0x0
	s_load_dwordx4 s[8:11], s[4:5], 0x28
	s_waitcnt lgkmcnt(0)
	s_bitcmp1_b32 s18, 8
	s_cselect_b64 s[14:15], -1, 0
	s_ashr_i32 s7, s6, 31
	s_lshl_b64 s[16:17], s[6:7], 3
	s_add_u32 s12, s12, s16
	s_addc_u32 s13, s13, s17
	s_load_dwordx2 s[16:17], s[12:13], 0x0
	s_bfe_u32 s12, s18, 0x10008
	s_cmp_eq_u32 s12, 0
                                        ; implicit-def: $sgpr12_sgpr13
	s_cbranch_scc1 .LBB110_3
; %bb.2:
	s_load_dword s12, s[4:5], 0x20
	s_load_dwordx2 s[18:19], s[4:5], 0x18
	s_mul_i32 s13, s8, s7
	s_mul_hi_u32 s20, s8, s6
	s_add_i32 s20, s20, s13
	s_mul_i32 s9, s9, s6
	s_add_i32 s9, s20, s9
	s_mul_i32 s8, s8, s6
	s_waitcnt lgkmcnt(0)
	s_ashr_i32 s13, s12, 31
	s_lshl_b64 s[8:9], s[8:9], 2
	s_add_u32 s18, s18, s8
	s_addc_u32 s19, s19, s9
	s_lshl_b64 s[8:9], s[12:13], 2
	s_add_u32 s12, s18, s8
	s_addc_u32 s13, s19, s9
.LBB110_3:
	s_load_dwordx2 s[8:9], s[4:5], 0x8
	s_load_dword s18, s[4:5], 0x38
	v_lshlrev_b32_e32 v97, 3, v0
	s_waitcnt lgkmcnt(0)
	s_ashr_i32 s5, s8, 31
	s_mov_b32 s4, s8
	s_lshl_b64 s[4:5], s[4:5], 3
	s_add_u32 s4, s16, s4
	s_addc_u32 s5, s17, s5
	v_mov_b32_e32 v2, s5
	v_add_co_u32_e32 v1, vcc, s4, v97
	v_addc_co_u32_e32 v2, vcc, 0, v2, vcc
	flat_load_dwordx2 v[5:6], v[1:2]
	s_mov_b32 s16, s9
	s_ashr_i32 s17, s9, 31
	s_lshl_b64 s[16:17], s[16:17], 3
	v_mov_b32_e32 v4, s17
	v_add_co_u32_e32 v3, vcc, s16, v1
	v_addc_co_u32_e32 v4, vcc, v2, v4, vcc
	s_add_i32 s8, s9, s9
	v_add_u32_e32 v9, s8, v0
	v_ashrrev_i32_e32 v10, 31, v9
	v_mov_b32_e32 v11, s5
	v_add_u32_e32 v12, s9, v9
	v_ashrrev_i32_e32 v13, 31, v12
	v_mov_b32_e32 v14, s5
	v_mov_b32_e32 v15, s5
	;; [unrolled: 1-line block ×43, first 2 shown]
	s_bitcmp0_b32 s18, 0
	s_waitcnt vmcnt(0) lgkmcnt(0)
	buffer_store_dword v6, off, s[0:3], 0 offset:4
	buffer_store_dword v5, off, s[0:3], 0
	flat_load_dwordx2 v[7:8], v[3:4]
	v_lshlrev_b64 v[5:6], 3, v[9:10]
	s_waitcnt vmcnt(0) lgkmcnt(0)
	buffer_store_dword v8, off, s[0:3], 0 offset:12
	buffer_store_dword v7, off, s[0:3], 0 offset:8
	v_add_co_u32_e32 v5, vcc, s4, v5
	v_addc_co_u32_e32 v6, vcc, v11, v6, vcc
	flat_load_dwordx2 v[10:11], v[5:6]
	v_lshlrev_b64 v[7:8], 3, v[12:13]
	s_waitcnt vmcnt(0) lgkmcnt(0)
	buffer_store_dword v11, off, s[0:3], 0 offset:20
	buffer_store_dword v10, off, s[0:3], 0 offset:16
	v_add_co_u32_e32 v7, vcc, s4, v7
	v_addc_co_u32_e32 v8, vcc, v14, v8, vcc
	flat_load_dwordx2 v[13:14], v[7:8]
	v_add_u32_e32 v11, s9, v12
	v_ashrrev_i32_e32 v12, 31, v11
	v_lshlrev_b64 v[9:10], 3, v[11:12]
	s_waitcnt vmcnt(0) lgkmcnt(0)
	buffer_store_dword v14, off, s[0:3], 0 offset:28
	buffer_store_dword v13, off, s[0:3], 0 offset:24
	v_add_co_u32_e32 v9, vcc, s4, v9
	v_addc_co_u32_e32 v10, vcc, v15, v10, vcc
	flat_load_dwordx2 v[13:14], v[9:10]
	v_add_u32_e32 v15, s9, v11
	v_ashrrev_i32_e32 v16, 31, v15
	v_lshlrev_b64 v[11:12], 3, v[15:16]
	v_add_u32_e32 v18, s9, v15
	v_add_co_u32_e32 v11, vcc, s4, v11
	v_addc_co_u32_e32 v12, vcc, v17, v12, vcc
	v_ashrrev_i32_e32 v19, 31, v18
	s_waitcnt vmcnt(0) lgkmcnt(0)
	buffer_store_dword v14, off, s[0:3], 0 offset:36
	buffer_store_dword v13, off, s[0:3], 0 offset:32
	flat_load_dwordx2 v[16:17], v[11:12]
	v_lshlrev_b64 v[13:14], 3, v[18:19]
	s_waitcnt vmcnt(0) lgkmcnt(0)
	buffer_store_dword v17, off, s[0:3], 0 offset:44
	buffer_store_dword v16, off, s[0:3], 0 offset:40
	v_add_co_u32_e32 v13, vcc, s4, v13
	v_addc_co_u32_e32 v14, vcc, v20, v14, vcc
	flat_load_dwordx2 v[19:20], v[13:14]
	v_add_u32_e32 v17, s9, v18
	v_ashrrev_i32_e32 v18, 31, v17
	v_lshlrev_b64 v[15:16], 3, v[17:18]
	s_waitcnt vmcnt(0) lgkmcnt(0)
	buffer_store_dword v20, off, s[0:3], 0 offset:52
	buffer_store_dword v19, off, s[0:3], 0 offset:48
	v_add_co_u32_e32 v15, vcc, s4, v15
	v_addc_co_u32_e32 v16, vcc, v21, v16, vcc
	flat_load_dwordx2 v[19:20], v[15:16]
	v_add_u32_e32 v21, s9, v17
	v_ashrrev_i32_e32 v22, 31, v21
	v_lshlrev_b64 v[17:18], 3, v[21:22]
	v_add_u32_e32 v24, s9, v21
	v_add_co_u32_e32 v17, vcc, s4, v17
	v_addc_co_u32_e32 v18, vcc, v23, v18, vcc
	v_ashrrev_i32_e32 v25, 31, v24
	s_waitcnt vmcnt(0) lgkmcnt(0)
	buffer_store_dword v20, off, s[0:3], 0 offset:60
	buffer_store_dword v19, off, s[0:3], 0 offset:56
	;; [unrolled: 27-line block ×7, first 2 shown]
	flat_load_dwordx2 v[52:53], v[47:48]
	v_lshlrev_b64 v[49:50], 3, v[54:55]
	s_waitcnt vmcnt(0) lgkmcnt(0)
	buffer_store_dword v53, off, s[0:3], 0 offset:188
	buffer_store_dword v52, off, s[0:3], 0 offset:184
	v_add_co_u32_e32 v49, vcc, s4, v49
	v_addc_co_u32_e32 v50, vcc, v56, v50, vcc
	flat_load_dwordx2 v[55:56], v[49:50]
	v_add_u32_e32 v53, s9, v54
	v_ashrrev_i32_e32 v54, 31, v53
	v_lshlrev_b64 v[51:52], 3, v[53:54]
	s_waitcnt vmcnt(0) lgkmcnt(0)
	buffer_store_dword v56, off, s[0:3], 0 offset:196
	buffer_store_dword v55, off, s[0:3], 0 offset:192
	v_add_co_u32_e32 v51, vcc, s4, v51
	v_addc_co_u32_e32 v52, vcc, v57, v52, vcc
	flat_load_dwordx2 v[55:56], v[51:52]
	v_add_u32_e32 v57, s9, v53
	v_ashrrev_i32_e32 v58, 31, v57
	v_lshlrev_b64 v[53:54], 3, v[57:58]
	v_add_u32_e32 v60, s9, v57
	v_add_co_u32_e32 v53, vcc, s4, v53
	v_addc_co_u32_e32 v54, vcc, v59, v54, vcc
	s_waitcnt vmcnt(0) lgkmcnt(0)
	buffer_store_dword v56, off, s[0:3], 0 offset:204
	buffer_store_dword v55, off, s[0:3], 0 offset:200
	flat_load_dwordx2 v[58:59], v[53:54]
	v_ashrrev_i32_e32 v61, 31, v60
	v_lshlrev_b64 v[55:56], 3, v[60:61]
	s_waitcnt vmcnt(0) lgkmcnt(0)
	buffer_store_dword v59, off, s[0:3], 0 offset:212
	buffer_store_dword v58, off, s[0:3], 0 offset:208
	v_add_co_u32_e32 v55, vcc, s4, v55
	v_addc_co_u32_e32 v56, vcc, v62, v56, vcc
	flat_load_dwordx2 v[61:62], v[55:56]
	v_add_u32_e32 v59, s9, v60
	v_ashrrev_i32_e32 v60, 31, v59
	v_lshlrev_b64 v[57:58], 3, v[59:60]
	s_waitcnt vmcnt(0) lgkmcnt(0)
	buffer_store_dword v62, off, s[0:3], 0 offset:220
	buffer_store_dword v61, off, s[0:3], 0 offset:216
	v_add_co_u32_e32 v57, vcc, s4, v57
	v_addc_co_u32_e32 v58, vcc, v63, v58, vcc
	flat_load_dwordx2 v[61:62], v[57:58]
	v_add_u32_e32 v63, s9, v59
	;; [unrolled: 9-line block ×19, first 2 shown]
	v_ashrrev_i32_e32 v94, 31, v93
	v_lshlrev_b64 v[93:94], 3, v[93:94]
	v_mov_b32_e32 v99, s5
	v_add_co_u32_e32 v93, vcc, s4, v93
	v_addc_co_u32_e32 v94, vcc, v99, v94, vcc
	s_waitcnt vmcnt(0) lgkmcnt(0)
	buffer_store_dword v96, off, s[0:3], 0 offset:364
	buffer_store_dword v95, off, s[0:3], 0 offset:360
	flat_load_dwordx2 v[95:96], v[93:94]
	s_mov_b64 s[8:9], -1
	s_waitcnt vmcnt(0) lgkmcnt(0)
	buffer_store_dword v96, off, s[0:3], 0 offset:372
	buffer_store_dword v95, off, s[0:3], 0 offset:368
	s_cbranch_scc1 .LBB110_194
; %bb.4:
	v_cmp_eq_u32_e64 s[4:5], 0, v0
	s_and_saveexec_b64 s[8:9], s[4:5]
; %bb.5:
	v_mov_b32_e32 v95, 0
	ds_write_b32 v95, v95 offset:376
; %bb.6:
	s_or_b64 exec, exec, s[8:9]
	v_mov_b32_e32 v95, 0
	v_lshl_add_u32 v95, v0, 3, v95
	s_waitcnt lgkmcnt(0)
	; wave barrier
	buffer_load_dword v98, v95, s[0:3], 0 offen
	buffer_load_dword v99, v95, s[0:3], 0 offen offset:4
	s_waitcnt vmcnt(0)
	v_cmp_eq_f64_e32 vcc, 0, v[98:99]
	s_and_saveexec_b64 s[16:17], vcc
	s_cbranch_execz .LBB110_10
; %bb.7:
	v_mov_b32_e32 v96, 0
	ds_read_b32 v99, v96 offset:376
	v_add_u32_e32 v98, 1, v0
	s_waitcnt lgkmcnt(0)
	v_readfirstlane_b32 s8, v99
	s_cmp_eq_u32 s8, 0
	s_cselect_b64 s[18:19], -1, 0
	v_cmp_gt_i32_e32 vcc, s8, v98
	s_or_b64 s[18:19], s[18:19], vcc
	s_and_b64 exec, exec, s[18:19]
	s_cbranch_execz .LBB110_10
; %bb.8:
	s_mov_b64 s[18:19], 0
	v_mov_b32_e32 v99, s8
.LBB110_9:                              ; =>This Inner Loop Header: Depth=1
	ds_cmpst_rtn_b32 v99, v96, v99, v98 offset:376
	s_waitcnt lgkmcnt(0)
	v_cmp_ne_u32_e32 vcc, 0, v99
	v_cmp_le_i32_e64 s[8:9], v99, v98
	s_and_b64 s[8:9], vcc, s[8:9]
	s_and_b64 s[8:9], exec, s[8:9]
	s_or_b64 s[18:19], s[8:9], s[18:19]
	s_andn2_b64 exec, exec, s[18:19]
	s_cbranch_execnz .LBB110_9
.LBB110_10:
	s_or_b64 exec, exec, s[16:17]
	v_mov_b32_e32 v98, 0
	; wave barrier
	ds_read_b32 v96, v98 offset:376
	s_and_saveexec_b64 s[8:9], s[4:5]
	s_cbranch_execz .LBB110_12
; %bb.11:
	s_lshl_b64 s[16:17], s[6:7], 2
	s_add_u32 s16, s10, s16
	s_addc_u32 s17, s11, s17
	s_waitcnt lgkmcnt(0)
	global_store_dword v98, v96, s[16:17]
.LBB110_12:
	s_or_b64 exec, exec, s[8:9]
	s_waitcnt lgkmcnt(0)
	v_cmp_ne_u32_e32 vcc, 0, v96
	s_mov_b64 s[8:9], 0
	s_cbranch_vccnz .LBB110_194
; %bb.13:
	buffer_load_dword v98, v95, s[0:3], 0 offen
	buffer_load_dword v99, v95, s[0:3], 0 offen offset:4
	s_waitcnt vmcnt(0)
	v_div_scale_f64 v[100:101], s[8:9], v[98:99], v[98:99], 1.0
	v_rcp_f64_e32 v[102:103], v[100:101]
	v_fma_f64 v[104:105], -v[100:101], v[102:103], 1.0
	v_fma_f64 v[102:103], v[102:103], v[104:105], v[102:103]
	v_div_scale_f64 v[104:105], vcc, 1.0, v[98:99], 1.0
	v_fma_f64 v[106:107], -v[100:101], v[102:103], 1.0
	v_fma_f64 v[102:103], v[102:103], v[106:107], v[102:103]
	v_mul_f64 v[106:107], v[104:105], v[102:103]
	v_fma_f64 v[100:101], -v[100:101], v[106:107], v[104:105]
	v_div_fmas_f64 v[100:101], v[100:101], v[102:103], v[106:107]
	v_div_fixup_f64 v[99:100], v[100:101], v[98:99], 1.0
	v_add_u32_e32 v98, 0x180, v97
	buffer_store_dword v100, v95, s[0:3], 0 offen offset:4
	buffer_store_dword v99, v95, s[0:3], 0 offen
	buffer_load_dword v102, off, s[0:3], 0 offset:12
	buffer_load_dword v101, off, s[0:3], 0 offset:8
	v_xor_b32_e32 v100, 0x80000000, v100
	s_waitcnt vmcnt(0)
	ds_write2_b64 v97, v[99:100], v[101:102] offset1:48
	s_waitcnt lgkmcnt(0)
	; wave barrier
	s_and_saveexec_b64 s[8:9], s[4:5]
	s_cbranch_execz .LBB110_15
; %bb.14:
	buffer_load_dword v99, v95, s[0:3], 0 offen
	buffer_load_dword v100, v95, s[0:3], 0 offen offset:4
	ds_read_b64 v[101:102], v98
	v_mov_b32_e32 v96, 0
	ds_read_b64 v[103:104], v96 offset:8
	s_waitcnt vmcnt(0) lgkmcnt(1)
	v_fma_f64 v[99:100], v[99:100], v[101:102], 0
	s_waitcnt lgkmcnt(0)
	v_mul_f64 v[99:100], v[99:100], v[103:104]
	buffer_store_dword v99, off, s[0:3], 0 offset:8
	buffer_store_dword v100, off, s[0:3], 0 offset:12
.LBB110_15:
	s_or_b64 exec, exec, s[8:9]
	; wave barrier
	buffer_load_dword v99, off, s[0:3], 0 offset:16
	buffer_load_dword v100, off, s[0:3], 0 offset:20
	v_cmp_gt_u32_e32 vcc, 2, v0
	s_waitcnt vmcnt(0)
	ds_write_b64 v98, v[99:100]
	s_waitcnt lgkmcnt(0)
	; wave barrier
	s_and_saveexec_b64 s[8:9], vcc
	s_cbranch_execz .LBB110_17
; %bb.16:
	buffer_load_dword v99, v95, s[0:3], 0 offen
	buffer_load_dword v100, v95, s[0:3], 0 offen offset:4
                                        ; kill: killed $vgpr95
	s_nop 0
	buffer_load_dword v95, off, s[0:3], 0 offset:8
	buffer_load_dword v96, off, s[0:3], 0 offset:12
	ds_read_b64 v[101:102], v98
	s_waitcnt vmcnt(2) lgkmcnt(0)
	v_fma_f64 v[103:104], v[99:100], v[101:102], 0
	v_mov_b32_e32 v99, 0
	ds_read2_b64 v[99:102], v99 offset0:2 offset1:49
	s_waitcnt vmcnt(0) lgkmcnt(0)
	v_fma_f64 v[95:96], v[95:96], v[101:102], v[103:104]
	v_cndmask_b32_e64 v96, v104, v96, s[4:5]
	v_cndmask_b32_e64 v95, v103, v95, s[4:5]
	v_mul_f64 v[95:96], v[95:96], v[99:100]
	buffer_store_dword v96, off, s[0:3], 0 offset:20
	buffer_store_dword v95, off, s[0:3], 0 offset:16
.LBB110_17:
	s_or_b64 exec, exec, s[8:9]
	; wave barrier
	buffer_load_dword v95, off, s[0:3], 0 offset:24
	buffer_load_dword v96, off, s[0:3], 0 offset:28
	v_cmp_gt_u32_e32 vcc, 3, v0
	v_add_u32_e32 v99, -1, v0
	s_waitcnt vmcnt(0)
	ds_write_b64 v98, v[95:96]
	s_waitcnt lgkmcnt(0)
	; wave barrier
	s_and_saveexec_b64 s[4:5], vcc
	s_cbranch_execz .LBB110_21
; %bb.18:
	v_mov_b32_e32 v95, 0
	v_add_u32_e32 v100, -1, v0
	v_add_u32_e32 v101, 0x180, v97
	v_mov_b32_e32 v102, v97
	v_mov_b32_e32 v96, 0
	s_mov_b64 s[8:9], 0
.LBB110_19:                             ; =>This Inner Loop Header: Depth=1
	buffer_load_dword v103, v102, s[0:3], 0 offen
	buffer_load_dword v104, v102, s[0:3], 0 offen offset:4
	ds_read_b64 v[105:106], v101
	v_add_u32_e32 v100, 1, v100
	v_cmp_lt_u32_e32 vcc, 1, v100
	v_add_u32_e32 v101, 8, v101
	s_or_b64 s[8:9], vcc, s[8:9]
	v_add_u32_e32 v102, 8, v102
	s_waitcnt vmcnt(0) lgkmcnt(0)
	v_fma_f64 v[95:96], v[103:104], v[105:106], v[95:96]
	s_andn2_b64 exec, exec, s[8:9]
	s_cbranch_execnz .LBB110_19
; %bb.20:
	s_or_b64 exec, exec, s[8:9]
	v_mov_b32_e32 v100, 0
	ds_read_b64 v[100:101], v100 offset:24
	s_waitcnt lgkmcnt(0)
	v_mul_f64 v[95:96], v[95:96], v[100:101]
	buffer_store_dword v96, off, s[0:3], 0 offset:28
	buffer_store_dword v95, off, s[0:3], 0 offset:24
.LBB110_21:
	s_or_b64 exec, exec, s[4:5]
	; wave barrier
	buffer_load_dword v95, off, s[0:3], 0 offset:32
	buffer_load_dword v96, off, s[0:3], 0 offset:36
	v_cmp_gt_u32_e32 vcc, 4, v0
	s_waitcnt vmcnt(0)
	ds_write_b64 v98, v[95:96]
	s_waitcnt lgkmcnt(0)
	; wave barrier
	s_and_saveexec_b64 s[4:5], vcc
	s_cbranch_execz .LBB110_25
; %bb.22:
	v_mov_b32_e32 v95, 0
	v_add_u32_e32 v100, -1, v0
	v_add_u32_e32 v101, 0x180, v97
	v_mov_b32_e32 v102, v97
	v_mov_b32_e32 v96, 0
	s_mov_b64 s[8:9], 0
.LBB110_23:                             ; =>This Inner Loop Header: Depth=1
	buffer_load_dword v103, v102, s[0:3], 0 offen
	buffer_load_dword v104, v102, s[0:3], 0 offen offset:4
	ds_read_b64 v[105:106], v101
	v_add_u32_e32 v100, 1, v100
	v_cmp_lt_u32_e32 vcc, 2, v100
	v_add_u32_e32 v101, 8, v101
	s_or_b64 s[8:9], vcc, s[8:9]
	v_add_u32_e32 v102, 8, v102
	s_waitcnt vmcnt(0) lgkmcnt(0)
	v_fma_f64 v[95:96], v[103:104], v[105:106], v[95:96]
	s_andn2_b64 exec, exec, s[8:9]
	s_cbranch_execnz .LBB110_23
; %bb.24:
	s_or_b64 exec, exec, s[8:9]
	v_mov_b32_e32 v100, 0
	ds_read_b64 v[100:101], v100 offset:32
	s_waitcnt lgkmcnt(0)
	v_mul_f64 v[95:96], v[95:96], v[100:101]
	buffer_store_dword v96, off, s[0:3], 0 offset:36
	buffer_store_dword v95, off, s[0:3], 0 offset:32
.LBB110_25:
	s_or_b64 exec, exec, s[4:5]
	; wave barrier
	buffer_load_dword v95, off, s[0:3], 0 offset:40
	buffer_load_dword v96, off, s[0:3], 0 offset:44
	v_cmp_gt_u32_e32 vcc, 5, v0
	;; [unrolled: 40-line block ×21, first 2 shown]
	s_waitcnt vmcnt(0)
	ds_write_b64 v98, v[95:96]
	s_waitcnt lgkmcnt(0)
	; wave barrier
	s_and_saveexec_b64 s[4:5], vcc
	s_cbranch_execz .LBB110_105
; %bb.102:
	v_mov_b32_e32 v95, 0
	v_add_u32_e32 v100, -1, v0
	v_add_u32_e32 v101, 0x180, v97
	v_mov_b32_e32 v102, v97
	v_mov_b32_e32 v96, 0
	s_mov_b64 s[8:9], 0
.LBB110_103:                            ; =>This Inner Loop Header: Depth=1
	buffer_load_dword v103, v102, s[0:3], 0 offen
	buffer_load_dword v104, v102, s[0:3], 0 offen offset:4
	ds_read_b64 v[105:106], v101
	v_add_u32_e32 v100, 1, v100
	v_cmp_lt_u32_e32 vcc, 22, v100
	v_add_u32_e32 v101, 8, v101
	s_or_b64 s[8:9], vcc, s[8:9]
	v_add_u32_e32 v102, 8, v102
	s_waitcnt vmcnt(0) lgkmcnt(0)
	v_fma_f64 v[95:96], v[103:104], v[105:106], v[95:96]
	s_andn2_b64 exec, exec, s[8:9]
	s_cbranch_execnz .LBB110_103
; %bb.104:
	s_or_b64 exec, exec, s[8:9]
	v_mov_b32_e32 v100, 0
	ds_read_b64 v[100:101], v100 offset:192
	s_waitcnt lgkmcnt(0)
	v_mul_f64 v[95:96], v[95:96], v[100:101]
	buffer_store_dword v96, off, s[0:3], 0 offset:196
	buffer_store_dword v95, off, s[0:3], 0 offset:192
.LBB110_105:
	s_or_b64 exec, exec, s[4:5]
	; wave barrier
	buffer_load_dword v95, off, s[0:3], 0 offset:200
	buffer_load_dword v96, off, s[0:3], 0 offset:204
	v_cmp_gt_u32_e32 vcc, 25, v0
	s_waitcnt vmcnt(0)
	ds_write_b64 v98, v[95:96]
	s_waitcnt lgkmcnt(0)
	; wave barrier
	s_and_saveexec_b64 s[4:5], vcc
	s_cbranch_execz .LBB110_109
; %bb.106:
	v_mov_b32_e32 v95, 0
	v_add_u32_e32 v100, -1, v0
	v_add_u32_e32 v101, 0x180, v97
	v_mov_b32_e32 v102, v97
	v_mov_b32_e32 v96, 0
	s_mov_b64 s[8:9], 0
.LBB110_107:                            ; =>This Inner Loop Header: Depth=1
	buffer_load_dword v103, v102, s[0:3], 0 offen
	buffer_load_dword v104, v102, s[0:3], 0 offen offset:4
	ds_read_b64 v[105:106], v101
	v_add_u32_e32 v100, 1, v100
	v_cmp_lt_u32_e32 vcc, 23, v100
	v_add_u32_e32 v101, 8, v101
	s_or_b64 s[8:9], vcc, s[8:9]
	v_add_u32_e32 v102, 8, v102
	s_waitcnt vmcnt(0) lgkmcnt(0)
	v_fma_f64 v[95:96], v[103:104], v[105:106], v[95:96]
	s_andn2_b64 exec, exec, s[8:9]
	s_cbranch_execnz .LBB110_107
; %bb.108:
	s_or_b64 exec, exec, s[8:9]
	v_mov_b32_e32 v100, 0
	ds_read_b64 v[100:101], v100 offset:200
	s_waitcnt lgkmcnt(0)
	v_mul_f64 v[95:96], v[95:96], v[100:101]
	buffer_store_dword v96, off, s[0:3], 0 offset:204
	buffer_store_dword v95, off, s[0:3], 0 offset:200
.LBB110_109:
	s_or_b64 exec, exec, s[4:5]
	; wave barrier
	buffer_load_dword v95, off, s[0:3], 0 offset:208
	buffer_load_dword v96, off, s[0:3], 0 offset:212
	v_cmp_gt_u32_e32 vcc, 26, v0
	;; [unrolled: 40-line block ×21, first 2 shown]
	s_waitcnt vmcnt(0)
	ds_write_b64 v98, v[95:96]
	s_waitcnt lgkmcnt(0)
	; wave barrier
	s_and_saveexec_b64 s[4:5], vcc
	s_cbranch_execz .LBB110_189
; %bb.186:
	v_mov_b32_e32 v95, 0
	v_add_u32_e32 v100, -1, v0
	v_add_u32_e32 v101, 0x180, v97
	v_mov_b32_e32 v102, v97
	v_mov_b32_e32 v96, 0
	s_mov_b64 s[8:9], 0
.LBB110_187:                            ; =>This Inner Loop Header: Depth=1
	buffer_load_dword v103, v102, s[0:3], 0 offen
	buffer_load_dword v104, v102, s[0:3], 0 offen offset:4
	ds_read_b64 v[105:106], v101
	v_add_u32_e32 v100, 1, v100
	v_cmp_lt_u32_e32 vcc, 43, v100
	v_add_u32_e32 v101, 8, v101
	s_or_b64 s[8:9], vcc, s[8:9]
	v_add_u32_e32 v102, 8, v102
	s_waitcnt vmcnt(0) lgkmcnt(0)
	v_fma_f64 v[95:96], v[103:104], v[105:106], v[95:96]
	s_andn2_b64 exec, exec, s[8:9]
	s_cbranch_execnz .LBB110_187
; %bb.188:
	s_or_b64 exec, exec, s[8:9]
	v_mov_b32_e32 v100, 0
	ds_read_b64 v[100:101], v100 offset:360
	s_waitcnt lgkmcnt(0)
	v_mul_f64 v[95:96], v[95:96], v[100:101]
	buffer_store_dword v96, off, s[0:3], 0 offset:364
	buffer_store_dword v95, off, s[0:3], 0 offset:360
.LBB110_189:
	s_or_b64 exec, exec, s[4:5]
	; wave barrier
	buffer_load_dword v95, off, s[0:3], 0 offset:368
	buffer_load_dword v96, off, s[0:3], 0 offset:372
	v_cmp_ne_u32_e32 vcc, 46, v0
	s_waitcnt vmcnt(0)
	ds_write_b64 v98, v[95:96]
	s_waitcnt lgkmcnt(0)
	; wave barrier
	s_and_saveexec_b64 s[4:5], vcc
	s_cbranch_execz .LBB110_193
; %bb.190:
	v_mov_b32_e32 v95, 0
	v_add_u32_e32 v98, 0x180, v97
	v_mov_b32_e32 v96, 0
	s_mov_b64 s[8:9], 0
.LBB110_191:                            ; =>This Inner Loop Header: Depth=1
	buffer_load_dword v100, v97, s[0:3], 0 offen
	buffer_load_dword v101, v97, s[0:3], 0 offen offset:4
	ds_read_b64 v[102:103], v98
	v_add_u32_e32 v99, 1, v99
	v_cmp_lt_u32_e32 vcc, 44, v99
	v_add_u32_e32 v98, 8, v98
	s_or_b64 s[8:9], vcc, s[8:9]
	v_add_u32_e32 v97, 8, v97
	s_waitcnt vmcnt(0) lgkmcnt(0)
	v_fma_f64 v[95:96], v[100:101], v[102:103], v[95:96]
	s_andn2_b64 exec, exec, s[8:9]
	s_cbranch_execnz .LBB110_191
; %bb.192:
	s_or_b64 exec, exec, s[8:9]
	v_mov_b32_e32 v97, 0
	ds_read_b64 v[97:98], v97 offset:368
	s_waitcnt lgkmcnt(0)
	v_mul_f64 v[95:96], v[95:96], v[97:98]
	buffer_store_dword v96, off, s[0:3], 0 offset:372
	buffer_store_dword v95, off, s[0:3], 0 offset:368
.LBB110_193:
	s_or_b64 exec, exec, s[4:5]
	s_mov_b64 s[8:9], -1
	; wave barrier
.LBB110_194:
	s_and_b64 vcc, exec, s[8:9]
	s_cbranch_vccz .LBB110_196
; %bb.195:
	s_lshl_b64 s[4:5], s[6:7], 2
	s_add_u32 s4, s10, s4
	s_addc_u32 s5, s11, s5
	v_mov_b32_e32 v95, 0
	global_load_dword v95, v95, s[4:5]
	s_waitcnt vmcnt(0)
	v_cmp_ne_u32_e32 vcc, 0, v95
	s_cbranch_vccz .LBB110_197
.LBB110_196:
	s_endpgm
.LBB110_197:
	v_mov_b32_e32 v95, 0x180
	v_lshl_add_u32 v95, v0, 3, v95
	v_cmp_eq_u32_e32 vcc, 46, v0
	s_and_saveexec_b64 s[4:5], vcc
	s_cbranch_execz .LBB110_199
; %bb.198:
	buffer_load_dword v96, off, s[0:3], 0 offset:360
	buffer_load_dword v97, off, s[0:3], 0 offset:364
	v_mov_b32_e32 v98, 0
	buffer_store_dword v98, off, s[0:3], 0 offset:360
	buffer_store_dword v98, off, s[0:3], 0 offset:364
	s_waitcnt vmcnt(2)
	ds_write_b64 v95, v[96:97]
.LBB110_199:
	s_or_b64 exec, exec, s[4:5]
	s_waitcnt lgkmcnt(0)
	; wave barrier
	buffer_load_dword v97, off, s[0:3], 0 offset:368
	buffer_load_dword v98, off, s[0:3], 0 offset:372
	;; [unrolled: 1-line block ×4, first 2 shown]
	v_mov_b32_e32 v96, 0
	ds_read_b64 v[101:102], v96 offset:752
	v_cmp_lt_u32_e32 vcc, 44, v0
	s_waitcnt vmcnt(2) lgkmcnt(0)
	v_fma_f64 v[97:98], v[97:98], v[101:102], 0
	s_waitcnt vmcnt(0)
	v_add_f64 v[97:98], v[99:100], -v[97:98]
	buffer_store_dword v97, off, s[0:3], 0 offset:360
	buffer_store_dword v98, off, s[0:3], 0 offset:364
	s_and_saveexec_b64 s[4:5], vcc
	s_cbranch_execz .LBB110_201
; %bb.200:
	buffer_load_dword v97, off, s[0:3], 0 offset:352
	buffer_load_dword v98, off, s[0:3], 0 offset:356
	s_waitcnt vmcnt(0)
	ds_write_b64 v95, v[97:98]
	buffer_store_dword v96, off, s[0:3], 0 offset:352
	buffer_store_dword v96, off, s[0:3], 0 offset:356
.LBB110_201:
	s_or_b64 exec, exec, s[4:5]
	s_waitcnt lgkmcnt(0)
	; wave barrier
	buffer_load_dword v100, off, s[0:3], 0 offset:360
	buffer_load_dword v101, off, s[0:3], 0 offset:364
	;; [unrolled: 1-line block ×6, first 2 shown]
	ds_read2_b64 v[96:99], v96 offset0:93 offset1:94
	v_cmp_lt_u32_e32 vcc, 43, v0
	s_waitcnt vmcnt(4) lgkmcnt(0)
	v_fma_f64 v[96:97], v[100:101], v[96:97], 0
	s_waitcnt vmcnt(2)
	v_fma_f64 v[96:97], v[102:103], v[98:99], v[96:97]
	s_waitcnt vmcnt(0)
	v_add_f64 v[96:97], v[104:105], -v[96:97]
	buffer_store_dword v96, off, s[0:3], 0 offset:352
	buffer_store_dword v97, off, s[0:3], 0 offset:356
	s_and_saveexec_b64 s[4:5], vcc
	s_cbranch_execz .LBB110_203
; %bb.202:
	buffer_load_dword v96, off, s[0:3], 0 offset:344
	buffer_load_dword v97, off, s[0:3], 0 offset:348
	v_mov_b32_e32 v98, 0
	buffer_store_dword v98, off, s[0:3], 0 offset:344
	buffer_store_dword v98, off, s[0:3], 0 offset:348
	s_waitcnt vmcnt(2)
	ds_write_b64 v95, v[96:97]
.LBB110_203:
	s_or_b64 exec, exec, s[4:5]
	s_waitcnt lgkmcnt(0)
	; wave barrier
	buffer_load_dword v101, off, s[0:3], 0 offset:352
	buffer_load_dword v102, off, s[0:3], 0 offset:356
	;; [unrolled: 1-line block ×8, first 2 shown]
	v_mov_b32_e32 v96, 0
	ds_read_b128 v[97:100], v96 offset:736
	ds_read_b64 v[109:110], v96 offset:752
	v_cmp_lt_u32_e32 vcc, 42, v0
	s_waitcnt vmcnt(6) lgkmcnt(1)
	v_fma_f64 v[97:98], v[101:102], v[97:98], 0
	s_waitcnt vmcnt(4)
	v_fma_f64 v[97:98], v[103:104], v[99:100], v[97:98]
	s_waitcnt vmcnt(2) lgkmcnt(0)
	v_fma_f64 v[97:98], v[105:106], v[109:110], v[97:98]
	s_waitcnt vmcnt(0)
	v_add_f64 v[97:98], v[107:108], -v[97:98]
	buffer_store_dword v97, off, s[0:3], 0 offset:344
	buffer_store_dword v98, off, s[0:3], 0 offset:348
	s_and_saveexec_b64 s[4:5], vcc
	s_cbranch_execz .LBB110_205
; %bb.204:
	buffer_load_dword v97, off, s[0:3], 0 offset:336
	buffer_load_dword v98, off, s[0:3], 0 offset:340
	s_waitcnt vmcnt(0)
	ds_write_b64 v95, v[97:98]
	buffer_store_dword v96, off, s[0:3], 0 offset:336
	buffer_store_dword v96, off, s[0:3], 0 offset:340
.LBB110_205:
	s_or_b64 exec, exec, s[4:5]
	s_waitcnt lgkmcnt(0)
	; wave barrier
	buffer_load_dword v105, off, s[0:3], 0 offset:344
	buffer_load_dword v106, off, s[0:3], 0 offset:348
	;; [unrolled: 1-line block ×10, first 2 shown]
	ds_read2_b64 v[97:100], v96 offset0:91 offset1:92
	ds_read2_b64 v[101:104], v96 offset0:93 offset1:94
	v_cmp_lt_u32_e32 vcc, 41, v0
	s_waitcnt vmcnt(8) lgkmcnt(1)
	v_fma_f64 v[96:97], v[105:106], v[97:98], 0
	s_waitcnt vmcnt(6)
	v_fma_f64 v[96:97], v[107:108], v[99:100], v[96:97]
	s_waitcnt vmcnt(4) lgkmcnt(0)
	v_fma_f64 v[96:97], v[109:110], v[101:102], v[96:97]
	s_waitcnt vmcnt(2)
	v_fma_f64 v[96:97], v[111:112], v[103:104], v[96:97]
	s_waitcnt vmcnt(0)
	v_add_f64 v[96:97], v[113:114], -v[96:97]
	buffer_store_dword v96, off, s[0:3], 0 offset:336
	buffer_store_dword v97, off, s[0:3], 0 offset:340
	s_and_saveexec_b64 s[4:5], vcc
	s_cbranch_execz .LBB110_207
; %bb.206:
	buffer_load_dword v96, off, s[0:3], 0 offset:328
	buffer_load_dword v97, off, s[0:3], 0 offset:332
	v_mov_b32_e32 v98, 0
	buffer_store_dword v98, off, s[0:3], 0 offset:328
	buffer_store_dword v98, off, s[0:3], 0 offset:332
	s_waitcnt vmcnt(2)
	ds_write_b64 v95, v[96:97]
.LBB110_207:
	s_or_b64 exec, exec, s[4:5]
	s_waitcnt lgkmcnt(0)
	; wave barrier
	buffer_load_dword v105, off, s[0:3], 0 offset:336
	buffer_load_dword v106, off, s[0:3], 0 offset:340
	;; [unrolled: 1-line block ×12, first 2 shown]
	v_mov_b32_e32 v96, 0
	ds_read_b128 v[97:100], v96 offset:720
	ds_read_b128 v[101:104], v96 offset:736
	v_cmp_lt_u32_e32 vcc, 40, v0
	s_waitcnt vmcnt(10) lgkmcnt(1)
	v_fma_f64 v[97:98], v[105:106], v[97:98], 0
	s_waitcnt vmcnt(8)
	v_fma_f64 v[97:98], v[107:108], v[99:100], v[97:98]
	ds_read_b64 v[99:100], v96 offset:752
	s_waitcnt vmcnt(6) lgkmcnt(1)
	v_fma_f64 v[97:98], v[109:110], v[101:102], v[97:98]
	s_waitcnt vmcnt(4)
	v_fma_f64 v[97:98], v[111:112], v[103:104], v[97:98]
	s_waitcnt vmcnt(2) lgkmcnt(0)
	v_fma_f64 v[97:98], v[113:114], v[99:100], v[97:98]
	s_waitcnt vmcnt(0)
	v_add_f64 v[97:98], v[115:116], -v[97:98]
	buffer_store_dword v97, off, s[0:3], 0 offset:328
	buffer_store_dword v98, off, s[0:3], 0 offset:332
	s_and_saveexec_b64 s[4:5], vcc
	s_cbranch_execz .LBB110_209
; %bb.208:
	buffer_load_dword v97, off, s[0:3], 0 offset:320
	buffer_load_dword v98, off, s[0:3], 0 offset:324
	s_waitcnt vmcnt(0)
	ds_write_b64 v95, v[97:98]
	buffer_store_dword v96, off, s[0:3], 0 offset:320
	buffer_store_dword v96, off, s[0:3], 0 offset:324
.LBB110_209:
	s_or_b64 exec, exec, s[4:5]
	s_waitcnt lgkmcnt(0)
	; wave barrier
	buffer_load_dword v105, off, s[0:3], 0 offset:328
	buffer_load_dword v106, off, s[0:3], 0 offset:332
	;; [unrolled: 1-line block ×14, first 2 shown]
	ds_read2_b64 v[97:100], v96 offset0:89 offset1:90
	ds_read2_b64 v[101:104], v96 offset0:91 offset1:92
	v_cmp_lt_u32_e32 vcc, 39, v0
	s_waitcnt vmcnt(12) lgkmcnt(1)
	v_fma_f64 v[97:98], v[105:106], v[97:98], 0
	s_waitcnt vmcnt(10)
	v_fma_f64 v[97:98], v[107:108], v[99:100], v[97:98]
	s_waitcnt vmcnt(8) lgkmcnt(0)
	v_fma_f64 v[97:98], v[109:110], v[101:102], v[97:98]
	s_waitcnt vmcnt(6)
	v_fma_f64 v[100:101], v[111:112], v[103:104], v[97:98]
	ds_read2_b64 v[96:99], v96 offset0:93 offset1:94
	s_waitcnt vmcnt(4) lgkmcnt(0)
	v_fma_f64 v[96:97], v[113:114], v[96:97], v[100:101]
	s_waitcnt vmcnt(2)
	v_fma_f64 v[96:97], v[115:116], v[98:99], v[96:97]
	s_waitcnt vmcnt(0)
	v_add_f64 v[96:97], v[117:118], -v[96:97]
	buffer_store_dword v96, off, s[0:3], 0 offset:320
	buffer_store_dword v97, off, s[0:3], 0 offset:324
	s_and_saveexec_b64 s[4:5], vcc
	s_cbranch_execz .LBB110_211
; %bb.210:
	buffer_load_dword v96, off, s[0:3], 0 offset:312
	buffer_load_dword v97, off, s[0:3], 0 offset:316
	v_mov_b32_e32 v98, 0
	buffer_store_dword v98, off, s[0:3], 0 offset:312
	buffer_store_dword v98, off, s[0:3], 0 offset:316
	s_waitcnt vmcnt(2)
	ds_write_b64 v95, v[96:97]
.LBB110_211:
	s_or_b64 exec, exec, s[4:5]
	s_waitcnt lgkmcnt(0)
	; wave barrier
	buffer_load_dword v105, off, s[0:3], 0 offset:320
	buffer_load_dword v106, off, s[0:3], 0 offset:324
	buffer_load_dword v107, off, s[0:3], 0 offset:328
	buffer_load_dword v108, off, s[0:3], 0 offset:332
	buffer_load_dword v109, off, s[0:3], 0 offset:336
	buffer_load_dword v110, off, s[0:3], 0 offset:340
	buffer_load_dword v111, off, s[0:3], 0 offset:344
	buffer_load_dword v112, off, s[0:3], 0 offset:348
	buffer_load_dword v113, off, s[0:3], 0 offset:352
	buffer_load_dword v114, off, s[0:3], 0 offset:356
	buffer_load_dword v115, off, s[0:3], 0 offset:360
	buffer_load_dword v116, off, s[0:3], 0 offset:364
	buffer_load_dword v117, off, s[0:3], 0 offset:368
	buffer_load_dword v118, off, s[0:3], 0 offset:372
	buffer_load_dword v119, off, s[0:3], 0 offset:312
	buffer_load_dword v120, off, s[0:3], 0 offset:316
	v_mov_b32_e32 v96, 0
	ds_read_b128 v[97:100], v96 offset:704
	ds_read_b128 v[101:104], v96 offset:720
	v_cmp_lt_u32_e32 vcc, 38, v0
	s_waitcnt vmcnt(14) lgkmcnt(1)
	v_fma_f64 v[97:98], v[105:106], v[97:98], 0
	s_waitcnt vmcnt(12)
	v_fma_f64 v[97:98], v[107:108], v[99:100], v[97:98]
	s_waitcnt vmcnt(10) lgkmcnt(0)
	v_fma_f64 v[97:98], v[109:110], v[101:102], v[97:98]
	s_waitcnt vmcnt(8)
	v_fma_f64 v[101:102], v[111:112], v[103:104], v[97:98]
	ds_read_b128 v[97:100], v96 offset:736
	ds_read_b64 v[103:104], v96 offset:752
	s_waitcnt vmcnt(6) lgkmcnt(1)
	v_fma_f64 v[97:98], v[113:114], v[97:98], v[101:102]
	s_waitcnt vmcnt(4)
	v_fma_f64 v[97:98], v[115:116], v[99:100], v[97:98]
	s_waitcnt vmcnt(2) lgkmcnt(0)
	v_fma_f64 v[97:98], v[117:118], v[103:104], v[97:98]
	s_waitcnt vmcnt(0)
	v_add_f64 v[97:98], v[119:120], -v[97:98]
	buffer_store_dword v97, off, s[0:3], 0 offset:312
	buffer_store_dword v98, off, s[0:3], 0 offset:316
	s_and_saveexec_b64 s[4:5], vcc
	s_cbranch_execz .LBB110_213
; %bb.212:
	buffer_load_dword v97, off, s[0:3], 0 offset:304
	buffer_load_dword v98, off, s[0:3], 0 offset:308
	s_waitcnt vmcnt(0)
	ds_write_b64 v95, v[97:98]
	buffer_store_dword v96, off, s[0:3], 0 offset:304
	buffer_store_dword v96, off, s[0:3], 0 offset:308
.LBB110_213:
	s_or_b64 exec, exec, s[4:5]
	s_waitcnt lgkmcnt(0)
	; wave barrier
	buffer_load_dword v105, off, s[0:3], 0 offset:312
	buffer_load_dword v106, off, s[0:3], 0 offset:316
	;; [unrolled: 1-line block ×18, first 2 shown]
	ds_read2_b64 v[97:100], v96 offset0:87 offset1:88
	ds_read2_b64 v[101:104], v96 offset0:89 offset1:90
	v_cmp_lt_u32_e32 vcc, 37, v0
	s_waitcnt vmcnt(16) lgkmcnt(1)
	v_fma_f64 v[97:98], v[105:106], v[97:98], 0
	s_waitcnt vmcnt(14)
	v_fma_f64 v[97:98], v[107:108], v[99:100], v[97:98]
	s_waitcnt vmcnt(12) lgkmcnt(0)
	v_fma_f64 v[97:98], v[109:110], v[101:102], v[97:98]
	s_waitcnt vmcnt(10)
	v_fma_f64 v[105:106], v[111:112], v[103:104], v[97:98]
	ds_read2_b64 v[97:100], v96 offset0:91 offset1:92
	ds_read2_b64 v[101:104], v96 offset0:93 offset1:94
	s_waitcnt vmcnt(8) lgkmcnt(1)
	v_fma_f64 v[96:97], v[113:114], v[97:98], v[105:106]
	s_waitcnt vmcnt(6)
	v_fma_f64 v[96:97], v[115:116], v[99:100], v[96:97]
	s_waitcnt vmcnt(4) lgkmcnt(0)
	v_fma_f64 v[96:97], v[117:118], v[101:102], v[96:97]
	s_waitcnt vmcnt(2)
	v_fma_f64 v[96:97], v[119:120], v[103:104], v[96:97]
	s_waitcnt vmcnt(0)
	v_add_f64 v[96:97], v[121:122], -v[96:97]
	buffer_store_dword v96, off, s[0:3], 0 offset:304
	buffer_store_dword v97, off, s[0:3], 0 offset:308
	s_and_saveexec_b64 s[4:5], vcc
	s_cbranch_execz .LBB110_215
; %bb.214:
	buffer_load_dword v96, off, s[0:3], 0 offset:296
	buffer_load_dword v97, off, s[0:3], 0 offset:300
	v_mov_b32_e32 v98, 0
	buffer_store_dword v98, off, s[0:3], 0 offset:296
	buffer_store_dword v98, off, s[0:3], 0 offset:300
	s_waitcnt vmcnt(2)
	ds_write_b64 v95, v[96:97]
.LBB110_215:
	s_or_b64 exec, exec, s[4:5]
	s_waitcnt lgkmcnt(0)
	; wave barrier
	buffer_load_dword v105, off, s[0:3], 0 offset:304
	buffer_load_dword v106, off, s[0:3], 0 offset:308
	;; [unrolled: 1-line block ×20, first 2 shown]
	v_mov_b32_e32 v96, 0
	ds_read_b128 v[97:100], v96 offset:688
	ds_read_b128 v[101:104], v96 offset:704
	v_cmp_lt_u32_e32 vcc, 36, v0
	s_waitcnt vmcnt(18) lgkmcnt(1)
	v_fma_f64 v[97:98], v[105:106], v[97:98], 0
	s_waitcnt vmcnt(16)
	v_fma_f64 v[97:98], v[107:108], v[99:100], v[97:98]
	s_waitcnt vmcnt(14) lgkmcnt(0)
	v_fma_f64 v[97:98], v[109:110], v[101:102], v[97:98]
	s_waitcnt vmcnt(12)
	v_fma_f64 v[105:106], v[111:112], v[103:104], v[97:98]
	ds_read_b128 v[97:100], v96 offset:720
	ds_read_b128 v[101:104], v96 offset:736
	s_waitcnt vmcnt(10) lgkmcnt(1)
	v_fma_f64 v[97:98], v[113:114], v[97:98], v[105:106]
	s_waitcnt vmcnt(8)
	v_fma_f64 v[97:98], v[115:116], v[99:100], v[97:98]
	ds_read_b64 v[99:100], v96 offset:752
	s_waitcnt vmcnt(6) lgkmcnt(1)
	v_fma_f64 v[97:98], v[117:118], v[101:102], v[97:98]
	s_waitcnt vmcnt(3)
	v_fma_f64 v[97:98], v[119:120], v[103:104], v[97:98]
	s_waitcnt vmcnt(2) lgkmcnt(0)
	v_fma_f64 v[97:98], v[121:122], v[99:100], v[97:98]
	s_waitcnt vmcnt(0)
	v_add_f64 v[97:98], v[123:124], -v[97:98]
	buffer_store_dword v97, off, s[0:3], 0 offset:296
	buffer_store_dword v98, off, s[0:3], 0 offset:300
	s_and_saveexec_b64 s[4:5], vcc
	s_cbranch_execz .LBB110_217
; %bb.216:
	buffer_load_dword v97, off, s[0:3], 0 offset:288
	buffer_load_dword v98, off, s[0:3], 0 offset:292
	s_waitcnt vmcnt(0)
	ds_write_b64 v95, v[97:98]
	buffer_store_dword v96, off, s[0:3], 0 offset:288
	buffer_store_dword v96, off, s[0:3], 0 offset:292
.LBB110_217:
	s_or_b64 exec, exec, s[4:5]
	s_waitcnt lgkmcnt(0)
	; wave barrier
	buffer_load_dword v101, off, s[0:3], 0 offset:288
	buffer_load_dword v102, off, s[0:3], 0 offset:292
	;; [unrolled: 1-line block ×16, first 2 shown]
	ds_read2_b64 v[97:100], v96 offset0:85 offset1:86
	v_cmp_lt_u32_e32 vcc, 35, v0
	s_waitcnt vmcnt(12) lgkmcnt(0)
	v_fma_f64 v[97:98], v[103:104], v[97:98], 0
	s_waitcnt vmcnt(10)
	v_fma_f64 v[103:104], v[105:106], v[99:100], v[97:98]
	ds_read2_b64 v[97:100], v96 offset0:87 offset1:88
	s_waitcnt vmcnt(8) lgkmcnt(0)
	v_fma_f64 v[97:98], v[107:108], v[97:98], v[103:104]
	s_waitcnt vmcnt(6)
	v_fma_f64 v[103:104], v[109:110], v[99:100], v[97:98]
	ds_read2_b64 v[97:100], v96 offset0:89 offset1:90
	;; [unrolled: 5-line block ×3, first 2 shown]
	s_waitcnt vmcnt(0) lgkmcnt(0)
	v_fma_f64 v[97:98], v[115:116], v[97:98], v[103:104]
	buffer_load_dword v104, off, s[0:3], 0 offset:356
	buffer_load_dword v103, off, s[0:3], 0 offset:352
	;; [unrolled: 1-line block ×4, first 2 shown]
	s_waitcnt vmcnt(2)
	v_fma_f64 v[103:104], v[103:104], v[99:100], v[97:98]
	ds_read2_b64 v[96:99], v96 offset0:93 offset1:94
	s_waitcnt vmcnt(0) lgkmcnt(0)
	v_fma_f64 v[96:97], v[105:106], v[96:97], v[103:104]
	buffer_load_dword v104, off, s[0:3], 0 offset:372
	buffer_load_dword v103, off, s[0:3], 0 offset:368
	s_waitcnt vmcnt(0)
	v_fma_f64 v[96:97], v[103:104], v[98:99], v[96:97]
	v_add_f64 v[96:97], v[101:102], -v[96:97]
	buffer_store_dword v96, off, s[0:3], 0 offset:288
	buffer_store_dword v97, off, s[0:3], 0 offset:292
	s_and_saveexec_b64 s[4:5], vcc
	s_cbranch_execz .LBB110_219
; %bb.218:
	buffer_load_dword v96, off, s[0:3], 0 offset:280
	buffer_load_dword v97, off, s[0:3], 0 offset:284
	v_mov_b32_e32 v98, 0
	buffer_store_dword v98, off, s[0:3], 0 offset:280
	buffer_store_dword v98, off, s[0:3], 0 offset:284
	s_waitcnt vmcnt(2)
	ds_write_b64 v95, v[96:97]
.LBB110_219:
	s_or_b64 exec, exec, s[4:5]
	s_waitcnt lgkmcnt(0)
	; wave barrier
	buffer_load_dword v101, off, s[0:3], 0 offset:288
	buffer_load_dword v102, off, s[0:3], 0 offset:292
	;; [unrolled: 1-line block ×20, first 2 shown]
	v_mov_b32_e32 v96, 0
	ds_read_b128 v[97:100], v96 offset:672
	buffer_load_dword v121, off, s[0:3], 0 offset:368
	buffer_load_dword v122, off, s[0:3], 0 offset:372
	v_cmp_lt_u32_e32 vcc, 34, v0
	s_waitcnt vmcnt(20) lgkmcnt(0)
	v_fma_f64 v[97:98], v[101:102], v[97:98], 0
	buffer_load_dword v101, off, s[0:3], 0 offset:280
	buffer_load_dword v102, off, s[0:3], 0 offset:284
	s_waitcnt vmcnt(20)
	v_fma_f64 v[103:104], v[103:104], v[99:100], v[97:98]
	ds_read_b128 v[97:100], v96 offset:688
	s_waitcnt vmcnt(18) lgkmcnt(0)
	v_fma_f64 v[97:98], v[105:106], v[97:98], v[103:104]
	s_waitcnt vmcnt(16)
	v_fma_f64 v[103:104], v[107:108], v[99:100], v[97:98]
	ds_read_b128 v[97:100], v96 offset:704
	s_waitcnt vmcnt(14) lgkmcnt(0)
	v_fma_f64 v[97:98], v[109:110], v[97:98], v[103:104]
	;; [unrolled: 5-line block ×4, first 2 shown]
	s_waitcnt vmcnt(4)
	v_fma_f64 v[97:98], v[119:120], v[99:100], v[97:98]
	ds_read_b64 v[99:100], v96 offset:752
	s_waitcnt vmcnt(2) lgkmcnt(0)
	v_fma_f64 v[97:98], v[121:122], v[99:100], v[97:98]
	s_waitcnt vmcnt(0)
	v_add_f64 v[97:98], v[101:102], -v[97:98]
	buffer_store_dword v98, off, s[0:3], 0 offset:284
	buffer_store_dword v97, off, s[0:3], 0 offset:280
	s_and_saveexec_b64 s[4:5], vcc
	s_cbranch_execz .LBB110_221
; %bb.220:
	buffer_load_dword v97, off, s[0:3], 0 offset:272
	buffer_load_dword v98, off, s[0:3], 0 offset:276
	s_waitcnt vmcnt(0)
	ds_write_b64 v95, v[97:98]
	buffer_store_dword v96, off, s[0:3], 0 offset:272
	buffer_store_dword v96, off, s[0:3], 0 offset:276
.LBB110_221:
	s_or_b64 exec, exec, s[4:5]
	s_waitcnt lgkmcnt(0)
	; wave barrier
	buffer_load_dword v101, off, s[0:3], 0 offset:280
	buffer_load_dword v102, off, s[0:3], 0 offset:284
	;; [unrolled: 1-line block ×20, first 2 shown]
	ds_read2_b64 v[97:100], v96 offset0:83 offset1:84
	buffer_load_dword v121, off, s[0:3], 0 offset:360
	buffer_load_dword v122, off, s[0:3], 0 offset:364
	v_cmp_lt_u32_e32 vcc, 33, v0
	s_waitcnt vmcnt(20) lgkmcnt(0)
	v_fma_f64 v[97:98], v[101:102], v[97:98], 0
	buffer_load_dword v102, off, s[0:3], 0 offset:372
	buffer_load_dword v101, off, s[0:3], 0 offset:368
	s_waitcnt vmcnt(20)
	v_fma_f64 v[103:104], v[103:104], v[99:100], v[97:98]
	ds_read2_b64 v[97:100], v96 offset0:85 offset1:86
	buffer_load_dword v123, off, s[0:3], 0 offset:272
	buffer_load_dword v124, off, s[0:3], 0 offset:276
	s_waitcnt vmcnt(20) lgkmcnt(0)
	v_fma_f64 v[97:98], v[105:106], v[97:98], v[103:104]
	s_waitcnt vmcnt(18)
	v_fma_f64 v[103:104], v[107:108], v[99:100], v[97:98]
	ds_read2_b64 v[97:100], v96 offset0:87 offset1:88
	s_waitcnt vmcnt(16) lgkmcnt(0)
	v_fma_f64 v[97:98], v[109:110], v[97:98], v[103:104]
	s_waitcnt vmcnt(14)
	v_fma_f64 v[103:104], v[111:112], v[99:100], v[97:98]
	ds_read2_b64 v[97:100], v96 offset0:89 offset1:90
	;; [unrolled: 5-line block ×4, first 2 shown]
	s_waitcnt vmcnt(4) lgkmcnt(0)
	v_fma_f64 v[96:97], v[121:122], v[96:97], v[103:104]
	s_waitcnt vmcnt(2)
	v_fma_f64 v[96:97], v[101:102], v[98:99], v[96:97]
	s_waitcnt vmcnt(0)
	v_add_f64 v[96:97], v[123:124], -v[96:97]
	buffer_store_dword v97, off, s[0:3], 0 offset:276
	buffer_store_dword v96, off, s[0:3], 0 offset:272
	s_and_saveexec_b64 s[4:5], vcc
	s_cbranch_execz .LBB110_223
; %bb.222:
	buffer_load_dword v96, off, s[0:3], 0 offset:264
	buffer_load_dword v97, off, s[0:3], 0 offset:268
	v_mov_b32_e32 v98, 0
	buffer_store_dword v98, off, s[0:3], 0 offset:264
	buffer_store_dword v98, off, s[0:3], 0 offset:268
	s_waitcnt vmcnt(2)
	ds_write_b64 v95, v[96:97]
.LBB110_223:
	s_or_b64 exec, exec, s[4:5]
	s_waitcnt lgkmcnt(0)
	; wave barrier
	buffer_load_dword v101, off, s[0:3], 0 offset:272
	buffer_load_dword v102, off, s[0:3], 0 offset:276
	;; [unrolled: 1-line block ×20, first 2 shown]
	v_mov_b32_e32 v96, 0
	ds_read_b128 v[97:100], v96 offset:656
	buffer_load_dword v121, off, s[0:3], 0 offset:352
	buffer_load_dword v122, off, s[0:3], 0 offset:356
	v_cmp_lt_u32_e32 vcc, 32, v0
	s_waitcnt vmcnt(20) lgkmcnt(0)
	v_fma_f64 v[97:98], v[101:102], v[97:98], 0
	buffer_load_dword v102, off, s[0:3], 0 offset:364
	buffer_load_dword v101, off, s[0:3], 0 offset:360
	s_waitcnt vmcnt(20)
	v_fma_f64 v[103:104], v[103:104], v[99:100], v[97:98]
	ds_read_b128 v[97:100], v96 offset:672
	buffer_load_dword v123, off, s[0:3], 0 offset:368
	buffer_load_dword v124, off, s[0:3], 0 offset:372
	s_waitcnt vmcnt(20) lgkmcnt(0)
	v_fma_f64 v[97:98], v[105:106], v[97:98], v[103:104]
	buffer_load_dword v103, off, s[0:3], 0 offset:264
	buffer_load_dword v104, off, s[0:3], 0 offset:268
	s_waitcnt vmcnt(20)
	v_fma_f64 v[105:106], v[107:108], v[99:100], v[97:98]
	ds_read_b128 v[97:100], v96 offset:688
	s_waitcnt vmcnt(18) lgkmcnt(0)
	v_fma_f64 v[97:98], v[109:110], v[97:98], v[105:106]
	s_waitcnt vmcnt(16)
	v_fma_f64 v[105:106], v[111:112], v[99:100], v[97:98]
	ds_read_b128 v[97:100], v96 offset:704
	s_waitcnt vmcnt(14) lgkmcnt(0)
	v_fma_f64 v[97:98], v[113:114], v[97:98], v[105:106]
	;; [unrolled: 5-line block ×4, first 2 shown]
	s_waitcnt vmcnt(4)
	v_fma_f64 v[97:98], v[101:102], v[99:100], v[97:98]
	ds_read_b64 v[99:100], v96 offset:752
	s_waitcnt vmcnt(2) lgkmcnt(0)
	v_fma_f64 v[97:98], v[123:124], v[99:100], v[97:98]
	s_waitcnt vmcnt(0)
	v_add_f64 v[97:98], v[103:104], -v[97:98]
	buffer_store_dword v98, off, s[0:3], 0 offset:268
	buffer_store_dword v97, off, s[0:3], 0 offset:264
	s_and_saveexec_b64 s[4:5], vcc
	s_cbranch_execz .LBB110_225
; %bb.224:
	buffer_load_dword v97, off, s[0:3], 0 offset:256
	buffer_load_dword v98, off, s[0:3], 0 offset:260
	s_waitcnt vmcnt(0)
	ds_write_b64 v95, v[97:98]
	buffer_store_dword v96, off, s[0:3], 0 offset:256
	buffer_store_dword v96, off, s[0:3], 0 offset:260
.LBB110_225:
	s_or_b64 exec, exec, s[4:5]
	s_waitcnt lgkmcnt(0)
	; wave barrier
	buffer_load_dword v101, off, s[0:3], 0 offset:264
	buffer_load_dword v102, off, s[0:3], 0 offset:268
	;; [unrolled: 1-line block ×20, first 2 shown]
	ds_read2_b64 v[97:100], v96 offset0:81 offset1:82
	buffer_load_dword v121, off, s[0:3], 0 offset:344
	buffer_load_dword v122, off, s[0:3], 0 offset:348
	v_cmp_lt_u32_e32 vcc, 31, v0
	s_waitcnt vmcnt(20) lgkmcnt(0)
	v_fma_f64 v[97:98], v[101:102], v[97:98], 0
	buffer_load_dword v102, off, s[0:3], 0 offset:356
	buffer_load_dword v101, off, s[0:3], 0 offset:352
	s_waitcnt vmcnt(20)
	v_fma_f64 v[103:104], v[103:104], v[99:100], v[97:98]
	ds_read2_b64 v[97:100], v96 offset0:83 offset1:84
	buffer_load_dword v123, off, s[0:3], 0 offset:360
	buffer_load_dword v124, off, s[0:3], 0 offset:364
	s_waitcnt vmcnt(20) lgkmcnt(0)
	v_fma_f64 v[97:98], v[105:106], v[97:98], v[103:104]
	buffer_load_dword v103, off, s[0:3], 0 offset:368
	buffer_load_dword v104, off, s[0:3], 0 offset:372
	s_waitcnt vmcnt(20)
	v_fma_f64 v[105:106], v[107:108], v[99:100], v[97:98]
	ds_read2_b64 v[97:100], v96 offset0:85 offset1:86
	buffer_load_dword v107, off, s[0:3], 0 offset:256
	buffer_load_dword v108, off, s[0:3], 0 offset:260
	s_waitcnt vmcnt(20) lgkmcnt(0)
	v_fma_f64 v[97:98], v[109:110], v[97:98], v[105:106]
	s_waitcnt vmcnt(18)
	v_fma_f64 v[105:106], v[111:112], v[99:100], v[97:98]
	ds_read2_b64 v[97:100], v96 offset0:87 offset1:88
	s_waitcnt vmcnt(16) lgkmcnt(0)
	v_fma_f64 v[97:98], v[113:114], v[97:98], v[105:106]
	s_waitcnt vmcnt(14)
	v_fma_f64 v[105:106], v[115:116], v[99:100], v[97:98]
	ds_read2_b64 v[97:100], v96 offset0:89 offset1:90
	;; [unrolled: 5-line block ×4, first 2 shown]
	s_waitcnt vmcnt(4) lgkmcnt(0)
	v_fma_f64 v[96:97], v[123:124], v[96:97], v[100:101]
	s_waitcnt vmcnt(2)
	v_fma_f64 v[96:97], v[103:104], v[98:99], v[96:97]
	s_waitcnt vmcnt(0)
	v_add_f64 v[96:97], v[107:108], -v[96:97]
	buffer_store_dword v97, off, s[0:3], 0 offset:260
	buffer_store_dword v96, off, s[0:3], 0 offset:256
	s_and_saveexec_b64 s[4:5], vcc
	s_cbranch_execz .LBB110_227
; %bb.226:
	buffer_load_dword v96, off, s[0:3], 0 offset:248
	buffer_load_dword v97, off, s[0:3], 0 offset:252
	v_mov_b32_e32 v98, 0
	buffer_store_dword v98, off, s[0:3], 0 offset:248
	buffer_store_dword v98, off, s[0:3], 0 offset:252
	s_waitcnt vmcnt(2)
	ds_write_b64 v95, v[96:97]
.LBB110_227:
	s_or_b64 exec, exec, s[4:5]
	s_waitcnt lgkmcnt(0)
	; wave barrier
	buffer_load_dword v101, off, s[0:3], 0 offset:256
	buffer_load_dword v102, off, s[0:3], 0 offset:260
	;; [unrolled: 1-line block ×20, first 2 shown]
	v_mov_b32_e32 v96, 0
	ds_read_b128 v[97:100], v96 offset:640
	buffer_load_dword v121, off, s[0:3], 0 offset:336
	buffer_load_dword v122, off, s[0:3], 0 offset:340
	v_cmp_lt_u32_e32 vcc, 30, v0
	s_waitcnt vmcnt(20) lgkmcnt(0)
	v_fma_f64 v[97:98], v[101:102], v[97:98], 0
	buffer_load_dword v102, off, s[0:3], 0 offset:348
	buffer_load_dword v101, off, s[0:3], 0 offset:344
	s_waitcnt vmcnt(20)
	v_fma_f64 v[103:104], v[103:104], v[99:100], v[97:98]
	ds_read_b128 v[97:100], v96 offset:656
	buffer_load_dword v123, off, s[0:3], 0 offset:352
	buffer_load_dword v124, off, s[0:3], 0 offset:356
	s_waitcnt vmcnt(20) lgkmcnt(0)
	v_fma_f64 v[97:98], v[105:106], v[97:98], v[103:104]
	buffer_load_dword v103, off, s[0:3], 0 offset:360
	buffer_load_dword v104, off, s[0:3], 0 offset:364
	s_waitcnt vmcnt(20)
	v_fma_f64 v[105:106], v[107:108], v[99:100], v[97:98]
	ds_read_b128 v[97:100], v96 offset:672
	buffer_load_dword v107, off, s[0:3], 0 offset:368
	buffer_load_dword v108, off, s[0:3], 0 offset:372
	s_waitcnt vmcnt(20) lgkmcnt(0)
	v_fma_f64 v[97:98], v[109:110], v[97:98], v[105:106]
	buffer_load_dword v105, off, s[0:3], 0 offset:248
	buffer_load_dword v106, off, s[0:3], 0 offset:252
	s_waitcnt vmcnt(20)
	v_fma_f64 v[109:110], v[111:112], v[99:100], v[97:98]
	ds_read_b128 v[97:100], v96 offset:688
	s_waitcnt vmcnt(18) lgkmcnt(0)
	v_fma_f64 v[97:98], v[113:114], v[97:98], v[109:110]
	s_waitcnt vmcnt(16)
	v_fma_f64 v[109:110], v[115:116], v[99:100], v[97:98]
	ds_read_b128 v[97:100], v96 offset:704
	s_waitcnt vmcnt(14) lgkmcnt(0)
	v_fma_f64 v[97:98], v[117:118], v[97:98], v[109:110]
	;; [unrolled: 5-line block ×4, first 2 shown]
	s_waitcnt vmcnt(4)
	v_fma_f64 v[97:98], v[103:104], v[99:100], v[97:98]
	ds_read_b64 v[99:100], v96 offset:752
	s_waitcnt vmcnt(2) lgkmcnt(0)
	v_fma_f64 v[97:98], v[107:108], v[99:100], v[97:98]
	s_waitcnt vmcnt(0)
	v_add_f64 v[97:98], v[105:106], -v[97:98]
	buffer_store_dword v98, off, s[0:3], 0 offset:252
	buffer_store_dword v97, off, s[0:3], 0 offset:248
	s_and_saveexec_b64 s[4:5], vcc
	s_cbranch_execz .LBB110_229
; %bb.228:
	buffer_load_dword v97, off, s[0:3], 0 offset:240
	buffer_load_dword v98, off, s[0:3], 0 offset:244
	s_waitcnt vmcnt(0)
	ds_write_b64 v95, v[97:98]
	buffer_store_dword v96, off, s[0:3], 0 offset:240
	buffer_store_dword v96, off, s[0:3], 0 offset:244
.LBB110_229:
	s_or_b64 exec, exec, s[4:5]
	s_waitcnt lgkmcnt(0)
	; wave barrier
	buffer_load_dword v101, off, s[0:3], 0 offset:248
	buffer_load_dword v102, off, s[0:3], 0 offset:252
	;; [unrolled: 1-line block ×20, first 2 shown]
	ds_read2_b64 v[97:100], v96 offset0:79 offset1:80
	buffer_load_dword v121, off, s[0:3], 0 offset:328
	buffer_load_dword v122, off, s[0:3], 0 offset:332
	v_cmp_lt_u32_e32 vcc, 29, v0
	s_waitcnt vmcnt(20) lgkmcnt(0)
	v_fma_f64 v[97:98], v[101:102], v[97:98], 0
	buffer_load_dword v102, off, s[0:3], 0 offset:340
	buffer_load_dword v101, off, s[0:3], 0 offset:336
	s_waitcnt vmcnt(20)
	v_fma_f64 v[103:104], v[103:104], v[99:100], v[97:98]
	ds_read2_b64 v[97:100], v96 offset0:81 offset1:82
	buffer_load_dword v123, off, s[0:3], 0 offset:344
	buffer_load_dword v124, off, s[0:3], 0 offset:348
	s_waitcnt vmcnt(20) lgkmcnt(0)
	v_fma_f64 v[97:98], v[105:106], v[97:98], v[103:104]
	buffer_load_dword v103, off, s[0:3], 0 offset:352
	buffer_load_dword v104, off, s[0:3], 0 offset:356
	s_waitcnt vmcnt(20)
	v_fma_f64 v[105:106], v[107:108], v[99:100], v[97:98]
	ds_read2_b64 v[97:100], v96 offset0:83 offset1:84
	buffer_load_dword v107, off, s[0:3], 0 offset:360
	buffer_load_dword v108, off, s[0:3], 0 offset:364
	;; [unrolled: 9-line block ×3, first 2 shown]
	s_waitcnt vmcnt(20) lgkmcnt(0)
	v_fma_f64 v[97:98], v[113:114], v[97:98], v[109:110]
	s_waitcnt vmcnt(18)
	v_fma_f64 v[109:110], v[115:116], v[99:100], v[97:98]
	ds_read2_b64 v[97:100], v96 offset0:87 offset1:88
	s_waitcnt vmcnt(16) lgkmcnt(0)
	v_fma_f64 v[97:98], v[117:118], v[97:98], v[109:110]
	s_waitcnt vmcnt(14)
	v_fma_f64 v[109:110], v[119:120], v[99:100], v[97:98]
	ds_read2_b64 v[97:100], v96 offset0:89 offset1:90
	;; [unrolled: 5-line block ×4, first 2 shown]
	s_waitcnt vmcnt(4) lgkmcnt(0)
	v_fma_f64 v[96:97], v[107:108], v[96:97], v[100:101]
	s_waitcnt vmcnt(2)
	v_fma_f64 v[96:97], v[105:106], v[98:99], v[96:97]
	s_waitcnt vmcnt(0)
	v_add_f64 v[96:97], v[111:112], -v[96:97]
	buffer_store_dword v97, off, s[0:3], 0 offset:244
	buffer_store_dword v96, off, s[0:3], 0 offset:240
	s_and_saveexec_b64 s[4:5], vcc
	s_cbranch_execz .LBB110_231
; %bb.230:
	buffer_load_dword v96, off, s[0:3], 0 offset:232
	buffer_load_dword v97, off, s[0:3], 0 offset:236
	v_mov_b32_e32 v98, 0
	buffer_store_dword v98, off, s[0:3], 0 offset:232
	buffer_store_dword v98, off, s[0:3], 0 offset:236
	s_waitcnt vmcnt(2)
	ds_write_b64 v95, v[96:97]
.LBB110_231:
	s_or_b64 exec, exec, s[4:5]
	s_waitcnt lgkmcnt(0)
	; wave barrier
	buffer_load_dword v101, off, s[0:3], 0 offset:240
	buffer_load_dword v102, off, s[0:3], 0 offset:244
	;; [unrolled: 1-line block ×20, first 2 shown]
	v_mov_b32_e32 v96, 0
	ds_read_b128 v[97:100], v96 offset:624
	buffer_load_dword v121, off, s[0:3], 0 offset:320
	buffer_load_dword v122, off, s[0:3], 0 offset:324
	v_cmp_lt_u32_e32 vcc, 28, v0
	s_waitcnt vmcnt(20) lgkmcnt(0)
	v_fma_f64 v[97:98], v[101:102], v[97:98], 0
	buffer_load_dword v102, off, s[0:3], 0 offset:332
	buffer_load_dword v101, off, s[0:3], 0 offset:328
	s_waitcnt vmcnt(20)
	v_fma_f64 v[103:104], v[103:104], v[99:100], v[97:98]
	ds_read_b128 v[97:100], v96 offset:640
	buffer_load_dword v123, off, s[0:3], 0 offset:336
	buffer_load_dword v124, off, s[0:3], 0 offset:340
	s_waitcnt vmcnt(20) lgkmcnt(0)
	v_fma_f64 v[97:98], v[105:106], v[97:98], v[103:104]
	buffer_load_dword v103, off, s[0:3], 0 offset:344
	buffer_load_dword v104, off, s[0:3], 0 offset:348
	s_waitcnt vmcnt(20)
	v_fma_f64 v[105:106], v[107:108], v[99:100], v[97:98]
	ds_read_b128 v[97:100], v96 offset:656
	buffer_load_dword v107, off, s[0:3], 0 offset:352
	buffer_load_dword v108, off, s[0:3], 0 offset:356
	;; [unrolled: 9-line block ×3, first 2 shown]
	s_waitcnt vmcnt(20) lgkmcnt(0)
	v_fma_f64 v[97:98], v[113:114], v[97:98], v[109:110]
	buffer_load_dword v109, off, s[0:3], 0 offset:232
	buffer_load_dword v110, off, s[0:3], 0 offset:236
	s_waitcnt vmcnt(20)
	v_fma_f64 v[113:114], v[115:116], v[99:100], v[97:98]
	ds_read_b128 v[97:100], v96 offset:688
	s_waitcnt vmcnt(18) lgkmcnt(0)
	v_fma_f64 v[97:98], v[117:118], v[97:98], v[113:114]
	s_waitcnt vmcnt(16)
	v_fma_f64 v[113:114], v[119:120], v[99:100], v[97:98]
	ds_read_b128 v[97:100], v96 offset:704
	s_waitcnt vmcnt(14) lgkmcnt(0)
	v_fma_f64 v[97:98], v[121:122], v[97:98], v[113:114]
	s_waitcnt vmcnt(12)
	v_fma_f64 v[101:102], v[101:102], v[99:100], v[97:98]
	ds_read_b128 v[97:100], v96 offset:720
	s_waitcnt vmcnt(10) lgkmcnt(0)
	v_fma_f64 v[97:98], v[123:124], v[97:98], v[101:102]
	s_waitcnt vmcnt(8)
	v_fma_f64 v[101:102], v[103:104], v[99:100], v[97:98]
	ds_read_b128 v[97:100], v96 offset:736
	s_waitcnt vmcnt(6) lgkmcnt(0)
	v_fma_f64 v[97:98], v[107:108], v[97:98], v[101:102]
	s_waitcnt vmcnt(4)
	v_fma_f64 v[97:98], v[105:106], v[99:100], v[97:98]
	ds_read_b64 v[99:100], v96 offset:752
	s_waitcnt vmcnt(2) lgkmcnt(0)
	v_fma_f64 v[97:98], v[111:112], v[99:100], v[97:98]
	s_waitcnt vmcnt(0)
	v_add_f64 v[97:98], v[109:110], -v[97:98]
	buffer_store_dword v98, off, s[0:3], 0 offset:236
	buffer_store_dword v97, off, s[0:3], 0 offset:232
	s_and_saveexec_b64 s[4:5], vcc
	s_cbranch_execz .LBB110_233
; %bb.232:
	buffer_load_dword v97, off, s[0:3], 0 offset:224
	buffer_load_dword v98, off, s[0:3], 0 offset:228
	s_waitcnt vmcnt(0)
	ds_write_b64 v95, v[97:98]
	buffer_store_dword v96, off, s[0:3], 0 offset:224
	buffer_store_dword v96, off, s[0:3], 0 offset:228
.LBB110_233:
	s_or_b64 exec, exec, s[4:5]
	s_waitcnt lgkmcnt(0)
	; wave barrier
	buffer_load_dword v101, off, s[0:3], 0 offset:232
	buffer_load_dword v102, off, s[0:3], 0 offset:236
	;; [unrolled: 1-line block ×20, first 2 shown]
	ds_read2_b64 v[97:100], v96 offset0:77 offset1:78
	buffer_load_dword v121, off, s[0:3], 0 offset:312
	buffer_load_dword v122, off, s[0:3], 0 offset:316
	v_cmp_lt_u32_e32 vcc, 27, v0
	s_waitcnt vmcnt(20) lgkmcnt(0)
	v_fma_f64 v[97:98], v[101:102], v[97:98], 0
	buffer_load_dword v102, off, s[0:3], 0 offset:324
	buffer_load_dword v101, off, s[0:3], 0 offset:320
	s_waitcnt vmcnt(20)
	v_fma_f64 v[103:104], v[103:104], v[99:100], v[97:98]
	ds_read2_b64 v[97:100], v96 offset0:79 offset1:80
	buffer_load_dword v123, off, s[0:3], 0 offset:328
	buffer_load_dword v124, off, s[0:3], 0 offset:332
	s_waitcnt vmcnt(20) lgkmcnt(0)
	v_fma_f64 v[97:98], v[105:106], v[97:98], v[103:104]
	buffer_load_dword v103, off, s[0:3], 0 offset:336
	buffer_load_dword v104, off, s[0:3], 0 offset:340
	s_waitcnt vmcnt(20)
	v_fma_f64 v[105:106], v[107:108], v[99:100], v[97:98]
	ds_read2_b64 v[97:100], v96 offset0:81 offset1:82
	buffer_load_dword v107, off, s[0:3], 0 offset:344
	buffer_load_dword v108, off, s[0:3], 0 offset:348
	;; [unrolled: 9-line block ×4, first 2 shown]
	s_waitcnt vmcnt(20) lgkmcnt(0)
	v_fma_f64 v[97:98], v[117:118], v[97:98], v[113:114]
	s_waitcnt vmcnt(18)
	v_fma_f64 v[113:114], v[119:120], v[99:100], v[97:98]
	ds_read2_b64 v[97:100], v96 offset0:87 offset1:88
	s_waitcnt vmcnt(16) lgkmcnt(0)
	v_fma_f64 v[97:98], v[121:122], v[97:98], v[113:114]
	s_waitcnt vmcnt(14)
	v_fma_f64 v[101:102], v[101:102], v[99:100], v[97:98]
	ds_read2_b64 v[97:100], v96 offset0:89 offset1:90
	;; [unrolled: 5-line block ×4, first 2 shown]
	s_waitcnt vmcnt(4) lgkmcnt(0)
	v_fma_f64 v[96:97], v[111:112], v[96:97], v[100:101]
	s_waitcnt vmcnt(2)
	v_fma_f64 v[96:97], v[109:110], v[98:99], v[96:97]
	s_waitcnt vmcnt(0)
	v_add_f64 v[96:97], v[115:116], -v[96:97]
	buffer_store_dword v97, off, s[0:3], 0 offset:228
	buffer_store_dword v96, off, s[0:3], 0 offset:224
	s_and_saveexec_b64 s[4:5], vcc
	s_cbranch_execz .LBB110_235
; %bb.234:
	buffer_load_dword v96, off, s[0:3], 0 offset:216
	buffer_load_dword v97, off, s[0:3], 0 offset:220
	v_mov_b32_e32 v98, 0
	buffer_store_dword v98, off, s[0:3], 0 offset:216
	buffer_store_dword v98, off, s[0:3], 0 offset:220
	s_waitcnt vmcnt(2)
	ds_write_b64 v95, v[96:97]
.LBB110_235:
	s_or_b64 exec, exec, s[4:5]
	s_waitcnt lgkmcnt(0)
	; wave barrier
	buffer_load_dword v101, off, s[0:3], 0 offset:224
	buffer_load_dword v102, off, s[0:3], 0 offset:228
	;; [unrolled: 1-line block ×20, first 2 shown]
	v_mov_b32_e32 v96, 0
	ds_read_b128 v[97:100], v96 offset:608
	buffer_load_dword v121, off, s[0:3], 0 offset:304
	buffer_load_dword v122, off, s[0:3], 0 offset:308
	v_cmp_lt_u32_e32 vcc, 26, v0
	s_waitcnt vmcnt(20) lgkmcnt(0)
	v_fma_f64 v[97:98], v[101:102], v[97:98], 0
	buffer_load_dword v102, off, s[0:3], 0 offset:316
	buffer_load_dword v101, off, s[0:3], 0 offset:312
	s_waitcnt vmcnt(20)
	v_fma_f64 v[103:104], v[103:104], v[99:100], v[97:98]
	ds_read_b128 v[97:100], v96 offset:624
	buffer_load_dword v123, off, s[0:3], 0 offset:320
	buffer_load_dword v124, off, s[0:3], 0 offset:324
	s_waitcnt vmcnt(20) lgkmcnt(0)
	v_fma_f64 v[97:98], v[105:106], v[97:98], v[103:104]
	buffer_load_dword v103, off, s[0:3], 0 offset:328
	buffer_load_dword v104, off, s[0:3], 0 offset:332
	s_waitcnt vmcnt(20)
	v_fma_f64 v[105:106], v[107:108], v[99:100], v[97:98]
	ds_read_b128 v[97:100], v96 offset:640
	buffer_load_dword v107, off, s[0:3], 0 offset:336
	buffer_load_dword v108, off, s[0:3], 0 offset:340
	s_waitcnt vmcnt(20) lgkmcnt(0)
	v_fma_f64 v[97:98], v[109:110], v[97:98], v[105:106]
	buffer_load_dword v106, off, s[0:3], 0 offset:348
	buffer_load_dword v105, off, s[0:3], 0 offset:344
	s_waitcnt vmcnt(20)
	v_fma_f64 v[109:110], v[111:112], v[99:100], v[97:98]
	ds_read_b128 v[97:100], v96 offset:656
	buffer_load_dword v111, off, s[0:3], 0 offset:352
	buffer_load_dword v112, off, s[0:3], 0 offset:356
	s_waitcnt vmcnt(20) lgkmcnt(0)
	v_fma_f64 v[97:98], v[113:114], v[97:98], v[109:110]
	buffer_load_dword v109, off, s[0:3], 0 offset:360
	buffer_load_dword v110, off, s[0:3], 0 offset:364
	s_waitcnt vmcnt(20)
	v_fma_f64 v[113:114], v[115:116], v[99:100], v[97:98]
	ds_read_b128 v[97:100], v96 offset:672
	buffer_load_dword v115, off, s[0:3], 0 offset:368
	buffer_load_dword v116, off, s[0:3], 0 offset:372
	s_waitcnt vmcnt(20) lgkmcnt(0)
	v_fma_f64 v[97:98], v[117:118], v[97:98], v[113:114]
	buffer_load_dword v113, off, s[0:3], 0 offset:216
	buffer_load_dword v114, off, s[0:3], 0 offset:220
	s_waitcnt vmcnt(20)
	v_fma_f64 v[117:118], v[119:120], v[99:100], v[97:98]
	ds_read_b128 v[97:100], v96 offset:688
	s_waitcnt vmcnt(18) lgkmcnt(0)
	v_fma_f64 v[97:98], v[121:122], v[97:98], v[117:118]
	s_waitcnt vmcnt(16)
	v_fma_f64 v[101:102], v[101:102], v[99:100], v[97:98]
	ds_read_b128 v[97:100], v96 offset:704
	s_waitcnt vmcnt(14) lgkmcnt(0)
	v_fma_f64 v[97:98], v[123:124], v[97:98], v[101:102]
	;; [unrolled: 5-line block ×4, first 2 shown]
	s_waitcnt vmcnt(4)
	v_fma_f64 v[97:98], v[109:110], v[99:100], v[97:98]
	ds_read_b64 v[99:100], v96 offset:752
	s_waitcnt vmcnt(2) lgkmcnt(0)
	v_fma_f64 v[97:98], v[115:116], v[99:100], v[97:98]
	s_waitcnt vmcnt(0)
	v_add_f64 v[97:98], v[113:114], -v[97:98]
	buffer_store_dword v98, off, s[0:3], 0 offset:220
	buffer_store_dword v97, off, s[0:3], 0 offset:216
	s_and_saveexec_b64 s[4:5], vcc
	s_cbranch_execz .LBB110_237
; %bb.236:
	buffer_load_dword v97, off, s[0:3], 0 offset:208
	buffer_load_dword v98, off, s[0:3], 0 offset:212
	s_waitcnt vmcnt(0)
	ds_write_b64 v95, v[97:98]
	buffer_store_dword v96, off, s[0:3], 0 offset:208
	buffer_store_dword v96, off, s[0:3], 0 offset:212
.LBB110_237:
	s_or_b64 exec, exec, s[4:5]
	s_waitcnt lgkmcnt(0)
	; wave barrier
	buffer_load_dword v101, off, s[0:3], 0 offset:216
	buffer_load_dword v102, off, s[0:3], 0 offset:220
	;; [unrolled: 1-line block ×20, first 2 shown]
	ds_read2_b64 v[97:100], v96 offset0:75 offset1:76
	buffer_load_dword v121, off, s[0:3], 0 offset:296
	buffer_load_dword v122, off, s[0:3], 0 offset:300
	v_cmp_lt_u32_e32 vcc, 25, v0
	s_waitcnt vmcnt(20) lgkmcnt(0)
	v_fma_f64 v[97:98], v[101:102], v[97:98], 0
	buffer_load_dword v102, off, s[0:3], 0 offset:308
	buffer_load_dword v101, off, s[0:3], 0 offset:304
	s_waitcnt vmcnt(20)
	v_fma_f64 v[103:104], v[103:104], v[99:100], v[97:98]
	ds_read2_b64 v[97:100], v96 offset0:77 offset1:78
	buffer_load_dword v123, off, s[0:3], 0 offset:312
	buffer_load_dword v124, off, s[0:3], 0 offset:316
	s_waitcnt vmcnt(20) lgkmcnt(0)
	v_fma_f64 v[97:98], v[105:106], v[97:98], v[103:104]
	buffer_load_dword v103, off, s[0:3], 0 offset:320
	buffer_load_dword v104, off, s[0:3], 0 offset:324
	s_waitcnt vmcnt(20)
	v_fma_f64 v[105:106], v[107:108], v[99:100], v[97:98]
	ds_read2_b64 v[97:100], v96 offset0:79 offset1:80
	buffer_load_dword v107, off, s[0:3], 0 offset:328
	buffer_load_dword v108, off, s[0:3], 0 offset:332
	;; [unrolled: 9-line block ×5, first 2 shown]
	s_waitcnt vmcnt(20) lgkmcnt(0)
	v_fma_f64 v[97:98], v[121:122], v[97:98], v[117:118]
	s_waitcnt vmcnt(18)
	v_fma_f64 v[101:102], v[101:102], v[99:100], v[97:98]
	ds_read2_b64 v[97:100], v96 offset0:87 offset1:88
	s_waitcnt vmcnt(16) lgkmcnt(0)
	v_fma_f64 v[97:98], v[123:124], v[97:98], v[101:102]
	s_waitcnt vmcnt(14)
	v_fma_f64 v[101:102], v[103:104], v[99:100], v[97:98]
	ds_read2_b64 v[97:100], v96 offset0:89 offset1:90
	;; [unrolled: 5-line block ×4, first 2 shown]
	s_waitcnt vmcnt(4) lgkmcnt(0)
	v_fma_f64 v[96:97], v[115:116], v[96:97], v[100:101]
	s_waitcnt vmcnt(2)
	v_fma_f64 v[96:97], v[113:114], v[98:99], v[96:97]
	s_waitcnt vmcnt(0)
	v_add_f64 v[96:97], v[119:120], -v[96:97]
	buffer_store_dword v97, off, s[0:3], 0 offset:212
	buffer_store_dword v96, off, s[0:3], 0 offset:208
	s_and_saveexec_b64 s[4:5], vcc
	s_cbranch_execz .LBB110_239
; %bb.238:
	buffer_load_dword v96, off, s[0:3], 0 offset:200
	buffer_load_dword v97, off, s[0:3], 0 offset:204
	v_mov_b32_e32 v98, 0
	buffer_store_dword v98, off, s[0:3], 0 offset:200
	buffer_store_dword v98, off, s[0:3], 0 offset:204
	s_waitcnt vmcnt(2)
	ds_write_b64 v95, v[96:97]
.LBB110_239:
	s_or_b64 exec, exec, s[4:5]
	s_waitcnt lgkmcnt(0)
	; wave barrier
	buffer_load_dword v101, off, s[0:3], 0 offset:208
	buffer_load_dword v102, off, s[0:3], 0 offset:212
	;; [unrolled: 1-line block ×20, first 2 shown]
	v_mov_b32_e32 v96, 0
	ds_read_b128 v[97:100], v96 offset:592
	buffer_load_dword v121, off, s[0:3], 0 offset:288
	buffer_load_dword v122, off, s[0:3], 0 offset:292
	v_cmp_lt_u32_e32 vcc, 24, v0
	s_waitcnt vmcnt(20) lgkmcnt(0)
	v_fma_f64 v[97:98], v[101:102], v[97:98], 0
	buffer_load_dword v102, off, s[0:3], 0 offset:300
	buffer_load_dword v101, off, s[0:3], 0 offset:296
	s_waitcnt vmcnt(20)
	v_fma_f64 v[103:104], v[103:104], v[99:100], v[97:98]
	ds_read_b128 v[97:100], v96 offset:608
	buffer_load_dword v123, off, s[0:3], 0 offset:304
	buffer_load_dword v124, off, s[0:3], 0 offset:308
	s_waitcnt vmcnt(20) lgkmcnt(0)
	v_fma_f64 v[97:98], v[105:106], v[97:98], v[103:104]
	buffer_load_dword v103, off, s[0:3], 0 offset:312
	buffer_load_dword v104, off, s[0:3], 0 offset:316
	s_waitcnt vmcnt(20)
	v_fma_f64 v[105:106], v[107:108], v[99:100], v[97:98]
	ds_read_b128 v[97:100], v96 offset:624
	buffer_load_dword v107, off, s[0:3], 0 offset:320
	buffer_load_dword v108, off, s[0:3], 0 offset:324
	;; [unrolled: 9-line block ×5, first 2 shown]
	s_waitcnt vmcnt(20) lgkmcnt(0)
	v_fma_f64 v[97:98], v[121:122], v[97:98], v[117:118]
	buffer_load_dword v117, off, s[0:3], 0 offset:200
	buffer_load_dword v118, off, s[0:3], 0 offset:204
	s_waitcnt vmcnt(20)
	v_fma_f64 v[101:102], v[101:102], v[99:100], v[97:98]
	ds_read_b128 v[97:100], v96 offset:688
	s_waitcnt vmcnt(18) lgkmcnt(0)
	v_fma_f64 v[97:98], v[123:124], v[97:98], v[101:102]
	s_waitcnt vmcnt(16)
	v_fma_f64 v[101:102], v[103:104], v[99:100], v[97:98]
	ds_read_b128 v[97:100], v96 offset:704
	s_waitcnt vmcnt(14) lgkmcnt(0)
	v_fma_f64 v[97:98], v[107:108], v[97:98], v[101:102]
	;; [unrolled: 5-line block ×4, first 2 shown]
	s_waitcnt vmcnt(4)
	v_fma_f64 v[97:98], v[113:114], v[99:100], v[97:98]
	ds_read_b64 v[99:100], v96 offset:752
	s_waitcnt vmcnt(2) lgkmcnt(0)
	v_fma_f64 v[97:98], v[119:120], v[99:100], v[97:98]
	s_waitcnt vmcnt(0)
	v_add_f64 v[97:98], v[117:118], -v[97:98]
	buffer_store_dword v98, off, s[0:3], 0 offset:204
	buffer_store_dword v97, off, s[0:3], 0 offset:200
	s_and_saveexec_b64 s[4:5], vcc
	s_cbranch_execz .LBB110_241
; %bb.240:
	buffer_load_dword v97, off, s[0:3], 0 offset:192
	buffer_load_dword v98, off, s[0:3], 0 offset:196
	s_waitcnt vmcnt(0)
	ds_write_b64 v95, v[97:98]
	buffer_store_dword v96, off, s[0:3], 0 offset:192
	buffer_store_dword v96, off, s[0:3], 0 offset:196
.LBB110_241:
	s_or_b64 exec, exec, s[4:5]
	s_waitcnt lgkmcnt(0)
	; wave barrier
	buffer_load_dword v101, off, s[0:3], 0 offset:200
	buffer_load_dword v102, off, s[0:3], 0 offset:204
	;; [unrolled: 1-line block ×20, first 2 shown]
	ds_read2_b64 v[97:100], v96 offset0:73 offset1:74
	buffer_load_dword v121, off, s[0:3], 0 offset:280
	buffer_load_dword v122, off, s[0:3], 0 offset:284
	v_cmp_lt_u32_e32 vcc, 23, v0
	s_waitcnt vmcnt(20) lgkmcnt(0)
	v_fma_f64 v[97:98], v[101:102], v[97:98], 0
	buffer_load_dword v102, off, s[0:3], 0 offset:292
	buffer_load_dword v101, off, s[0:3], 0 offset:288
	s_waitcnt vmcnt(20)
	v_fma_f64 v[103:104], v[103:104], v[99:100], v[97:98]
	ds_read2_b64 v[97:100], v96 offset0:75 offset1:76
	buffer_load_dword v123, off, s[0:3], 0 offset:296
	buffer_load_dword v124, off, s[0:3], 0 offset:300
	s_waitcnt vmcnt(20) lgkmcnt(0)
	v_fma_f64 v[97:98], v[105:106], v[97:98], v[103:104]
	buffer_load_dword v103, off, s[0:3], 0 offset:304
	buffer_load_dword v104, off, s[0:3], 0 offset:308
	s_waitcnt vmcnt(20)
	v_fma_f64 v[105:106], v[107:108], v[99:100], v[97:98]
	ds_read2_b64 v[97:100], v96 offset0:77 offset1:78
	buffer_load_dword v107, off, s[0:3], 0 offset:312
	buffer_load_dword v108, off, s[0:3], 0 offset:316
	;; [unrolled: 9-line block ×6, first 2 shown]
	s_waitcnt vmcnt(20) lgkmcnt(0)
	v_fma_f64 v[97:98], v[123:124], v[97:98], v[101:102]
	s_waitcnt vmcnt(18)
	v_fma_f64 v[101:102], v[103:104], v[99:100], v[97:98]
	ds_read2_b64 v[97:100], v96 offset0:87 offset1:88
	s_waitcnt vmcnt(16) lgkmcnt(0)
	v_fma_f64 v[97:98], v[107:108], v[97:98], v[101:102]
	s_waitcnt vmcnt(14)
	v_fma_f64 v[101:102], v[105:106], v[99:100], v[97:98]
	ds_read2_b64 v[97:100], v96 offset0:89 offset1:90
	s_waitcnt vmcnt(12) lgkmcnt(0)
	v_fma_f64 v[97:98], v[111:112], v[97:98], v[101:102]
	s_waitcnt vmcnt(10)
	v_fma_f64 v[101:102], v[109:110], v[99:100], v[97:98]
	ds_read2_b64 v[97:100], v96 offset0:91 offset1:92
	s_waitcnt vmcnt(8) lgkmcnt(0)
	v_fma_f64 v[97:98], v[115:116], v[97:98], v[101:102]
	s_waitcnt vmcnt(6)
	v_fma_f64 v[100:101], v[113:114], v[99:100], v[97:98]
	ds_read2_b64 v[96:99], v96 offset0:93 offset1:94
	s_waitcnt vmcnt(4) lgkmcnt(0)
	v_fma_f64 v[96:97], v[119:120], v[96:97], v[100:101]
	s_waitcnt vmcnt(2)
	v_fma_f64 v[96:97], v[117:118], v[98:99], v[96:97]
	s_waitcnt vmcnt(0)
	v_add_f64 v[96:97], v[121:122], -v[96:97]
	buffer_store_dword v97, off, s[0:3], 0 offset:196
	buffer_store_dword v96, off, s[0:3], 0 offset:192
	s_and_saveexec_b64 s[4:5], vcc
	s_cbranch_execz .LBB110_243
; %bb.242:
	buffer_load_dword v96, off, s[0:3], 0 offset:184
	buffer_load_dword v97, off, s[0:3], 0 offset:188
	v_mov_b32_e32 v98, 0
	buffer_store_dword v98, off, s[0:3], 0 offset:184
	buffer_store_dword v98, off, s[0:3], 0 offset:188
	s_waitcnt vmcnt(2)
	ds_write_b64 v95, v[96:97]
.LBB110_243:
	s_or_b64 exec, exec, s[4:5]
	s_waitcnt lgkmcnt(0)
	; wave barrier
	buffer_load_dword v101, off, s[0:3], 0 offset:192
	buffer_load_dword v102, off, s[0:3], 0 offset:196
	;; [unrolled: 1-line block ×20, first 2 shown]
	v_mov_b32_e32 v96, 0
	ds_read_b128 v[97:100], v96 offset:576
	buffer_load_dword v121, off, s[0:3], 0 offset:272
	buffer_load_dword v122, off, s[0:3], 0 offset:276
	v_cmp_lt_u32_e32 vcc, 22, v0
	s_waitcnt vmcnt(20) lgkmcnt(0)
	v_fma_f64 v[97:98], v[101:102], v[97:98], 0
	buffer_load_dword v102, off, s[0:3], 0 offset:284
	buffer_load_dword v101, off, s[0:3], 0 offset:280
	s_waitcnt vmcnt(20)
	v_fma_f64 v[103:104], v[103:104], v[99:100], v[97:98]
	ds_read_b128 v[97:100], v96 offset:592
	buffer_load_dword v123, off, s[0:3], 0 offset:288
	buffer_load_dword v124, off, s[0:3], 0 offset:292
	s_waitcnt vmcnt(20) lgkmcnt(0)
	v_fma_f64 v[97:98], v[105:106], v[97:98], v[103:104]
	buffer_load_dword v103, off, s[0:3], 0 offset:296
	buffer_load_dword v104, off, s[0:3], 0 offset:300
	s_waitcnt vmcnt(20)
	v_fma_f64 v[105:106], v[107:108], v[99:100], v[97:98]
	ds_read_b128 v[97:100], v96 offset:608
	buffer_load_dword v107, off, s[0:3], 0 offset:304
	buffer_load_dword v108, off, s[0:3], 0 offset:308
	;; [unrolled: 9-line block ×6, first 2 shown]
	s_waitcnt vmcnt(20) lgkmcnt(0)
	v_fma_f64 v[97:98], v[123:124], v[97:98], v[101:102]
	buffer_load_dword v101, off, s[0:3], 0 offset:184
	buffer_load_dword v102, off, s[0:3], 0 offset:188
	s_waitcnt vmcnt(20)
	v_fma_f64 v[103:104], v[103:104], v[99:100], v[97:98]
	ds_read_b128 v[97:100], v96 offset:688
	s_waitcnt vmcnt(18) lgkmcnt(0)
	v_fma_f64 v[97:98], v[107:108], v[97:98], v[103:104]
	s_waitcnt vmcnt(16)
	v_fma_f64 v[103:104], v[105:106], v[99:100], v[97:98]
	ds_read_b128 v[97:100], v96 offset:704
	s_waitcnt vmcnt(14) lgkmcnt(0)
	v_fma_f64 v[97:98], v[111:112], v[97:98], v[103:104]
	;; [unrolled: 5-line block ×4, first 2 shown]
	s_waitcnt vmcnt(4)
	v_fma_f64 v[97:98], v[117:118], v[99:100], v[97:98]
	ds_read_b64 v[99:100], v96 offset:752
	s_waitcnt vmcnt(2) lgkmcnt(0)
	v_fma_f64 v[97:98], v[121:122], v[99:100], v[97:98]
	s_waitcnt vmcnt(0)
	v_add_f64 v[97:98], v[101:102], -v[97:98]
	buffer_store_dword v98, off, s[0:3], 0 offset:188
	buffer_store_dword v97, off, s[0:3], 0 offset:184
	s_and_saveexec_b64 s[4:5], vcc
	s_cbranch_execz .LBB110_245
; %bb.244:
	buffer_load_dword v97, off, s[0:3], 0 offset:176
	buffer_load_dword v98, off, s[0:3], 0 offset:180
	s_waitcnt vmcnt(0)
	ds_write_b64 v95, v[97:98]
	buffer_store_dword v96, off, s[0:3], 0 offset:176
	buffer_store_dword v96, off, s[0:3], 0 offset:180
.LBB110_245:
	s_or_b64 exec, exec, s[4:5]
	s_waitcnt lgkmcnt(0)
	; wave barrier
	buffer_load_dword v101, off, s[0:3], 0 offset:184
	buffer_load_dword v102, off, s[0:3], 0 offset:188
	;; [unrolled: 1-line block ×20, first 2 shown]
	ds_read2_b64 v[97:100], v96 offset0:71 offset1:72
	buffer_load_dword v121, off, s[0:3], 0 offset:264
	buffer_load_dword v122, off, s[0:3], 0 offset:268
	v_cmp_lt_u32_e32 vcc, 21, v0
	s_waitcnt vmcnt(20) lgkmcnt(0)
	v_fma_f64 v[97:98], v[101:102], v[97:98], 0
	buffer_load_dword v102, off, s[0:3], 0 offset:276
	buffer_load_dword v101, off, s[0:3], 0 offset:272
	s_waitcnt vmcnt(20)
	v_fma_f64 v[103:104], v[103:104], v[99:100], v[97:98]
	ds_read2_b64 v[97:100], v96 offset0:73 offset1:74
	buffer_load_dword v123, off, s[0:3], 0 offset:280
	buffer_load_dword v124, off, s[0:3], 0 offset:284
	s_waitcnt vmcnt(20) lgkmcnt(0)
	v_fma_f64 v[97:98], v[105:106], v[97:98], v[103:104]
	buffer_load_dword v103, off, s[0:3], 0 offset:288
	buffer_load_dword v104, off, s[0:3], 0 offset:292
	s_waitcnt vmcnt(20)
	v_fma_f64 v[105:106], v[107:108], v[99:100], v[97:98]
	ds_read2_b64 v[97:100], v96 offset0:75 offset1:76
	buffer_load_dword v107, off, s[0:3], 0 offset:296
	buffer_load_dword v108, off, s[0:3], 0 offset:300
	;; [unrolled: 9-line block ×7, first 2 shown]
	s_waitcnt vmcnt(20) lgkmcnt(0)
	v_fma_f64 v[97:98], v[107:108], v[97:98], v[103:104]
	s_waitcnt vmcnt(18)
	v_fma_f64 v[103:104], v[105:106], v[99:100], v[97:98]
	ds_read2_b64 v[97:100], v96 offset0:87 offset1:88
	s_waitcnt vmcnt(16) lgkmcnt(0)
	v_fma_f64 v[97:98], v[111:112], v[97:98], v[103:104]
	s_waitcnt vmcnt(14)
	v_fma_f64 v[103:104], v[109:110], v[99:100], v[97:98]
	ds_read2_b64 v[97:100], v96 offset0:89 offset1:90
	;; [unrolled: 5-line block ×4, first 2 shown]
	s_waitcnt vmcnt(4) lgkmcnt(0)
	v_fma_f64 v[96:97], v[121:122], v[96:97], v[103:104]
	s_waitcnt vmcnt(2)
	v_fma_f64 v[96:97], v[101:102], v[98:99], v[96:97]
	s_waitcnt vmcnt(0)
	v_add_f64 v[96:97], v[123:124], -v[96:97]
	buffer_store_dword v97, off, s[0:3], 0 offset:180
	buffer_store_dword v96, off, s[0:3], 0 offset:176
	s_and_saveexec_b64 s[4:5], vcc
	s_cbranch_execz .LBB110_247
; %bb.246:
	buffer_load_dword v96, off, s[0:3], 0 offset:168
	buffer_load_dword v97, off, s[0:3], 0 offset:172
	v_mov_b32_e32 v98, 0
	buffer_store_dword v98, off, s[0:3], 0 offset:168
	buffer_store_dword v98, off, s[0:3], 0 offset:172
	s_waitcnt vmcnt(2)
	ds_write_b64 v95, v[96:97]
.LBB110_247:
	s_or_b64 exec, exec, s[4:5]
	s_waitcnt lgkmcnt(0)
	; wave barrier
	buffer_load_dword v101, off, s[0:3], 0 offset:176
	buffer_load_dword v102, off, s[0:3], 0 offset:180
	;; [unrolled: 1-line block ×20, first 2 shown]
	v_mov_b32_e32 v96, 0
	ds_read_b128 v[97:100], v96 offset:560
	buffer_load_dword v121, off, s[0:3], 0 offset:256
	buffer_load_dword v122, off, s[0:3], 0 offset:260
	v_cmp_lt_u32_e32 vcc, 20, v0
	s_waitcnt vmcnt(20) lgkmcnt(0)
	v_fma_f64 v[97:98], v[101:102], v[97:98], 0
	buffer_load_dword v102, off, s[0:3], 0 offset:268
	buffer_load_dword v101, off, s[0:3], 0 offset:264
	s_waitcnt vmcnt(20)
	v_fma_f64 v[103:104], v[103:104], v[99:100], v[97:98]
	ds_read_b128 v[97:100], v96 offset:576
	buffer_load_dword v123, off, s[0:3], 0 offset:272
	buffer_load_dword v124, off, s[0:3], 0 offset:276
	s_waitcnt vmcnt(20) lgkmcnt(0)
	v_fma_f64 v[97:98], v[105:106], v[97:98], v[103:104]
	buffer_load_dword v103, off, s[0:3], 0 offset:280
	buffer_load_dword v104, off, s[0:3], 0 offset:284
	s_waitcnt vmcnt(20)
	v_fma_f64 v[105:106], v[107:108], v[99:100], v[97:98]
	ds_read_b128 v[97:100], v96 offset:592
	buffer_load_dword v107, off, s[0:3], 0 offset:288
	buffer_load_dword v108, off, s[0:3], 0 offset:292
	;; [unrolled: 9-line block ×7, first 2 shown]
	s_waitcnt vmcnt(20) lgkmcnt(0)
	v_fma_f64 v[97:98], v[107:108], v[97:98], v[103:104]
	buffer_load_dword v103, off, s[0:3], 0 offset:168
	buffer_load_dword v104, off, s[0:3], 0 offset:172
	s_waitcnt vmcnt(20)
	v_fma_f64 v[105:106], v[105:106], v[99:100], v[97:98]
	ds_read_b128 v[97:100], v96 offset:688
	s_waitcnt vmcnt(18) lgkmcnt(0)
	v_fma_f64 v[97:98], v[111:112], v[97:98], v[105:106]
	s_waitcnt vmcnt(16)
	v_fma_f64 v[105:106], v[109:110], v[99:100], v[97:98]
	ds_read_b128 v[97:100], v96 offset:704
	s_waitcnt vmcnt(14) lgkmcnt(0)
	v_fma_f64 v[97:98], v[115:116], v[97:98], v[105:106]
	;; [unrolled: 5-line block ×4, first 2 shown]
	s_waitcnt vmcnt(4)
	v_fma_f64 v[97:98], v[101:102], v[99:100], v[97:98]
	ds_read_b64 v[99:100], v96 offset:752
	s_waitcnt vmcnt(2) lgkmcnt(0)
	v_fma_f64 v[97:98], v[123:124], v[99:100], v[97:98]
	s_waitcnt vmcnt(0)
	v_add_f64 v[97:98], v[103:104], -v[97:98]
	buffer_store_dword v98, off, s[0:3], 0 offset:172
	buffer_store_dword v97, off, s[0:3], 0 offset:168
	s_and_saveexec_b64 s[4:5], vcc
	s_cbranch_execz .LBB110_249
; %bb.248:
	buffer_load_dword v97, off, s[0:3], 0 offset:160
	buffer_load_dword v98, off, s[0:3], 0 offset:164
	s_waitcnt vmcnt(0)
	ds_write_b64 v95, v[97:98]
	buffer_store_dword v96, off, s[0:3], 0 offset:160
	buffer_store_dword v96, off, s[0:3], 0 offset:164
.LBB110_249:
	s_or_b64 exec, exec, s[4:5]
	s_waitcnt lgkmcnt(0)
	; wave barrier
	buffer_load_dword v101, off, s[0:3], 0 offset:168
	buffer_load_dword v102, off, s[0:3], 0 offset:172
	;; [unrolled: 1-line block ×20, first 2 shown]
	ds_read2_b64 v[97:100], v96 offset0:69 offset1:70
	buffer_load_dword v121, off, s[0:3], 0 offset:248
	buffer_load_dword v122, off, s[0:3], 0 offset:252
	v_cmp_lt_u32_e32 vcc, 19, v0
	s_waitcnt vmcnt(20) lgkmcnt(0)
	v_fma_f64 v[97:98], v[101:102], v[97:98], 0
	buffer_load_dword v102, off, s[0:3], 0 offset:260
	buffer_load_dword v101, off, s[0:3], 0 offset:256
	s_waitcnt vmcnt(20)
	v_fma_f64 v[103:104], v[103:104], v[99:100], v[97:98]
	ds_read2_b64 v[97:100], v96 offset0:71 offset1:72
	buffer_load_dword v123, off, s[0:3], 0 offset:264
	buffer_load_dword v124, off, s[0:3], 0 offset:268
	s_waitcnt vmcnt(20) lgkmcnt(0)
	v_fma_f64 v[97:98], v[105:106], v[97:98], v[103:104]
	buffer_load_dword v103, off, s[0:3], 0 offset:272
	buffer_load_dword v104, off, s[0:3], 0 offset:276
	s_waitcnt vmcnt(20)
	v_fma_f64 v[105:106], v[107:108], v[99:100], v[97:98]
	ds_read2_b64 v[97:100], v96 offset0:73 offset1:74
	buffer_load_dword v107, off, s[0:3], 0 offset:280
	buffer_load_dword v108, off, s[0:3], 0 offset:284
	;; [unrolled: 9-line block ×8, first 2 shown]
	s_waitcnt vmcnt(20) lgkmcnt(0)
	v_fma_f64 v[97:98], v[111:112], v[97:98], v[105:106]
	s_waitcnt vmcnt(18)
	v_fma_f64 v[105:106], v[109:110], v[99:100], v[97:98]
	ds_read2_b64 v[97:100], v96 offset0:87 offset1:88
	s_waitcnt vmcnt(16) lgkmcnt(0)
	v_fma_f64 v[97:98], v[115:116], v[97:98], v[105:106]
	s_waitcnt vmcnt(14)
	v_fma_f64 v[105:106], v[113:114], v[99:100], v[97:98]
	ds_read2_b64 v[97:100], v96 offset0:89 offset1:90
	s_waitcnt vmcnt(12) lgkmcnt(0)
	v_fma_f64 v[97:98], v[119:120], v[97:98], v[105:106]
	s_waitcnt vmcnt(10)
	v_fma_f64 v[105:106], v[117:118], v[99:100], v[97:98]
	ds_read2_b64 v[97:100], v96 offset0:91 offset1:92
	s_waitcnt vmcnt(8) lgkmcnt(0)
	v_fma_f64 v[97:98], v[121:122], v[97:98], v[105:106]
	s_waitcnt vmcnt(6)
	v_fma_f64 v[100:101], v[101:102], v[99:100], v[97:98]
	ds_read2_b64 v[96:99], v96 offset0:93 offset1:94
	s_waitcnt vmcnt(4) lgkmcnt(0)
	v_fma_f64 v[96:97], v[123:124], v[96:97], v[100:101]
	s_waitcnt vmcnt(2)
	v_fma_f64 v[96:97], v[103:104], v[98:99], v[96:97]
	s_waitcnt vmcnt(0)
	v_add_f64 v[96:97], v[107:108], -v[96:97]
	buffer_store_dword v97, off, s[0:3], 0 offset:164
	buffer_store_dword v96, off, s[0:3], 0 offset:160
	s_and_saveexec_b64 s[4:5], vcc
	s_cbranch_execz .LBB110_251
; %bb.250:
	buffer_load_dword v96, off, s[0:3], 0 offset:152
	buffer_load_dword v97, off, s[0:3], 0 offset:156
	v_mov_b32_e32 v98, 0
	buffer_store_dword v98, off, s[0:3], 0 offset:152
	buffer_store_dword v98, off, s[0:3], 0 offset:156
	s_waitcnt vmcnt(2)
	ds_write_b64 v95, v[96:97]
.LBB110_251:
	s_or_b64 exec, exec, s[4:5]
	s_waitcnt lgkmcnt(0)
	; wave barrier
	buffer_load_dword v101, off, s[0:3], 0 offset:160
	buffer_load_dword v102, off, s[0:3], 0 offset:164
	;; [unrolled: 1-line block ×20, first 2 shown]
	v_mov_b32_e32 v96, 0
	ds_read_b128 v[97:100], v96 offset:544
	buffer_load_dword v121, off, s[0:3], 0 offset:240
	buffer_load_dword v122, off, s[0:3], 0 offset:244
	v_cmp_lt_u32_e32 vcc, 18, v0
	s_waitcnt vmcnt(20) lgkmcnt(0)
	v_fma_f64 v[97:98], v[101:102], v[97:98], 0
	buffer_load_dword v102, off, s[0:3], 0 offset:252
	buffer_load_dword v101, off, s[0:3], 0 offset:248
	s_waitcnt vmcnt(20)
	v_fma_f64 v[103:104], v[103:104], v[99:100], v[97:98]
	ds_read_b128 v[97:100], v96 offset:560
	buffer_load_dword v123, off, s[0:3], 0 offset:256
	buffer_load_dword v124, off, s[0:3], 0 offset:260
	s_waitcnt vmcnt(20) lgkmcnt(0)
	v_fma_f64 v[97:98], v[105:106], v[97:98], v[103:104]
	buffer_load_dword v103, off, s[0:3], 0 offset:264
	buffer_load_dword v104, off, s[0:3], 0 offset:268
	s_waitcnt vmcnt(20)
	v_fma_f64 v[105:106], v[107:108], v[99:100], v[97:98]
	ds_read_b128 v[97:100], v96 offset:576
	buffer_load_dword v107, off, s[0:3], 0 offset:272
	buffer_load_dword v108, off, s[0:3], 0 offset:276
	;; [unrolled: 9-line block ×8, first 2 shown]
	s_waitcnt vmcnt(20) lgkmcnt(0)
	v_fma_f64 v[97:98], v[111:112], v[97:98], v[105:106]
	buffer_load_dword v105, off, s[0:3], 0 offset:152
	buffer_load_dword v106, off, s[0:3], 0 offset:156
	s_waitcnt vmcnt(20)
	v_fma_f64 v[109:110], v[109:110], v[99:100], v[97:98]
	ds_read_b128 v[97:100], v96 offset:688
	s_waitcnt vmcnt(18) lgkmcnt(0)
	v_fma_f64 v[97:98], v[115:116], v[97:98], v[109:110]
	s_waitcnt vmcnt(16)
	v_fma_f64 v[109:110], v[113:114], v[99:100], v[97:98]
	ds_read_b128 v[97:100], v96 offset:704
	s_waitcnt vmcnt(14) lgkmcnt(0)
	v_fma_f64 v[97:98], v[119:120], v[97:98], v[109:110]
	;; [unrolled: 5-line block ×4, first 2 shown]
	s_waitcnt vmcnt(4)
	v_fma_f64 v[97:98], v[103:104], v[99:100], v[97:98]
	ds_read_b64 v[99:100], v96 offset:752
	s_waitcnt vmcnt(2) lgkmcnt(0)
	v_fma_f64 v[97:98], v[107:108], v[99:100], v[97:98]
	s_waitcnt vmcnt(0)
	v_add_f64 v[97:98], v[105:106], -v[97:98]
	buffer_store_dword v98, off, s[0:3], 0 offset:156
	buffer_store_dword v97, off, s[0:3], 0 offset:152
	s_and_saveexec_b64 s[4:5], vcc
	s_cbranch_execz .LBB110_253
; %bb.252:
	buffer_load_dword v97, off, s[0:3], 0 offset:144
	buffer_load_dword v98, off, s[0:3], 0 offset:148
	s_waitcnt vmcnt(0)
	ds_write_b64 v95, v[97:98]
	buffer_store_dword v96, off, s[0:3], 0 offset:144
	buffer_store_dword v96, off, s[0:3], 0 offset:148
.LBB110_253:
	s_or_b64 exec, exec, s[4:5]
	s_waitcnt lgkmcnt(0)
	; wave barrier
	buffer_load_dword v101, off, s[0:3], 0 offset:152
	buffer_load_dword v102, off, s[0:3], 0 offset:156
	;; [unrolled: 1-line block ×20, first 2 shown]
	ds_read2_b64 v[97:100], v96 offset0:67 offset1:68
	buffer_load_dword v121, off, s[0:3], 0 offset:232
	buffer_load_dword v122, off, s[0:3], 0 offset:236
	v_cmp_lt_u32_e32 vcc, 17, v0
	s_waitcnt vmcnt(20) lgkmcnt(0)
	v_fma_f64 v[97:98], v[101:102], v[97:98], 0
	buffer_load_dword v102, off, s[0:3], 0 offset:244
	buffer_load_dword v101, off, s[0:3], 0 offset:240
	s_waitcnt vmcnt(20)
	v_fma_f64 v[103:104], v[103:104], v[99:100], v[97:98]
	ds_read2_b64 v[97:100], v96 offset0:69 offset1:70
	buffer_load_dword v123, off, s[0:3], 0 offset:248
	buffer_load_dword v124, off, s[0:3], 0 offset:252
	s_waitcnt vmcnt(20) lgkmcnt(0)
	v_fma_f64 v[97:98], v[105:106], v[97:98], v[103:104]
	buffer_load_dword v103, off, s[0:3], 0 offset:256
	buffer_load_dword v104, off, s[0:3], 0 offset:260
	s_waitcnt vmcnt(20)
	v_fma_f64 v[105:106], v[107:108], v[99:100], v[97:98]
	ds_read2_b64 v[97:100], v96 offset0:71 offset1:72
	buffer_load_dword v107, off, s[0:3], 0 offset:264
	buffer_load_dword v108, off, s[0:3], 0 offset:268
	;; [unrolled: 9-line block ×9, first 2 shown]
	s_waitcnt vmcnt(20) lgkmcnt(0)
	v_fma_f64 v[97:98], v[115:116], v[97:98], v[109:110]
	s_waitcnt vmcnt(18)
	v_fma_f64 v[109:110], v[113:114], v[99:100], v[97:98]
	ds_read2_b64 v[97:100], v96 offset0:87 offset1:88
	s_waitcnt vmcnt(16) lgkmcnt(0)
	v_fma_f64 v[97:98], v[119:120], v[97:98], v[109:110]
	s_waitcnt vmcnt(14)
	v_fma_f64 v[109:110], v[117:118], v[99:100], v[97:98]
	ds_read2_b64 v[97:100], v96 offset0:89 offset1:90
	;; [unrolled: 5-line block ×4, first 2 shown]
	s_waitcnt vmcnt(4) lgkmcnt(0)
	v_fma_f64 v[96:97], v[107:108], v[96:97], v[100:101]
	s_waitcnt vmcnt(2)
	v_fma_f64 v[96:97], v[105:106], v[98:99], v[96:97]
	s_waitcnt vmcnt(0)
	v_add_f64 v[96:97], v[111:112], -v[96:97]
	buffer_store_dword v97, off, s[0:3], 0 offset:148
	buffer_store_dword v96, off, s[0:3], 0 offset:144
	s_and_saveexec_b64 s[4:5], vcc
	s_cbranch_execz .LBB110_255
; %bb.254:
	buffer_load_dword v96, off, s[0:3], 0 offset:136
	buffer_load_dword v97, off, s[0:3], 0 offset:140
	v_mov_b32_e32 v98, 0
	buffer_store_dword v98, off, s[0:3], 0 offset:136
	buffer_store_dword v98, off, s[0:3], 0 offset:140
	s_waitcnt vmcnt(2)
	ds_write_b64 v95, v[96:97]
.LBB110_255:
	s_or_b64 exec, exec, s[4:5]
	s_waitcnt lgkmcnt(0)
	; wave barrier
	buffer_load_dword v101, off, s[0:3], 0 offset:144
	buffer_load_dword v102, off, s[0:3], 0 offset:148
	;; [unrolled: 1-line block ×20, first 2 shown]
	v_mov_b32_e32 v96, 0
	ds_read_b128 v[97:100], v96 offset:528
	buffer_load_dword v121, off, s[0:3], 0 offset:224
	buffer_load_dword v122, off, s[0:3], 0 offset:228
	v_cmp_lt_u32_e32 vcc, 16, v0
	s_waitcnt vmcnt(20) lgkmcnt(0)
	v_fma_f64 v[97:98], v[101:102], v[97:98], 0
	buffer_load_dword v102, off, s[0:3], 0 offset:236
	buffer_load_dword v101, off, s[0:3], 0 offset:232
	s_waitcnt vmcnt(20)
	v_fma_f64 v[103:104], v[103:104], v[99:100], v[97:98]
	ds_read_b128 v[97:100], v96 offset:544
	buffer_load_dword v123, off, s[0:3], 0 offset:240
	buffer_load_dword v124, off, s[0:3], 0 offset:244
	s_waitcnt vmcnt(20) lgkmcnt(0)
	v_fma_f64 v[97:98], v[105:106], v[97:98], v[103:104]
	buffer_load_dword v103, off, s[0:3], 0 offset:248
	buffer_load_dword v104, off, s[0:3], 0 offset:252
	s_waitcnt vmcnt(20)
	v_fma_f64 v[105:106], v[107:108], v[99:100], v[97:98]
	ds_read_b128 v[97:100], v96 offset:560
	buffer_load_dword v107, off, s[0:3], 0 offset:256
	buffer_load_dword v108, off, s[0:3], 0 offset:260
	;; [unrolled: 9-line block ×9, first 2 shown]
	s_waitcnt vmcnt(20) lgkmcnt(0)
	v_fma_f64 v[97:98], v[115:116], v[97:98], v[109:110]
	buffer_load_dword v109, off, s[0:3], 0 offset:136
	buffer_load_dword v110, off, s[0:3], 0 offset:140
	s_waitcnt vmcnt(20)
	v_fma_f64 v[113:114], v[113:114], v[99:100], v[97:98]
	ds_read_b128 v[97:100], v96 offset:688
	s_waitcnt vmcnt(18) lgkmcnt(0)
	v_fma_f64 v[97:98], v[119:120], v[97:98], v[113:114]
	s_waitcnt vmcnt(16)
	v_fma_f64 v[113:114], v[117:118], v[99:100], v[97:98]
	ds_read_b128 v[97:100], v96 offset:704
	s_waitcnt vmcnt(14) lgkmcnt(0)
	v_fma_f64 v[97:98], v[121:122], v[97:98], v[113:114]
	;; [unrolled: 5-line block ×4, first 2 shown]
	s_waitcnt vmcnt(4)
	v_fma_f64 v[97:98], v[105:106], v[99:100], v[97:98]
	ds_read_b64 v[99:100], v96 offset:752
	s_waitcnt vmcnt(2) lgkmcnt(0)
	v_fma_f64 v[97:98], v[111:112], v[99:100], v[97:98]
	s_waitcnt vmcnt(0)
	v_add_f64 v[97:98], v[109:110], -v[97:98]
	buffer_store_dword v98, off, s[0:3], 0 offset:140
	buffer_store_dword v97, off, s[0:3], 0 offset:136
	s_and_saveexec_b64 s[4:5], vcc
	s_cbranch_execz .LBB110_257
; %bb.256:
	buffer_load_dword v97, off, s[0:3], 0 offset:128
	buffer_load_dword v98, off, s[0:3], 0 offset:132
	s_waitcnt vmcnt(0)
	ds_write_b64 v95, v[97:98]
	buffer_store_dword v96, off, s[0:3], 0 offset:128
	buffer_store_dword v96, off, s[0:3], 0 offset:132
.LBB110_257:
	s_or_b64 exec, exec, s[4:5]
	s_waitcnt lgkmcnt(0)
	; wave barrier
	buffer_load_dword v101, off, s[0:3], 0 offset:136
	buffer_load_dword v102, off, s[0:3], 0 offset:140
	;; [unrolled: 1-line block ×20, first 2 shown]
	ds_read2_b64 v[97:100], v96 offset0:65 offset1:66
	buffer_load_dword v121, off, s[0:3], 0 offset:216
	buffer_load_dword v122, off, s[0:3], 0 offset:220
	v_cmp_lt_u32_e32 vcc, 15, v0
	s_waitcnt vmcnt(20) lgkmcnt(0)
	v_fma_f64 v[97:98], v[101:102], v[97:98], 0
	buffer_load_dword v102, off, s[0:3], 0 offset:228
	buffer_load_dword v101, off, s[0:3], 0 offset:224
	s_waitcnt vmcnt(20)
	v_fma_f64 v[103:104], v[103:104], v[99:100], v[97:98]
	ds_read2_b64 v[97:100], v96 offset0:67 offset1:68
	buffer_load_dword v123, off, s[0:3], 0 offset:232
	buffer_load_dword v124, off, s[0:3], 0 offset:236
	s_waitcnt vmcnt(20) lgkmcnt(0)
	v_fma_f64 v[97:98], v[105:106], v[97:98], v[103:104]
	buffer_load_dword v103, off, s[0:3], 0 offset:240
	buffer_load_dword v104, off, s[0:3], 0 offset:244
	s_waitcnt vmcnt(20)
	v_fma_f64 v[105:106], v[107:108], v[99:100], v[97:98]
	ds_read2_b64 v[97:100], v96 offset0:69 offset1:70
	buffer_load_dword v107, off, s[0:3], 0 offset:248
	buffer_load_dword v108, off, s[0:3], 0 offset:252
	;; [unrolled: 9-line block ×10, first 2 shown]
	s_waitcnt vmcnt(20) lgkmcnt(0)
	v_fma_f64 v[97:98], v[119:120], v[97:98], v[113:114]
	s_waitcnt vmcnt(18)
	v_fma_f64 v[113:114], v[117:118], v[99:100], v[97:98]
	ds_read2_b64 v[97:100], v96 offset0:87 offset1:88
	s_waitcnt vmcnt(16) lgkmcnt(0)
	v_fma_f64 v[97:98], v[121:122], v[97:98], v[113:114]
	s_waitcnt vmcnt(14)
	v_fma_f64 v[101:102], v[101:102], v[99:100], v[97:98]
	ds_read2_b64 v[97:100], v96 offset0:89 offset1:90
	;; [unrolled: 5-line block ×4, first 2 shown]
	s_waitcnt vmcnt(4) lgkmcnt(0)
	v_fma_f64 v[96:97], v[111:112], v[96:97], v[100:101]
	s_waitcnt vmcnt(2)
	v_fma_f64 v[96:97], v[109:110], v[98:99], v[96:97]
	s_waitcnt vmcnt(0)
	v_add_f64 v[96:97], v[115:116], -v[96:97]
	buffer_store_dword v97, off, s[0:3], 0 offset:132
	buffer_store_dword v96, off, s[0:3], 0 offset:128
	s_and_saveexec_b64 s[4:5], vcc
	s_cbranch_execz .LBB110_259
; %bb.258:
	buffer_load_dword v96, off, s[0:3], 0 offset:120
	buffer_load_dword v97, off, s[0:3], 0 offset:124
	v_mov_b32_e32 v98, 0
	buffer_store_dword v98, off, s[0:3], 0 offset:120
	buffer_store_dword v98, off, s[0:3], 0 offset:124
	s_waitcnt vmcnt(2)
	ds_write_b64 v95, v[96:97]
.LBB110_259:
	s_or_b64 exec, exec, s[4:5]
	s_waitcnt lgkmcnt(0)
	; wave barrier
	buffer_load_dword v101, off, s[0:3], 0 offset:128
	buffer_load_dword v102, off, s[0:3], 0 offset:132
	;; [unrolled: 1-line block ×20, first 2 shown]
	v_mov_b32_e32 v96, 0
	ds_read_b128 v[97:100], v96 offset:512
	buffer_load_dword v121, off, s[0:3], 0 offset:208
	buffer_load_dword v122, off, s[0:3], 0 offset:212
	v_cmp_lt_u32_e32 vcc, 14, v0
	s_waitcnt vmcnt(20) lgkmcnt(0)
	v_fma_f64 v[97:98], v[101:102], v[97:98], 0
	buffer_load_dword v102, off, s[0:3], 0 offset:220
	buffer_load_dword v101, off, s[0:3], 0 offset:216
	s_waitcnt vmcnt(20)
	v_fma_f64 v[103:104], v[103:104], v[99:100], v[97:98]
	ds_read_b128 v[97:100], v96 offset:528
	buffer_load_dword v123, off, s[0:3], 0 offset:224
	buffer_load_dword v124, off, s[0:3], 0 offset:228
	s_waitcnt vmcnt(20) lgkmcnt(0)
	v_fma_f64 v[97:98], v[105:106], v[97:98], v[103:104]
	buffer_load_dword v103, off, s[0:3], 0 offset:232
	buffer_load_dword v104, off, s[0:3], 0 offset:236
	s_waitcnt vmcnt(20)
	v_fma_f64 v[105:106], v[107:108], v[99:100], v[97:98]
	ds_read_b128 v[97:100], v96 offset:544
	buffer_load_dword v107, off, s[0:3], 0 offset:240
	buffer_load_dword v108, off, s[0:3], 0 offset:244
	;; [unrolled: 9-line block ×10, first 2 shown]
	s_waitcnt vmcnt(20) lgkmcnt(0)
	v_fma_f64 v[97:98], v[119:120], v[97:98], v[113:114]
	buffer_load_dword v113, off, s[0:3], 0 offset:120
	buffer_load_dword v114, off, s[0:3], 0 offset:124
	s_waitcnt vmcnt(20)
	v_fma_f64 v[117:118], v[117:118], v[99:100], v[97:98]
	ds_read_b128 v[97:100], v96 offset:688
	s_waitcnt vmcnt(18) lgkmcnt(0)
	v_fma_f64 v[97:98], v[121:122], v[97:98], v[117:118]
	s_waitcnt vmcnt(16)
	v_fma_f64 v[101:102], v[101:102], v[99:100], v[97:98]
	ds_read_b128 v[97:100], v96 offset:704
	s_waitcnt vmcnt(14) lgkmcnt(0)
	v_fma_f64 v[97:98], v[123:124], v[97:98], v[101:102]
	;; [unrolled: 5-line block ×4, first 2 shown]
	s_waitcnt vmcnt(4)
	v_fma_f64 v[97:98], v[109:110], v[99:100], v[97:98]
	ds_read_b64 v[99:100], v96 offset:752
	s_waitcnt vmcnt(2) lgkmcnt(0)
	v_fma_f64 v[97:98], v[115:116], v[99:100], v[97:98]
	s_waitcnt vmcnt(0)
	v_add_f64 v[97:98], v[113:114], -v[97:98]
	buffer_store_dword v98, off, s[0:3], 0 offset:124
	buffer_store_dword v97, off, s[0:3], 0 offset:120
	s_and_saveexec_b64 s[4:5], vcc
	s_cbranch_execz .LBB110_261
; %bb.260:
	buffer_load_dword v97, off, s[0:3], 0 offset:112
	buffer_load_dword v98, off, s[0:3], 0 offset:116
	s_waitcnt vmcnt(0)
	ds_write_b64 v95, v[97:98]
	buffer_store_dword v96, off, s[0:3], 0 offset:112
	buffer_store_dword v96, off, s[0:3], 0 offset:116
.LBB110_261:
	s_or_b64 exec, exec, s[4:5]
	s_waitcnt lgkmcnt(0)
	; wave barrier
	buffer_load_dword v101, off, s[0:3], 0 offset:120
	buffer_load_dword v102, off, s[0:3], 0 offset:124
	;; [unrolled: 1-line block ×20, first 2 shown]
	ds_read2_b64 v[97:100], v96 offset0:63 offset1:64
	buffer_load_dword v121, off, s[0:3], 0 offset:200
	buffer_load_dword v122, off, s[0:3], 0 offset:204
	v_cmp_lt_u32_e32 vcc, 13, v0
	s_waitcnt vmcnt(20) lgkmcnt(0)
	v_fma_f64 v[97:98], v[101:102], v[97:98], 0
	buffer_load_dword v102, off, s[0:3], 0 offset:212
	buffer_load_dword v101, off, s[0:3], 0 offset:208
	s_waitcnt vmcnt(20)
	v_fma_f64 v[103:104], v[103:104], v[99:100], v[97:98]
	ds_read2_b64 v[97:100], v96 offset0:65 offset1:66
	buffer_load_dword v123, off, s[0:3], 0 offset:216
	buffer_load_dword v124, off, s[0:3], 0 offset:220
	s_waitcnt vmcnt(20) lgkmcnt(0)
	v_fma_f64 v[97:98], v[105:106], v[97:98], v[103:104]
	buffer_load_dword v103, off, s[0:3], 0 offset:224
	buffer_load_dword v104, off, s[0:3], 0 offset:228
	s_waitcnt vmcnt(20)
	v_fma_f64 v[105:106], v[107:108], v[99:100], v[97:98]
	ds_read2_b64 v[97:100], v96 offset0:67 offset1:68
	buffer_load_dword v107, off, s[0:3], 0 offset:232
	buffer_load_dword v108, off, s[0:3], 0 offset:236
	s_waitcnt vmcnt(20) lgkmcnt(0)
	v_fma_f64 v[97:98], v[109:110], v[97:98], v[105:106]
	buffer_load_dword v106, off, s[0:3], 0 offset:244
	buffer_load_dword v105, off, s[0:3], 0 offset:240
	s_waitcnt vmcnt(20)
	v_fma_f64 v[109:110], v[111:112], v[99:100], v[97:98]
	ds_read2_b64 v[97:100], v96 offset0:69 offset1:70
	buffer_load_dword v111, off, s[0:3], 0 offset:248
	buffer_load_dword v112, off, s[0:3], 0 offset:252
	s_waitcnt vmcnt(20) lgkmcnt(0)
	v_fma_f64 v[97:98], v[113:114], v[97:98], v[109:110]
	buffer_load_dword v109, off, s[0:3], 0 offset:256
	buffer_load_dword v110, off, s[0:3], 0 offset:260
	s_waitcnt vmcnt(20)
	v_fma_f64 v[113:114], v[115:116], v[99:100], v[97:98]
	ds_read2_b64 v[97:100], v96 offset0:71 offset1:72
	buffer_load_dword v115, off, s[0:3], 0 offset:264
	buffer_load_dword v116, off, s[0:3], 0 offset:268
	s_waitcnt vmcnt(20) lgkmcnt(0)
	v_fma_f64 v[97:98], v[117:118], v[97:98], v[113:114]
	buffer_load_dword v114, off, s[0:3], 0 offset:276
	buffer_load_dword v113, off, s[0:3], 0 offset:272
	s_waitcnt vmcnt(20)
	v_fma_f64 v[117:118], v[119:120], v[99:100], v[97:98]
	ds_read2_b64 v[97:100], v96 offset0:73 offset1:74
	buffer_load_dword v119, off, s[0:3], 0 offset:280
	buffer_load_dword v120, off, s[0:3], 0 offset:284
	s_waitcnt vmcnt(20) lgkmcnt(0)
	v_fma_f64 v[97:98], v[121:122], v[97:98], v[117:118]
	buffer_load_dword v117, off, s[0:3], 0 offset:288
	buffer_load_dword v118, off, s[0:3], 0 offset:292
	s_waitcnt vmcnt(20)
	v_fma_f64 v[101:102], v[101:102], v[99:100], v[97:98]
	ds_read2_b64 v[97:100], v96 offset0:75 offset1:76
	buffer_load_dword v121, off, s[0:3], 0 offset:296
	buffer_load_dword v122, off, s[0:3], 0 offset:300
	s_waitcnt vmcnt(20) lgkmcnt(0)
	v_fma_f64 v[97:98], v[123:124], v[97:98], v[101:102]
	buffer_load_dword v102, off, s[0:3], 0 offset:308
	buffer_load_dword v101, off, s[0:3], 0 offset:304
	s_waitcnt vmcnt(20)
	v_fma_f64 v[103:104], v[103:104], v[99:100], v[97:98]
	ds_read2_b64 v[97:100], v96 offset0:77 offset1:78
	buffer_load_dword v123, off, s[0:3], 0 offset:312
	buffer_load_dword v124, off, s[0:3], 0 offset:316
	s_waitcnt vmcnt(20) lgkmcnt(0)
	v_fma_f64 v[97:98], v[107:108], v[97:98], v[103:104]
	buffer_load_dword v103, off, s[0:3], 0 offset:320
	buffer_load_dword v104, off, s[0:3], 0 offset:324
	s_waitcnt vmcnt(20)
	v_fma_f64 v[105:106], v[105:106], v[99:100], v[97:98]
	ds_read2_b64 v[97:100], v96 offset0:79 offset1:80
	buffer_load_dword v107, off, s[0:3], 0 offset:328
	buffer_load_dword v108, off, s[0:3], 0 offset:332
	s_waitcnt vmcnt(20) lgkmcnt(0)
	v_fma_f64 v[97:98], v[111:112], v[97:98], v[105:106]
	buffer_load_dword v106, off, s[0:3], 0 offset:340
	buffer_load_dword v105, off, s[0:3], 0 offset:336
	s_waitcnt vmcnt(20)
	v_fma_f64 v[109:110], v[109:110], v[99:100], v[97:98]
	ds_read2_b64 v[97:100], v96 offset0:81 offset1:82
	buffer_load_dword v111, off, s[0:3], 0 offset:344
	buffer_load_dword v112, off, s[0:3], 0 offset:348
	s_waitcnt vmcnt(20) lgkmcnt(0)
	v_fma_f64 v[97:98], v[115:116], v[97:98], v[109:110]
	buffer_load_dword v109, off, s[0:3], 0 offset:352
	buffer_load_dword v110, off, s[0:3], 0 offset:356
	s_waitcnt vmcnt(20)
	v_fma_f64 v[113:114], v[113:114], v[99:100], v[97:98]
	ds_read2_b64 v[97:100], v96 offset0:83 offset1:84
	buffer_load_dword v115, off, s[0:3], 0 offset:360
	buffer_load_dword v116, off, s[0:3], 0 offset:364
	s_waitcnt vmcnt(20) lgkmcnt(0)
	v_fma_f64 v[97:98], v[119:120], v[97:98], v[113:114]
	buffer_load_dword v114, off, s[0:3], 0 offset:372
	buffer_load_dword v113, off, s[0:3], 0 offset:368
	s_waitcnt vmcnt(20)
	v_fma_f64 v[117:118], v[117:118], v[99:100], v[97:98]
	ds_read2_b64 v[97:100], v96 offset0:85 offset1:86
	buffer_load_dword v119, off, s[0:3], 0 offset:112
	buffer_load_dword v120, off, s[0:3], 0 offset:116
	s_waitcnt vmcnt(20) lgkmcnt(0)
	v_fma_f64 v[97:98], v[121:122], v[97:98], v[117:118]
	s_waitcnt vmcnt(18)
	v_fma_f64 v[101:102], v[101:102], v[99:100], v[97:98]
	ds_read2_b64 v[97:100], v96 offset0:87 offset1:88
	s_waitcnt vmcnt(16) lgkmcnt(0)
	v_fma_f64 v[97:98], v[123:124], v[97:98], v[101:102]
	s_waitcnt vmcnt(14)
	v_fma_f64 v[101:102], v[103:104], v[99:100], v[97:98]
	ds_read2_b64 v[97:100], v96 offset0:89 offset1:90
	;; [unrolled: 5-line block ×4, first 2 shown]
	s_waitcnt vmcnt(4) lgkmcnt(0)
	v_fma_f64 v[96:97], v[115:116], v[96:97], v[100:101]
	s_waitcnt vmcnt(2)
	v_fma_f64 v[96:97], v[113:114], v[98:99], v[96:97]
	s_waitcnt vmcnt(0)
	v_add_f64 v[96:97], v[119:120], -v[96:97]
	buffer_store_dword v97, off, s[0:3], 0 offset:116
	buffer_store_dword v96, off, s[0:3], 0 offset:112
	s_and_saveexec_b64 s[4:5], vcc
	s_cbranch_execz .LBB110_263
; %bb.262:
	buffer_load_dword v96, off, s[0:3], 0 offset:104
	buffer_load_dword v97, off, s[0:3], 0 offset:108
	v_mov_b32_e32 v98, 0
	buffer_store_dword v98, off, s[0:3], 0 offset:104
	buffer_store_dword v98, off, s[0:3], 0 offset:108
	s_waitcnt vmcnt(2)
	ds_write_b64 v95, v[96:97]
.LBB110_263:
	s_or_b64 exec, exec, s[4:5]
	s_waitcnt lgkmcnt(0)
	; wave barrier
	buffer_load_dword v101, off, s[0:3], 0 offset:112
	buffer_load_dword v102, off, s[0:3], 0 offset:116
	;; [unrolled: 1-line block ×20, first 2 shown]
	v_mov_b32_e32 v96, 0
	ds_read_b128 v[97:100], v96 offset:496
	buffer_load_dword v121, off, s[0:3], 0 offset:192
	buffer_load_dword v122, off, s[0:3], 0 offset:196
	v_cmp_lt_u32_e32 vcc, 12, v0
	s_waitcnt vmcnt(20) lgkmcnt(0)
	v_fma_f64 v[97:98], v[101:102], v[97:98], 0
	buffer_load_dword v102, off, s[0:3], 0 offset:204
	buffer_load_dword v101, off, s[0:3], 0 offset:200
	s_waitcnt vmcnt(20)
	v_fma_f64 v[103:104], v[103:104], v[99:100], v[97:98]
	ds_read_b128 v[97:100], v96 offset:512
	buffer_load_dword v123, off, s[0:3], 0 offset:208
	buffer_load_dword v124, off, s[0:3], 0 offset:212
	s_waitcnt vmcnt(20) lgkmcnt(0)
	v_fma_f64 v[97:98], v[105:106], v[97:98], v[103:104]
	buffer_load_dword v103, off, s[0:3], 0 offset:216
	buffer_load_dword v104, off, s[0:3], 0 offset:220
	s_waitcnt vmcnt(20)
	v_fma_f64 v[105:106], v[107:108], v[99:100], v[97:98]
	ds_read_b128 v[97:100], v96 offset:528
	buffer_load_dword v107, off, s[0:3], 0 offset:224
	buffer_load_dword v108, off, s[0:3], 0 offset:228
	;; [unrolled: 9-line block ×11, first 2 shown]
	s_waitcnt vmcnt(20) lgkmcnt(0)
	v_fma_f64 v[97:98], v[121:122], v[97:98], v[117:118]
	buffer_load_dword v117, off, s[0:3], 0 offset:104
	buffer_load_dword v118, off, s[0:3], 0 offset:108
	s_waitcnt vmcnt(20)
	v_fma_f64 v[101:102], v[101:102], v[99:100], v[97:98]
	ds_read_b128 v[97:100], v96 offset:688
	s_waitcnt vmcnt(18) lgkmcnt(0)
	v_fma_f64 v[97:98], v[123:124], v[97:98], v[101:102]
	s_waitcnt vmcnt(16)
	v_fma_f64 v[101:102], v[103:104], v[99:100], v[97:98]
	ds_read_b128 v[97:100], v96 offset:704
	s_waitcnt vmcnt(14) lgkmcnt(0)
	v_fma_f64 v[97:98], v[107:108], v[97:98], v[101:102]
	;; [unrolled: 5-line block ×4, first 2 shown]
	s_waitcnt vmcnt(4)
	v_fma_f64 v[97:98], v[113:114], v[99:100], v[97:98]
	ds_read_b64 v[99:100], v96 offset:752
	s_waitcnt vmcnt(2) lgkmcnt(0)
	v_fma_f64 v[97:98], v[119:120], v[99:100], v[97:98]
	s_waitcnt vmcnt(0)
	v_add_f64 v[97:98], v[117:118], -v[97:98]
	buffer_store_dword v98, off, s[0:3], 0 offset:108
	buffer_store_dword v97, off, s[0:3], 0 offset:104
	s_and_saveexec_b64 s[4:5], vcc
	s_cbranch_execz .LBB110_265
; %bb.264:
	buffer_load_dword v97, off, s[0:3], 0 offset:96
	buffer_load_dword v98, off, s[0:3], 0 offset:100
	s_waitcnt vmcnt(0)
	ds_write_b64 v95, v[97:98]
	buffer_store_dword v96, off, s[0:3], 0 offset:96
	buffer_store_dword v96, off, s[0:3], 0 offset:100
.LBB110_265:
	s_or_b64 exec, exec, s[4:5]
	s_waitcnt lgkmcnt(0)
	; wave barrier
	buffer_load_dword v101, off, s[0:3], 0 offset:104
	buffer_load_dword v102, off, s[0:3], 0 offset:108
	buffer_load_dword v103, off, s[0:3], 0 offset:112
	buffer_load_dword v104, off, s[0:3], 0 offset:116
	buffer_load_dword v105, off, s[0:3], 0 offset:120
	buffer_load_dword v106, off, s[0:3], 0 offset:124
	buffer_load_dword v107, off, s[0:3], 0 offset:128
	buffer_load_dword v108, off, s[0:3], 0 offset:132
	buffer_load_dword v109, off, s[0:3], 0 offset:136
	buffer_load_dword v110, off, s[0:3], 0 offset:140
	buffer_load_dword v111, off, s[0:3], 0 offset:144
	buffer_load_dword v112, off, s[0:3], 0 offset:148
	buffer_load_dword v113, off, s[0:3], 0 offset:152
	buffer_load_dword v114, off, s[0:3], 0 offset:156
	buffer_load_dword v116, off, s[0:3], 0 offset:164
	buffer_load_dword v115, off, s[0:3], 0 offset:160
	buffer_load_dword v117, off, s[0:3], 0 offset:168
	buffer_load_dword v118, off, s[0:3], 0 offset:172
	buffer_load_dword v119, off, s[0:3], 0 offset:176
	buffer_load_dword v120, off, s[0:3], 0 offset:180
	ds_read2_b64 v[97:100], v96 offset0:61 offset1:62
	buffer_load_dword v121, off, s[0:3], 0 offset:184
	buffer_load_dword v122, off, s[0:3], 0 offset:188
	v_cmp_lt_u32_e32 vcc, 11, v0
	s_waitcnt vmcnt(20) lgkmcnt(0)
	v_fma_f64 v[97:98], v[101:102], v[97:98], 0
	buffer_load_dword v102, off, s[0:3], 0 offset:196
	buffer_load_dword v101, off, s[0:3], 0 offset:192
	s_waitcnt vmcnt(20)
	v_fma_f64 v[103:104], v[103:104], v[99:100], v[97:98]
	ds_read2_b64 v[97:100], v96 offset0:63 offset1:64
	buffer_load_dword v123, off, s[0:3], 0 offset:200
	buffer_load_dword v124, off, s[0:3], 0 offset:204
	s_waitcnt vmcnt(20) lgkmcnt(0)
	v_fma_f64 v[97:98], v[105:106], v[97:98], v[103:104]
	buffer_load_dword v103, off, s[0:3], 0 offset:208
	buffer_load_dword v104, off, s[0:3], 0 offset:212
	s_waitcnt vmcnt(20)
	v_fma_f64 v[105:106], v[107:108], v[99:100], v[97:98]
	ds_read2_b64 v[97:100], v96 offset0:65 offset1:66
	buffer_load_dword v107, off, s[0:3], 0 offset:216
	buffer_load_dword v108, off, s[0:3], 0 offset:220
	;; [unrolled: 9-line block ×12, first 2 shown]
	s_waitcnt vmcnt(20) lgkmcnt(0)
	v_fma_f64 v[97:98], v[123:124], v[97:98], v[101:102]
	s_waitcnt vmcnt(18)
	v_fma_f64 v[101:102], v[103:104], v[99:100], v[97:98]
	ds_read2_b64 v[97:100], v96 offset0:87 offset1:88
	s_waitcnt vmcnt(16) lgkmcnt(0)
	v_fma_f64 v[97:98], v[107:108], v[97:98], v[101:102]
	s_waitcnt vmcnt(14)
	v_fma_f64 v[101:102], v[105:106], v[99:100], v[97:98]
	ds_read2_b64 v[97:100], v96 offset0:89 offset1:90
	;; [unrolled: 5-line block ×4, first 2 shown]
	s_waitcnt vmcnt(4) lgkmcnt(0)
	v_fma_f64 v[96:97], v[119:120], v[96:97], v[100:101]
	s_waitcnt vmcnt(2)
	v_fma_f64 v[96:97], v[117:118], v[98:99], v[96:97]
	s_waitcnt vmcnt(0)
	v_add_f64 v[96:97], v[121:122], -v[96:97]
	buffer_store_dword v97, off, s[0:3], 0 offset:100
	buffer_store_dword v96, off, s[0:3], 0 offset:96
	s_and_saveexec_b64 s[4:5], vcc
	s_cbranch_execz .LBB110_267
; %bb.266:
	buffer_load_dword v96, off, s[0:3], 0 offset:88
	buffer_load_dword v97, off, s[0:3], 0 offset:92
	v_mov_b32_e32 v98, 0
	buffer_store_dword v98, off, s[0:3], 0 offset:88
	buffer_store_dword v98, off, s[0:3], 0 offset:92
	s_waitcnt vmcnt(2)
	ds_write_b64 v95, v[96:97]
.LBB110_267:
	s_or_b64 exec, exec, s[4:5]
	s_waitcnt lgkmcnt(0)
	; wave barrier
	buffer_load_dword v101, off, s[0:3], 0 offset:96
	buffer_load_dword v102, off, s[0:3], 0 offset:100
	;; [unrolled: 1-line block ×20, first 2 shown]
	v_mov_b32_e32 v96, 0
	ds_read_b128 v[97:100], v96 offset:480
	buffer_load_dword v121, off, s[0:3], 0 offset:176
	buffer_load_dword v122, off, s[0:3], 0 offset:180
	v_cmp_lt_u32_e32 vcc, 10, v0
	s_waitcnt vmcnt(20) lgkmcnt(0)
	v_fma_f64 v[97:98], v[101:102], v[97:98], 0
	buffer_load_dword v102, off, s[0:3], 0 offset:188
	buffer_load_dword v101, off, s[0:3], 0 offset:184
	s_waitcnt vmcnt(20)
	v_fma_f64 v[103:104], v[103:104], v[99:100], v[97:98]
	ds_read_b128 v[97:100], v96 offset:496
	buffer_load_dword v123, off, s[0:3], 0 offset:192
	buffer_load_dword v124, off, s[0:3], 0 offset:196
	s_waitcnt vmcnt(20) lgkmcnt(0)
	v_fma_f64 v[97:98], v[105:106], v[97:98], v[103:104]
	buffer_load_dword v103, off, s[0:3], 0 offset:200
	buffer_load_dword v104, off, s[0:3], 0 offset:204
	s_waitcnt vmcnt(20)
	v_fma_f64 v[105:106], v[107:108], v[99:100], v[97:98]
	ds_read_b128 v[97:100], v96 offset:512
	buffer_load_dword v107, off, s[0:3], 0 offset:208
	buffer_load_dword v108, off, s[0:3], 0 offset:212
	;; [unrolled: 9-line block ×12, first 2 shown]
	s_waitcnt vmcnt(20) lgkmcnt(0)
	v_fma_f64 v[97:98], v[123:124], v[97:98], v[101:102]
	buffer_load_dword v101, off, s[0:3], 0 offset:88
	buffer_load_dword v102, off, s[0:3], 0 offset:92
	s_waitcnt vmcnt(20)
	v_fma_f64 v[103:104], v[103:104], v[99:100], v[97:98]
	ds_read_b128 v[97:100], v96 offset:688
	s_waitcnt vmcnt(18) lgkmcnt(0)
	v_fma_f64 v[97:98], v[107:108], v[97:98], v[103:104]
	s_waitcnt vmcnt(16)
	v_fma_f64 v[103:104], v[105:106], v[99:100], v[97:98]
	ds_read_b128 v[97:100], v96 offset:704
	s_waitcnt vmcnt(14) lgkmcnt(0)
	v_fma_f64 v[97:98], v[111:112], v[97:98], v[103:104]
	;; [unrolled: 5-line block ×4, first 2 shown]
	s_waitcnt vmcnt(4)
	v_fma_f64 v[97:98], v[117:118], v[99:100], v[97:98]
	ds_read_b64 v[99:100], v96 offset:752
	s_waitcnt vmcnt(2) lgkmcnt(0)
	v_fma_f64 v[97:98], v[121:122], v[99:100], v[97:98]
	s_waitcnt vmcnt(0)
	v_add_f64 v[97:98], v[101:102], -v[97:98]
	buffer_store_dword v98, off, s[0:3], 0 offset:92
	buffer_store_dword v97, off, s[0:3], 0 offset:88
	s_and_saveexec_b64 s[4:5], vcc
	s_cbranch_execz .LBB110_269
; %bb.268:
	buffer_load_dword v97, off, s[0:3], 0 offset:80
	buffer_load_dword v98, off, s[0:3], 0 offset:84
	s_waitcnt vmcnt(0)
	ds_write_b64 v95, v[97:98]
	buffer_store_dword v96, off, s[0:3], 0 offset:80
	buffer_store_dword v96, off, s[0:3], 0 offset:84
.LBB110_269:
	s_or_b64 exec, exec, s[4:5]
	s_waitcnt lgkmcnt(0)
	; wave barrier
	buffer_load_dword v101, off, s[0:3], 0 offset:88
	buffer_load_dword v102, off, s[0:3], 0 offset:92
	buffer_load_dword v103, off, s[0:3], 0 offset:96
	buffer_load_dword v104, off, s[0:3], 0 offset:100
	buffer_load_dword v105, off, s[0:3], 0 offset:104
	buffer_load_dword v106, off, s[0:3], 0 offset:108
	buffer_load_dword v107, off, s[0:3], 0 offset:112
	buffer_load_dword v108, off, s[0:3], 0 offset:116
	buffer_load_dword v109, off, s[0:3], 0 offset:120
	buffer_load_dword v110, off, s[0:3], 0 offset:124
	buffer_load_dword v111, off, s[0:3], 0 offset:128
	buffer_load_dword v112, off, s[0:3], 0 offset:132
	buffer_load_dword v113, off, s[0:3], 0 offset:136
	buffer_load_dword v114, off, s[0:3], 0 offset:140
	buffer_load_dword v116, off, s[0:3], 0 offset:148
	buffer_load_dword v115, off, s[0:3], 0 offset:144
	buffer_load_dword v117, off, s[0:3], 0 offset:152
	buffer_load_dword v118, off, s[0:3], 0 offset:156
	buffer_load_dword v119, off, s[0:3], 0 offset:160
	buffer_load_dword v120, off, s[0:3], 0 offset:164
	ds_read2_b64 v[97:100], v96 offset0:59 offset1:60
	buffer_load_dword v121, off, s[0:3], 0 offset:168
	buffer_load_dword v122, off, s[0:3], 0 offset:172
	v_cmp_lt_u32_e32 vcc, 9, v0
	s_waitcnt vmcnt(20) lgkmcnt(0)
	v_fma_f64 v[97:98], v[101:102], v[97:98], 0
	buffer_load_dword v102, off, s[0:3], 0 offset:180
	buffer_load_dword v101, off, s[0:3], 0 offset:176
	s_waitcnt vmcnt(20)
	v_fma_f64 v[103:104], v[103:104], v[99:100], v[97:98]
	ds_read2_b64 v[97:100], v96 offset0:61 offset1:62
	buffer_load_dword v123, off, s[0:3], 0 offset:184
	buffer_load_dword v124, off, s[0:3], 0 offset:188
	s_waitcnt vmcnt(20) lgkmcnt(0)
	v_fma_f64 v[97:98], v[105:106], v[97:98], v[103:104]
	buffer_load_dword v103, off, s[0:3], 0 offset:192
	buffer_load_dword v104, off, s[0:3], 0 offset:196
	s_waitcnt vmcnt(20)
	v_fma_f64 v[105:106], v[107:108], v[99:100], v[97:98]
	ds_read2_b64 v[97:100], v96 offset0:63 offset1:64
	buffer_load_dword v107, off, s[0:3], 0 offset:200
	buffer_load_dword v108, off, s[0:3], 0 offset:204
	;; [unrolled: 9-line block ×13, first 2 shown]
	s_waitcnt vmcnt(20) lgkmcnt(0)
	v_fma_f64 v[97:98], v[107:108], v[97:98], v[103:104]
	s_waitcnt vmcnt(18)
	v_fma_f64 v[103:104], v[105:106], v[99:100], v[97:98]
	ds_read2_b64 v[97:100], v96 offset0:87 offset1:88
	s_waitcnt vmcnt(16) lgkmcnt(0)
	v_fma_f64 v[97:98], v[111:112], v[97:98], v[103:104]
	s_waitcnt vmcnt(14)
	v_fma_f64 v[103:104], v[109:110], v[99:100], v[97:98]
	ds_read2_b64 v[97:100], v96 offset0:89 offset1:90
	;; [unrolled: 5-line block ×4, first 2 shown]
	s_waitcnt vmcnt(4) lgkmcnt(0)
	v_fma_f64 v[96:97], v[121:122], v[96:97], v[103:104]
	s_waitcnt vmcnt(2)
	v_fma_f64 v[96:97], v[101:102], v[98:99], v[96:97]
	s_waitcnt vmcnt(0)
	v_add_f64 v[96:97], v[123:124], -v[96:97]
	buffer_store_dword v97, off, s[0:3], 0 offset:84
	buffer_store_dword v96, off, s[0:3], 0 offset:80
	s_and_saveexec_b64 s[4:5], vcc
	s_cbranch_execz .LBB110_271
; %bb.270:
	buffer_load_dword v96, off, s[0:3], 0 offset:72
	buffer_load_dword v97, off, s[0:3], 0 offset:76
	v_mov_b32_e32 v98, 0
	buffer_store_dword v98, off, s[0:3], 0 offset:72
	buffer_store_dword v98, off, s[0:3], 0 offset:76
	s_waitcnt vmcnt(2)
	ds_write_b64 v95, v[96:97]
.LBB110_271:
	s_or_b64 exec, exec, s[4:5]
	s_waitcnt lgkmcnt(0)
	; wave barrier
	buffer_load_dword v101, off, s[0:3], 0 offset:80
	buffer_load_dword v102, off, s[0:3], 0 offset:84
	;; [unrolled: 1-line block ×20, first 2 shown]
	v_mov_b32_e32 v96, 0
	ds_read_b128 v[97:100], v96 offset:464
	buffer_load_dword v121, off, s[0:3], 0 offset:160
	buffer_load_dword v122, off, s[0:3], 0 offset:164
	v_cmp_lt_u32_e32 vcc, 8, v0
	s_waitcnt vmcnt(20) lgkmcnt(0)
	v_fma_f64 v[97:98], v[101:102], v[97:98], 0
	buffer_load_dword v102, off, s[0:3], 0 offset:172
	buffer_load_dword v101, off, s[0:3], 0 offset:168
	s_waitcnt vmcnt(20)
	v_fma_f64 v[103:104], v[103:104], v[99:100], v[97:98]
	ds_read_b128 v[97:100], v96 offset:480
	buffer_load_dword v123, off, s[0:3], 0 offset:176
	buffer_load_dword v124, off, s[0:3], 0 offset:180
	s_waitcnt vmcnt(20) lgkmcnt(0)
	v_fma_f64 v[97:98], v[105:106], v[97:98], v[103:104]
	buffer_load_dword v103, off, s[0:3], 0 offset:184
	buffer_load_dword v104, off, s[0:3], 0 offset:188
	s_waitcnt vmcnt(20)
	v_fma_f64 v[105:106], v[107:108], v[99:100], v[97:98]
	ds_read_b128 v[97:100], v96 offset:496
	buffer_load_dword v107, off, s[0:3], 0 offset:192
	buffer_load_dword v108, off, s[0:3], 0 offset:196
	;; [unrolled: 9-line block ×13, first 2 shown]
	s_waitcnt vmcnt(20) lgkmcnt(0)
	v_fma_f64 v[97:98], v[107:108], v[97:98], v[103:104]
	buffer_load_dword v103, off, s[0:3], 0 offset:72
	buffer_load_dword v104, off, s[0:3], 0 offset:76
	s_waitcnt vmcnt(20)
	v_fma_f64 v[105:106], v[105:106], v[99:100], v[97:98]
	ds_read_b128 v[97:100], v96 offset:688
	s_waitcnt vmcnt(18) lgkmcnt(0)
	v_fma_f64 v[97:98], v[111:112], v[97:98], v[105:106]
	s_waitcnt vmcnt(16)
	v_fma_f64 v[105:106], v[109:110], v[99:100], v[97:98]
	ds_read_b128 v[97:100], v96 offset:704
	s_waitcnt vmcnt(14) lgkmcnt(0)
	v_fma_f64 v[97:98], v[115:116], v[97:98], v[105:106]
	;; [unrolled: 5-line block ×4, first 2 shown]
	s_waitcnt vmcnt(4)
	v_fma_f64 v[97:98], v[101:102], v[99:100], v[97:98]
	ds_read_b64 v[99:100], v96 offset:752
	s_waitcnt vmcnt(2) lgkmcnt(0)
	v_fma_f64 v[97:98], v[123:124], v[99:100], v[97:98]
	s_waitcnt vmcnt(0)
	v_add_f64 v[97:98], v[103:104], -v[97:98]
	buffer_store_dword v98, off, s[0:3], 0 offset:76
	buffer_store_dword v97, off, s[0:3], 0 offset:72
	s_and_saveexec_b64 s[4:5], vcc
	s_cbranch_execz .LBB110_273
; %bb.272:
	buffer_load_dword v97, off, s[0:3], 0 offset:64
	buffer_load_dword v98, off, s[0:3], 0 offset:68
	s_waitcnt vmcnt(0)
	ds_write_b64 v95, v[97:98]
	buffer_store_dword v96, off, s[0:3], 0 offset:64
	buffer_store_dword v96, off, s[0:3], 0 offset:68
.LBB110_273:
	s_or_b64 exec, exec, s[4:5]
	s_waitcnt lgkmcnt(0)
	; wave barrier
	buffer_load_dword v101, off, s[0:3], 0 offset:72
	buffer_load_dword v102, off, s[0:3], 0 offset:76
	;; [unrolled: 1-line block ×20, first 2 shown]
	ds_read2_b64 v[97:100], v96 offset0:57 offset1:58
	buffer_load_dword v121, off, s[0:3], 0 offset:152
	buffer_load_dword v122, off, s[0:3], 0 offset:156
	v_cmp_lt_u32_e32 vcc, 7, v0
	s_waitcnt vmcnt(20) lgkmcnt(0)
	v_fma_f64 v[97:98], v[101:102], v[97:98], 0
	buffer_load_dword v102, off, s[0:3], 0 offset:164
	buffer_load_dword v101, off, s[0:3], 0 offset:160
	s_waitcnt vmcnt(20)
	v_fma_f64 v[103:104], v[103:104], v[99:100], v[97:98]
	ds_read2_b64 v[97:100], v96 offset0:59 offset1:60
	buffer_load_dword v123, off, s[0:3], 0 offset:168
	buffer_load_dword v124, off, s[0:3], 0 offset:172
	s_waitcnt vmcnt(20) lgkmcnt(0)
	v_fma_f64 v[97:98], v[105:106], v[97:98], v[103:104]
	buffer_load_dword v103, off, s[0:3], 0 offset:176
	buffer_load_dword v104, off, s[0:3], 0 offset:180
	s_waitcnt vmcnt(20)
	v_fma_f64 v[105:106], v[107:108], v[99:100], v[97:98]
	ds_read2_b64 v[97:100], v96 offset0:61 offset1:62
	buffer_load_dword v107, off, s[0:3], 0 offset:184
	buffer_load_dword v108, off, s[0:3], 0 offset:188
	;; [unrolled: 9-line block ×14, first 2 shown]
	s_waitcnt vmcnt(20) lgkmcnt(0)
	v_fma_f64 v[97:98], v[111:112], v[97:98], v[105:106]
	s_waitcnt vmcnt(18)
	v_fma_f64 v[105:106], v[109:110], v[99:100], v[97:98]
	ds_read2_b64 v[97:100], v96 offset0:87 offset1:88
	s_waitcnt vmcnt(16) lgkmcnt(0)
	v_fma_f64 v[97:98], v[115:116], v[97:98], v[105:106]
	s_waitcnt vmcnt(14)
	v_fma_f64 v[105:106], v[113:114], v[99:100], v[97:98]
	ds_read2_b64 v[97:100], v96 offset0:89 offset1:90
	;; [unrolled: 5-line block ×4, first 2 shown]
	s_waitcnt vmcnt(4) lgkmcnt(0)
	v_fma_f64 v[96:97], v[123:124], v[96:97], v[100:101]
	s_waitcnt vmcnt(2)
	v_fma_f64 v[96:97], v[103:104], v[98:99], v[96:97]
	s_waitcnt vmcnt(0)
	v_add_f64 v[96:97], v[107:108], -v[96:97]
	buffer_store_dword v97, off, s[0:3], 0 offset:68
	buffer_store_dword v96, off, s[0:3], 0 offset:64
	s_and_saveexec_b64 s[4:5], vcc
	s_cbranch_execz .LBB110_275
; %bb.274:
	buffer_load_dword v96, off, s[0:3], 0 offset:56
	buffer_load_dword v97, off, s[0:3], 0 offset:60
	v_mov_b32_e32 v98, 0
	buffer_store_dword v98, off, s[0:3], 0 offset:56
	buffer_store_dword v98, off, s[0:3], 0 offset:60
	s_waitcnt vmcnt(2)
	ds_write_b64 v95, v[96:97]
.LBB110_275:
	s_or_b64 exec, exec, s[4:5]
	s_waitcnt lgkmcnt(0)
	; wave barrier
	buffer_load_dword v101, off, s[0:3], 0 offset:64
	buffer_load_dword v102, off, s[0:3], 0 offset:68
	;; [unrolled: 1-line block ×20, first 2 shown]
	v_mov_b32_e32 v96, 0
	ds_read_b128 v[97:100], v96 offset:448
	buffer_load_dword v121, off, s[0:3], 0 offset:144
	buffer_load_dword v122, off, s[0:3], 0 offset:148
	v_cmp_lt_u32_e32 vcc, 6, v0
	s_waitcnt vmcnt(20) lgkmcnt(0)
	v_fma_f64 v[97:98], v[101:102], v[97:98], 0
	buffer_load_dword v102, off, s[0:3], 0 offset:156
	buffer_load_dword v101, off, s[0:3], 0 offset:152
	s_waitcnt vmcnt(20)
	v_fma_f64 v[103:104], v[103:104], v[99:100], v[97:98]
	ds_read_b128 v[97:100], v96 offset:464
	buffer_load_dword v123, off, s[0:3], 0 offset:160
	buffer_load_dword v124, off, s[0:3], 0 offset:164
	s_waitcnt vmcnt(20) lgkmcnt(0)
	v_fma_f64 v[97:98], v[105:106], v[97:98], v[103:104]
	buffer_load_dword v103, off, s[0:3], 0 offset:168
	buffer_load_dword v104, off, s[0:3], 0 offset:172
	s_waitcnt vmcnt(20)
	v_fma_f64 v[105:106], v[107:108], v[99:100], v[97:98]
	ds_read_b128 v[97:100], v96 offset:480
	buffer_load_dword v107, off, s[0:3], 0 offset:176
	buffer_load_dword v108, off, s[0:3], 0 offset:180
	;; [unrolled: 9-line block ×14, first 2 shown]
	s_waitcnt vmcnt(20) lgkmcnt(0)
	v_fma_f64 v[97:98], v[111:112], v[97:98], v[105:106]
	buffer_load_dword v105, off, s[0:3], 0 offset:56
	buffer_load_dword v106, off, s[0:3], 0 offset:60
	s_waitcnt vmcnt(20)
	v_fma_f64 v[109:110], v[109:110], v[99:100], v[97:98]
	ds_read_b128 v[97:100], v96 offset:688
	s_waitcnt vmcnt(18) lgkmcnt(0)
	v_fma_f64 v[97:98], v[115:116], v[97:98], v[109:110]
	s_waitcnt vmcnt(16)
	v_fma_f64 v[109:110], v[113:114], v[99:100], v[97:98]
	ds_read_b128 v[97:100], v96 offset:704
	s_waitcnt vmcnt(14) lgkmcnt(0)
	v_fma_f64 v[97:98], v[119:120], v[97:98], v[109:110]
	;; [unrolled: 5-line block ×4, first 2 shown]
	s_waitcnt vmcnt(4)
	v_fma_f64 v[97:98], v[103:104], v[99:100], v[97:98]
	ds_read_b64 v[99:100], v96 offset:752
	s_waitcnt vmcnt(2) lgkmcnt(0)
	v_fma_f64 v[97:98], v[107:108], v[99:100], v[97:98]
	s_waitcnt vmcnt(0)
	v_add_f64 v[97:98], v[105:106], -v[97:98]
	buffer_store_dword v98, off, s[0:3], 0 offset:60
	buffer_store_dword v97, off, s[0:3], 0 offset:56
	s_and_saveexec_b64 s[4:5], vcc
	s_cbranch_execz .LBB110_277
; %bb.276:
	buffer_load_dword v97, off, s[0:3], 0 offset:48
	buffer_load_dword v98, off, s[0:3], 0 offset:52
	s_waitcnt vmcnt(0)
	ds_write_b64 v95, v[97:98]
	buffer_store_dword v96, off, s[0:3], 0 offset:48
	buffer_store_dword v96, off, s[0:3], 0 offset:52
.LBB110_277:
	s_or_b64 exec, exec, s[4:5]
	s_waitcnt lgkmcnt(0)
	; wave barrier
	buffer_load_dword v101, off, s[0:3], 0 offset:56
	buffer_load_dword v102, off, s[0:3], 0 offset:60
	;; [unrolled: 1-line block ×20, first 2 shown]
	ds_read2_b64 v[97:100], v96 offset0:55 offset1:56
	buffer_load_dword v121, off, s[0:3], 0 offset:136
	buffer_load_dword v122, off, s[0:3], 0 offset:140
	v_cmp_lt_u32_e32 vcc, 5, v0
	s_waitcnt vmcnt(20) lgkmcnt(0)
	v_fma_f64 v[97:98], v[101:102], v[97:98], 0
	buffer_load_dword v102, off, s[0:3], 0 offset:148
	buffer_load_dword v101, off, s[0:3], 0 offset:144
	s_waitcnt vmcnt(20)
	v_fma_f64 v[103:104], v[103:104], v[99:100], v[97:98]
	ds_read2_b64 v[97:100], v96 offset0:57 offset1:58
	buffer_load_dword v123, off, s[0:3], 0 offset:152
	buffer_load_dword v124, off, s[0:3], 0 offset:156
	s_waitcnt vmcnt(20) lgkmcnt(0)
	v_fma_f64 v[97:98], v[105:106], v[97:98], v[103:104]
	buffer_load_dword v103, off, s[0:3], 0 offset:160
	buffer_load_dword v104, off, s[0:3], 0 offset:164
	s_waitcnt vmcnt(20)
	v_fma_f64 v[105:106], v[107:108], v[99:100], v[97:98]
	ds_read2_b64 v[97:100], v96 offset0:59 offset1:60
	buffer_load_dword v107, off, s[0:3], 0 offset:168
	buffer_load_dword v108, off, s[0:3], 0 offset:172
	;; [unrolled: 9-line block ×15, first 2 shown]
	s_waitcnt vmcnt(20) lgkmcnt(0)
	v_fma_f64 v[97:98], v[115:116], v[97:98], v[109:110]
	s_waitcnt vmcnt(18)
	v_fma_f64 v[109:110], v[113:114], v[99:100], v[97:98]
	ds_read2_b64 v[97:100], v96 offset0:87 offset1:88
	s_waitcnt vmcnt(16) lgkmcnt(0)
	v_fma_f64 v[97:98], v[119:120], v[97:98], v[109:110]
	s_waitcnt vmcnt(14)
	v_fma_f64 v[109:110], v[117:118], v[99:100], v[97:98]
	ds_read2_b64 v[97:100], v96 offset0:89 offset1:90
	;; [unrolled: 5-line block ×4, first 2 shown]
	s_waitcnt vmcnt(4) lgkmcnt(0)
	v_fma_f64 v[96:97], v[107:108], v[96:97], v[100:101]
	s_waitcnt vmcnt(2)
	v_fma_f64 v[96:97], v[105:106], v[98:99], v[96:97]
	s_waitcnt vmcnt(0)
	v_add_f64 v[96:97], v[111:112], -v[96:97]
	buffer_store_dword v97, off, s[0:3], 0 offset:52
	buffer_store_dword v96, off, s[0:3], 0 offset:48
	s_and_saveexec_b64 s[4:5], vcc
	s_cbranch_execz .LBB110_279
; %bb.278:
	buffer_load_dword v96, off, s[0:3], 0 offset:40
	buffer_load_dword v97, off, s[0:3], 0 offset:44
	v_mov_b32_e32 v98, 0
	buffer_store_dword v98, off, s[0:3], 0 offset:40
	buffer_store_dword v98, off, s[0:3], 0 offset:44
	s_waitcnt vmcnt(2)
	ds_write_b64 v95, v[96:97]
.LBB110_279:
	s_or_b64 exec, exec, s[4:5]
	s_waitcnt lgkmcnt(0)
	; wave barrier
	buffer_load_dword v101, off, s[0:3], 0 offset:48
	buffer_load_dword v102, off, s[0:3], 0 offset:52
	;; [unrolled: 1-line block ×20, first 2 shown]
	v_mov_b32_e32 v96, 0
	ds_read_b128 v[97:100], v96 offset:432
	buffer_load_dword v121, off, s[0:3], 0 offset:128
	buffer_load_dword v122, off, s[0:3], 0 offset:132
	v_cmp_lt_u32_e32 vcc, 4, v0
	s_waitcnt vmcnt(20) lgkmcnt(0)
	v_fma_f64 v[97:98], v[101:102], v[97:98], 0
	buffer_load_dword v102, off, s[0:3], 0 offset:140
	buffer_load_dword v101, off, s[0:3], 0 offset:136
	s_waitcnt vmcnt(20)
	v_fma_f64 v[103:104], v[103:104], v[99:100], v[97:98]
	ds_read_b128 v[97:100], v96 offset:448
	buffer_load_dword v123, off, s[0:3], 0 offset:144
	buffer_load_dword v124, off, s[0:3], 0 offset:148
	s_waitcnt vmcnt(20) lgkmcnt(0)
	v_fma_f64 v[97:98], v[105:106], v[97:98], v[103:104]
	buffer_load_dword v103, off, s[0:3], 0 offset:152
	buffer_load_dword v104, off, s[0:3], 0 offset:156
	s_waitcnt vmcnt(20)
	v_fma_f64 v[105:106], v[107:108], v[99:100], v[97:98]
	ds_read_b128 v[97:100], v96 offset:464
	buffer_load_dword v107, off, s[0:3], 0 offset:160
	buffer_load_dword v108, off, s[0:3], 0 offset:164
	s_waitcnt vmcnt(20) lgkmcnt(0)
	v_fma_f64 v[97:98], v[109:110], v[97:98], v[105:106]
	buffer_load_dword v106, off, s[0:3], 0 offset:172
	buffer_load_dword v105, off, s[0:3], 0 offset:168
	s_waitcnt vmcnt(20)
	v_fma_f64 v[109:110], v[111:112], v[99:100], v[97:98]
	ds_read_b128 v[97:100], v96 offset:480
	buffer_load_dword v111, off, s[0:3], 0 offset:176
	buffer_load_dword v112, off, s[0:3], 0 offset:180
	s_waitcnt vmcnt(20) lgkmcnt(0)
	v_fma_f64 v[97:98], v[113:114], v[97:98], v[109:110]
	buffer_load_dword v109, off, s[0:3], 0 offset:184
	buffer_load_dword v110, off, s[0:3], 0 offset:188
	s_waitcnt vmcnt(20)
	v_fma_f64 v[113:114], v[115:116], v[99:100], v[97:98]
	ds_read_b128 v[97:100], v96 offset:496
	buffer_load_dword v115, off, s[0:3], 0 offset:192
	buffer_load_dword v116, off, s[0:3], 0 offset:196
	s_waitcnt vmcnt(20) lgkmcnt(0)
	v_fma_f64 v[97:98], v[117:118], v[97:98], v[113:114]
	buffer_load_dword v114, off, s[0:3], 0 offset:204
	buffer_load_dword v113, off, s[0:3], 0 offset:200
	s_waitcnt vmcnt(20)
	v_fma_f64 v[117:118], v[119:120], v[99:100], v[97:98]
	ds_read_b128 v[97:100], v96 offset:512
	buffer_load_dword v119, off, s[0:3], 0 offset:208
	buffer_load_dword v120, off, s[0:3], 0 offset:212
	s_waitcnt vmcnt(20) lgkmcnt(0)
	v_fma_f64 v[97:98], v[121:122], v[97:98], v[117:118]
	buffer_load_dword v117, off, s[0:3], 0 offset:216
	buffer_load_dword v118, off, s[0:3], 0 offset:220
	s_waitcnt vmcnt(20)
	v_fma_f64 v[101:102], v[101:102], v[99:100], v[97:98]
	ds_read_b128 v[97:100], v96 offset:528
	buffer_load_dword v121, off, s[0:3], 0 offset:224
	buffer_load_dword v122, off, s[0:3], 0 offset:228
	s_waitcnt vmcnt(20) lgkmcnt(0)
	v_fma_f64 v[97:98], v[123:124], v[97:98], v[101:102]
	buffer_load_dword v102, off, s[0:3], 0 offset:236
	buffer_load_dword v101, off, s[0:3], 0 offset:232
	s_waitcnt vmcnt(20)
	v_fma_f64 v[103:104], v[103:104], v[99:100], v[97:98]
	ds_read_b128 v[97:100], v96 offset:544
	buffer_load_dword v123, off, s[0:3], 0 offset:240
	buffer_load_dword v124, off, s[0:3], 0 offset:244
	s_waitcnt vmcnt(20) lgkmcnt(0)
	v_fma_f64 v[97:98], v[107:108], v[97:98], v[103:104]
	buffer_load_dword v103, off, s[0:3], 0 offset:248
	buffer_load_dword v104, off, s[0:3], 0 offset:252
	s_waitcnt vmcnt(20)
	v_fma_f64 v[105:106], v[105:106], v[99:100], v[97:98]
	ds_read_b128 v[97:100], v96 offset:560
	buffer_load_dword v107, off, s[0:3], 0 offset:256
	buffer_load_dword v108, off, s[0:3], 0 offset:260
	s_waitcnt vmcnt(20) lgkmcnt(0)
	v_fma_f64 v[97:98], v[111:112], v[97:98], v[105:106]
	buffer_load_dword v106, off, s[0:3], 0 offset:268
	buffer_load_dword v105, off, s[0:3], 0 offset:264
	s_waitcnt vmcnt(20)
	v_fma_f64 v[109:110], v[109:110], v[99:100], v[97:98]
	ds_read_b128 v[97:100], v96 offset:576
	buffer_load_dword v111, off, s[0:3], 0 offset:272
	buffer_load_dword v112, off, s[0:3], 0 offset:276
	s_waitcnt vmcnt(20) lgkmcnt(0)
	v_fma_f64 v[97:98], v[115:116], v[97:98], v[109:110]
	buffer_load_dword v109, off, s[0:3], 0 offset:280
	buffer_load_dword v110, off, s[0:3], 0 offset:284
	s_waitcnt vmcnt(20)
	v_fma_f64 v[113:114], v[113:114], v[99:100], v[97:98]
	ds_read_b128 v[97:100], v96 offset:592
	buffer_load_dword v115, off, s[0:3], 0 offset:288
	buffer_load_dword v116, off, s[0:3], 0 offset:292
	s_waitcnt vmcnt(20) lgkmcnt(0)
	v_fma_f64 v[97:98], v[119:120], v[97:98], v[113:114]
	buffer_load_dword v114, off, s[0:3], 0 offset:300
	buffer_load_dword v113, off, s[0:3], 0 offset:296
	s_waitcnt vmcnt(20)
	v_fma_f64 v[117:118], v[117:118], v[99:100], v[97:98]
	ds_read_b128 v[97:100], v96 offset:608
	buffer_load_dword v119, off, s[0:3], 0 offset:304
	buffer_load_dword v120, off, s[0:3], 0 offset:308
	s_waitcnt vmcnt(20) lgkmcnt(0)
	v_fma_f64 v[97:98], v[121:122], v[97:98], v[117:118]
	buffer_load_dword v117, off, s[0:3], 0 offset:312
	buffer_load_dword v118, off, s[0:3], 0 offset:316
	s_waitcnt vmcnt(20)
	v_fma_f64 v[101:102], v[101:102], v[99:100], v[97:98]
	ds_read_b128 v[97:100], v96 offset:624
	buffer_load_dword v121, off, s[0:3], 0 offset:320
	buffer_load_dword v122, off, s[0:3], 0 offset:324
	s_waitcnt vmcnt(20) lgkmcnt(0)
	v_fma_f64 v[97:98], v[123:124], v[97:98], v[101:102]
	buffer_load_dword v102, off, s[0:3], 0 offset:332
	buffer_load_dword v101, off, s[0:3], 0 offset:328
	s_waitcnt vmcnt(20)
	v_fma_f64 v[103:104], v[103:104], v[99:100], v[97:98]
	ds_read_b128 v[97:100], v96 offset:640
	buffer_load_dword v123, off, s[0:3], 0 offset:336
	buffer_load_dword v124, off, s[0:3], 0 offset:340
	s_waitcnt vmcnt(20) lgkmcnt(0)
	v_fma_f64 v[97:98], v[107:108], v[97:98], v[103:104]
	buffer_load_dword v103, off, s[0:3], 0 offset:344
	buffer_load_dword v104, off, s[0:3], 0 offset:348
	s_waitcnt vmcnt(20)
	v_fma_f64 v[105:106], v[105:106], v[99:100], v[97:98]
	ds_read_b128 v[97:100], v96 offset:656
	buffer_load_dword v107, off, s[0:3], 0 offset:352
	buffer_load_dword v108, off, s[0:3], 0 offset:356
	s_waitcnt vmcnt(20) lgkmcnt(0)
	v_fma_f64 v[97:98], v[111:112], v[97:98], v[105:106]
	buffer_load_dword v106, off, s[0:3], 0 offset:364
	buffer_load_dword v105, off, s[0:3], 0 offset:360
	s_waitcnt vmcnt(20)
	v_fma_f64 v[109:110], v[109:110], v[99:100], v[97:98]
	ds_read_b128 v[97:100], v96 offset:672
	buffer_load_dword v111, off, s[0:3], 0 offset:368
	buffer_load_dword v112, off, s[0:3], 0 offset:372
	s_waitcnt vmcnt(20) lgkmcnt(0)
	v_fma_f64 v[97:98], v[115:116], v[97:98], v[109:110]
	buffer_load_dword v109, off, s[0:3], 0 offset:40
	buffer_load_dword v110, off, s[0:3], 0 offset:44
	s_waitcnt vmcnt(20)
	v_fma_f64 v[113:114], v[113:114], v[99:100], v[97:98]
	ds_read_b128 v[97:100], v96 offset:688
	s_waitcnt vmcnt(18) lgkmcnt(0)
	v_fma_f64 v[97:98], v[119:120], v[97:98], v[113:114]
	s_waitcnt vmcnt(16)
	v_fma_f64 v[113:114], v[117:118], v[99:100], v[97:98]
	ds_read_b128 v[97:100], v96 offset:704
	s_waitcnt vmcnt(14) lgkmcnt(0)
	v_fma_f64 v[97:98], v[121:122], v[97:98], v[113:114]
	;; [unrolled: 5-line block ×4, first 2 shown]
	s_waitcnt vmcnt(4)
	v_fma_f64 v[97:98], v[105:106], v[99:100], v[97:98]
	ds_read_b64 v[99:100], v96 offset:752
	s_waitcnt vmcnt(2) lgkmcnt(0)
	v_fma_f64 v[97:98], v[111:112], v[99:100], v[97:98]
	s_waitcnt vmcnt(0)
	v_add_f64 v[97:98], v[109:110], -v[97:98]
	buffer_store_dword v98, off, s[0:3], 0 offset:44
	buffer_store_dword v97, off, s[0:3], 0 offset:40
	s_and_saveexec_b64 s[4:5], vcc
	s_cbranch_execz .LBB110_281
; %bb.280:
	buffer_load_dword v97, off, s[0:3], 0 offset:32
	buffer_load_dword v98, off, s[0:3], 0 offset:36
	s_waitcnt vmcnt(0)
	ds_write_b64 v95, v[97:98]
	buffer_store_dword v96, off, s[0:3], 0 offset:32
	buffer_store_dword v96, off, s[0:3], 0 offset:36
.LBB110_281:
	s_or_b64 exec, exec, s[4:5]
	s_waitcnt lgkmcnt(0)
	; wave barrier
	buffer_load_dword v101, off, s[0:3], 0 offset:40
	buffer_load_dword v102, off, s[0:3], 0 offset:44
	buffer_load_dword v103, off, s[0:3], 0 offset:48
	buffer_load_dword v104, off, s[0:3], 0 offset:52
	buffer_load_dword v105, off, s[0:3], 0 offset:56
	buffer_load_dword v106, off, s[0:3], 0 offset:60
	buffer_load_dword v107, off, s[0:3], 0 offset:64
	buffer_load_dword v108, off, s[0:3], 0 offset:68
	buffer_load_dword v109, off, s[0:3], 0 offset:72
	buffer_load_dword v110, off, s[0:3], 0 offset:76
	buffer_load_dword v111, off, s[0:3], 0 offset:80
	buffer_load_dword v112, off, s[0:3], 0 offset:84
	buffer_load_dword v113, off, s[0:3], 0 offset:88
	buffer_load_dword v114, off, s[0:3], 0 offset:92
	buffer_load_dword v116, off, s[0:3], 0 offset:100
	buffer_load_dword v115, off, s[0:3], 0 offset:96
	buffer_load_dword v117, off, s[0:3], 0 offset:104
	buffer_load_dword v118, off, s[0:3], 0 offset:108
	buffer_load_dword v119, off, s[0:3], 0 offset:112
	buffer_load_dword v120, off, s[0:3], 0 offset:116
	ds_read2_b64 v[97:100], v96 offset0:53 offset1:54
	buffer_load_dword v121, off, s[0:3], 0 offset:120
	buffer_load_dword v122, off, s[0:3], 0 offset:124
	v_cmp_lt_u32_e32 vcc, 3, v0
	s_waitcnt vmcnt(20) lgkmcnt(0)
	v_fma_f64 v[97:98], v[101:102], v[97:98], 0
	buffer_load_dword v102, off, s[0:3], 0 offset:132
	buffer_load_dword v101, off, s[0:3], 0 offset:128
	s_waitcnt vmcnt(20)
	v_fma_f64 v[103:104], v[103:104], v[99:100], v[97:98]
	ds_read2_b64 v[97:100], v96 offset0:55 offset1:56
	buffer_load_dword v123, off, s[0:3], 0 offset:136
	buffer_load_dword v124, off, s[0:3], 0 offset:140
	s_waitcnt vmcnt(20) lgkmcnt(0)
	v_fma_f64 v[97:98], v[105:106], v[97:98], v[103:104]
	buffer_load_dword v103, off, s[0:3], 0 offset:144
	buffer_load_dword v104, off, s[0:3], 0 offset:148
	s_waitcnt vmcnt(20)
	v_fma_f64 v[105:106], v[107:108], v[99:100], v[97:98]
	ds_read2_b64 v[97:100], v96 offset0:57 offset1:58
	buffer_load_dword v107, off, s[0:3], 0 offset:152
	buffer_load_dword v108, off, s[0:3], 0 offset:156
	;; [unrolled: 9-line block ×16, first 2 shown]
	s_waitcnt vmcnt(20) lgkmcnt(0)
	v_fma_f64 v[97:98], v[119:120], v[97:98], v[113:114]
	s_waitcnt vmcnt(18)
	v_fma_f64 v[113:114], v[117:118], v[99:100], v[97:98]
	ds_read2_b64 v[97:100], v96 offset0:87 offset1:88
	s_waitcnt vmcnt(16) lgkmcnt(0)
	v_fma_f64 v[97:98], v[121:122], v[97:98], v[113:114]
	s_waitcnt vmcnt(14)
	v_fma_f64 v[101:102], v[101:102], v[99:100], v[97:98]
	ds_read2_b64 v[97:100], v96 offset0:89 offset1:90
	s_waitcnt vmcnt(12) lgkmcnt(0)
	v_fma_f64 v[97:98], v[123:124], v[97:98], v[101:102]
	s_waitcnt vmcnt(10)
	v_fma_f64 v[101:102], v[103:104], v[99:100], v[97:98]
	ds_read2_b64 v[97:100], v96 offset0:91 offset1:92
	s_waitcnt vmcnt(8) lgkmcnt(0)
	v_fma_f64 v[97:98], v[107:108], v[97:98], v[101:102]
	s_waitcnt vmcnt(6)
	v_fma_f64 v[100:101], v[105:106], v[99:100], v[97:98]
	ds_read2_b64 v[96:99], v96 offset0:93 offset1:94
	s_waitcnt vmcnt(4) lgkmcnt(0)
	v_fma_f64 v[96:97], v[111:112], v[96:97], v[100:101]
	s_waitcnt vmcnt(2)
	v_fma_f64 v[96:97], v[109:110], v[98:99], v[96:97]
	s_waitcnt vmcnt(0)
	v_add_f64 v[96:97], v[115:116], -v[96:97]
	buffer_store_dword v97, off, s[0:3], 0 offset:36
	buffer_store_dword v96, off, s[0:3], 0 offset:32
	s_and_saveexec_b64 s[4:5], vcc
	s_cbranch_execz .LBB110_283
; %bb.282:
	buffer_load_dword v96, off, s[0:3], 0 offset:24
	buffer_load_dword v97, off, s[0:3], 0 offset:28
	v_mov_b32_e32 v98, 0
	buffer_store_dword v98, off, s[0:3], 0 offset:24
	buffer_store_dword v98, off, s[0:3], 0 offset:28
	s_waitcnt vmcnt(2)
	ds_write_b64 v95, v[96:97]
.LBB110_283:
	s_or_b64 exec, exec, s[4:5]
	s_waitcnt lgkmcnt(0)
	; wave barrier
	buffer_load_dword v101, off, s[0:3], 0 offset:32
	buffer_load_dword v102, off, s[0:3], 0 offset:36
	buffer_load_dword v103, off, s[0:3], 0 offset:40
	buffer_load_dword v104, off, s[0:3], 0 offset:44
	buffer_load_dword v105, off, s[0:3], 0 offset:48
	buffer_load_dword v106, off, s[0:3], 0 offset:52
	buffer_load_dword v107, off, s[0:3], 0 offset:56
	buffer_load_dword v108, off, s[0:3], 0 offset:60
	buffer_load_dword v109, off, s[0:3], 0 offset:64
	buffer_load_dword v110, off, s[0:3], 0 offset:68
	buffer_load_dword v111, off, s[0:3], 0 offset:72
	buffer_load_dword v112, off, s[0:3], 0 offset:76
	buffer_load_dword v113, off, s[0:3], 0 offset:80
	buffer_load_dword v114, off, s[0:3], 0 offset:84
	buffer_load_dword v116, off, s[0:3], 0 offset:92
	buffer_load_dword v115, off, s[0:3], 0 offset:88
	buffer_load_dword v117, off, s[0:3], 0 offset:96
	buffer_load_dword v118, off, s[0:3], 0 offset:100
	buffer_load_dword v119, off, s[0:3], 0 offset:104
	buffer_load_dword v120, off, s[0:3], 0 offset:108
	v_mov_b32_e32 v96, 0
	ds_read_b128 v[97:100], v96 offset:416
	buffer_load_dword v121, off, s[0:3], 0 offset:112
	buffer_load_dword v122, off, s[0:3], 0 offset:116
	v_cmp_lt_u32_e32 vcc, 2, v0
	s_waitcnt vmcnt(20) lgkmcnt(0)
	v_fma_f64 v[97:98], v[101:102], v[97:98], 0
	buffer_load_dword v102, off, s[0:3], 0 offset:124
	buffer_load_dword v101, off, s[0:3], 0 offset:120
	s_waitcnt vmcnt(20)
	v_fma_f64 v[103:104], v[103:104], v[99:100], v[97:98]
	ds_read_b128 v[97:100], v96 offset:432
	buffer_load_dword v123, off, s[0:3], 0 offset:128
	buffer_load_dword v124, off, s[0:3], 0 offset:132
	s_waitcnt vmcnt(20) lgkmcnt(0)
	v_fma_f64 v[97:98], v[105:106], v[97:98], v[103:104]
	buffer_load_dword v103, off, s[0:3], 0 offset:136
	buffer_load_dword v104, off, s[0:3], 0 offset:140
	s_waitcnt vmcnt(20)
	v_fma_f64 v[105:106], v[107:108], v[99:100], v[97:98]
	ds_read_b128 v[97:100], v96 offset:448
	buffer_load_dword v107, off, s[0:3], 0 offset:144
	buffer_load_dword v108, off, s[0:3], 0 offset:148
	;; [unrolled: 9-line block ×16, first 2 shown]
	s_waitcnt vmcnt(20) lgkmcnt(0)
	v_fma_f64 v[97:98], v[119:120], v[97:98], v[113:114]
	buffer_load_dword v113, off, s[0:3], 0 offset:24
	buffer_load_dword v114, off, s[0:3], 0 offset:28
	s_waitcnt vmcnt(20)
	v_fma_f64 v[117:118], v[117:118], v[99:100], v[97:98]
	ds_read_b128 v[97:100], v96 offset:688
	s_waitcnt vmcnt(18) lgkmcnt(0)
	v_fma_f64 v[97:98], v[121:122], v[97:98], v[117:118]
	s_waitcnt vmcnt(16)
	v_fma_f64 v[101:102], v[101:102], v[99:100], v[97:98]
	ds_read_b128 v[97:100], v96 offset:704
	s_waitcnt vmcnt(14) lgkmcnt(0)
	v_fma_f64 v[97:98], v[123:124], v[97:98], v[101:102]
	;; [unrolled: 5-line block ×4, first 2 shown]
	s_waitcnt vmcnt(4)
	v_fma_f64 v[97:98], v[109:110], v[99:100], v[97:98]
	ds_read_b64 v[99:100], v96 offset:752
	s_waitcnt vmcnt(2) lgkmcnt(0)
	v_fma_f64 v[97:98], v[115:116], v[99:100], v[97:98]
	s_waitcnt vmcnt(0)
	v_add_f64 v[97:98], v[113:114], -v[97:98]
	buffer_store_dword v98, off, s[0:3], 0 offset:28
	buffer_store_dword v97, off, s[0:3], 0 offset:24
	s_and_saveexec_b64 s[4:5], vcc
	s_cbranch_execz .LBB110_285
; %bb.284:
	buffer_load_dword v97, off, s[0:3], 0 offset:16
	buffer_load_dword v98, off, s[0:3], 0 offset:20
	s_waitcnt vmcnt(0)
	ds_write_b64 v95, v[97:98]
	buffer_store_dword v96, off, s[0:3], 0 offset:16
	buffer_store_dword v96, off, s[0:3], 0 offset:20
.LBB110_285:
	s_or_b64 exec, exec, s[4:5]
	s_waitcnt lgkmcnt(0)
	; wave barrier
	buffer_load_dword v101, off, s[0:3], 0 offset:24
	buffer_load_dword v102, off, s[0:3], 0 offset:28
	;; [unrolled: 1-line block ×20, first 2 shown]
	ds_read2_b64 v[97:100], v96 offset0:51 offset1:52
	buffer_load_dword v121, off, s[0:3], 0 offset:104
	buffer_load_dword v122, off, s[0:3], 0 offset:108
	v_cmp_lt_u32_e32 vcc, 1, v0
	s_waitcnt vmcnt(20) lgkmcnt(0)
	v_fma_f64 v[97:98], v[101:102], v[97:98], 0
	buffer_load_dword v102, off, s[0:3], 0 offset:116
	buffer_load_dword v101, off, s[0:3], 0 offset:112
	s_waitcnt vmcnt(20)
	v_fma_f64 v[103:104], v[103:104], v[99:100], v[97:98]
	ds_read2_b64 v[97:100], v96 offset0:53 offset1:54
	buffer_load_dword v123, off, s[0:3], 0 offset:120
	buffer_load_dword v124, off, s[0:3], 0 offset:124
	s_waitcnt vmcnt(20) lgkmcnt(0)
	v_fma_f64 v[97:98], v[105:106], v[97:98], v[103:104]
	buffer_load_dword v103, off, s[0:3], 0 offset:128
	buffer_load_dword v104, off, s[0:3], 0 offset:132
	s_waitcnt vmcnt(20)
	v_fma_f64 v[105:106], v[107:108], v[99:100], v[97:98]
	ds_read2_b64 v[97:100], v96 offset0:55 offset1:56
	buffer_load_dword v107, off, s[0:3], 0 offset:136
	buffer_load_dword v108, off, s[0:3], 0 offset:140
	;; [unrolled: 9-line block ×17, first 2 shown]
	s_waitcnt vmcnt(20) lgkmcnt(0)
	v_fma_f64 v[97:98], v[121:122], v[97:98], v[117:118]
	s_waitcnt vmcnt(18)
	v_fma_f64 v[101:102], v[101:102], v[99:100], v[97:98]
	ds_read2_b64 v[97:100], v96 offset0:87 offset1:88
	s_waitcnt vmcnt(16) lgkmcnt(0)
	v_fma_f64 v[97:98], v[123:124], v[97:98], v[101:102]
	s_waitcnt vmcnt(14)
	v_fma_f64 v[101:102], v[103:104], v[99:100], v[97:98]
	ds_read2_b64 v[97:100], v96 offset0:89 offset1:90
	;; [unrolled: 5-line block ×4, first 2 shown]
	s_waitcnt vmcnt(4) lgkmcnt(0)
	v_fma_f64 v[96:97], v[115:116], v[96:97], v[100:101]
	s_waitcnt vmcnt(2)
	v_fma_f64 v[96:97], v[113:114], v[98:99], v[96:97]
	s_waitcnt vmcnt(0)
	v_add_f64 v[96:97], v[119:120], -v[96:97]
	buffer_store_dword v97, off, s[0:3], 0 offset:20
	buffer_store_dword v96, off, s[0:3], 0 offset:16
	s_and_saveexec_b64 s[4:5], vcc
	s_cbranch_execz .LBB110_287
; %bb.286:
	buffer_load_dword v96, off, s[0:3], 0 offset:8
	buffer_load_dword v97, off, s[0:3], 0 offset:12
	v_mov_b32_e32 v98, 0
	buffer_store_dword v98, off, s[0:3], 0 offset:8
	buffer_store_dword v98, off, s[0:3], 0 offset:12
	s_waitcnt vmcnt(2)
	ds_write_b64 v95, v[96:97]
.LBB110_287:
	s_or_b64 exec, exec, s[4:5]
	s_waitcnt lgkmcnt(0)
	; wave barrier
	buffer_load_dword v102, off, s[0:3], 0 offset:16
	buffer_load_dword v103, off, s[0:3], 0 offset:20
	;; [unrolled: 1-line block ×20, first 2 shown]
	v_mov_b32_e32 v97, 0
	ds_read_b128 v[98:101], v97 offset:400
	buffer_load_dword v122, off, s[0:3], 0 offset:96
	buffer_load_dword v123, off, s[0:3], 0 offset:100
	v_cmp_ne_u32_e32 vcc, 0, v0
	s_waitcnt vmcnt(20) lgkmcnt(0)
	v_fma_f64 v[98:99], v[102:103], v[98:99], 0
	buffer_load_dword v103, off, s[0:3], 0 offset:108
	buffer_load_dword v102, off, s[0:3], 0 offset:104
	s_waitcnt vmcnt(20)
	v_fma_f64 v[104:105], v[104:105], v[100:101], v[98:99]
	ds_read_b128 v[98:101], v97 offset:416
	buffer_load_dword v124, off, s[0:3], 0 offset:112
	buffer_load_dword v125, off, s[0:3], 0 offset:116
	s_waitcnt vmcnt(20) lgkmcnt(0)
	v_fma_f64 v[98:99], v[106:107], v[98:99], v[104:105]
	buffer_load_dword v104, off, s[0:3], 0 offset:120
	buffer_load_dword v105, off, s[0:3], 0 offset:124
	s_waitcnt vmcnt(20)
	v_fma_f64 v[106:107], v[108:109], v[100:101], v[98:99]
	ds_read_b128 v[98:101], v97 offset:432
	buffer_load_dword v108, off, s[0:3], 0 offset:128
	buffer_load_dword v109, off, s[0:3], 0 offset:132
	;; [unrolled: 9-line block ×17, first 2 shown]
	s_waitcnt vmcnt(20) lgkmcnt(0)
	v_fma_f64 v[98:99], v[122:123], v[98:99], v[118:119]
	buffer_load_dword v118, off, s[0:3], 0 offset:8
	buffer_load_dword v119, off, s[0:3], 0 offset:12
	s_waitcnt vmcnt(20)
	v_fma_f64 v[102:103], v[102:103], v[100:101], v[98:99]
	ds_read_b128 v[98:101], v97 offset:688
	s_waitcnt vmcnt(18) lgkmcnt(0)
	v_fma_f64 v[98:99], v[124:125], v[98:99], v[102:103]
	s_waitcnt vmcnt(16)
	v_fma_f64 v[102:103], v[104:105], v[100:101], v[98:99]
	ds_read_b128 v[98:101], v97 offset:704
	s_waitcnt vmcnt(14) lgkmcnt(0)
	v_fma_f64 v[98:99], v[108:109], v[98:99], v[102:103]
	;; [unrolled: 5-line block ×4, first 2 shown]
	s_waitcnt vmcnt(4)
	v_fma_f64 v[98:99], v[114:115], v[100:101], v[98:99]
	ds_read_b64 v[100:101], v97 offset:752
	s_waitcnt vmcnt(2) lgkmcnt(0)
	v_fma_f64 v[98:99], v[120:121], v[100:101], v[98:99]
	s_waitcnt vmcnt(0)
	v_add_f64 v[98:99], v[118:119], -v[98:99]
	buffer_store_dword v99, off, s[0:3], 0 offset:12
	buffer_store_dword v98, off, s[0:3], 0 offset:8
	s_and_saveexec_b64 s[4:5], vcc
	s_cbranch_execz .LBB110_289
; %bb.288:
	buffer_load_dword v98, off, s[0:3], 0
	buffer_load_dword v99, off, s[0:3], 0 offset:4
	s_waitcnt vmcnt(0)
	ds_write_b64 v95, v[98:99]
	buffer_store_dword v97, off, s[0:3], 0
	buffer_store_dword v97, off, s[0:3], 0 offset:4
.LBB110_289:
	s_or_b64 exec, exec, s[4:5]
	s_waitcnt lgkmcnt(0)
	; wave barrier
	buffer_load_dword v95, off, s[0:3], 0 offset:8
	buffer_load_dword v96, off, s[0:3], 0 offset:12
	;; [unrolled: 1-line block ×20, first 2 shown]
	ds_read2_b64 v[98:101], v97 offset0:49 offset1:50
	buffer_load_dword v120, off, s[0:3], 0 offset:88
	buffer_load_dword v121, off, s[0:3], 0 offset:92
	;; [unrolled: 1-line block ×4, first 2 shown]
	s_and_b64 vcc, exec, s[14:15]
	s_waitcnt vmcnt(22) lgkmcnt(0)
	v_fma_f64 v[95:96], v[95:96], v[98:99], 0
	s_waitcnt vmcnt(20)
	v_fma_f64 v[95:96], v[102:103], v[100:101], v[95:96]
	ds_read2_b64 v[98:101], v97 offset0:51 offset1:52
	buffer_load_dword v102, off, s[0:3], 0 offset:104
	buffer_load_dword v103, off, s[0:3], 0 offset:108
	s_waitcnt vmcnt(20) lgkmcnt(0)
	v_fma_f64 v[95:96], v[104:105], v[98:99], v[95:96]
	buffer_load_dword v104, off, s[0:3], 0 offset:112
	buffer_load_dword v105, off, s[0:3], 0 offset:116
	s_waitcnt vmcnt(20)
	v_fma_f64 v[95:96], v[106:107], v[100:101], v[95:96]
	ds_read2_b64 v[98:101], v97 offset0:53 offset1:54
	buffer_load_dword v106, off, s[0:3], 0 offset:120
	buffer_load_dword v107, off, s[0:3], 0 offset:124
	s_waitcnt vmcnt(20) lgkmcnt(0)
	v_fma_f64 v[95:96], v[108:109], v[98:99], v[95:96]
	buffer_load_dword v109, off, s[0:3], 0 offset:132
	buffer_load_dword v108, off, s[0:3], 0 offset:128
	s_waitcnt vmcnt(20)
	v_fma_f64 v[95:96], v[110:111], v[100:101], v[95:96]
	ds_read2_b64 v[98:101], v97 offset0:55 offset1:56
	buffer_load_dword v110, off, s[0:3], 0 offset:136
	buffer_load_dword v111, off, s[0:3], 0 offset:140
	s_waitcnt vmcnt(20) lgkmcnt(0)
	v_fma_f64 v[95:96], v[112:113], v[98:99], v[95:96]
	buffer_load_dword v112, off, s[0:3], 0 offset:144
	buffer_load_dword v113, off, s[0:3], 0 offset:148
	s_waitcnt vmcnt(20)
	v_fma_f64 v[95:96], v[114:115], v[100:101], v[95:96]
	ds_read2_b64 v[98:101], v97 offset0:57 offset1:58
	buffer_load_dword v114, off, s[0:3], 0 offset:152
	buffer_load_dword v115, off, s[0:3], 0 offset:156
	s_waitcnt vmcnt(20) lgkmcnt(0)
	v_fma_f64 v[95:96], v[116:117], v[98:99], v[95:96]
	buffer_load_dword v117, off, s[0:3], 0 offset:164
	buffer_load_dword v116, off, s[0:3], 0 offset:160
	s_waitcnt vmcnt(20)
	v_fma_f64 v[95:96], v[118:119], v[100:101], v[95:96]
	ds_read2_b64 v[98:101], v97 offset0:59 offset1:60
	buffer_load_dword v118, off, s[0:3], 0 offset:168
	buffer_load_dword v119, off, s[0:3], 0 offset:172
	s_waitcnt vmcnt(20) lgkmcnt(0)
	v_fma_f64 v[95:96], v[120:121], v[98:99], v[95:96]
	buffer_load_dword v120, off, s[0:3], 0 offset:176
	buffer_load_dword v121, off, s[0:3], 0 offset:180
	s_waitcnt vmcnt(20)
	v_fma_f64 v[95:96], v[122:123], v[100:101], v[95:96]
	ds_read2_b64 v[98:101], v97 offset0:61 offset1:62
	buffer_load_dword v122, off, s[0:3], 0 offset:184
	buffer_load_dword v123, off, s[0:3], 0 offset:188
	s_waitcnt vmcnt(20) lgkmcnt(0)
	v_fma_f64 v[95:96], v[102:103], v[98:99], v[95:96]
	buffer_load_dword v103, off, s[0:3], 0 offset:196
	buffer_load_dword v102, off, s[0:3], 0 offset:192
	s_waitcnt vmcnt(20)
	v_fma_f64 v[95:96], v[104:105], v[100:101], v[95:96]
	ds_read2_b64 v[98:101], v97 offset0:63 offset1:64
	buffer_load_dword v104, off, s[0:3], 0 offset:200
	buffer_load_dword v105, off, s[0:3], 0 offset:204
	s_waitcnt vmcnt(20) lgkmcnt(0)
	v_fma_f64 v[95:96], v[106:107], v[98:99], v[95:96]
	buffer_load_dword v106, off, s[0:3], 0 offset:208
	buffer_load_dword v107, off, s[0:3], 0 offset:212
	s_waitcnt vmcnt(20)
	v_fma_f64 v[95:96], v[108:109], v[100:101], v[95:96]
	ds_read2_b64 v[98:101], v97 offset0:65 offset1:66
	buffer_load_dword v108, off, s[0:3], 0 offset:216
	buffer_load_dword v109, off, s[0:3], 0 offset:220
	s_waitcnt vmcnt(20) lgkmcnt(0)
	v_fma_f64 v[95:96], v[110:111], v[98:99], v[95:96]
	buffer_load_dword v111, off, s[0:3], 0 offset:228
	buffer_load_dword v110, off, s[0:3], 0 offset:224
	s_waitcnt vmcnt(20)
	v_fma_f64 v[95:96], v[112:113], v[100:101], v[95:96]
	ds_read2_b64 v[98:101], v97 offset0:67 offset1:68
	buffer_load_dword v112, off, s[0:3], 0 offset:232
	buffer_load_dword v113, off, s[0:3], 0 offset:236
	s_waitcnt vmcnt(20) lgkmcnt(0)
	v_fma_f64 v[95:96], v[114:115], v[98:99], v[95:96]
	buffer_load_dword v114, off, s[0:3], 0 offset:240
	buffer_load_dword v115, off, s[0:3], 0 offset:244
	s_waitcnt vmcnt(20)
	v_fma_f64 v[95:96], v[116:117], v[100:101], v[95:96]
	ds_read2_b64 v[98:101], v97 offset0:69 offset1:70
	buffer_load_dword v116, off, s[0:3], 0 offset:248
	buffer_load_dword v117, off, s[0:3], 0 offset:252
	s_waitcnt vmcnt(20) lgkmcnt(0)
	v_fma_f64 v[95:96], v[118:119], v[98:99], v[95:96]
	buffer_load_dword v119, off, s[0:3], 0 offset:260
	buffer_load_dword v118, off, s[0:3], 0 offset:256
	s_waitcnt vmcnt(20)
	v_fma_f64 v[95:96], v[120:121], v[100:101], v[95:96]
	ds_read2_b64 v[98:101], v97 offset0:71 offset1:72
	buffer_load_dword v120, off, s[0:3], 0 offset:264
	buffer_load_dword v121, off, s[0:3], 0 offset:268
	s_waitcnt vmcnt(20) lgkmcnt(0)
	v_fma_f64 v[95:96], v[122:123], v[98:99], v[95:96]
	buffer_load_dword v122, off, s[0:3], 0 offset:272
	buffer_load_dword v123, off, s[0:3], 0 offset:276
	s_waitcnt vmcnt(20)
	v_fma_f64 v[95:96], v[102:103], v[100:101], v[95:96]
	ds_read2_b64 v[98:101], v97 offset0:73 offset1:74
	buffer_load_dword v102, off, s[0:3], 0 offset:280
	buffer_load_dword v103, off, s[0:3], 0 offset:284
	s_waitcnt vmcnt(20) lgkmcnt(0)
	v_fma_f64 v[95:96], v[104:105], v[98:99], v[95:96]
	buffer_load_dword v105, off, s[0:3], 0 offset:292
	buffer_load_dword v104, off, s[0:3], 0 offset:288
	s_waitcnt vmcnt(20)
	v_fma_f64 v[95:96], v[106:107], v[100:101], v[95:96]
	ds_read2_b64 v[98:101], v97 offset0:75 offset1:76
	buffer_load_dword v106, off, s[0:3], 0 offset:296
	buffer_load_dword v107, off, s[0:3], 0 offset:300
	s_waitcnt vmcnt(20) lgkmcnt(0)
	v_fma_f64 v[95:96], v[108:109], v[98:99], v[95:96]
	buffer_load_dword v108, off, s[0:3], 0 offset:304
	buffer_load_dword v109, off, s[0:3], 0 offset:308
	s_waitcnt vmcnt(20)
	v_fma_f64 v[95:96], v[110:111], v[100:101], v[95:96]
	ds_read2_b64 v[98:101], v97 offset0:77 offset1:78
	buffer_load_dword v110, off, s[0:3], 0 offset:312
	buffer_load_dword v111, off, s[0:3], 0 offset:316
	s_waitcnt vmcnt(20) lgkmcnt(0)
	v_fma_f64 v[95:96], v[112:113], v[98:99], v[95:96]
	buffer_load_dword v113, off, s[0:3], 0 offset:324
	buffer_load_dword v112, off, s[0:3], 0 offset:320
	s_waitcnt vmcnt(20)
	v_fma_f64 v[95:96], v[114:115], v[100:101], v[95:96]
	ds_read2_b64 v[98:101], v97 offset0:79 offset1:80
	buffer_load_dword v114, off, s[0:3], 0 offset:328
	buffer_load_dword v115, off, s[0:3], 0 offset:332
	s_waitcnt vmcnt(20) lgkmcnt(0)
	v_fma_f64 v[95:96], v[116:117], v[98:99], v[95:96]
	buffer_load_dword v116, off, s[0:3], 0 offset:336
	buffer_load_dword v117, off, s[0:3], 0 offset:340
	s_waitcnt vmcnt(20)
	v_fma_f64 v[95:96], v[118:119], v[100:101], v[95:96]
	ds_read2_b64 v[98:101], v97 offset0:81 offset1:82
	buffer_load_dword v118, off, s[0:3], 0 offset:344
	buffer_load_dword v119, off, s[0:3], 0 offset:348
	s_waitcnt vmcnt(20) lgkmcnt(0)
	v_fma_f64 v[95:96], v[120:121], v[98:99], v[95:96]
	buffer_load_dword v121, off, s[0:3], 0 offset:356
	buffer_load_dword v120, off, s[0:3], 0 offset:352
	s_waitcnt vmcnt(20)
	v_fma_f64 v[122:123], v[122:123], v[100:101], v[95:96]
	ds_read2_b64 v[98:101], v97 offset0:83 offset1:84
	buffer_load_dword v95, off, s[0:3], 0 offset:360
	buffer_load_dword v96, off, s[0:3], 0 offset:364
	s_waitcnt vmcnt(20) lgkmcnt(0)
	v_fma_f64 v[98:99], v[102:103], v[98:99], v[122:123]
	buffer_load_dword v102, off, s[0:3], 0 offset:368
	buffer_load_dword v103, off, s[0:3], 0 offset:372
	s_waitcnt vmcnt(20)
	v_fma_f64 v[104:105], v[104:105], v[100:101], v[98:99]
	ds_read2_b64 v[98:101], v97 offset0:85 offset1:86
	buffer_load_dword v122, off, s[0:3], 0
	buffer_load_dword v123, off, s[0:3], 0 offset:4
	s_waitcnt vmcnt(20) lgkmcnt(0)
	v_fma_f64 v[98:99], v[106:107], v[98:99], v[104:105]
	s_waitcnt vmcnt(18)
	v_fma_f64 v[104:105], v[108:109], v[100:101], v[98:99]
	ds_read2_b64 v[98:101], v97 offset0:87 offset1:88
	s_waitcnt vmcnt(16) lgkmcnt(0)
	v_fma_f64 v[98:99], v[110:111], v[98:99], v[104:105]
	s_waitcnt vmcnt(14)
	v_fma_f64 v[104:105], v[112:113], v[100:101], v[98:99]
	ds_read2_b64 v[98:101], v97 offset0:89 offset1:90
	;; [unrolled: 5-line block ×4, first 2 shown]
	s_waitcnt vmcnt(4) lgkmcnt(0)
	v_fma_f64 v[97:98], v[95:96], v[97:98], v[104:105]
	s_waitcnt vmcnt(2)
	v_fma_f64 v[97:98], v[102:103], v[99:100], v[97:98]
	s_waitcnt vmcnt(0)
	v_add_f64 v[97:98], v[122:123], -v[97:98]
	buffer_store_dword v98, off, s[0:3], 0 offset:4
	buffer_store_dword v97, off, s[0:3], 0
	s_cbranch_vccz .LBB110_382
; %bb.290:
	v_mov_b32_e32 v0, 0
	global_load_dword v97, v0, s[12:13] offset:180
	s_waitcnt vmcnt(0)
	v_add_u32_e32 v97, -1, v97
	v_cmp_ne_u32_e32 vcc, 45, v97
	s_cbranch_vccz .LBB110_292
; %bb.291:
	v_lshlrev_b32_e32 v97, 3, v97
	buffer_load_dword v98, v97, s[0:3], 0 offen
	buffer_load_dword v99, v97, s[0:3], 0 offen offset:4
	s_waitcnt vmcnt(1)
	buffer_store_dword v98, off, s[0:3], 0 offset:360
	s_waitcnt vmcnt(1)
	buffer_store_dword v99, off, s[0:3], 0 offset:364
	buffer_store_dword v95, v97, s[0:3], 0 offen
	buffer_store_dword v96, v97, s[0:3], 0 offen offset:4
.LBB110_292:
	global_load_dword v0, v0, s[12:13] offset:176
	s_waitcnt vmcnt(0)
	v_add_u32_e32 v0, -1, v0
	v_cmp_eq_u32_e32 vcc, 44, v0
	s_cbranch_vccnz .LBB110_294
; %bb.293:
	v_lshlrev_b32_e32 v0, 3, v0
	buffer_load_dword v95, v0, s[0:3], 0 offen
	buffer_load_dword v96, v0, s[0:3], 0 offen offset:4
	buffer_load_dword v97, off, s[0:3], 0 offset:356
	buffer_load_dword v98, off, s[0:3], 0 offset:352
	s_waitcnt vmcnt(3)
	buffer_store_dword v95, off, s[0:3], 0 offset:352
	s_waitcnt vmcnt(3)
	buffer_store_dword v96, off, s[0:3], 0 offset:356
	s_waitcnt vmcnt(3)
	buffer_store_dword v97, v0, s[0:3], 0 offen offset:4
	s_waitcnt vmcnt(3)
	buffer_store_dword v98, v0, s[0:3], 0 offen
.LBB110_294:
	v_mov_b32_e32 v0, 0
	global_load_dword v95, v0, s[12:13] offset:172
	s_waitcnt vmcnt(0)
	v_add_u32_e32 v95, -1, v95
	v_cmp_eq_u32_e32 vcc, 43, v95
	s_cbranch_vccnz .LBB110_296
; %bb.295:
	v_lshlrev_b32_e32 v95, 3, v95
	buffer_load_dword v96, v95, s[0:3], 0 offen
	buffer_load_dword v97, v95, s[0:3], 0 offen offset:4
	buffer_load_dword v98, off, s[0:3], 0 offset:344
	buffer_load_dword v99, off, s[0:3], 0 offset:348
	s_waitcnt vmcnt(3)
	buffer_store_dword v96, off, s[0:3], 0 offset:344
	s_waitcnt vmcnt(3)
	buffer_store_dword v97, off, s[0:3], 0 offset:348
	s_waitcnt vmcnt(3)
	buffer_store_dword v98, v95, s[0:3], 0 offen
	s_waitcnt vmcnt(3)
	buffer_store_dword v99, v95, s[0:3], 0 offen offset:4
.LBB110_296:
	global_load_dword v0, v0, s[12:13] offset:168
	s_waitcnt vmcnt(0)
	v_add_u32_e32 v0, -1, v0
	v_cmp_eq_u32_e32 vcc, 42, v0
	s_cbranch_vccnz .LBB110_298
; %bb.297:
	v_lshlrev_b32_e32 v0, 3, v0
	buffer_load_dword v95, v0, s[0:3], 0 offen
	buffer_load_dword v96, v0, s[0:3], 0 offen offset:4
	buffer_load_dword v97, off, s[0:3], 0 offset:340
	buffer_load_dword v98, off, s[0:3], 0 offset:336
	s_waitcnt vmcnt(3)
	buffer_store_dword v95, off, s[0:3], 0 offset:336
	s_waitcnt vmcnt(3)
	buffer_store_dword v96, off, s[0:3], 0 offset:340
	s_waitcnt vmcnt(3)
	buffer_store_dword v97, v0, s[0:3], 0 offen offset:4
	s_waitcnt vmcnt(3)
	buffer_store_dword v98, v0, s[0:3], 0 offen
.LBB110_298:
	v_mov_b32_e32 v0, 0
	global_load_dword v95, v0, s[12:13] offset:164
	s_waitcnt vmcnt(0)
	v_add_u32_e32 v95, -1, v95
	v_cmp_eq_u32_e32 vcc, 41, v95
	s_cbranch_vccnz .LBB110_300
; %bb.299:
	v_lshlrev_b32_e32 v95, 3, v95
	buffer_load_dword v96, v95, s[0:3], 0 offen
	buffer_load_dword v97, v95, s[0:3], 0 offen offset:4
	buffer_load_dword v98, off, s[0:3], 0 offset:328
	buffer_load_dword v99, off, s[0:3], 0 offset:332
	s_waitcnt vmcnt(3)
	buffer_store_dword v96, off, s[0:3], 0 offset:328
	s_waitcnt vmcnt(3)
	buffer_store_dword v97, off, s[0:3], 0 offset:332
	s_waitcnt vmcnt(3)
	buffer_store_dword v98, v95, s[0:3], 0 offen
	s_waitcnt vmcnt(3)
	buffer_store_dword v99, v95, s[0:3], 0 offen offset:4
.LBB110_300:
	;; [unrolled: 41-line block ×22, first 2 shown]
	global_load_dword v0, v0, s[12:13]
	s_nop 0
	buffer_load_dword v97, off, s[0:3], 0
	buffer_load_dword v98, off, s[0:3], 0 offset:4
	s_waitcnt vmcnt(2)
	v_add_u32_e32 v0, -1, v0
	v_cmp_eq_u32_e32 vcc, 0, v0
	s_cbranch_vccnz .LBB110_382
; %bb.381:
	v_lshlrev_b32_e32 v0, 3, v0
	buffer_load_dword v95, v0, s[0:3], 0 offen offset:4
	buffer_load_dword v96, v0, s[0:3], 0 offen
	s_waitcnt vmcnt(1)
	buffer_store_dword v95, off, s[0:3], 0 offset:4
	s_waitcnt vmcnt(1)
	buffer_store_dword v96, off, s[0:3], 0
	buffer_store_dword v98, v0, s[0:3], 0 offen offset:4
	buffer_store_dword v97, v0, s[0:3], 0 offen
	buffer_load_dword v97, off, s[0:3], 0
	s_nop 0
	buffer_load_dword v98, off, s[0:3], 0 offset:4
.LBB110_382:
	s_waitcnt vmcnt(0)
	flat_store_dwordx2 v[1:2], v[97:98]
	buffer_load_dword v0, off, s[0:3], 0 offset:8
	s_nop 0
	buffer_load_dword v1, off, s[0:3], 0 offset:12
	s_waitcnt vmcnt(0)
	flat_store_dwordx2 v[3:4], v[0:1]
	buffer_load_dword v0, off, s[0:3], 0 offset:16
	s_nop 0
	buffer_load_dword v1, off, s[0:3], 0 offset:20
	;; [unrolled: 5-line block ×46, first 2 shown]
	s_waitcnt vmcnt(0)
	flat_store_dwordx2 v[93:94], v[0:1]
	s_endpgm
	.section	.rodata,"a",@progbits
	.p2align	6, 0x0
	.amdhsa_kernel _ZN9rocsolver6v33100L18getri_kernel_smallILi47EdPKPdEEvT1_iilPiilS6_bb
		.amdhsa_group_segment_fixed_size 760
		.amdhsa_private_segment_fixed_size 384
		.amdhsa_kernarg_size 60
		.amdhsa_user_sgpr_count 6
		.amdhsa_user_sgpr_private_segment_buffer 1
		.amdhsa_user_sgpr_dispatch_ptr 0
		.amdhsa_user_sgpr_queue_ptr 0
		.amdhsa_user_sgpr_kernarg_segment_ptr 1
		.amdhsa_user_sgpr_dispatch_id 0
		.amdhsa_user_sgpr_flat_scratch_init 0
		.amdhsa_user_sgpr_private_segment_size 0
		.amdhsa_uses_dynamic_stack 0
		.amdhsa_system_sgpr_private_segment_wavefront_offset 1
		.amdhsa_system_sgpr_workgroup_id_x 1
		.amdhsa_system_sgpr_workgroup_id_y 0
		.amdhsa_system_sgpr_workgroup_id_z 0
		.amdhsa_system_sgpr_workgroup_info 0
		.amdhsa_system_vgpr_workitem_id 0
		.amdhsa_next_free_vgpr 126
		.amdhsa_next_free_sgpr 21
		.amdhsa_reserve_vcc 1
		.amdhsa_reserve_flat_scratch 0
		.amdhsa_float_round_mode_32 0
		.amdhsa_float_round_mode_16_64 0
		.amdhsa_float_denorm_mode_32 3
		.amdhsa_float_denorm_mode_16_64 3
		.amdhsa_dx10_clamp 1
		.amdhsa_ieee_mode 1
		.amdhsa_fp16_overflow 0
		.amdhsa_exception_fp_ieee_invalid_op 0
		.amdhsa_exception_fp_denorm_src 0
		.amdhsa_exception_fp_ieee_div_zero 0
		.amdhsa_exception_fp_ieee_overflow 0
		.amdhsa_exception_fp_ieee_underflow 0
		.amdhsa_exception_fp_ieee_inexact 0
		.amdhsa_exception_int_div_zero 0
	.end_amdhsa_kernel
	.section	.text._ZN9rocsolver6v33100L18getri_kernel_smallILi47EdPKPdEEvT1_iilPiilS6_bb,"axG",@progbits,_ZN9rocsolver6v33100L18getri_kernel_smallILi47EdPKPdEEvT1_iilPiilS6_bb,comdat
.Lfunc_end110:
	.size	_ZN9rocsolver6v33100L18getri_kernel_smallILi47EdPKPdEEvT1_iilPiilS6_bb, .Lfunc_end110-_ZN9rocsolver6v33100L18getri_kernel_smallILi47EdPKPdEEvT1_iilPiilS6_bb
                                        ; -- End function
	.set _ZN9rocsolver6v33100L18getri_kernel_smallILi47EdPKPdEEvT1_iilPiilS6_bb.num_vgpr, 126
	.set _ZN9rocsolver6v33100L18getri_kernel_smallILi47EdPKPdEEvT1_iilPiilS6_bb.num_agpr, 0
	.set _ZN9rocsolver6v33100L18getri_kernel_smallILi47EdPKPdEEvT1_iilPiilS6_bb.numbered_sgpr, 21
	.set _ZN9rocsolver6v33100L18getri_kernel_smallILi47EdPKPdEEvT1_iilPiilS6_bb.num_named_barrier, 0
	.set _ZN9rocsolver6v33100L18getri_kernel_smallILi47EdPKPdEEvT1_iilPiilS6_bb.private_seg_size, 384
	.set _ZN9rocsolver6v33100L18getri_kernel_smallILi47EdPKPdEEvT1_iilPiilS6_bb.uses_vcc, 1
	.set _ZN9rocsolver6v33100L18getri_kernel_smallILi47EdPKPdEEvT1_iilPiilS6_bb.uses_flat_scratch, 0
	.set _ZN9rocsolver6v33100L18getri_kernel_smallILi47EdPKPdEEvT1_iilPiilS6_bb.has_dyn_sized_stack, 0
	.set _ZN9rocsolver6v33100L18getri_kernel_smallILi47EdPKPdEEvT1_iilPiilS6_bb.has_recursion, 0
	.set _ZN9rocsolver6v33100L18getri_kernel_smallILi47EdPKPdEEvT1_iilPiilS6_bb.has_indirect_call, 0
	.section	.AMDGPU.csdata,"",@progbits
; Kernel info:
; codeLenInByte = 58048
; TotalNumSgprs: 25
; NumVgprs: 126
; ScratchSize: 384
; MemoryBound: 1
; FloatMode: 240
; IeeeMode: 1
; LDSByteSize: 760 bytes/workgroup (compile time only)
; SGPRBlocks: 3
; VGPRBlocks: 31
; NumSGPRsForWavesPerEU: 25
; NumVGPRsForWavesPerEU: 126
; Occupancy: 2
; WaveLimiterHint : 1
; COMPUTE_PGM_RSRC2:SCRATCH_EN: 1
; COMPUTE_PGM_RSRC2:USER_SGPR: 6
; COMPUTE_PGM_RSRC2:TRAP_HANDLER: 0
; COMPUTE_PGM_RSRC2:TGID_X_EN: 1
; COMPUTE_PGM_RSRC2:TGID_Y_EN: 0
; COMPUTE_PGM_RSRC2:TGID_Z_EN: 0
; COMPUTE_PGM_RSRC2:TIDIG_COMP_CNT: 0
	.section	.text._ZN9rocsolver6v33100L18getri_kernel_smallILi48EdPKPdEEvT1_iilPiilS6_bb,"axG",@progbits,_ZN9rocsolver6v33100L18getri_kernel_smallILi48EdPKPdEEvT1_iilPiilS6_bb,comdat
	.globl	_ZN9rocsolver6v33100L18getri_kernel_smallILi48EdPKPdEEvT1_iilPiilS6_bb ; -- Begin function _ZN9rocsolver6v33100L18getri_kernel_smallILi48EdPKPdEEvT1_iilPiilS6_bb
	.p2align	8
	.type	_ZN9rocsolver6v33100L18getri_kernel_smallILi48EdPKPdEEvT1_iilPiilS6_bb,@function
_ZN9rocsolver6v33100L18getri_kernel_smallILi48EdPKPdEEvT1_iilPiilS6_bb: ; @_ZN9rocsolver6v33100L18getri_kernel_smallILi48EdPKPdEEvT1_iilPiilS6_bb
; %bb.0:
	s_add_u32 s0, s0, s7
	s_addc_u32 s1, s1, 0
	v_cmp_gt_u32_e32 vcc, 48, v0
	s_and_saveexec_b64 s[8:9], vcc
	s_cbranch_execz .LBB111_200
; %bb.1:
	s_load_dword s18, s[4:5], 0x38
	s_load_dwordx2 s[12:13], s[4:5], 0x0
	s_load_dwordx4 s[8:11], s[4:5], 0x28
	s_waitcnt lgkmcnt(0)
	s_bitcmp1_b32 s18, 8
	s_cselect_b64 s[14:15], -1, 0
	s_ashr_i32 s7, s6, 31
	s_lshl_b64 s[16:17], s[6:7], 3
	s_add_u32 s12, s12, s16
	s_addc_u32 s13, s13, s17
	s_load_dwordx2 s[16:17], s[12:13], 0x0
	s_bfe_u32 s12, s18, 0x10008
	s_cmp_eq_u32 s12, 0
                                        ; implicit-def: $sgpr12_sgpr13
	s_cbranch_scc1 .LBB111_3
; %bb.2:
	s_load_dword s12, s[4:5], 0x20
	s_load_dwordx2 s[18:19], s[4:5], 0x18
	s_mul_i32 s13, s8, s7
	s_mul_hi_u32 s20, s8, s6
	s_add_i32 s20, s20, s13
	s_mul_i32 s9, s9, s6
	s_add_i32 s9, s20, s9
	s_mul_i32 s8, s8, s6
	s_waitcnt lgkmcnt(0)
	s_ashr_i32 s13, s12, 31
	s_lshl_b64 s[8:9], s[8:9], 2
	s_add_u32 s18, s18, s8
	s_addc_u32 s19, s19, s9
	s_lshl_b64 s[8:9], s[12:13], 2
	s_add_u32 s12, s18, s8
	s_addc_u32 s13, s19, s9
.LBB111_3:
	s_load_dwordx2 s[8:9], s[4:5], 0x8
	s_load_dword s18, s[4:5], 0x38
	v_lshlrev_b32_e32 v99, 3, v0
	s_waitcnt lgkmcnt(0)
	s_ashr_i32 s5, s8, 31
	s_mov_b32 s4, s8
	s_lshl_b64 s[4:5], s[4:5], 3
	s_add_u32 s4, s16, s4
	s_addc_u32 s5, s17, s5
	v_mov_b32_e32 v2, s5
	v_add_co_u32_e32 v1, vcc, s4, v99
	v_addc_co_u32_e32 v2, vcc, 0, v2, vcc
	flat_load_dwordx2 v[5:6], v[1:2]
	s_mov_b32 s16, s9
	s_ashr_i32 s17, s9, 31
	s_lshl_b64 s[16:17], s[16:17], 3
	v_mov_b32_e32 v4, s17
	v_add_co_u32_e32 v3, vcc, s16, v1
	v_addc_co_u32_e32 v4, vcc, v2, v4, vcc
	s_add_i32 s8, s9, s9
	v_add_u32_e32 v9, s8, v0
	v_ashrrev_i32_e32 v10, 31, v9
	v_mov_b32_e32 v11, s5
	v_add_u32_e32 v12, s9, v9
	v_ashrrev_i32_e32 v13, 31, v12
	v_mov_b32_e32 v14, s5
	v_mov_b32_e32 v15, s5
	;; [unrolled: 1-line block ×44, first 2 shown]
	s_bitcmp0_b32 s18, 0
	s_waitcnt vmcnt(0) lgkmcnt(0)
	buffer_store_dword v6, off, s[0:3], 0 offset:4
	buffer_store_dword v5, off, s[0:3], 0
	flat_load_dwordx2 v[7:8], v[3:4]
	v_lshlrev_b64 v[5:6], 3, v[9:10]
	s_waitcnt vmcnt(0) lgkmcnt(0)
	buffer_store_dword v8, off, s[0:3], 0 offset:12
	buffer_store_dword v7, off, s[0:3], 0 offset:8
	v_add_co_u32_e32 v5, vcc, s4, v5
	v_addc_co_u32_e32 v6, vcc, v11, v6, vcc
	flat_load_dwordx2 v[10:11], v[5:6]
	v_lshlrev_b64 v[7:8], 3, v[12:13]
	s_waitcnt vmcnt(0) lgkmcnt(0)
	buffer_store_dword v11, off, s[0:3], 0 offset:20
	buffer_store_dword v10, off, s[0:3], 0 offset:16
	v_add_co_u32_e32 v7, vcc, s4, v7
	v_addc_co_u32_e32 v8, vcc, v14, v8, vcc
	flat_load_dwordx2 v[13:14], v[7:8]
	v_add_u32_e32 v11, s9, v12
	v_ashrrev_i32_e32 v12, 31, v11
	v_lshlrev_b64 v[9:10], 3, v[11:12]
	s_waitcnt vmcnt(0) lgkmcnt(0)
	buffer_store_dword v14, off, s[0:3], 0 offset:28
	buffer_store_dword v13, off, s[0:3], 0 offset:24
	v_add_co_u32_e32 v9, vcc, s4, v9
	v_addc_co_u32_e32 v10, vcc, v15, v10, vcc
	flat_load_dwordx2 v[13:14], v[9:10]
	v_add_u32_e32 v15, s9, v11
	v_ashrrev_i32_e32 v16, 31, v15
	v_lshlrev_b64 v[11:12], 3, v[15:16]
	v_add_u32_e32 v18, s9, v15
	v_add_co_u32_e32 v11, vcc, s4, v11
	v_addc_co_u32_e32 v12, vcc, v17, v12, vcc
	v_ashrrev_i32_e32 v19, 31, v18
	s_waitcnt vmcnt(0) lgkmcnt(0)
	buffer_store_dword v14, off, s[0:3], 0 offset:36
	buffer_store_dword v13, off, s[0:3], 0 offset:32
	flat_load_dwordx2 v[16:17], v[11:12]
	v_lshlrev_b64 v[13:14], 3, v[18:19]
	s_waitcnt vmcnt(0) lgkmcnt(0)
	buffer_store_dword v17, off, s[0:3], 0 offset:44
	buffer_store_dword v16, off, s[0:3], 0 offset:40
	v_add_co_u32_e32 v13, vcc, s4, v13
	v_addc_co_u32_e32 v14, vcc, v20, v14, vcc
	flat_load_dwordx2 v[19:20], v[13:14]
	v_add_u32_e32 v17, s9, v18
	v_ashrrev_i32_e32 v18, 31, v17
	v_lshlrev_b64 v[15:16], 3, v[17:18]
	s_waitcnt vmcnt(0) lgkmcnt(0)
	buffer_store_dword v20, off, s[0:3], 0 offset:52
	buffer_store_dword v19, off, s[0:3], 0 offset:48
	v_add_co_u32_e32 v15, vcc, s4, v15
	v_addc_co_u32_e32 v16, vcc, v21, v16, vcc
	flat_load_dwordx2 v[19:20], v[15:16]
	v_add_u32_e32 v21, s9, v17
	v_ashrrev_i32_e32 v22, 31, v21
	v_lshlrev_b64 v[17:18], 3, v[21:22]
	v_add_u32_e32 v24, s9, v21
	v_add_co_u32_e32 v17, vcc, s4, v17
	v_addc_co_u32_e32 v18, vcc, v23, v18, vcc
	v_ashrrev_i32_e32 v25, 31, v24
	s_waitcnt vmcnt(0) lgkmcnt(0)
	buffer_store_dword v20, off, s[0:3], 0 offset:60
	buffer_store_dword v19, off, s[0:3], 0 offset:56
	;; [unrolled: 27-line block ×7, first 2 shown]
	flat_load_dwordx2 v[52:53], v[47:48]
	v_lshlrev_b64 v[49:50], 3, v[54:55]
	s_waitcnt vmcnt(0) lgkmcnt(0)
	buffer_store_dword v53, off, s[0:3], 0 offset:188
	buffer_store_dword v52, off, s[0:3], 0 offset:184
	v_add_co_u32_e32 v49, vcc, s4, v49
	v_addc_co_u32_e32 v50, vcc, v56, v50, vcc
	flat_load_dwordx2 v[55:56], v[49:50]
	v_add_u32_e32 v53, s9, v54
	v_ashrrev_i32_e32 v54, 31, v53
	v_lshlrev_b64 v[51:52], 3, v[53:54]
	s_waitcnt vmcnt(0) lgkmcnt(0)
	buffer_store_dword v56, off, s[0:3], 0 offset:196
	buffer_store_dword v55, off, s[0:3], 0 offset:192
	v_add_co_u32_e32 v51, vcc, s4, v51
	v_addc_co_u32_e32 v52, vcc, v57, v52, vcc
	flat_load_dwordx2 v[55:56], v[51:52]
	v_add_u32_e32 v57, s9, v53
	v_ashrrev_i32_e32 v58, 31, v57
	v_lshlrev_b64 v[53:54], 3, v[57:58]
	v_add_u32_e32 v60, s9, v57
	v_add_co_u32_e32 v53, vcc, s4, v53
	v_addc_co_u32_e32 v54, vcc, v59, v54, vcc
	s_waitcnt vmcnt(0) lgkmcnt(0)
	buffer_store_dword v56, off, s[0:3], 0 offset:204
	buffer_store_dword v55, off, s[0:3], 0 offset:200
	flat_load_dwordx2 v[58:59], v[53:54]
	v_ashrrev_i32_e32 v61, 31, v60
	v_lshlrev_b64 v[55:56], 3, v[60:61]
	s_waitcnt vmcnt(0) lgkmcnt(0)
	buffer_store_dword v59, off, s[0:3], 0 offset:212
	buffer_store_dword v58, off, s[0:3], 0 offset:208
	v_add_co_u32_e32 v55, vcc, s4, v55
	v_addc_co_u32_e32 v56, vcc, v62, v56, vcc
	flat_load_dwordx2 v[61:62], v[55:56]
	v_add_u32_e32 v59, s9, v60
	v_ashrrev_i32_e32 v60, 31, v59
	v_lshlrev_b64 v[57:58], 3, v[59:60]
	s_waitcnt vmcnt(0) lgkmcnt(0)
	buffer_store_dword v62, off, s[0:3], 0 offset:220
	buffer_store_dword v61, off, s[0:3], 0 offset:216
	v_add_co_u32_e32 v57, vcc, s4, v57
	v_addc_co_u32_e32 v58, vcc, v63, v58, vcc
	flat_load_dwordx2 v[61:62], v[57:58]
	v_add_u32_e32 v63, s9, v59
	;; [unrolled: 9-line block ×20, first 2 shown]
	v_ashrrev_i32_e32 v96, 31, v95
	v_lshlrev_b64 v[95:96], 3, v[95:96]
	s_waitcnt vmcnt(0) lgkmcnt(0)
	buffer_store_dword v98, off, s[0:3], 0 offset:372
	buffer_store_dword v97, off, s[0:3], 0 offset:368
	v_add_co_u32_e32 v95, vcc, s4, v95
	v_addc_co_u32_e32 v96, vcc, v100, v96, vcc
	flat_load_dwordx2 v[97:98], v[95:96]
	s_mov_b64 s[8:9], -1
	s_waitcnt vmcnt(0) lgkmcnt(0)
	buffer_store_dword v98, off, s[0:3], 0 offset:380
	buffer_store_dword v97, off, s[0:3], 0 offset:376
	s_cbranch_scc1 .LBB111_198
; %bb.4:
	v_cmp_eq_u32_e64 s[4:5], 0, v0
	s_and_saveexec_b64 s[8:9], s[4:5]
; %bb.5:
	v_mov_b32_e32 v97, 0
	ds_write_b32 v97, v97 offset:768
; %bb.6:
	s_or_b64 exec, exec, s[8:9]
	v_mov_b32_e32 v97, 0
	v_lshl_add_u32 v97, v0, 3, v97
	s_waitcnt lgkmcnt(0)
	; wave barrier
	buffer_load_dword v100, v97, s[0:3], 0 offen
	buffer_load_dword v101, v97, s[0:3], 0 offen offset:4
	s_waitcnt vmcnt(0)
	v_cmp_eq_f64_e32 vcc, 0, v[100:101]
	s_and_saveexec_b64 s[16:17], vcc
	s_cbranch_execz .LBB111_10
; %bb.7:
	v_mov_b32_e32 v98, 0
	ds_read_b32 v101, v98 offset:768
	v_add_u32_e32 v100, 1, v0
	s_waitcnt lgkmcnt(0)
	v_readfirstlane_b32 s8, v101
	s_cmp_eq_u32 s8, 0
	s_cselect_b64 s[18:19], -1, 0
	v_cmp_gt_i32_e32 vcc, s8, v100
	s_or_b64 s[18:19], s[18:19], vcc
	s_and_b64 exec, exec, s[18:19]
	s_cbranch_execz .LBB111_10
; %bb.8:
	s_mov_b64 s[18:19], 0
	v_mov_b32_e32 v101, s8
.LBB111_9:                              ; =>This Inner Loop Header: Depth=1
	ds_cmpst_rtn_b32 v101, v98, v101, v100 offset:768
	s_waitcnt lgkmcnt(0)
	v_cmp_ne_u32_e32 vcc, 0, v101
	v_cmp_le_i32_e64 s[8:9], v101, v100
	s_and_b64 s[8:9], vcc, s[8:9]
	s_and_b64 s[8:9], exec, s[8:9]
	s_or_b64 s[18:19], s[8:9], s[18:19]
	s_andn2_b64 exec, exec, s[18:19]
	s_cbranch_execnz .LBB111_9
.LBB111_10:
	s_or_b64 exec, exec, s[16:17]
	v_mov_b32_e32 v100, 0
	; wave barrier
	ds_read_b32 v98, v100 offset:768
	s_and_saveexec_b64 s[8:9], s[4:5]
	s_cbranch_execz .LBB111_12
; %bb.11:
	s_lshl_b64 s[16:17], s[6:7], 2
	s_add_u32 s16, s10, s16
	s_addc_u32 s17, s11, s17
	s_waitcnt lgkmcnt(0)
	global_store_dword v100, v98, s[16:17]
.LBB111_12:
	s_or_b64 exec, exec, s[8:9]
	s_waitcnt lgkmcnt(0)
	v_cmp_ne_u32_e32 vcc, 0, v98
	s_mov_b64 s[8:9], 0
	s_cbranch_vccnz .LBB111_198
; %bb.13:
	buffer_load_dword v100, v97, s[0:3], 0 offen
	buffer_load_dword v101, v97, s[0:3], 0 offen offset:4
	s_waitcnt vmcnt(0)
	v_div_scale_f64 v[102:103], s[8:9], v[100:101], v[100:101], 1.0
	v_rcp_f64_e32 v[104:105], v[102:103]
	v_fma_f64 v[106:107], -v[102:103], v[104:105], 1.0
	v_fma_f64 v[104:105], v[104:105], v[106:107], v[104:105]
	v_div_scale_f64 v[106:107], vcc, 1.0, v[100:101], 1.0
	v_fma_f64 v[108:109], -v[102:103], v[104:105], 1.0
	v_fma_f64 v[104:105], v[104:105], v[108:109], v[104:105]
	v_mul_f64 v[108:109], v[106:107], v[104:105]
	v_fma_f64 v[102:103], -v[102:103], v[108:109], v[106:107]
	v_div_fmas_f64 v[102:103], v[102:103], v[104:105], v[108:109]
	v_div_fixup_f64 v[101:102], v[102:103], v[100:101], 1.0
	v_add_u32_e32 v100, 0x180, v99
	buffer_store_dword v102, v97, s[0:3], 0 offen offset:4
	buffer_store_dword v101, v97, s[0:3], 0 offen
	buffer_load_dword v104, off, s[0:3], 0 offset:12
	buffer_load_dword v103, off, s[0:3], 0 offset:8
	v_xor_b32_e32 v102, 0x80000000, v102
	s_waitcnt vmcnt(0)
	ds_write2_b64 v99, v[101:102], v[103:104] offset1:48
	s_waitcnt lgkmcnt(0)
	; wave barrier
	s_and_saveexec_b64 s[8:9], s[4:5]
	s_cbranch_execz .LBB111_15
; %bb.14:
	buffer_load_dword v101, v97, s[0:3], 0 offen
	buffer_load_dword v102, v97, s[0:3], 0 offen offset:4
	ds_read_b64 v[103:104], v100
	v_mov_b32_e32 v98, 0
	ds_read_b64 v[105:106], v98 offset:8
	s_waitcnt vmcnt(0) lgkmcnt(1)
	v_fma_f64 v[101:102], v[101:102], v[103:104], 0
	s_waitcnt lgkmcnt(0)
	v_mul_f64 v[101:102], v[101:102], v[105:106]
	buffer_store_dword v101, off, s[0:3], 0 offset:8
	buffer_store_dword v102, off, s[0:3], 0 offset:12
.LBB111_15:
	s_or_b64 exec, exec, s[8:9]
	; wave barrier
	buffer_load_dword v101, off, s[0:3], 0 offset:16
	buffer_load_dword v102, off, s[0:3], 0 offset:20
	v_cmp_gt_u32_e32 vcc, 2, v0
	s_waitcnt vmcnt(0)
	ds_write_b64 v100, v[101:102]
	s_waitcnt lgkmcnt(0)
	; wave barrier
	s_and_saveexec_b64 s[8:9], vcc
	s_cbranch_execz .LBB111_17
; %bb.16:
	buffer_load_dword v101, v97, s[0:3], 0 offen
	buffer_load_dword v102, v97, s[0:3], 0 offen offset:4
                                        ; kill: killed $vgpr97
	s_nop 0
	buffer_load_dword v97, off, s[0:3], 0 offset:8
	buffer_load_dword v98, off, s[0:3], 0 offset:12
	ds_read_b64 v[103:104], v100
	s_waitcnt vmcnt(2) lgkmcnt(0)
	v_fma_f64 v[105:106], v[101:102], v[103:104], 0
	v_mov_b32_e32 v101, 0
	ds_read2_b64 v[101:104], v101 offset0:2 offset1:49
	s_waitcnt vmcnt(0) lgkmcnt(0)
	v_fma_f64 v[97:98], v[97:98], v[103:104], v[105:106]
	v_cndmask_b32_e64 v98, v106, v98, s[4:5]
	v_cndmask_b32_e64 v97, v105, v97, s[4:5]
	v_mul_f64 v[97:98], v[97:98], v[101:102]
	buffer_store_dword v98, off, s[0:3], 0 offset:20
	buffer_store_dword v97, off, s[0:3], 0 offset:16
.LBB111_17:
	s_or_b64 exec, exec, s[8:9]
	; wave barrier
	buffer_load_dword v97, off, s[0:3], 0 offset:24
	buffer_load_dword v98, off, s[0:3], 0 offset:28
	v_cmp_gt_u32_e32 vcc, 3, v0
	v_add_u32_e32 v101, -1, v0
	s_waitcnt vmcnt(0)
	ds_write_b64 v100, v[97:98]
	s_waitcnt lgkmcnt(0)
	; wave barrier
	s_and_saveexec_b64 s[4:5], vcc
	s_cbranch_execz .LBB111_21
; %bb.18:
	v_mov_b32_e32 v97, 0
	v_add_u32_e32 v102, -1, v0
	v_add_u32_e32 v103, 0x180, v99
	v_mov_b32_e32 v104, v99
	v_mov_b32_e32 v98, 0
	s_mov_b64 s[8:9], 0
.LBB111_19:                             ; =>This Inner Loop Header: Depth=1
	buffer_load_dword v105, v104, s[0:3], 0 offen
	buffer_load_dword v106, v104, s[0:3], 0 offen offset:4
	ds_read_b64 v[107:108], v103
	v_add_u32_e32 v102, 1, v102
	v_cmp_lt_u32_e32 vcc, 1, v102
	v_add_u32_e32 v103, 8, v103
	s_or_b64 s[8:9], vcc, s[8:9]
	v_add_u32_e32 v104, 8, v104
	s_waitcnt vmcnt(0) lgkmcnt(0)
	v_fma_f64 v[97:98], v[105:106], v[107:108], v[97:98]
	s_andn2_b64 exec, exec, s[8:9]
	s_cbranch_execnz .LBB111_19
; %bb.20:
	s_or_b64 exec, exec, s[8:9]
	v_mov_b32_e32 v102, 0
	ds_read_b64 v[102:103], v102 offset:24
	s_waitcnt lgkmcnt(0)
	v_mul_f64 v[97:98], v[97:98], v[102:103]
	buffer_store_dword v98, off, s[0:3], 0 offset:28
	buffer_store_dword v97, off, s[0:3], 0 offset:24
.LBB111_21:
	s_or_b64 exec, exec, s[4:5]
	; wave barrier
	buffer_load_dword v97, off, s[0:3], 0 offset:32
	buffer_load_dword v98, off, s[0:3], 0 offset:36
	v_cmp_gt_u32_e32 vcc, 4, v0
	s_waitcnt vmcnt(0)
	ds_write_b64 v100, v[97:98]
	s_waitcnt lgkmcnt(0)
	; wave barrier
	s_and_saveexec_b64 s[4:5], vcc
	s_cbranch_execz .LBB111_25
; %bb.22:
	v_mov_b32_e32 v97, 0
	v_add_u32_e32 v102, -1, v0
	v_add_u32_e32 v103, 0x180, v99
	v_mov_b32_e32 v104, v99
	v_mov_b32_e32 v98, 0
	s_mov_b64 s[8:9], 0
.LBB111_23:                             ; =>This Inner Loop Header: Depth=1
	buffer_load_dword v105, v104, s[0:3], 0 offen
	buffer_load_dword v106, v104, s[0:3], 0 offen offset:4
	ds_read_b64 v[107:108], v103
	v_add_u32_e32 v102, 1, v102
	v_cmp_lt_u32_e32 vcc, 2, v102
	v_add_u32_e32 v103, 8, v103
	s_or_b64 s[8:9], vcc, s[8:9]
	v_add_u32_e32 v104, 8, v104
	s_waitcnt vmcnt(0) lgkmcnt(0)
	v_fma_f64 v[97:98], v[105:106], v[107:108], v[97:98]
	s_andn2_b64 exec, exec, s[8:9]
	s_cbranch_execnz .LBB111_23
; %bb.24:
	s_or_b64 exec, exec, s[8:9]
	v_mov_b32_e32 v102, 0
	ds_read_b64 v[102:103], v102 offset:32
	s_waitcnt lgkmcnt(0)
	v_mul_f64 v[97:98], v[97:98], v[102:103]
	buffer_store_dword v98, off, s[0:3], 0 offset:36
	buffer_store_dword v97, off, s[0:3], 0 offset:32
.LBB111_25:
	s_or_b64 exec, exec, s[4:5]
	; wave barrier
	buffer_load_dword v97, off, s[0:3], 0 offset:40
	buffer_load_dword v98, off, s[0:3], 0 offset:44
	v_cmp_gt_u32_e32 vcc, 5, v0
	;; [unrolled: 40-line block ×21, first 2 shown]
	s_waitcnt vmcnt(0)
	ds_write_b64 v100, v[97:98]
	s_waitcnt lgkmcnt(0)
	; wave barrier
	s_and_saveexec_b64 s[4:5], vcc
	s_cbranch_execz .LBB111_105
; %bb.102:
	v_mov_b32_e32 v97, 0
	v_add_u32_e32 v102, -1, v0
	v_add_u32_e32 v103, 0x180, v99
	v_mov_b32_e32 v104, v99
	v_mov_b32_e32 v98, 0
	s_mov_b64 s[8:9], 0
.LBB111_103:                            ; =>This Inner Loop Header: Depth=1
	buffer_load_dword v105, v104, s[0:3], 0 offen
	buffer_load_dword v106, v104, s[0:3], 0 offen offset:4
	ds_read_b64 v[107:108], v103
	v_add_u32_e32 v102, 1, v102
	v_cmp_lt_u32_e32 vcc, 22, v102
	v_add_u32_e32 v103, 8, v103
	s_or_b64 s[8:9], vcc, s[8:9]
	v_add_u32_e32 v104, 8, v104
	s_waitcnt vmcnt(0) lgkmcnt(0)
	v_fma_f64 v[97:98], v[105:106], v[107:108], v[97:98]
	s_andn2_b64 exec, exec, s[8:9]
	s_cbranch_execnz .LBB111_103
; %bb.104:
	s_or_b64 exec, exec, s[8:9]
	v_mov_b32_e32 v102, 0
	ds_read_b64 v[102:103], v102 offset:192
	s_waitcnt lgkmcnt(0)
	v_mul_f64 v[97:98], v[97:98], v[102:103]
	buffer_store_dword v98, off, s[0:3], 0 offset:196
	buffer_store_dword v97, off, s[0:3], 0 offset:192
.LBB111_105:
	s_or_b64 exec, exec, s[4:5]
	; wave barrier
	buffer_load_dword v97, off, s[0:3], 0 offset:200
	buffer_load_dword v98, off, s[0:3], 0 offset:204
	v_cmp_gt_u32_e32 vcc, 25, v0
	s_waitcnt vmcnt(0)
	ds_write_b64 v100, v[97:98]
	s_waitcnt lgkmcnt(0)
	; wave barrier
	s_and_saveexec_b64 s[4:5], vcc
	s_cbranch_execz .LBB111_109
; %bb.106:
	v_mov_b32_e32 v97, 0
	v_add_u32_e32 v102, -1, v0
	v_add_u32_e32 v103, 0x180, v99
	v_mov_b32_e32 v104, v99
	v_mov_b32_e32 v98, 0
	s_mov_b64 s[8:9], 0
.LBB111_107:                            ; =>This Inner Loop Header: Depth=1
	buffer_load_dword v105, v104, s[0:3], 0 offen
	buffer_load_dword v106, v104, s[0:3], 0 offen offset:4
	ds_read_b64 v[107:108], v103
	v_add_u32_e32 v102, 1, v102
	v_cmp_lt_u32_e32 vcc, 23, v102
	v_add_u32_e32 v103, 8, v103
	s_or_b64 s[8:9], vcc, s[8:9]
	v_add_u32_e32 v104, 8, v104
	s_waitcnt vmcnt(0) lgkmcnt(0)
	v_fma_f64 v[97:98], v[105:106], v[107:108], v[97:98]
	s_andn2_b64 exec, exec, s[8:9]
	s_cbranch_execnz .LBB111_107
; %bb.108:
	s_or_b64 exec, exec, s[8:9]
	v_mov_b32_e32 v102, 0
	ds_read_b64 v[102:103], v102 offset:200
	s_waitcnt lgkmcnt(0)
	v_mul_f64 v[97:98], v[97:98], v[102:103]
	buffer_store_dword v98, off, s[0:3], 0 offset:204
	buffer_store_dword v97, off, s[0:3], 0 offset:200
.LBB111_109:
	s_or_b64 exec, exec, s[4:5]
	; wave barrier
	buffer_load_dword v97, off, s[0:3], 0 offset:208
	buffer_load_dword v98, off, s[0:3], 0 offset:212
	v_cmp_gt_u32_e32 vcc, 26, v0
	s_waitcnt vmcnt(0)
	ds_write_b64 v100, v[97:98]
	s_waitcnt lgkmcnt(0)
	; wave barrier
	s_and_saveexec_b64 s[4:5], vcc
	s_cbranch_execz .LBB111_113
; %bb.110:
	v_mov_b32_e32 v97, 0
	v_add_u32_e32 v102, -1, v0
	v_add_u32_e32 v103, 0x180, v99
	v_mov_b32_e32 v104, v99
	v_mov_b32_e32 v98, 0
	s_mov_b64 s[8:9], 0
.LBB111_111:                            ; =>This Inner Loop Header: Depth=1
	buffer_load_dword v105, v104, s[0:3], 0 offen
	buffer_load_dword v106, v104, s[0:3], 0 offen offset:4
	ds_read_b64 v[107:108], v103
	v_add_u32_e32 v102, 1, v102
	v_cmp_lt_u32_e32 vcc, 24, v102
	v_add_u32_e32 v103, 8, v103
	s_or_b64 s[8:9], vcc, s[8:9]
	v_add_u32_e32 v104, 8, v104
	s_waitcnt vmcnt(0) lgkmcnt(0)
	v_fma_f64 v[97:98], v[105:106], v[107:108], v[97:98]
	s_andn2_b64 exec, exec, s[8:9]
	s_cbranch_execnz .LBB111_111
; %bb.112:
	s_or_b64 exec, exec, s[8:9]
	v_mov_b32_e32 v102, 0
	ds_read_b64 v[102:103], v102 offset:208
	s_waitcnt lgkmcnt(0)
	v_mul_f64 v[97:98], v[97:98], v[102:103]
	buffer_store_dword v98, off, s[0:3], 0 offset:212
	buffer_store_dword v97, off, s[0:3], 0 offset:208
.LBB111_113:
	s_or_b64 exec, exec, s[4:5]
	; wave barrier
	buffer_load_dword v97, off, s[0:3], 0 offset:216
	buffer_load_dword v98, off, s[0:3], 0 offset:220
	v_cmp_gt_u32_e32 vcc, 27, v0
	s_waitcnt vmcnt(0)
	ds_write_b64 v100, v[97:98]
	s_waitcnt lgkmcnt(0)
	; wave barrier
	s_and_saveexec_b64 s[4:5], vcc
	s_cbranch_execz .LBB111_117
; %bb.114:
	v_mov_b32_e32 v97, 0
	v_add_u32_e32 v102, -1, v0
	v_add_u32_e32 v103, 0x180, v99
	v_mov_b32_e32 v104, v99
	v_mov_b32_e32 v98, 0
	s_mov_b64 s[8:9], 0
.LBB111_115:                            ; =>This Inner Loop Header: Depth=1
	buffer_load_dword v105, v104, s[0:3], 0 offen
	buffer_load_dword v106, v104, s[0:3], 0 offen offset:4
	ds_read_b64 v[107:108], v103
	v_add_u32_e32 v102, 1, v102
	v_cmp_lt_u32_e32 vcc, 25, v102
	v_add_u32_e32 v103, 8, v103
	s_or_b64 s[8:9], vcc, s[8:9]
	v_add_u32_e32 v104, 8, v104
	s_waitcnt vmcnt(0) lgkmcnt(0)
	v_fma_f64 v[97:98], v[105:106], v[107:108], v[97:98]
	s_andn2_b64 exec, exec, s[8:9]
	s_cbranch_execnz .LBB111_115
; %bb.116:
	s_or_b64 exec, exec, s[8:9]
	v_mov_b32_e32 v102, 0
	ds_read_b64 v[102:103], v102 offset:216
	s_waitcnt lgkmcnt(0)
	v_mul_f64 v[97:98], v[97:98], v[102:103]
	buffer_store_dword v98, off, s[0:3], 0 offset:220
	buffer_store_dword v97, off, s[0:3], 0 offset:216
.LBB111_117:
	s_or_b64 exec, exec, s[4:5]
	; wave barrier
	buffer_load_dword v97, off, s[0:3], 0 offset:224
	buffer_load_dword v98, off, s[0:3], 0 offset:228
	v_cmp_gt_u32_e32 vcc, 28, v0
	s_waitcnt vmcnt(0)
	ds_write_b64 v100, v[97:98]
	s_waitcnt lgkmcnt(0)
	; wave barrier
	s_and_saveexec_b64 s[4:5], vcc
	s_cbranch_execz .LBB111_121
; %bb.118:
	v_mov_b32_e32 v97, 0
	v_add_u32_e32 v102, -1, v0
	v_add_u32_e32 v103, 0x180, v99
	v_mov_b32_e32 v104, v99
	v_mov_b32_e32 v98, 0
	s_mov_b64 s[8:9], 0
.LBB111_119:                            ; =>This Inner Loop Header: Depth=1
	buffer_load_dword v105, v104, s[0:3], 0 offen
	buffer_load_dword v106, v104, s[0:3], 0 offen offset:4
	ds_read_b64 v[107:108], v103
	v_add_u32_e32 v102, 1, v102
	v_cmp_lt_u32_e32 vcc, 26, v102
	v_add_u32_e32 v103, 8, v103
	s_or_b64 s[8:9], vcc, s[8:9]
	v_add_u32_e32 v104, 8, v104
	s_waitcnt vmcnt(0) lgkmcnt(0)
	v_fma_f64 v[97:98], v[105:106], v[107:108], v[97:98]
	s_andn2_b64 exec, exec, s[8:9]
	s_cbranch_execnz .LBB111_119
; %bb.120:
	s_or_b64 exec, exec, s[8:9]
	v_mov_b32_e32 v102, 0
	ds_read_b64 v[102:103], v102 offset:224
	s_waitcnt lgkmcnt(0)
	v_mul_f64 v[97:98], v[97:98], v[102:103]
	buffer_store_dword v98, off, s[0:3], 0 offset:228
	buffer_store_dword v97, off, s[0:3], 0 offset:224
.LBB111_121:
	s_or_b64 exec, exec, s[4:5]
	; wave barrier
	buffer_load_dword v97, off, s[0:3], 0 offset:232
	buffer_load_dword v98, off, s[0:3], 0 offset:236
	v_cmp_gt_u32_e32 vcc, 29, v0
	s_waitcnt vmcnt(0)
	ds_write_b64 v100, v[97:98]
	s_waitcnt lgkmcnt(0)
	; wave barrier
	s_and_saveexec_b64 s[4:5], vcc
	s_cbranch_execz .LBB111_125
; %bb.122:
	v_mov_b32_e32 v97, 0
	v_add_u32_e32 v102, -1, v0
	v_add_u32_e32 v103, 0x180, v99
	v_mov_b32_e32 v104, v99
	v_mov_b32_e32 v98, 0
	s_mov_b64 s[8:9], 0
.LBB111_123:                            ; =>This Inner Loop Header: Depth=1
	buffer_load_dword v105, v104, s[0:3], 0 offen
	buffer_load_dword v106, v104, s[0:3], 0 offen offset:4
	ds_read_b64 v[107:108], v103
	v_add_u32_e32 v102, 1, v102
	v_cmp_lt_u32_e32 vcc, 27, v102
	v_add_u32_e32 v103, 8, v103
	s_or_b64 s[8:9], vcc, s[8:9]
	v_add_u32_e32 v104, 8, v104
	s_waitcnt vmcnt(0) lgkmcnt(0)
	v_fma_f64 v[97:98], v[105:106], v[107:108], v[97:98]
	s_andn2_b64 exec, exec, s[8:9]
	s_cbranch_execnz .LBB111_123
; %bb.124:
	s_or_b64 exec, exec, s[8:9]
	v_mov_b32_e32 v102, 0
	ds_read_b64 v[102:103], v102 offset:232
	s_waitcnt lgkmcnt(0)
	v_mul_f64 v[97:98], v[97:98], v[102:103]
	buffer_store_dword v98, off, s[0:3], 0 offset:236
	buffer_store_dword v97, off, s[0:3], 0 offset:232
.LBB111_125:
	s_or_b64 exec, exec, s[4:5]
	; wave barrier
	buffer_load_dword v97, off, s[0:3], 0 offset:240
	buffer_load_dword v98, off, s[0:3], 0 offset:244
	v_cmp_gt_u32_e32 vcc, 30, v0
	s_waitcnt vmcnt(0)
	ds_write_b64 v100, v[97:98]
	s_waitcnt lgkmcnt(0)
	; wave barrier
	s_and_saveexec_b64 s[4:5], vcc
	s_cbranch_execz .LBB111_129
; %bb.126:
	v_mov_b32_e32 v97, 0
	v_add_u32_e32 v102, -1, v0
	v_add_u32_e32 v103, 0x180, v99
	v_mov_b32_e32 v104, v99
	v_mov_b32_e32 v98, 0
	s_mov_b64 s[8:9], 0
.LBB111_127:                            ; =>This Inner Loop Header: Depth=1
	buffer_load_dword v105, v104, s[0:3], 0 offen
	buffer_load_dword v106, v104, s[0:3], 0 offen offset:4
	ds_read_b64 v[107:108], v103
	v_add_u32_e32 v102, 1, v102
	v_cmp_lt_u32_e32 vcc, 28, v102
	v_add_u32_e32 v103, 8, v103
	s_or_b64 s[8:9], vcc, s[8:9]
	v_add_u32_e32 v104, 8, v104
	s_waitcnt vmcnt(0) lgkmcnt(0)
	v_fma_f64 v[97:98], v[105:106], v[107:108], v[97:98]
	s_andn2_b64 exec, exec, s[8:9]
	s_cbranch_execnz .LBB111_127
; %bb.128:
	s_or_b64 exec, exec, s[8:9]
	v_mov_b32_e32 v102, 0
	ds_read_b64 v[102:103], v102 offset:240
	s_waitcnt lgkmcnt(0)
	v_mul_f64 v[97:98], v[97:98], v[102:103]
	buffer_store_dword v98, off, s[0:3], 0 offset:244
	buffer_store_dword v97, off, s[0:3], 0 offset:240
.LBB111_129:
	s_or_b64 exec, exec, s[4:5]
	; wave barrier
	buffer_load_dword v97, off, s[0:3], 0 offset:248
	buffer_load_dword v98, off, s[0:3], 0 offset:252
	v_cmp_gt_u32_e32 vcc, 31, v0
	s_waitcnt vmcnt(0)
	ds_write_b64 v100, v[97:98]
	s_waitcnt lgkmcnt(0)
	; wave barrier
	s_and_saveexec_b64 s[4:5], vcc
	s_cbranch_execz .LBB111_133
; %bb.130:
	v_mov_b32_e32 v97, 0
	v_add_u32_e32 v102, -1, v0
	v_add_u32_e32 v103, 0x180, v99
	v_mov_b32_e32 v104, v99
	v_mov_b32_e32 v98, 0
	s_mov_b64 s[8:9], 0
.LBB111_131:                            ; =>This Inner Loop Header: Depth=1
	buffer_load_dword v105, v104, s[0:3], 0 offen
	buffer_load_dword v106, v104, s[0:3], 0 offen offset:4
	ds_read_b64 v[107:108], v103
	v_add_u32_e32 v102, 1, v102
	v_cmp_lt_u32_e32 vcc, 29, v102
	v_add_u32_e32 v103, 8, v103
	s_or_b64 s[8:9], vcc, s[8:9]
	v_add_u32_e32 v104, 8, v104
	s_waitcnt vmcnt(0) lgkmcnt(0)
	v_fma_f64 v[97:98], v[105:106], v[107:108], v[97:98]
	s_andn2_b64 exec, exec, s[8:9]
	s_cbranch_execnz .LBB111_131
; %bb.132:
	s_or_b64 exec, exec, s[8:9]
	v_mov_b32_e32 v102, 0
	ds_read_b64 v[102:103], v102 offset:248
	s_waitcnt lgkmcnt(0)
	v_mul_f64 v[97:98], v[97:98], v[102:103]
	buffer_store_dword v98, off, s[0:3], 0 offset:252
	buffer_store_dword v97, off, s[0:3], 0 offset:248
.LBB111_133:
	s_or_b64 exec, exec, s[4:5]
	; wave barrier
	buffer_load_dword v97, off, s[0:3], 0 offset:256
	buffer_load_dword v98, off, s[0:3], 0 offset:260
	v_cmp_gt_u32_e32 vcc, 32, v0
	s_waitcnt vmcnt(0)
	ds_write_b64 v100, v[97:98]
	s_waitcnt lgkmcnt(0)
	; wave barrier
	s_and_saveexec_b64 s[4:5], vcc
	s_cbranch_execz .LBB111_137
; %bb.134:
	v_mov_b32_e32 v97, 0
	v_add_u32_e32 v102, -1, v0
	v_add_u32_e32 v103, 0x180, v99
	v_mov_b32_e32 v104, v99
	v_mov_b32_e32 v98, 0
	s_mov_b64 s[8:9], 0
.LBB111_135:                            ; =>This Inner Loop Header: Depth=1
	buffer_load_dword v105, v104, s[0:3], 0 offen
	buffer_load_dword v106, v104, s[0:3], 0 offen offset:4
	ds_read_b64 v[107:108], v103
	v_add_u32_e32 v102, 1, v102
	v_cmp_lt_u32_e32 vcc, 30, v102
	v_add_u32_e32 v103, 8, v103
	s_or_b64 s[8:9], vcc, s[8:9]
	v_add_u32_e32 v104, 8, v104
	s_waitcnt vmcnt(0) lgkmcnt(0)
	v_fma_f64 v[97:98], v[105:106], v[107:108], v[97:98]
	s_andn2_b64 exec, exec, s[8:9]
	s_cbranch_execnz .LBB111_135
; %bb.136:
	s_or_b64 exec, exec, s[8:9]
	v_mov_b32_e32 v102, 0
	ds_read_b64 v[102:103], v102 offset:256
	s_waitcnt lgkmcnt(0)
	v_mul_f64 v[97:98], v[97:98], v[102:103]
	buffer_store_dword v98, off, s[0:3], 0 offset:260
	buffer_store_dword v97, off, s[0:3], 0 offset:256
.LBB111_137:
	s_or_b64 exec, exec, s[4:5]
	; wave barrier
	buffer_load_dword v97, off, s[0:3], 0 offset:264
	buffer_load_dword v98, off, s[0:3], 0 offset:268
	v_cmp_gt_u32_e32 vcc, 33, v0
	s_waitcnt vmcnt(0)
	ds_write_b64 v100, v[97:98]
	s_waitcnt lgkmcnt(0)
	; wave barrier
	s_and_saveexec_b64 s[4:5], vcc
	s_cbranch_execz .LBB111_141
; %bb.138:
	v_mov_b32_e32 v97, 0
	v_add_u32_e32 v102, -1, v0
	v_add_u32_e32 v103, 0x180, v99
	v_mov_b32_e32 v104, v99
	v_mov_b32_e32 v98, 0
	s_mov_b64 s[8:9], 0
.LBB111_139:                            ; =>This Inner Loop Header: Depth=1
	buffer_load_dword v105, v104, s[0:3], 0 offen
	buffer_load_dword v106, v104, s[0:3], 0 offen offset:4
	ds_read_b64 v[107:108], v103
	v_add_u32_e32 v102, 1, v102
	v_cmp_lt_u32_e32 vcc, 31, v102
	v_add_u32_e32 v103, 8, v103
	s_or_b64 s[8:9], vcc, s[8:9]
	v_add_u32_e32 v104, 8, v104
	s_waitcnt vmcnt(0) lgkmcnt(0)
	v_fma_f64 v[97:98], v[105:106], v[107:108], v[97:98]
	s_andn2_b64 exec, exec, s[8:9]
	s_cbranch_execnz .LBB111_139
; %bb.140:
	s_or_b64 exec, exec, s[8:9]
	v_mov_b32_e32 v102, 0
	ds_read_b64 v[102:103], v102 offset:264
	s_waitcnt lgkmcnt(0)
	v_mul_f64 v[97:98], v[97:98], v[102:103]
	buffer_store_dword v98, off, s[0:3], 0 offset:268
	buffer_store_dword v97, off, s[0:3], 0 offset:264
.LBB111_141:
	s_or_b64 exec, exec, s[4:5]
	; wave barrier
	buffer_load_dword v97, off, s[0:3], 0 offset:272
	buffer_load_dword v98, off, s[0:3], 0 offset:276
	v_cmp_gt_u32_e32 vcc, 34, v0
	s_waitcnt vmcnt(0)
	ds_write_b64 v100, v[97:98]
	s_waitcnt lgkmcnt(0)
	; wave barrier
	s_and_saveexec_b64 s[4:5], vcc
	s_cbranch_execz .LBB111_145
; %bb.142:
	v_mov_b32_e32 v97, 0
	v_add_u32_e32 v102, -1, v0
	v_add_u32_e32 v103, 0x180, v99
	v_mov_b32_e32 v104, v99
	v_mov_b32_e32 v98, 0
	s_mov_b64 s[8:9], 0
.LBB111_143:                            ; =>This Inner Loop Header: Depth=1
	buffer_load_dword v105, v104, s[0:3], 0 offen
	buffer_load_dword v106, v104, s[0:3], 0 offen offset:4
	ds_read_b64 v[107:108], v103
	v_add_u32_e32 v102, 1, v102
	v_cmp_lt_u32_e32 vcc, 32, v102
	v_add_u32_e32 v103, 8, v103
	s_or_b64 s[8:9], vcc, s[8:9]
	v_add_u32_e32 v104, 8, v104
	s_waitcnt vmcnt(0) lgkmcnt(0)
	v_fma_f64 v[97:98], v[105:106], v[107:108], v[97:98]
	s_andn2_b64 exec, exec, s[8:9]
	s_cbranch_execnz .LBB111_143
; %bb.144:
	s_or_b64 exec, exec, s[8:9]
	v_mov_b32_e32 v102, 0
	ds_read_b64 v[102:103], v102 offset:272
	s_waitcnt lgkmcnt(0)
	v_mul_f64 v[97:98], v[97:98], v[102:103]
	buffer_store_dword v98, off, s[0:3], 0 offset:276
	buffer_store_dword v97, off, s[0:3], 0 offset:272
.LBB111_145:
	s_or_b64 exec, exec, s[4:5]
	; wave barrier
	buffer_load_dword v97, off, s[0:3], 0 offset:280
	buffer_load_dword v98, off, s[0:3], 0 offset:284
	v_cmp_gt_u32_e32 vcc, 35, v0
	s_waitcnt vmcnt(0)
	ds_write_b64 v100, v[97:98]
	s_waitcnt lgkmcnt(0)
	; wave barrier
	s_and_saveexec_b64 s[4:5], vcc
	s_cbranch_execz .LBB111_149
; %bb.146:
	v_mov_b32_e32 v97, 0
	v_add_u32_e32 v102, -1, v0
	v_add_u32_e32 v103, 0x180, v99
	v_mov_b32_e32 v104, v99
	v_mov_b32_e32 v98, 0
	s_mov_b64 s[8:9], 0
.LBB111_147:                            ; =>This Inner Loop Header: Depth=1
	buffer_load_dword v105, v104, s[0:3], 0 offen
	buffer_load_dword v106, v104, s[0:3], 0 offen offset:4
	ds_read_b64 v[107:108], v103
	v_add_u32_e32 v102, 1, v102
	v_cmp_lt_u32_e32 vcc, 33, v102
	v_add_u32_e32 v103, 8, v103
	s_or_b64 s[8:9], vcc, s[8:9]
	v_add_u32_e32 v104, 8, v104
	s_waitcnt vmcnt(0) lgkmcnt(0)
	v_fma_f64 v[97:98], v[105:106], v[107:108], v[97:98]
	s_andn2_b64 exec, exec, s[8:9]
	s_cbranch_execnz .LBB111_147
; %bb.148:
	s_or_b64 exec, exec, s[8:9]
	v_mov_b32_e32 v102, 0
	ds_read_b64 v[102:103], v102 offset:280
	s_waitcnt lgkmcnt(0)
	v_mul_f64 v[97:98], v[97:98], v[102:103]
	buffer_store_dword v98, off, s[0:3], 0 offset:284
	buffer_store_dword v97, off, s[0:3], 0 offset:280
.LBB111_149:
	s_or_b64 exec, exec, s[4:5]
	; wave barrier
	buffer_load_dword v97, off, s[0:3], 0 offset:288
	buffer_load_dword v98, off, s[0:3], 0 offset:292
	v_cmp_gt_u32_e32 vcc, 36, v0
	s_waitcnt vmcnt(0)
	ds_write_b64 v100, v[97:98]
	s_waitcnt lgkmcnt(0)
	; wave barrier
	s_and_saveexec_b64 s[4:5], vcc
	s_cbranch_execz .LBB111_153
; %bb.150:
	v_mov_b32_e32 v97, 0
	v_add_u32_e32 v102, -1, v0
	v_add_u32_e32 v103, 0x180, v99
	v_mov_b32_e32 v104, v99
	v_mov_b32_e32 v98, 0
	s_mov_b64 s[8:9], 0
.LBB111_151:                            ; =>This Inner Loop Header: Depth=1
	buffer_load_dword v105, v104, s[0:3], 0 offen
	buffer_load_dword v106, v104, s[0:3], 0 offen offset:4
	ds_read_b64 v[107:108], v103
	v_add_u32_e32 v102, 1, v102
	v_cmp_lt_u32_e32 vcc, 34, v102
	v_add_u32_e32 v103, 8, v103
	s_or_b64 s[8:9], vcc, s[8:9]
	v_add_u32_e32 v104, 8, v104
	s_waitcnt vmcnt(0) lgkmcnt(0)
	v_fma_f64 v[97:98], v[105:106], v[107:108], v[97:98]
	s_andn2_b64 exec, exec, s[8:9]
	s_cbranch_execnz .LBB111_151
; %bb.152:
	s_or_b64 exec, exec, s[8:9]
	v_mov_b32_e32 v102, 0
	ds_read_b64 v[102:103], v102 offset:288
	s_waitcnt lgkmcnt(0)
	v_mul_f64 v[97:98], v[97:98], v[102:103]
	buffer_store_dword v98, off, s[0:3], 0 offset:292
	buffer_store_dword v97, off, s[0:3], 0 offset:288
.LBB111_153:
	s_or_b64 exec, exec, s[4:5]
	; wave barrier
	buffer_load_dword v97, off, s[0:3], 0 offset:296
	buffer_load_dword v98, off, s[0:3], 0 offset:300
	v_cmp_gt_u32_e32 vcc, 37, v0
	s_waitcnt vmcnt(0)
	ds_write_b64 v100, v[97:98]
	s_waitcnt lgkmcnt(0)
	; wave barrier
	s_and_saveexec_b64 s[4:5], vcc
	s_cbranch_execz .LBB111_157
; %bb.154:
	v_mov_b32_e32 v97, 0
	v_add_u32_e32 v102, -1, v0
	v_add_u32_e32 v103, 0x180, v99
	v_mov_b32_e32 v104, v99
	v_mov_b32_e32 v98, 0
	s_mov_b64 s[8:9], 0
.LBB111_155:                            ; =>This Inner Loop Header: Depth=1
	buffer_load_dword v105, v104, s[0:3], 0 offen
	buffer_load_dword v106, v104, s[0:3], 0 offen offset:4
	ds_read_b64 v[107:108], v103
	v_add_u32_e32 v102, 1, v102
	v_cmp_lt_u32_e32 vcc, 35, v102
	v_add_u32_e32 v103, 8, v103
	s_or_b64 s[8:9], vcc, s[8:9]
	v_add_u32_e32 v104, 8, v104
	s_waitcnt vmcnt(0) lgkmcnt(0)
	v_fma_f64 v[97:98], v[105:106], v[107:108], v[97:98]
	s_andn2_b64 exec, exec, s[8:9]
	s_cbranch_execnz .LBB111_155
; %bb.156:
	s_or_b64 exec, exec, s[8:9]
	v_mov_b32_e32 v102, 0
	ds_read_b64 v[102:103], v102 offset:296
	s_waitcnt lgkmcnt(0)
	v_mul_f64 v[97:98], v[97:98], v[102:103]
	buffer_store_dword v98, off, s[0:3], 0 offset:300
	buffer_store_dword v97, off, s[0:3], 0 offset:296
.LBB111_157:
	s_or_b64 exec, exec, s[4:5]
	; wave barrier
	buffer_load_dword v97, off, s[0:3], 0 offset:304
	buffer_load_dword v98, off, s[0:3], 0 offset:308
	v_cmp_gt_u32_e32 vcc, 38, v0
	s_waitcnt vmcnt(0)
	ds_write_b64 v100, v[97:98]
	s_waitcnt lgkmcnt(0)
	; wave barrier
	s_and_saveexec_b64 s[4:5], vcc
	s_cbranch_execz .LBB111_161
; %bb.158:
	v_mov_b32_e32 v97, 0
	v_add_u32_e32 v102, -1, v0
	v_add_u32_e32 v103, 0x180, v99
	v_mov_b32_e32 v104, v99
	v_mov_b32_e32 v98, 0
	s_mov_b64 s[8:9], 0
.LBB111_159:                            ; =>This Inner Loop Header: Depth=1
	buffer_load_dword v105, v104, s[0:3], 0 offen
	buffer_load_dword v106, v104, s[0:3], 0 offen offset:4
	ds_read_b64 v[107:108], v103
	v_add_u32_e32 v102, 1, v102
	v_cmp_lt_u32_e32 vcc, 36, v102
	v_add_u32_e32 v103, 8, v103
	s_or_b64 s[8:9], vcc, s[8:9]
	v_add_u32_e32 v104, 8, v104
	s_waitcnt vmcnt(0) lgkmcnt(0)
	v_fma_f64 v[97:98], v[105:106], v[107:108], v[97:98]
	s_andn2_b64 exec, exec, s[8:9]
	s_cbranch_execnz .LBB111_159
; %bb.160:
	s_or_b64 exec, exec, s[8:9]
	v_mov_b32_e32 v102, 0
	ds_read_b64 v[102:103], v102 offset:304
	s_waitcnt lgkmcnt(0)
	v_mul_f64 v[97:98], v[97:98], v[102:103]
	buffer_store_dword v98, off, s[0:3], 0 offset:308
	buffer_store_dword v97, off, s[0:3], 0 offset:304
.LBB111_161:
	s_or_b64 exec, exec, s[4:5]
	; wave barrier
	buffer_load_dword v97, off, s[0:3], 0 offset:312
	buffer_load_dword v98, off, s[0:3], 0 offset:316
	v_cmp_gt_u32_e32 vcc, 39, v0
	s_waitcnt vmcnt(0)
	ds_write_b64 v100, v[97:98]
	s_waitcnt lgkmcnt(0)
	; wave barrier
	s_and_saveexec_b64 s[4:5], vcc
	s_cbranch_execz .LBB111_165
; %bb.162:
	v_mov_b32_e32 v97, 0
	v_add_u32_e32 v102, -1, v0
	v_add_u32_e32 v103, 0x180, v99
	v_mov_b32_e32 v104, v99
	v_mov_b32_e32 v98, 0
	s_mov_b64 s[8:9], 0
.LBB111_163:                            ; =>This Inner Loop Header: Depth=1
	buffer_load_dword v105, v104, s[0:3], 0 offen
	buffer_load_dword v106, v104, s[0:3], 0 offen offset:4
	ds_read_b64 v[107:108], v103
	v_add_u32_e32 v102, 1, v102
	v_cmp_lt_u32_e32 vcc, 37, v102
	v_add_u32_e32 v103, 8, v103
	s_or_b64 s[8:9], vcc, s[8:9]
	v_add_u32_e32 v104, 8, v104
	s_waitcnt vmcnt(0) lgkmcnt(0)
	v_fma_f64 v[97:98], v[105:106], v[107:108], v[97:98]
	s_andn2_b64 exec, exec, s[8:9]
	s_cbranch_execnz .LBB111_163
; %bb.164:
	s_or_b64 exec, exec, s[8:9]
	v_mov_b32_e32 v102, 0
	ds_read_b64 v[102:103], v102 offset:312
	s_waitcnt lgkmcnt(0)
	v_mul_f64 v[97:98], v[97:98], v[102:103]
	buffer_store_dword v98, off, s[0:3], 0 offset:316
	buffer_store_dword v97, off, s[0:3], 0 offset:312
.LBB111_165:
	s_or_b64 exec, exec, s[4:5]
	; wave barrier
	buffer_load_dword v97, off, s[0:3], 0 offset:320
	buffer_load_dword v98, off, s[0:3], 0 offset:324
	v_cmp_gt_u32_e32 vcc, 40, v0
	s_waitcnt vmcnt(0)
	ds_write_b64 v100, v[97:98]
	s_waitcnt lgkmcnt(0)
	; wave barrier
	s_and_saveexec_b64 s[4:5], vcc
	s_cbranch_execz .LBB111_169
; %bb.166:
	v_mov_b32_e32 v97, 0
	v_add_u32_e32 v102, -1, v0
	v_add_u32_e32 v103, 0x180, v99
	v_mov_b32_e32 v104, v99
	v_mov_b32_e32 v98, 0
	s_mov_b64 s[8:9], 0
.LBB111_167:                            ; =>This Inner Loop Header: Depth=1
	buffer_load_dword v105, v104, s[0:3], 0 offen
	buffer_load_dword v106, v104, s[0:3], 0 offen offset:4
	ds_read_b64 v[107:108], v103
	v_add_u32_e32 v102, 1, v102
	v_cmp_lt_u32_e32 vcc, 38, v102
	v_add_u32_e32 v103, 8, v103
	s_or_b64 s[8:9], vcc, s[8:9]
	v_add_u32_e32 v104, 8, v104
	s_waitcnt vmcnt(0) lgkmcnt(0)
	v_fma_f64 v[97:98], v[105:106], v[107:108], v[97:98]
	s_andn2_b64 exec, exec, s[8:9]
	s_cbranch_execnz .LBB111_167
; %bb.168:
	s_or_b64 exec, exec, s[8:9]
	v_mov_b32_e32 v102, 0
	ds_read_b64 v[102:103], v102 offset:320
	s_waitcnt lgkmcnt(0)
	v_mul_f64 v[97:98], v[97:98], v[102:103]
	buffer_store_dword v98, off, s[0:3], 0 offset:324
	buffer_store_dword v97, off, s[0:3], 0 offset:320
.LBB111_169:
	s_or_b64 exec, exec, s[4:5]
	; wave barrier
	buffer_load_dword v97, off, s[0:3], 0 offset:328
	buffer_load_dword v98, off, s[0:3], 0 offset:332
	v_cmp_gt_u32_e32 vcc, 41, v0
	s_waitcnt vmcnt(0)
	ds_write_b64 v100, v[97:98]
	s_waitcnt lgkmcnt(0)
	; wave barrier
	s_and_saveexec_b64 s[4:5], vcc
	s_cbranch_execz .LBB111_173
; %bb.170:
	v_mov_b32_e32 v97, 0
	v_add_u32_e32 v102, -1, v0
	v_add_u32_e32 v103, 0x180, v99
	v_mov_b32_e32 v104, v99
	v_mov_b32_e32 v98, 0
	s_mov_b64 s[8:9], 0
.LBB111_171:                            ; =>This Inner Loop Header: Depth=1
	buffer_load_dword v105, v104, s[0:3], 0 offen
	buffer_load_dword v106, v104, s[0:3], 0 offen offset:4
	ds_read_b64 v[107:108], v103
	v_add_u32_e32 v102, 1, v102
	v_cmp_lt_u32_e32 vcc, 39, v102
	v_add_u32_e32 v103, 8, v103
	s_or_b64 s[8:9], vcc, s[8:9]
	v_add_u32_e32 v104, 8, v104
	s_waitcnt vmcnt(0) lgkmcnt(0)
	v_fma_f64 v[97:98], v[105:106], v[107:108], v[97:98]
	s_andn2_b64 exec, exec, s[8:9]
	s_cbranch_execnz .LBB111_171
; %bb.172:
	s_or_b64 exec, exec, s[8:9]
	v_mov_b32_e32 v102, 0
	ds_read_b64 v[102:103], v102 offset:328
	s_waitcnt lgkmcnt(0)
	v_mul_f64 v[97:98], v[97:98], v[102:103]
	buffer_store_dword v98, off, s[0:3], 0 offset:332
	buffer_store_dword v97, off, s[0:3], 0 offset:328
.LBB111_173:
	s_or_b64 exec, exec, s[4:5]
	; wave barrier
	buffer_load_dword v97, off, s[0:3], 0 offset:336
	buffer_load_dword v98, off, s[0:3], 0 offset:340
	v_cmp_gt_u32_e32 vcc, 42, v0
	s_waitcnt vmcnt(0)
	ds_write_b64 v100, v[97:98]
	s_waitcnt lgkmcnt(0)
	; wave barrier
	s_and_saveexec_b64 s[4:5], vcc
	s_cbranch_execz .LBB111_177
; %bb.174:
	v_mov_b32_e32 v97, 0
	v_add_u32_e32 v102, -1, v0
	v_add_u32_e32 v103, 0x180, v99
	v_mov_b32_e32 v104, v99
	v_mov_b32_e32 v98, 0
	s_mov_b64 s[8:9], 0
.LBB111_175:                            ; =>This Inner Loop Header: Depth=1
	buffer_load_dword v105, v104, s[0:3], 0 offen
	buffer_load_dword v106, v104, s[0:3], 0 offen offset:4
	ds_read_b64 v[107:108], v103
	v_add_u32_e32 v102, 1, v102
	v_cmp_lt_u32_e32 vcc, 40, v102
	v_add_u32_e32 v103, 8, v103
	s_or_b64 s[8:9], vcc, s[8:9]
	v_add_u32_e32 v104, 8, v104
	s_waitcnt vmcnt(0) lgkmcnt(0)
	v_fma_f64 v[97:98], v[105:106], v[107:108], v[97:98]
	s_andn2_b64 exec, exec, s[8:9]
	s_cbranch_execnz .LBB111_175
; %bb.176:
	s_or_b64 exec, exec, s[8:9]
	v_mov_b32_e32 v102, 0
	ds_read_b64 v[102:103], v102 offset:336
	s_waitcnt lgkmcnt(0)
	v_mul_f64 v[97:98], v[97:98], v[102:103]
	buffer_store_dword v98, off, s[0:3], 0 offset:340
	buffer_store_dword v97, off, s[0:3], 0 offset:336
.LBB111_177:
	s_or_b64 exec, exec, s[4:5]
	; wave barrier
	buffer_load_dword v97, off, s[0:3], 0 offset:344
	buffer_load_dword v98, off, s[0:3], 0 offset:348
	v_cmp_gt_u32_e32 vcc, 43, v0
	s_waitcnt vmcnt(0)
	ds_write_b64 v100, v[97:98]
	s_waitcnt lgkmcnt(0)
	; wave barrier
	s_and_saveexec_b64 s[4:5], vcc
	s_cbranch_execz .LBB111_181
; %bb.178:
	v_mov_b32_e32 v97, 0
	v_add_u32_e32 v102, -1, v0
	v_add_u32_e32 v103, 0x180, v99
	v_mov_b32_e32 v104, v99
	v_mov_b32_e32 v98, 0
	s_mov_b64 s[8:9], 0
.LBB111_179:                            ; =>This Inner Loop Header: Depth=1
	buffer_load_dword v105, v104, s[0:3], 0 offen
	buffer_load_dword v106, v104, s[0:3], 0 offen offset:4
	ds_read_b64 v[107:108], v103
	v_add_u32_e32 v102, 1, v102
	v_cmp_lt_u32_e32 vcc, 41, v102
	v_add_u32_e32 v103, 8, v103
	s_or_b64 s[8:9], vcc, s[8:9]
	v_add_u32_e32 v104, 8, v104
	s_waitcnt vmcnt(0) lgkmcnt(0)
	v_fma_f64 v[97:98], v[105:106], v[107:108], v[97:98]
	s_andn2_b64 exec, exec, s[8:9]
	s_cbranch_execnz .LBB111_179
; %bb.180:
	s_or_b64 exec, exec, s[8:9]
	v_mov_b32_e32 v102, 0
	ds_read_b64 v[102:103], v102 offset:344
	s_waitcnt lgkmcnt(0)
	v_mul_f64 v[97:98], v[97:98], v[102:103]
	buffer_store_dword v98, off, s[0:3], 0 offset:348
	buffer_store_dword v97, off, s[0:3], 0 offset:344
.LBB111_181:
	s_or_b64 exec, exec, s[4:5]
	; wave barrier
	buffer_load_dword v97, off, s[0:3], 0 offset:352
	buffer_load_dword v98, off, s[0:3], 0 offset:356
	v_cmp_gt_u32_e32 vcc, 44, v0
	s_waitcnt vmcnt(0)
	ds_write_b64 v100, v[97:98]
	s_waitcnt lgkmcnt(0)
	; wave barrier
	s_and_saveexec_b64 s[4:5], vcc
	s_cbranch_execz .LBB111_185
; %bb.182:
	v_mov_b32_e32 v97, 0
	v_add_u32_e32 v102, -1, v0
	v_add_u32_e32 v103, 0x180, v99
	v_mov_b32_e32 v104, v99
	v_mov_b32_e32 v98, 0
	s_mov_b64 s[8:9], 0
.LBB111_183:                            ; =>This Inner Loop Header: Depth=1
	buffer_load_dword v105, v104, s[0:3], 0 offen
	buffer_load_dword v106, v104, s[0:3], 0 offen offset:4
	ds_read_b64 v[107:108], v103
	v_add_u32_e32 v102, 1, v102
	v_cmp_lt_u32_e32 vcc, 42, v102
	v_add_u32_e32 v103, 8, v103
	s_or_b64 s[8:9], vcc, s[8:9]
	v_add_u32_e32 v104, 8, v104
	s_waitcnt vmcnt(0) lgkmcnt(0)
	v_fma_f64 v[97:98], v[105:106], v[107:108], v[97:98]
	s_andn2_b64 exec, exec, s[8:9]
	s_cbranch_execnz .LBB111_183
; %bb.184:
	s_or_b64 exec, exec, s[8:9]
	v_mov_b32_e32 v102, 0
	ds_read_b64 v[102:103], v102 offset:352
	s_waitcnt lgkmcnt(0)
	v_mul_f64 v[97:98], v[97:98], v[102:103]
	buffer_store_dword v98, off, s[0:3], 0 offset:356
	buffer_store_dword v97, off, s[0:3], 0 offset:352
.LBB111_185:
	s_or_b64 exec, exec, s[4:5]
	; wave barrier
	buffer_load_dword v97, off, s[0:3], 0 offset:360
	buffer_load_dword v98, off, s[0:3], 0 offset:364
	v_cmp_gt_u32_e32 vcc, 45, v0
	s_waitcnt vmcnt(0)
	ds_write_b64 v100, v[97:98]
	s_waitcnt lgkmcnt(0)
	; wave barrier
	s_and_saveexec_b64 s[4:5], vcc
	s_cbranch_execz .LBB111_189
; %bb.186:
	v_mov_b32_e32 v97, 0
	v_add_u32_e32 v102, -1, v0
	v_add_u32_e32 v103, 0x180, v99
	v_mov_b32_e32 v104, v99
	v_mov_b32_e32 v98, 0
	s_mov_b64 s[8:9], 0
.LBB111_187:                            ; =>This Inner Loop Header: Depth=1
	buffer_load_dword v105, v104, s[0:3], 0 offen
	buffer_load_dword v106, v104, s[0:3], 0 offen offset:4
	ds_read_b64 v[107:108], v103
	v_add_u32_e32 v102, 1, v102
	v_cmp_lt_u32_e32 vcc, 43, v102
	v_add_u32_e32 v103, 8, v103
	s_or_b64 s[8:9], vcc, s[8:9]
	v_add_u32_e32 v104, 8, v104
	s_waitcnt vmcnt(0) lgkmcnt(0)
	v_fma_f64 v[97:98], v[105:106], v[107:108], v[97:98]
	s_andn2_b64 exec, exec, s[8:9]
	s_cbranch_execnz .LBB111_187
; %bb.188:
	s_or_b64 exec, exec, s[8:9]
	v_mov_b32_e32 v102, 0
	ds_read_b64 v[102:103], v102 offset:360
	s_waitcnt lgkmcnt(0)
	v_mul_f64 v[97:98], v[97:98], v[102:103]
	buffer_store_dword v98, off, s[0:3], 0 offset:364
	buffer_store_dword v97, off, s[0:3], 0 offset:360
.LBB111_189:
	s_or_b64 exec, exec, s[4:5]
	; wave barrier
	buffer_load_dword v97, off, s[0:3], 0 offset:368
	buffer_load_dword v98, off, s[0:3], 0 offset:372
	v_cmp_gt_u32_e32 vcc, 46, v0
	s_waitcnt vmcnt(0)
	ds_write_b64 v100, v[97:98]
	s_waitcnt lgkmcnt(0)
	; wave barrier
	s_and_saveexec_b64 s[4:5], vcc
	s_cbranch_execz .LBB111_193
; %bb.190:
	v_mov_b32_e32 v97, 0
	v_add_u32_e32 v102, -1, v0
	v_add_u32_e32 v103, 0x180, v99
	v_mov_b32_e32 v104, v99
	v_mov_b32_e32 v98, 0
	s_mov_b64 s[8:9], 0
.LBB111_191:                            ; =>This Inner Loop Header: Depth=1
	buffer_load_dword v105, v104, s[0:3], 0 offen
	buffer_load_dword v106, v104, s[0:3], 0 offen offset:4
	ds_read_b64 v[107:108], v103
	v_add_u32_e32 v102, 1, v102
	v_cmp_lt_u32_e32 vcc, 44, v102
	v_add_u32_e32 v103, 8, v103
	s_or_b64 s[8:9], vcc, s[8:9]
	v_add_u32_e32 v104, 8, v104
	s_waitcnt vmcnt(0) lgkmcnt(0)
	v_fma_f64 v[97:98], v[105:106], v[107:108], v[97:98]
	s_andn2_b64 exec, exec, s[8:9]
	s_cbranch_execnz .LBB111_191
; %bb.192:
	s_or_b64 exec, exec, s[8:9]
	v_mov_b32_e32 v102, 0
	ds_read_b64 v[102:103], v102 offset:368
	s_waitcnt lgkmcnt(0)
	v_mul_f64 v[97:98], v[97:98], v[102:103]
	buffer_store_dword v98, off, s[0:3], 0 offset:372
	buffer_store_dword v97, off, s[0:3], 0 offset:368
.LBB111_193:
	s_or_b64 exec, exec, s[4:5]
	; wave barrier
	buffer_load_dword v97, off, s[0:3], 0 offset:376
	buffer_load_dword v98, off, s[0:3], 0 offset:380
	v_cmp_ne_u32_e32 vcc, 47, v0
	s_waitcnt vmcnt(0)
	ds_write_b64 v100, v[97:98]
	s_waitcnt lgkmcnt(0)
	; wave barrier
	s_and_saveexec_b64 s[4:5], vcc
	s_cbranch_execz .LBB111_197
; %bb.194:
	v_mov_b32_e32 v97, 0
	v_add_u32_e32 v100, 0x180, v99
	v_mov_b32_e32 v98, 0
	s_mov_b64 s[8:9], 0
.LBB111_195:                            ; =>This Inner Loop Header: Depth=1
	buffer_load_dword v102, v99, s[0:3], 0 offen
	buffer_load_dword v103, v99, s[0:3], 0 offen offset:4
	ds_read_b64 v[104:105], v100
	v_add_u32_e32 v101, 1, v101
	v_cmp_lt_u32_e32 vcc, 45, v101
	v_add_u32_e32 v100, 8, v100
	s_or_b64 s[8:9], vcc, s[8:9]
	v_add_u32_e32 v99, 8, v99
	s_waitcnt vmcnt(0) lgkmcnt(0)
	v_fma_f64 v[97:98], v[102:103], v[104:105], v[97:98]
	s_andn2_b64 exec, exec, s[8:9]
	s_cbranch_execnz .LBB111_195
; %bb.196:
	s_or_b64 exec, exec, s[8:9]
	v_mov_b32_e32 v99, 0
	ds_read_b64 v[99:100], v99 offset:376
	s_waitcnt lgkmcnt(0)
	v_mul_f64 v[97:98], v[97:98], v[99:100]
	buffer_store_dword v98, off, s[0:3], 0 offset:380
	buffer_store_dword v97, off, s[0:3], 0 offset:376
.LBB111_197:
	s_or_b64 exec, exec, s[4:5]
	s_mov_b64 s[8:9], -1
	; wave barrier
.LBB111_198:
	s_and_b64 vcc, exec, s[8:9]
	s_cbranch_vccz .LBB111_200
; %bb.199:
	s_lshl_b64 s[4:5], s[6:7], 2
	s_add_u32 s4, s10, s4
	s_addc_u32 s5, s11, s5
	v_mov_b32_e32 v97, 0
	global_load_dword v97, v97, s[4:5]
	s_waitcnt vmcnt(0)
	v_cmp_ne_u32_e32 vcc, 0, v97
	s_cbranch_vccz .LBB111_201
.LBB111_200:
	s_endpgm
.LBB111_201:
	v_mov_b32_e32 v97, 0x180
	v_lshl_add_u32 v97, v0, 3, v97
	v_cmp_eq_u32_e32 vcc, 47, v0
	s_and_saveexec_b64 s[4:5], vcc
	s_cbranch_execz .LBB111_203
; %bb.202:
	buffer_load_dword v98, off, s[0:3], 0 offset:368
	buffer_load_dword v99, off, s[0:3], 0 offset:372
	v_mov_b32_e32 v100, 0
	buffer_store_dword v100, off, s[0:3], 0 offset:368
	buffer_store_dword v100, off, s[0:3], 0 offset:372
	s_waitcnt vmcnt(2)
	ds_write_b64 v97, v[98:99]
.LBB111_203:
	s_or_b64 exec, exec, s[4:5]
	s_waitcnt lgkmcnt(0)
	; wave barrier
	buffer_load_dword v99, off, s[0:3], 0 offset:376
	buffer_load_dword v100, off, s[0:3], 0 offset:380
	;; [unrolled: 1-line block ×4, first 2 shown]
	v_mov_b32_e32 v98, 0
	ds_read_b64 v[103:104], v98 offset:760
	v_cmp_lt_u32_e32 vcc, 45, v0
	s_waitcnt vmcnt(2) lgkmcnt(0)
	v_fma_f64 v[99:100], v[99:100], v[103:104], 0
	s_waitcnt vmcnt(0)
	v_add_f64 v[99:100], v[101:102], -v[99:100]
	buffer_store_dword v99, off, s[0:3], 0 offset:368
	buffer_store_dword v100, off, s[0:3], 0 offset:372
	s_and_saveexec_b64 s[4:5], vcc
	s_cbranch_execz .LBB111_205
; %bb.204:
	buffer_load_dword v99, off, s[0:3], 0 offset:360
	buffer_load_dword v100, off, s[0:3], 0 offset:364
	s_waitcnt vmcnt(0)
	ds_write_b64 v97, v[99:100]
	buffer_store_dword v98, off, s[0:3], 0 offset:360
	buffer_store_dword v98, off, s[0:3], 0 offset:364
.LBB111_205:
	s_or_b64 exec, exec, s[4:5]
	s_waitcnt lgkmcnt(0)
	; wave barrier
	buffer_load_dword v102, off, s[0:3], 0 offset:368
	buffer_load_dword v103, off, s[0:3], 0 offset:372
	;; [unrolled: 1-line block ×6, first 2 shown]
	ds_read_b128 v[98:101], v98 offset:752
	v_cmp_lt_u32_e32 vcc, 44, v0
	s_waitcnt vmcnt(4) lgkmcnt(0)
	v_fma_f64 v[98:99], v[102:103], v[98:99], 0
	s_waitcnt vmcnt(2)
	v_fma_f64 v[98:99], v[104:105], v[100:101], v[98:99]
	s_waitcnt vmcnt(0)
	v_add_f64 v[98:99], v[106:107], -v[98:99]
	buffer_store_dword v98, off, s[0:3], 0 offset:360
	buffer_store_dword v99, off, s[0:3], 0 offset:364
	s_and_saveexec_b64 s[4:5], vcc
	s_cbranch_execz .LBB111_207
; %bb.206:
	buffer_load_dword v98, off, s[0:3], 0 offset:352
	buffer_load_dword v99, off, s[0:3], 0 offset:356
	v_mov_b32_e32 v100, 0
	buffer_store_dword v100, off, s[0:3], 0 offset:352
	buffer_store_dword v100, off, s[0:3], 0 offset:356
	s_waitcnt vmcnt(2)
	ds_write_b64 v97, v[98:99]
.LBB111_207:
	s_or_b64 exec, exec, s[4:5]
	s_waitcnt lgkmcnt(0)
	; wave barrier
	buffer_load_dword v103, off, s[0:3], 0 offset:360
	buffer_load_dword v104, off, s[0:3], 0 offset:364
	;; [unrolled: 1-line block ×8, first 2 shown]
	v_mov_b32_e32 v98, 0
	ds_read2_b64 v[99:102], v98 offset0:93 offset1:94
	ds_read_b64 v[111:112], v98 offset:760
	v_cmp_lt_u32_e32 vcc, 43, v0
	s_waitcnt vmcnt(6) lgkmcnt(1)
	v_fma_f64 v[99:100], v[103:104], v[99:100], 0
	s_waitcnt vmcnt(4)
	v_fma_f64 v[99:100], v[105:106], v[101:102], v[99:100]
	s_waitcnt vmcnt(2) lgkmcnt(0)
	v_fma_f64 v[99:100], v[107:108], v[111:112], v[99:100]
	s_waitcnt vmcnt(0)
	v_add_f64 v[99:100], v[109:110], -v[99:100]
	buffer_store_dword v99, off, s[0:3], 0 offset:352
	buffer_store_dword v100, off, s[0:3], 0 offset:356
	s_and_saveexec_b64 s[4:5], vcc
	s_cbranch_execz .LBB111_209
; %bb.208:
	buffer_load_dword v99, off, s[0:3], 0 offset:344
	buffer_load_dword v100, off, s[0:3], 0 offset:348
	s_waitcnt vmcnt(0)
	ds_write_b64 v97, v[99:100]
	buffer_store_dword v98, off, s[0:3], 0 offset:344
	buffer_store_dword v98, off, s[0:3], 0 offset:348
.LBB111_209:
	s_or_b64 exec, exec, s[4:5]
	s_waitcnt lgkmcnt(0)
	; wave barrier
	buffer_load_dword v107, off, s[0:3], 0 offset:352
	buffer_load_dword v108, off, s[0:3], 0 offset:356
	;; [unrolled: 1-line block ×10, first 2 shown]
	ds_read_b128 v[99:102], v98 offset:736
	ds_read_b128 v[103:106], v98 offset:752
	v_cmp_lt_u32_e32 vcc, 42, v0
	s_waitcnt vmcnt(8) lgkmcnt(1)
	v_fma_f64 v[98:99], v[107:108], v[99:100], 0
	s_waitcnt vmcnt(6)
	v_fma_f64 v[98:99], v[109:110], v[101:102], v[98:99]
	s_waitcnt vmcnt(4) lgkmcnt(0)
	v_fma_f64 v[98:99], v[111:112], v[103:104], v[98:99]
	s_waitcnt vmcnt(2)
	v_fma_f64 v[98:99], v[113:114], v[105:106], v[98:99]
	s_waitcnt vmcnt(0)
	v_add_f64 v[98:99], v[115:116], -v[98:99]
	buffer_store_dword v98, off, s[0:3], 0 offset:344
	buffer_store_dword v99, off, s[0:3], 0 offset:348
	s_and_saveexec_b64 s[4:5], vcc
	s_cbranch_execz .LBB111_211
; %bb.210:
	buffer_load_dword v98, off, s[0:3], 0 offset:336
	buffer_load_dword v99, off, s[0:3], 0 offset:340
	v_mov_b32_e32 v100, 0
	buffer_store_dword v100, off, s[0:3], 0 offset:336
	buffer_store_dword v100, off, s[0:3], 0 offset:340
	s_waitcnt vmcnt(2)
	ds_write_b64 v97, v[98:99]
.LBB111_211:
	s_or_b64 exec, exec, s[4:5]
	s_waitcnt lgkmcnt(0)
	; wave barrier
	buffer_load_dword v107, off, s[0:3], 0 offset:344
	buffer_load_dword v108, off, s[0:3], 0 offset:348
	;; [unrolled: 1-line block ×12, first 2 shown]
	v_mov_b32_e32 v98, 0
	ds_read2_b64 v[99:102], v98 offset0:91 offset1:92
	ds_read2_b64 v[103:106], v98 offset0:93 offset1:94
	v_cmp_lt_u32_e32 vcc, 41, v0
	s_waitcnt vmcnt(10) lgkmcnt(1)
	v_fma_f64 v[99:100], v[107:108], v[99:100], 0
	s_waitcnt vmcnt(8)
	v_fma_f64 v[99:100], v[109:110], v[101:102], v[99:100]
	ds_read_b64 v[101:102], v98 offset:760
	s_waitcnt vmcnt(6) lgkmcnt(1)
	v_fma_f64 v[99:100], v[111:112], v[103:104], v[99:100]
	s_waitcnt vmcnt(4)
	v_fma_f64 v[99:100], v[113:114], v[105:106], v[99:100]
	s_waitcnt vmcnt(2) lgkmcnt(0)
	v_fma_f64 v[99:100], v[115:116], v[101:102], v[99:100]
	s_waitcnt vmcnt(0)
	v_add_f64 v[99:100], v[117:118], -v[99:100]
	buffer_store_dword v99, off, s[0:3], 0 offset:336
	buffer_store_dword v100, off, s[0:3], 0 offset:340
	s_and_saveexec_b64 s[4:5], vcc
	s_cbranch_execz .LBB111_213
; %bb.212:
	buffer_load_dword v99, off, s[0:3], 0 offset:328
	buffer_load_dword v100, off, s[0:3], 0 offset:332
	s_waitcnt vmcnt(0)
	ds_write_b64 v97, v[99:100]
	buffer_store_dword v98, off, s[0:3], 0 offset:328
	buffer_store_dword v98, off, s[0:3], 0 offset:332
.LBB111_213:
	s_or_b64 exec, exec, s[4:5]
	s_waitcnt lgkmcnt(0)
	; wave barrier
	buffer_load_dword v107, off, s[0:3], 0 offset:336
	buffer_load_dword v108, off, s[0:3], 0 offset:340
	;; [unrolled: 1-line block ×14, first 2 shown]
	ds_read_b128 v[99:102], v98 offset:720
	ds_read_b128 v[103:106], v98 offset:736
	v_cmp_lt_u32_e32 vcc, 40, v0
	s_waitcnt vmcnt(12) lgkmcnt(1)
	v_fma_f64 v[99:100], v[107:108], v[99:100], 0
	s_waitcnt vmcnt(10)
	v_fma_f64 v[99:100], v[109:110], v[101:102], v[99:100]
	s_waitcnt vmcnt(8) lgkmcnt(0)
	v_fma_f64 v[99:100], v[111:112], v[103:104], v[99:100]
	s_waitcnt vmcnt(6)
	v_fma_f64 v[102:103], v[113:114], v[105:106], v[99:100]
	ds_read_b128 v[98:101], v98 offset:752
	s_waitcnt vmcnt(4) lgkmcnt(0)
	v_fma_f64 v[98:99], v[115:116], v[98:99], v[102:103]
	s_waitcnt vmcnt(2)
	v_fma_f64 v[98:99], v[117:118], v[100:101], v[98:99]
	s_waitcnt vmcnt(0)
	v_add_f64 v[98:99], v[119:120], -v[98:99]
	buffer_store_dword v98, off, s[0:3], 0 offset:328
	buffer_store_dword v99, off, s[0:3], 0 offset:332
	s_and_saveexec_b64 s[4:5], vcc
	s_cbranch_execz .LBB111_215
; %bb.214:
	buffer_load_dword v98, off, s[0:3], 0 offset:320
	buffer_load_dword v99, off, s[0:3], 0 offset:324
	v_mov_b32_e32 v100, 0
	buffer_store_dword v100, off, s[0:3], 0 offset:320
	buffer_store_dword v100, off, s[0:3], 0 offset:324
	s_waitcnt vmcnt(2)
	ds_write_b64 v97, v[98:99]
.LBB111_215:
	s_or_b64 exec, exec, s[4:5]
	s_waitcnt lgkmcnt(0)
	; wave barrier
	buffer_load_dword v107, off, s[0:3], 0 offset:328
	buffer_load_dword v108, off, s[0:3], 0 offset:332
	;; [unrolled: 1-line block ×16, first 2 shown]
	v_mov_b32_e32 v98, 0
	ds_read2_b64 v[99:102], v98 offset0:89 offset1:90
	ds_read2_b64 v[103:106], v98 offset0:91 offset1:92
	v_cmp_lt_u32_e32 vcc, 39, v0
	s_waitcnt vmcnt(14) lgkmcnt(1)
	v_fma_f64 v[99:100], v[107:108], v[99:100], 0
	s_waitcnt vmcnt(12)
	v_fma_f64 v[99:100], v[109:110], v[101:102], v[99:100]
	s_waitcnt vmcnt(10) lgkmcnt(0)
	v_fma_f64 v[99:100], v[111:112], v[103:104], v[99:100]
	s_waitcnt vmcnt(8)
	v_fma_f64 v[103:104], v[113:114], v[105:106], v[99:100]
	ds_read2_b64 v[99:102], v98 offset0:93 offset1:94
	ds_read_b64 v[105:106], v98 offset:760
	s_waitcnt vmcnt(6) lgkmcnt(1)
	v_fma_f64 v[99:100], v[115:116], v[99:100], v[103:104]
	s_waitcnt vmcnt(4)
	v_fma_f64 v[99:100], v[117:118], v[101:102], v[99:100]
	s_waitcnt vmcnt(2) lgkmcnt(0)
	v_fma_f64 v[99:100], v[119:120], v[105:106], v[99:100]
	s_waitcnt vmcnt(0)
	v_add_f64 v[99:100], v[121:122], -v[99:100]
	buffer_store_dword v99, off, s[0:3], 0 offset:320
	buffer_store_dword v100, off, s[0:3], 0 offset:324
	s_and_saveexec_b64 s[4:5], vcc
	s_cbranch_execz .LBB111_217
; %bb.216:
	buffer_load_dword v99, off, s[0:3], 0 offset:312
	buffer_load_dword v100, off, s[0:3], 0 offset:316
	s_waitcnt vmcnt(0)
	ds_write_b64 v97, v[99:100]
	buffer_store_dword v98, off, s[0:3], 0 offset:312
	buffer_store_dword v98, off, s[0:3], 0 offset:316
.LBB111_217:
	s_or_b64 exec, exec, s[4:5]
	s_waitcnt lgkmcnt(0)
	; wave barrier
	buffer_load_dword v107, off, s[0:3], 0 offset:320
	buffer_load_dword v108, off, s[0:3], 0 offset:324
	;; [unrolled: 1-line block ×18, first 2 shown]
	ds_read_b128 v[99:102], v98 offset:704
	ds_read_b128 v[103:106], v98 offset:720
	v_cmp_lt_u32_e32 vcc, 38, v0
	s_waitcnt vmcnt(16) lgkmcnt(1)
	v_fma_f64 v[99:100], v[107:108], v[99:100], 0
	s_waitcnt vmcnt(14)
	v_fma_f64 v[99:100], v[109:110], v[101:102], v[99:100]
	s_waitcnt vmcnt(12) lgkmcnt(0)
	v_fma_f64 v[99:100], v[111:112], v[103:104], v[99:100]
	s_waitcnt vmcnt(10)
	v_fma_f64 v[107:108], v[113:114], v[105:106], v[99:100]
	ds_read_b128 v[99:102], v98 offset:736
	ds_read_b128 v[103:106], v98 offset:752
	s_waitcnt vmcnt(8) lgkmcnt(1)
	v_fma_f64 v[98:99], v[115:116], v[99:100], v[107:108]
	s_waitcnt vmcnt(6)
	v_fma_f64 v[98:99], v[117:118], v[101:102], v[98:99]
	s_waitcnt vmcnt(4) lgkmcnt(0)
	v_fma_f64 v[98:99], v[119:120], v[103:104], v[98:99]
	s_waitcnt vmcnt(2)
	v_fma_f64 v[98:99], v[121:122], v[105:106], v[98:99]
	s_waitcnt vmcnt(0)
	v_add_f64 v[98:99], v[123:124], -v[98:99]
	buffer_store_dword v98, off, s[0:3], 0 offset:312
	buffer_store_dword v99, off, s[0:3], 0 offset:316
	s_and_saveexec_b64 s[4:5], vcc
	s_cbranch_execz .LBB111_219
; %bb.218:
	buffer_load_dword v98, off, s[0:3], 0 offset:304
	buffer_load_dword v99, off, s[0:3], 0 offset:308
	v_mov_b32_e32 v100, 0
	buffer_store_dword v100, off, s[0:3], 0 offset:304
	buffer_store_dword v100, off, s[0:3], 0 offset:308
	s_waitcnt vmcnt(2)
	ds_write_b64 v97, v[98:99]
.LBB111_219:
	s_or_b64 exec, exec, s[4:5]
	s_waitcnt lgkmcnt(0)
	; wave barrier
	buffer_load_dword v103, off, s[0:3], 0 offset:304
	buffer_load_dword v104, off, s[0:3], 0 offset:308
	;; [unrolled: 1-line block ×16, first 2 shown]
	v_mov_b32_e32 v98, 0
	ds_read2_b64 v[99:102], v98 offset0:87 offset1:88
	v_cmp_lt_u32_e32 vcc, 37, v0
	s_waitcnt vmcnt(12) lgkmcnt(0)
	v_fma_f64 v[99:100], v[105:106], v[99:100], 0
	s_waitcnt vmcnt(10)
	v_fma_f64 v[105:106], v[107:108], v[101:102], v[99:100]
	ds_read2_b64 v[99:102], v98 offset0:89 offset1:90
	s_waitcnt vmcnt(8) lgkmcnt(0)
	v_fma_f64 v[99:100], v[109:110], v[99:100], v[105:106]
	s_waitcnt vmcnt(6)
	v_fma_f64 v[105:106], v[111:112], v[101:102], v[99:100]
	ds_read2_b64 v[99:102], v98 offset0:91 offset1:92
	;; [unrolled: 5-line block ×3, first 2 shown]
	s_waitcnt vmcnt(0) lgkmcnt(0)
	v_fma_f64 v[99:100], v[117:118], v[99:100], v[105:106]
	buffer_load_dword v106, off, s[0:3], 0 offset:372
	buffer_load_dword v105, off, s[0:3], 0 offset:368
	s_waitcnt vmcnt(0)
	v_fma_f64 v[99:100], v[105:106], v[101:102], v[99:100]
	buffer_load_dword v102, off, s[0:3], 0 offset:380
	buffer_load_dword v101, off, s[0:3], 0 offset:376
	ds_read_b64 v[105:106], v98 offset:760
	s_waitcnt vmcnt(0) lgkmcnt(0)
	v_fma_f64 v[99:100], v[101:102], v[105:106], v[99:100]
	v_add_f64 v[99:100], v[103:104], -v[99:100]
	buffer_store_dword v99, off, s[0:3], 0 offset:304
	buffer_store_dword v100, off, s[0:3], 0 offset:308
	s_and_saveexec_b64 s[4:5], vcc
	s_cbranch_execz .LBB111_221
; %bb.220:
	buffer_load_dword v99, off, s[0:3], 0 offset:296
	buffer_load_dword v100, off, s[0:3], 0 offset:300
	s_waitcnt vmcnt(0)
	ds_write_b64 v97, v[99:100]
	buffer_store_dword v98, off, s[0:3], 0 offset:296
	buffer_store_dword v98, off, s[0:3], 0 offset:300
.LBB111_221:
	s_or_b64 exec, exec, s[4:5]
	s_waitcnt lgkmcnt(0)
	; wave barrier
	buffer_load_dword v103, off, s[0:3], 0 offset:304
	buffer_load_dword v104, off, s[0:3], 0 offset:308
	;; [unrolled: 1-line block ×20, first 2 shown]
	ds_read_b128 v[99:102], v98 offset:688
	buffer_load_dword v123, off, s[0:3], 0 offset:296
	buffer_load_dword v124, off, s[0:3], 0 offset:300
	v_cmp_lt_u32_e32 vcc, 36, v0
	s_waitcnt vmcnt(20) lgkmcnt(0)
	v_fma_f64 v[99:100], v[103:104], v[99:100], 0
	s_waitcnt vmcnt(18)
	v_fma_f64 v[103:104], v[105:106], v[101:102], v[99:100]
	ds_read_b128 v[99:102], v98 offset:704
	s_waitcnt vmcnt(16) lgkmcnt(0)
	v_fma_f64 v[99:100], v[107:108], v[99:100], v[103:104]
	s_waitcnt vmcnt(14)
	v_fma_f64 v[103:104], v[109:110], v[101:102], v[99:100]
	ds_read_b128 v[99:102], v98 offset:720
	;; [unrolled: 5-line block ×4, first 2 shown]
	s_waitcnt vmcnt(4) lgkmcnt(0)
	v_fma_f64 v[98:99], v[119:120], v[98:99], v[102:103]
	s_waitcnt vmcnt(2)
	v_fma_f64 v[98:99], v[121:122], v[100:101], v[98:99]
	s_waitcnt vmcnt(0)
	v_add_f64 v[98:99], v[123:124], -v[98:99]
	buffer_store_dword v98, off, s[0:3], 0 offset:296
	buffer_store_dword v99, off, s[0:3], 0 offset:300
	s_and_saveexec_b64 s[4:5], vcc
	s_cbranch_execz .LBB111_223
; %bb.222:
	buffer_load_dword v98, off, s[0:3], 0 offset:288
	buffer_load_dword v99, off, s[0:3], 0 offset:292
	v_mov_b32_e32 v100, 0
	buffer_store_dword v100, off, s[0:3], 0 offset:288
	buffer_store_dword v100, off, s[0:3], 0 offset:292
	s_waitcnt vmcnt(2)
	ds_write_b64 v97, v[98:99]
.LBB111_223:
	s_or_b64 exec, exec, s[4:5]
	s_waitcnt lgkmcnt(0)
	; wave barrier
	buffer_load_dword v103, off, s[0:3], 0 offset:296
	buffer_load_dword v104, off, s[0:3], 0 offset:300
	;; [unrolled: 1-line block ×20, first 2 shown]
	v_mov_b32_e32 v98, 0
	ds_read2_b64 v[99:102], v98 offset0:85 offset1:86
	buffer_load_dword v123, off, s[0:3], 0 offset:376
	buffer_load_dword v124, off, s[0:3], 0 offset:380
	v_cmp_lt_u32_e32 vcc, 35, v0
	s_waitcnt vmcnt(20) lgkmcnt(0)
	v_fma_f64 v[99:100], v[103:104], v[99:100], 0
	buffer_load_dword v103, off, s[0:3], 0 offset:288
	buffer_load_dword v104, off, s[0:3], 0 offset:292
	s_waitcnt vmcnt(20)
	v_fma_f64 v[105:106], v[105:106], v[101:102], v[99:100]
	ds_read2_b64 v[99:102], v98 offset0:87 offset1:88
	s_waitcnt vmcnt(18) lgkmcnt(0)
	v_fma_f64 v[99:100], v[107:108], v[99:100], v[105:106]
	s_waitcnt vmcnt(16)
	v_fma_f64 v[105:106], v[109:110], v[101:102], v[99:100]
	ds_read2_b64 v[99:102], v98 offset0:89 offset1:90
	s_waitcnt vmcnt(14) lgkmcnt(0)
	v_fma_f64 v[99:100], v[111:112], v[99:100], v[105:106]
	;; [unrolled: 5-line block ×4, first 2 shown]
	s_waitcnt vmcnt(4)
	v_fma_f64 v[99:100], v[121:122], v[101:102], v[99:100]
	ds_read_b64 v[101:102], v98 offset:760
	s_waitcnt vmcnt(2) lgkmcnt(0)
	v_fma_f64 v[99:100], v[123:124], v[101:102], v[99:100]
	s_waitcnt vmcnt(0)
	v_add_f64 v[99:100], v[103:104], -v[99:100]
	buffer_store_dword v100, off, s[0:3], 0 offset:292
	buffer_store_dword v99, off, s[0:3], 0 offset:288
	s_and_saveexec_b64 s[4:5], vcc
	s_cbranch_execz .LBB111_225
; %bb.224:
	buffer_load_dword v99, off, s[0:3], 0 offset:280
	buffer_load_dword v100, off, s[0:3], 0 offset:284
	s_waitcnt vmcnt(0)
	ds_write_b64 v97, v[99:100]
	buffer_store_dword v98, off, s[0:3], 0 offset:280
	buffer_store_dword v98, off, s[0:3], 0 offset:284
.LBB111_225:
	s_or_b64 exec, exec, s[4:5]
	s_waitcnt lgkmcnt(0)
	; wave barrier
	buffer_load_dword v103, off, s[0:3], 0 offset:288
	buffer_load_dword v104, off, s[0:3], 0 offset:292
	;; [unrolled: 1-line block ×20, first 2 shown]
	ds_read_b128 v[99:102], v98 offset:672
	buffer_load_dword v123, off, s[0:3], 0 offset:368
	buffer_load_dword v124, off, s[0:3], 0 offset:372
	v_cmp_lt_u32_e32 vcc, 34, v0
	s_waitcnt vmcnt(20) lgkmcnt(0)
	v_fma_f64 v[99:100], v[103:104], v[99:100], 0
	buffer_load_dword v104, off, s[0:3], 0 offset:380
	buffer_load_dword v103, off, s[0:3], 0 offset:376
	s_waitcnt vmcnt(20)
	v_fma_f64 v[105:106], v[105:106], v[101:102], v[99:100]
	ds_read_b128 v[99:102], v98 offset:688
	buffer_load_dword v125, off, s[0:3], 0 offset:280
	buffer_load_dword v126, off, s[0:3], 0 offset:284
	s_waitcnt vmcnt(20) lgkmcnt(0)
	v_fma_f64 v[99:100], v[107:108], v[99:100], v[105:106]
	s_waitcnt vmcnt(18)
	v_fma_f64 v[105:106], v[109:110], v[101:102], v[99:100]
	ds_read_b128 v[99:102], v98 offset:704
	s_waitcnt vmcnt(16) lgkmcnt(0)
	v_fma_f64 v[99:100], v[111:112], v[99:100], v[105:106]
	s_waitcnt vmcnt(14)
	v_fma_f64 v[105:106], v[113:114], v[101:102], v[99:100]
	ds_read_b128 v[99:102], v98 offset:720
	;; [unrolled: 5-line block ×4, first 2 shown]
	s_waitcnt vmcnt(4) lgkmcnt(0)
	v_fma_f64 v[98:99], v[123:124], v[98:99], v[105:106]
	s_waitcnt vmcnt(2)
	v_fma_f64 v[98:99], v[103:104], v[100:101], v[98:99]
	s_waitcnt vmcnt(0)
	v_add_f64 v[98:99], v[125:126], -v[98:99]
	buffer_store_dword v99, off, s[0:3], 0 offset:284
	buffer_store_dword v98, off, s[0:3], 0 offset:280
	s_and_saveexec_b64 s[4:5], vcc
	s_cbranch_execz .LBB111_227
; %bb.226:
	buffer_load_dword v98, off, s[0:3], 0 offset:272
	buffer_load_dword v99, off, s[0:3], 0 offset:276
	v_mov_b32_e32 v100, 0
	buffer_store_dword v100, off, s[0:3], 0 offset:272
	buffer_store_dword v100, off, s[0:3], 0 offset:276
	s_waitcnt vmcnt(2)
	ds_write_b64 v97, v[98:99]
.LBB111_227:
	s_or_b64 exec, exec, s[4:5]
	s_waitcnt lgkmcnt(0)
	; wave barrier
	buffer_load_dword v107, off, s[0:3], 0 offset:280
	buffer_load_dword v108, off, s[0:3], 0 offset:284
	;; [unrolled: 1-line block ×21, first 2 shown]
	v_mov_b32_e32 v98, 0
	ds_read2_b64 v[99:102], v98 offset0:83 offset1:84
	ds_read2_b64 v[103:106], v98 offset0:85 offset1:86
	buffer_load_dword v124, off, s[0:3], 0 offset:364
	v_cmp_lt_u32_e32 vcc, 33, v0
	s_waitcnt vmcnt(20) lgkmcnt(1)
	v_fma_f64 v[99:100], v[107:108], v[99:100], 0
	s_waitcnt vmcnt(18)
	v_fma_f64 v[99:100], v[109:110], v[101:102], v[99:100]
	buffer_load_dword v108, off, s[0:3], 0 offset:372
	buffer_load_dword v109, off, s[0:3], 0 offset:376
	;; [unrolled: 1-line block ×4, first 2 shown]
	s_waitcnt vmcnt(20) lgkmcnt(0)
	v_fma_f64 v[99:100], v[111:112], v[103:104], v[99:100]
	buffer_load_dword v111, off, s[0:3], 0 offset:272
	buffer_load_dword v112, off, s[0:3], 0 offset:276
	s_waitcnt vmcnt(20)
	v_fma_f64 v[113:114], v[113:114], v[105:106], v[99:100]
	ds_read2_b64 v[99:102], v98 offset0:87 offset1:88
	ds_read2_b64 v[103:106], v98 offset0:89 offset1:90
	s_waitcnt vmcnt(18) lgkmcnt(1)
	v_fma_f64 v[99:100], v[115:116], v[99:100], v[113:114]
	s_waitcnt vmcnt(16)
	v_fma_f64 v[99:100], v[117:118], v[101:102], v[99:100]
	s_waitcnt vmcnt(14) lgkmcnt(0)
	v_fma_f64 v[99:100], v[119:120], v[103:104], v[99:100]
	s_waitcnt vmcnt(9)
	v_fma_f64 v[113:114], v[121:122], v[105:106], v[99:100]
	ds_read2_b64 v[99:102], v98 offset0:91 offset1:92
	ds_read2_b64 v[103:106], v98 offset0:93 offset1:94
	s_waitcnt vmcnt(8) lgkmcnt(1)
	v_fma_f64 v[99:100], v[127:128], v[99:100], v[113:114]
	s_waitcnt vmcnt(7)
	v_fma_f64 v[99:100], v[125:126], v[101:102], v[99:100]
	ds_read_b64 v[101:102], v98 offset:760
	s_waitcnt vmcnt(6) lgkmcnt(1)
	v_fma_f64 v[99:100], v[123:124], v[103:104], v[99:100]
	s_waitcnt vmcnt(3)
	v_fma_f64 v[99:100], v[107:108], v[105:106], v[99:100]
	s_waitcnt vmcnt(2) lgkmcnt(0)
	v_fma_f64 v[99:100], v[109:110], v[101:102], v[99:100]
	s_waitcnt vmcnt(0)
	v_add_f64 v[99:100], v[111:112], -v[99:100]
	buffer_store_dword v100, off, s[0:3], 0 offset:276
	buffer_store_dword v99, off, s[0:3], 0 offset:272
	s_and_saveexec_b64 s[4:5], vcc
	s_cbranch_execz .LBB111_229
; %bb.228:
	buffer_load_dword v99, off, s[0:3], 0 offset:264
	buffer_load_dword v100, off, s[0:3], 0 offset:268
	s_waitcnt vmcnt(0)
	ds_write_b64 v97, v[99:100]
	buffer_store_dword v98, off, s[0:3], 0 offset:264
	buffer_store_dword v98, off, s[0:3], 0 offset:268
.LBB111_229:
	s_or_b64 exec, exec, s[4:5]
	s_waitcnt lgkmcnt(0)
	; wave barrier
	buffer_load_dword v107, off, s[0:3], 0 offset:272
	buffer_load_dword v108, off, s[0:3], 0 offset:276
	;; [unrolled: 1-line block ×22, first 2 shown]
	ds_read_b128 v[99:102], v98 offset:656
	ds_read_b128 v[103:106], v98 offset:672
	v_cmp_lt_u32_e32 vcc, 32, v0
	s_waitcnt vmcnt(20) lgkmcnt(1)
	v_fma_f64 v[99:100], v[107:108], v[99:100], 0
	s_waitcnt vmcnt(18)
	v_fma_f64 v[99:100], v[109:110], v[101:102], v[99:100]
	buffer_load_dword v108, off, s[0:3], 0 offset:364
	buffer_load_dword v109, off, s[0:3], 0 offset:376
	buffer_load_dword v129, off, s[0:3], 0 offset:368
	buffer_load_dword v107, off, s[0:3], 0 offset:360
	buffer_load_dword v130, off, s[0:3], 0 offset:372
	buffer_load_dword v110, off, s[0:3], 0 offset:380
	s_waitcnt vmcnt(22) lgkmcnt(0)
	v_fma_f64 v[99:100], v[111:112], v[103:104], v[99:100]
	s_waitcnt vmcnt(20)
	v_fma_f64 v[111:112], v[113:114], v[105:106], v[99:100]
	ds_read_b128 v[99:102], v98 offset:688
	buffer_load_dword v113, off, s[0:3], 0 offset:264
	buffer_load_dword v114, off, s[0:3], 0 offset:268
	ds_read_b128 v[103:106], v98 offset:704
	s_waitcnt vmcnt(20) lgkmcnt(1)
	v_fma_f64 v[99:100], v[115:116], v[99:100], v[111:112]
	s_waitcnt vmcnt(18)
	v_fma_f64 v[99:100], v[117:118], v[101:102], v[99:100]
	s_waitcnt vmcnt(16) lgkmcnt(0)
	v_fma_f64 v[99:100], v[119:120], v[103:104], v[99:100]
	s_waitcnt vmcnt(11)
	v_fma_f64 v[111:112], v[121:122], v[105:106], v[99:100]
	ds_read_b128 v[99:102], v98 offset:720
	ds_read_b128 v[103:106], v98 offset:736
	s_waitcnt vmcnt(10) lgkmcnt(1)
	v_fma_f64 v[99:100], v[127:128], v[99:100], v[111:112]
	s_waitcnt vmcnt(9)
	v_fma_f64 v[99:100], v[125:126], v[101:102], v[99:100]
	s_waitcnt vmcnt(8) lgkmcnt(0)
	v_fma_f64 v[99:100], v[123:124], v[103:104], v[99:100]
	s_waitcnt vmcnt(4)
	v_fma_f64 v[102:103], v[107:108], v[105:106], v[99:100]
	ds_read_b128 v[98:101], v98 offset:752
	s_waitcnt vmcnt(3) lgkmcnt(0)
	v_fma_f64 v[98:99], v[129:130], v[98:99], v[102:103]
	s_waitcnt vmcnt(2)
	v_fma_f64 v[98:99], v[109:110], v[100:101], v[98:99]
	s_waitcnt vmcnt(0)
	v_add_f64 v[98:99], v[113:114], -v[98:99]
	buffer_store_dword v99, off, s[0:3], 0 offset:268
	buffer_store_dword v98, off, s[0:3], 0 offset:264
	s_and_saveexec_b64 s[4:5], vcc
	s_cbranch_execz .LBB111_231
; %bb.230:
	buffer_load_dword v98, off, s[0:3], 0 offset:256
	buffer_load_dword v99, off, s[0:3], 0 offset:260
	v_mov_b32_e32 v100, 0
	buffer_store_dword v100, off, s[0:3], 0 offset:256
	buffer_store_dword v100, off, s[0:3], 0 offset:260
	s_waitcnt vmcnt(2)
	ds_write_b64 v97, v[98:99]
.LBB111_231:
	s_or_b64 exec, exec, s[4:5]
	s_waitcnt lgkmcnt(0)
	; wave barrier
	buffer_load_dword v107, off, s[0:3], 0 offset:264
	buffer_load_dword v108, off, s[0:3], 0 offset:268
	buffer_load_dword v109, off, s[0:3], 0 offset:272
	buffer_load_dword v110, off, s[0:3], 0 offset:276
	buffer_load_dword v111, off, s[0:3], 0 offset:280
	buffer_load_dword v112, off, s[0:3], 0 offset:284
	buffer_load_dword v113, off, s[0:3], 0 offset:288
	buffer_load_dword v114, off, s[0:3], 0 offset:292
	buffer_load_dword v115, off, s[0:3], 0 offset:296
	buffer_load_dword v116, off, s[0:3], 0 offset:300
	buffer_load_dword v117, off, s[0:3], 0 offset:304
	buffer_load_dword v118, off, s[0:3], 0 offset:308
	buffer_load_dword v119, off, s[0:3], 0 offset:312
	buffer_load_dword v120, off, s[0:3], 0 offset:316
	buffer_load_dword v122, off, s[0:3], 0 offset:324
	buffer_load_dword v123, off, s[0:3], 0 offset:344
	buffer_load_dword v125, off, s[0:3], 0 offset:336
	buffer_load_dword v127, off, s[0:3], 0 offset:328
	buffer_load_dword v121, off, s[0:3], 0 offset:320
	buffer_load_dword v128, off, s[0:3], 0 offset:332
	buffer_load_dword v126, off, s[0:3], 0 offset:340
	buffer_load_dword v124, off, s[0:3], 0 offset:348
	v_mov_b32_e32 v98, 0
	ds_read2_b64 v[99:102], v98 offset0:81 offset1:82
	ds_read2_b64 v[103:106], v98 offset0:83 offset1:84
	v_cmp_lt_u32_e32 vcc, 31, v0
	s_waitcnt vmcnt(20) lgkmcnt(1)
	v_fma_f64 v[99:100], v[107:108], v[99:100], 0
	s_waitcnt vmcnt(18)
	v_fma_f64 v[99:100], v[109:110], v[101:102], v[99:100]
	buffer_load_dword v108, off, s[0:3], 0 offset:356
	buffer_load_dword v109, off, s[0:3], 0 offset:376
	;; [unrolled: 1-line block ×8, first 2 shown]
	s_waitcnt vmcnt(24) lgkmcnt(0)
	v_fma_f64 v[99:100], v[111:112], v[103:104], v[99:100]
	s_waitcnt vmcnt(22)
	v_fma_f64 v[111:112], v[113:114], v[105:106], v[99:100]
	ds_read2_b64 v[99:102], v98 offset0:85 offset1:86
	ds_read2_b64 v[103:106], v98 offset0:87 offset1:88
	s_waitcnt vmcnt(20) lgkmcnt(1)
	v_fma_f64 v[99:100], v[115:116], v[99:100], v[111:112]
	buffer_load_dword v111, off, s[0:3], 0 offset:256
	buffer_load_dword v112, off, s[0:3], 0 offset:260
	s_waitcnt vmcnt(20)
	v_fma_f64 v[99:100], v[117:118], v[101:102], v[99:100]
	s_waitcnt vmcnt(18) lgkmcnt(0)
	v_fma_f64 v[99:100], v[119:120], v[103:104], v[99:100]
	s_waitcnt vmcnt(13)
	v_fma_f64 v[113:114], v[121:122], v[105:106], v[99:100]
	ds_read2_b64 v[99:102], v98 offset0:89 offset1:90
	ds_read2_b64 v[103:106], v98 offset0:91 offset1:92
	s_waitcnt vmcnt(12) lgkmcnt(1)
	v_fma_f64 v[99:100], v[127:128], v[99:100], v[113:114]
	s_waitcnt vmcnt(11)
	v_fma_f64 v[99:100], v[125:126], v[101:102], v[99:100]
	s_waitcnt vmcnt(10) lgkmcnt(0)
	v_fma_f64 v[99:100], v[123:124], v[103:104], v[99:100]
	s_waitcnt vmcnt(5)
	v_fma_f64 v[103:104], v[107:108], v[105:106], v[99:100]
	ds_read2_b64 v[99:102], v98 offset0:93 offset1:94
	ds_read_b64 v[105:106], v98 offset:760
	s_waitcnt vmcnt(4) lgkmcnt(1)
	v_fma_f64 v[99:100], v[131:132], v[99:100], v[103:104]
	s_waitcnt vmcnt(3)
	v_fma_f64 v[99:100], v[129:130], v[101:102], v[99:100]
	s_waitcnt vmcnt(2) lgkmcnt(0)
	v_fma_f64 v[99:100], v[109:110], v[105:106], v[99:100]
	s_waitcnt vmcnt(0)
	v_add_f64 v[99:100], v[111:112], -v[99:100]
	buffer_store_dword v100, off, s[0:3], 0 offset:260
	buffer_store_dword v99, off, s[0:3], 0 offset:256
	s_and_saveexec_b64 s[4:5], vcc
	s_cbranch_execz .LBB111_233
; %bb.232:
	buffer_load_dword v99, off, s[0:3], 0 offset:248
	buffer_load_dword v100, off, s[0:3], 0 offset:252
	s_waitcnt vmcnt(0)
	ds_write_b64 v97, v[99:100]
	buffer_store_dword v98, off, s[0:3], 0 offset:248
	buffer_store_dword v98, off, s[0:3], 0 offset:252
.LBB111_233:
	s_or_b64 exec, exec, s[4:5]
	s_waitcnt lgkmcnt(0)
	; wave barrier
	buffer_load_dword v107, off, s[0:3], 0 offset:256
	buffer_load_dword v108, off, s[0:3], 0 offset:260
	;; [unrolled: 1-line block ×22, first 2 shown]
	ds_read_b128 v[99:102], v98 offset:640
	ds_read_b128 v[103:106], v98 offset:656
	v_cmp_lt_u32_e32 vcc, 30, v0
	s_waitcnt vmcnt(20) lgkmcnt(1)
	v_fma_f64 v[99:100], v[107:108], v[99:100], 0
	s_waitcnt vmcnt(18)
	v_fma_f64 v[99:100], v[109:110], v[101:102], v[99:100]
	buffer_load_dword v108, off, s[0:3], 0 offset:348
	buffer_load_dword v109, off, s[0:3], 0 offset:368
	;; [unrolled: 1-line block ×8, first 2 shown]
	s_waitcnt vmcnt(24) lgkmcnt(0)
	v_fma_f64 v[99:100], v[111:112], v[103:104], v[99:100]
	s_waitcnt vmcnt(22)
	v_fma_f64 v[111:112], v[113:114], v[105:106], v[99:100]
	ds_read_b128 v[99:102], v98 offset:672
	ds_read_b128 v[103:106], v98 offset:688
	s_waitcnt vmcnt(20) lgkmcnt(1)
	v_fma_f64 v[99:100], v[115:116], v[99:100], v[111:112]
	buffer_load_dword v112, off, s[0:3], 0 offset:380
	buffer_load_dword v111, off, s[0:3], 0 offset:376
	;; [unrolled: 1-line block ×4, first 2 shown]
	s_waitcnt vmcnt(22)
	v_fma_f64 v[99:100], v[117:118], v[101:102], v[99:100]
	s_waitcnt vmcnt(20) lgkmcnt(0)
	v_fma_f64 v[99:100], v[119:120], v[103:104], v[99:100]
	s_waitcnt vmcnt(15)
	v_fma_f64 v[115:116], v[121:122], v[105:106], v[99:100]
	ds_read_b128 v[99:102], v98 offset:704
	ds_read_b128 v[103:106], v98 offset:720
	s_waitcnt vmcnt(14) lgkmcnt(1)
	v_fma_f64 v[99:100], v[127:128], v[99:100], v[115:116]
	s_waitcnt vmcnt(13)
	v_fma_f64 v[99:100], v[125:126], v[101:102], v[99:100]
	s_waitcnt vmcnt(12) lgkmcnt(0)
	v_fma_f64 v[99:100], v[123:124], v[103:104], v[99:100]
	s_waitcnt vmcnt(7)
	v_fma_f64 v[107:108], v[107:108], v[105:106], v[99:100]
	ds_read_b128 v[99:102], v98 offset:736
	ds_read_b128 v[103:106], v98 offset:752
	s_waitcnt vmcnt(6) lgkmcnt(1)
	v_fma_f64 v[98:99], v[131:132], v[99:100], v[107:108]
	s_waitcnt vmcnt(5)
	v_fma_f64 v[98:99], v[129:130], v[101:102], v[98:99]
	s_waitcnt vmcnt(4) lgkmcnt(0)
	v_fma_f64 v[98:99], v[109:110], v[103:104], v[98:99]
	s_waitcnt vmcnt(2)
	v_fma_f64 v[98:99], v[111:112], v[105:106], v[98:99]
	s_waitcnt vmcnt(0)
	v_add_f64 v[98:99], v[113:114], -v[98:99]
	buffer_store_dword v99, off, s[0:3], 0 offset:252
	buffer_store_dword v98, off, s[0:3], 0 offset:248
	s_and_saveexec_b64 s[4:5], vcc
	s_cbranch_execz .LBB111_235
; %bb.234:
	buffer_load_dword v98, off, s[0:3], 0 offset:240
	buffer_load_dword v99, off, s[0:3], 0 offset:244
	v_mov_b32_e32 v100, 0
	buffer_store_dword v100, off, s[0:3], 0 offset:240
	buffer_store_dword v100, off, s[0:3], 0 offset:244
	s_waitcnt vmcnt(2)
	ds_write_b64 v97, v[98:99]
.LBB111_235:
	s_or_b64 exec, exec, s[4:5]
	s_waitcnt lgkmcnt(0)
	; wave barrier
	buffer_load_dword v107, off, s[0:3], 0 offset:248
	buffer_load_dword v108, off, s[0:3], 0 offset:252
	;; [unrolled: 1-line block ×22, first 2 shown]
	v_mov_b32_e32 v98, 0
	ds_read2_b64 v[99:102], v98 offset0:79 offset1:80
	ds_read2_b64 v[103:106], v98 offset0:81 offset1:82
	v_cmp_lt_u32_e32 vcc, 29, v0
	s_waitcnt vmcnt(20) lgkmcnt(1)
	v_fma_f64 v[99:100], v[107:108], v[99:100], 0
	s_waitcnt vmcnt(18)
	v_fma_f64 v[99:100], v[109:110], v[101:102], v[99:100]
	buffer_load_dword v108, off, s[0:3], 0 offset:340
	buffer_load_dword v109, off, s[0:3], 0 offset:360
	;; [unrolled: 1-line block ×7, first 2 shown]
	s_waitcnt vmcnt(23) lgkmcnt(0)
	v_fma_f64 v[99:100], v[111:112], v[103:104], v[99:100]
	s_waitcnt vmcnt(21)
	v_fma_f64 v[110:111], v[113:114], v[105:106], v[99:100]
	ds_read2_b64 v[99:102], v98 offset0:83 offset1:84
	ds_read2_b64 v[103:106], v98 offset0:85 offset1:86
	s_waitcnt vmcnt(19) lgkmcnt(1)
	v_fma_f64 v[99:100], v[115:116], v[99:100], v[110:111]
	buffer_load_dword v110, off, s[0:3], 0 offset:364
	buffer_load_dword v112, off, s[0:3], 0 offset:372
	;; [unrolled: 1-line block ×7, first 2 shown]
	s_waitcnt vmcnt(24)
	v_fma_f64 v[99:100], v[117:118], v[101:102], v[99:100]
	s_waitcnt vmcnt(22) lgkmcnt(0)
	v_fma_f64 v[99:100], v[119:120], v[103:104], v[99:100]
	s_waitcnt vmcnt(17)
	v_fma_f64 v[117:118], v[121:122], v[105:106], v[99:100]
	ds_read2_b64 v[99:102], v98 offset0:87 offset1:88
	ds_read2_b64 v[103:106], v98 offset0:89 offset1:90
	s_waitcnt vmcnt(16) lgkmcnt(1)
	v_fma_f64 v[99:100], v[127:128], v[99:100], v[117:118]
	s_waitcnt vmcnt(15)
	v_fma_f64 v[99:100], v[125:126], v[101:102], v[99:100]
	s_waitcnt vmcnt(14) lgkmcnt(0)
	v_fma_f64 v[99:100], v[123:124], v[103:104], v[99:100]
	s_waitcnt vmcnt(9)
	v_fma_f64 v[107:108], v[107:108], v[105:106], v[99:100]
	ds_read2_b64 v[99:102], v98 offset0:91 offset1:92
	ds_read2_b64 v[103:106], v98 offset0:93 offset1:94
	s_waitcnt vmcnt(8) lgkmcnt(1)
	v_fma_f64 v[99:100], v[131:132], v[99:100], v[107:108]
	s_waitcnt vmcnt(7)
	v_fma_f64 v[99:100], v[129:130], v[101:102], v[99:100]
	ds_read_b64 v[101:102], v98 offset:760
	s_waitcnt vmcnt(6) lgkmcnt(1)
	v_fma_f64 v[99:100], v[109:110], v[103:104], v[99:100]
	s_waitcnt vmcnt(3)
	v_fma_f64 v[99:100], v[111:112], v[105:106], v[99:100]
	s_waitcnt vmcnt(2) lgkmcnt(0)
	v_fma_f64 v[99:100], v[113:114], v[101:102], v[99:100]
	s_waitcnt vmcnt(0)
	v_add_f64 v[99:100], v[115:116], -v[99:100]
	buffer_store_dword v100, off, s[0:3], 0 offset:244
	buffer_store_dword v99, off, s[0:3], 0 offset:240
	s_and_saveexec_b64 s[4:5], vcc
	s_cbranch_execz .LBB111_237
; %bb.236:
	buffer_load_dword v99, off, s[0:3], 0 offset:232
	buffer_load_dword v100, off, s[0:3], 0 offset:236
	s_waitcnt vmcnt(0)
	ds_write_b64 v97, v[99:100]
	buffer_store_dword v98, off, s[0:3], 0 offset:232
	buffer_store_dword v98, off, s[0:3], 0 offset:236
.LBB111_237:
	s_or_b64 exec, exec, s[4:5]
	s_waitcnt lgkmcnt(0)
	; wave barrier
	buffer_load_dword v107, off, s[0:3], 0 offset:240
	buffer_load_dword v108, off, s[0:3], 0 offset:244
	buffer_load_dword v109, off, s[0:3], 0 offset:248
	buffer_load_dword v110, off, s[0:3], 0 offset:252
	buffer_load_dword v111, off, s[0:3], 0 offset:256
	buffer_load_dword v112, off, s[0:3], 0 offset:260
	buffer_load_dword v113, off, s[0:3], 0 offset:264
	buffer_load_dword v114, off, s[0:3], 0 offset:268
	buffer_load_dword v115, off, s[0:3], 0 offset:272
	buffer_load_dword v116, off, s[0:3], 0 offset:276
	buffer_load_dword v117, off, s[0:3], 0 offset:280
	buffer_load_dword v118, off, s[0:3], 0 offset:284
	buffer_load_dword v119, off, s[0:3], 0 offset:288
	buffer_load_dword v120, off, s[0:3], 0 offset:292
	buffer_load_dword v122, off, s[0:3], 0 offset:300
	buffer_load_dword v123, off, s[0:3], 0 offset:320
	buffer_load_dword v125, off, s[0:3], 0 offset:312
	buffer_load_dword v127, off, s[0:3], 0 offset:304
	buffer_load_dword v121, off, s[0:3], 0 offset:296
	buffer_load_dword v128, off, s[0:3], 0 offset:308
	buffer_load_dword v126, off, s[0:3], 0 offset:316
	buffer_load_dword v124, off, s[0:3], 0 offset:324
	ds_read_b128 v[99:102], v98 offset:624
	ds_read_b128 v[103:106], v98 offset:640
	v_cmp_lt_u32_e32 vcc, 28, v0
	s_waitcnt vmcnt(20) lgkmcnt(1)
	v_fma_f64 v[99:100], v[107:108], v[99:100], 0
	s_waitcnt vmcnt(18)
	v_fma_f64 v[99:100], v[109:110], v[101:102], v[99:100]
	buffer_load_dword v108, off, s[0:3], 0 offset:332
	buffer_load_dword v109, off, s[0:3], 0 offset:352
	;; [unrolled: 1-line block ×7, first 2 shown]
	s_waitcnt vmcnt(23) lgkmcnt(0)
	v_fma_f64 v[99:100], v[111:112], v[103:104], v[99:100]
	s_waitcnt vmcnt(21)
	v_fma_f64 v[110:111], v[113:114], v[105:106], v[99:100]
	ds_read_b128 v[99:102], v98 offset:656
	ds_read_b128 v[103:106], v98 offset:672
	s_waitcnt vmcnt(19) lgkmcnt(1)
	v_fma_f64 v[99:100], v[115:116], v[99:100], v[110:111]
	buffer_load_dword v110, off, s[0:3], 0 offset:356
	buffer_load_dword v112, off, s[0:3], 0 offset:364
	buffer_load_dword v113, off, s[0:3], 0 offset:376
	buffer_load_dword v115, off, s[0:3], 0 offset:368
	buffer_load_dword v111, off, s[0:3], 0 offset:360
	buffer_load_dword v116, off, s[0:3], 0 offset:372
	buffer_load_dword v114, off, s[0:3], 0 offset:380
	s_waitcnt vmcnt(24)
	v_fma_f64 v[99:100], v[117:118], v[101:102], v[99:100]
	s_waitcnt vmcnt(22) lgkmcnt(0)
	v_fma_f64 v[99:100], v[119:120], v[103:104], v[99:100]
	s_waitcnt vmcnt(17)
	v_fma_f64 v[117:118], v[121:122], v[105:106], v[99:100]
	ds_read_b128 v[99:102], v98 offset:688
	buffer_load_dword v119, off, s[0:3], 0 offset:232
	buffer_load_dword v120, off, s[0:3], 0 offset:236
	ds_read_b128 v[103:106], v98 offset:704
	s_waitcnt vmcnt(18) lgkmcnt(1)
	v_fma_f64 v[99:100], v[127:128], v[99:100], v[117:118]
	s_waitcnt vmcnt(17)
	v_fma_f64 v[99:100], v[125:126], v[101:102], v[99:100]
	s_waitcnt vmcnt(16) lgkmcnt(0)
	v_fma_f64 v[99:100], v[123:124], v[103:104], v[99:100]
	s_waitcnt vmcnt(11)
	v_fma_f64 v[107:108], v[107:108], v[105:106], v[99:100]
	ds_read_b128 v[99:102], v98 offset:720
	ds_read_b128 v[103:106], v98 offset:736
	s_waitcnt vmcnt(10) lgkmcnt(1)
	v_fma_f64 v[99:100], v[131:132], v[99:100], v[107:108]
	s_waitcnt vmcnt(9)
	v_fma_f64 v[99:100], v[129:130], v[101:102], v[99:100]
	s_waitcnt vmcnt(8) lgkmcnt(0)
	v_fma_f64 v[99:100], v[109:110], v[103:104], v[99:100]
	s_waitcnt vmcnt(4)
	v_fma_f64 v[102:103], v[111:112], v[105:106], v[99:100]
	ds_read_b128 v[98:101], v98 offset:752
	s_waitcnt vmcnt(3) lgkmcnt(0)
	v_fma_f64 v[98:99], v[115:116], v[98:99], v[102:103]
	s_waitcnt vmcnt(2)
	v_fma_f64 v[98:99], v[113:114], v[100:101], v[98:99]
	s_waitcnt vmcnt(0)
	v_add_f64 v[98:99], v[119:120], -v[98:99]
	buffer_store_dword v99, off, s[0:3], 0 offset:236
	buffer_store_dword v98, off, s[0:3], 0 offset:232
	s_and_saveexec_b64 s[4:5], vcc
	s_cbranch_execz .LBB111_239
; %bb.238:
	buffer_load_dword v98, off, s[0:3], 0 offset:224
	buffer_load_dword v99, off, s[0:3], 0 offset:228
	v_mov_b32_e32 v100, 0
	buffer_store_dword v100, off, s[0:3], 0 offset:224
	buffer_store_dword v100, off, s[0:3], 0 offset:228
	s_waitcnt vmcnt(2)
	ds_write_b64 v97, v[98:99]
.LBB111_239:
	s_or_b64 exec, exec, s[4:5]
	s_waitcnt lgkmcnt(0)
	; wave barrier
	buffer_load_dword v107, off, s[0:3], 0 offset:232
	buffer_load_dword v108, off, s[0:3], 0 offset:236
	;; [unrolled: 1-line block ×22, first 2 shown]
	v_mov_b32_e32 v98, 0
	ds_read2_b64 v[99:102], v98 offset0:77 offset1:78
	ds_read2_b64 v[103:106], v98 offset0:79 offset1:80
	v_cmp_lt_u32_e32 vcc, 27, v0
	s_waitcnt vmcnt(20) lgkmcnt(1)
	v_fma_f64 v[99:100], v[107:108], v[99:100], 0
	s_waitcnt vmcnt(18)
	v_fma_f64 v[99:100], v[109:110], v[101:102], v[99:100]
	buffer_load_dword v108, off, s[0:3], 0 offset:324
	buffer_load_dword v109, off, s[0:3], 0 offset:344
	buffer_load_dword v129, off, s[0:3], 0 offset:336
	buffer_load_dword v131, off, s[0:3], 0 offset:328
	buffer_load_dword v107, off, s[0:3], 0 offset:320
	buffer_load_dword v132, off, s[0:3], 0 offset:332
	buffer_load_dword v130, off, s[0:3], 0 offset:340
	s_waitcnt vmcnt(23) lgkmcnt(0)
	v_fma_f64 v[99:100], v[111:112], v[103:104], v[99:100]
	s_waitcnt vmcnt(21)
	v_fma_f64 v[110:111], v[113:114], v[105:106], v[99:100]
	ds_read2_b64 v[99:102], v98 offset0:81 offset1:82
	ds_read2_b64 v[103:106], v98 offset0:83 offset1:84
	s_waitcnt vmcnt(19) lgkmcnt(1)
	v_fma_f64 v[99:100], v[115:116], v[99:100], v[110:111]
	buffer_load_dword v110, off, s[0:3], 0 offset:348
	s_waitcnt vmcnt(18)
	v_fma_f64 v[99:100], v[117:118], v[101:102], v[99:100]
	buffer_load_dword v112, off, s[0:3], 0 offset:356
	buffer_load_dword v113, off, s[0:3], 0 offset:376
	;; [unrolled: 1-line block ×8, first 2 shown]
	s_waitcnt vmcnt(24) lgkmcnt(0)
	v_fma_f64 v[99:100], v[119:120], v[103:104], v[99:100]
	s_waitcnt vmcnt(19)
	v_fma_f64 v[119:120], v[121:122], v[105:106], v[99:100]
	ds_read2_b64 v[99:102], v98 offset0:85 offset1:86
	ds_read2_b64 v[103:106], v98 offset0:87 offset1:88
	s_waitcnt vmcnt(18) lgkmcnt(1)
	v_fma_f64 v[99:100], v[127:128], v[99:100], v[119:120]
	buffer_load_dword v119, off, s[0:3], 0 offset:224
	buffer_load_dword v120, off, s[0:3], 0 offset:228
	s_waitcnt vmcnt(19)
	v_fma_f64 v[99:100], v[125:126], v[101:102], v[99:100]
	s_waitcnt vmcnt(18) lgkmcnt(0)
	v_fma_f64 v[99:100], v[123:124], v[103:104], v[99:100]
	s_waitcnt vmcnt(13)
	v_fma_f64 v[107:108], v[107:108], v[105:106], v[99:100]
	ds_read2_b64 v[99:102], v98 offset0:89 offset1:90
	ds_read2_b64 v[103:106], v98 offset0:91 offset1:92
	s_waitcnt vmcnt(12) lgkmcnt(1)
	v_fma_f64 v[99:100], v[131:132], v[99:100], v[107:108]
	s_waitcnt vmcnt(11)
	v_fma_f64 v[99:100], v[129:130], v[101:102], v[99:100]
	s_waitcnt vmcnt(10) lgkmcnt(0)
	v_fma_f64 v[99:100], v[109:110], v[103:104], v[99:100]
	s_waitcnt vmcnt(5)
	v_fma_f64 v[103:104], v[111:112], v[105:106], v[99:100]
	ds_read2_b64 v[99:102], v98 offset0:93 offset1:94
	ds_read_b64 v[105:106], v98 offset:760
	s_waitcnt vmcnt(4) lgkmcnt(1)
	v_fma_f64 v[99:100], v[117:118], v[99:100], v[103:104]
	s_waitcnt vmcnt(3)
	v_fma_f64 v[99:100], v[115:116], v[101:102], v[99:100]
	s_waitcnt vmcnt(2) lgkmcnt(0)
	v_fma_f64 v[99:100], v[113:114], v[105:106], v[99:100]
	s_waitcnt vmcnt(0)
	v_add_f64 v[99:100], v[119:120], -v[99:100]
	buffer_store_dword v100, off, s[0:3], 0 offset:228
	buffer_store_dword v99, off, s[0:3], 0 offset:224
	s_and_saveexec_b64 s[4:5], vcc
	s_cbranch_execz .LBB111_241
; %bb.240:
	buffer_load_dword v99, off, s[0:3], 0 offset:216
	buffer_load_dword v100, off, s[0:3], 0 offset:220
	s_waitcnt vmcnt(0)
	ds_write_b64 v97, v[99:100]
	buffer_store_dword v98, off, s[0:3], 0 offset:216
	buffer_store_dword v98, off, s[0:3], 0 offset:220
.LBB111_241:
	s_or_b64 exec, exec, s[4:5]
	s_waitcnt lgkmcnt(0)
	; wave barrier
	buffer_load_dword v107, off, s[0:3], 0 offset:224
	buffer_load_dword v108, off, s[0:3], 0 offset:228
	buffer_load_dword v109, off, s[0:3], 0 offset:232
	buffer_load_dword v110, off, s[0:3], 0 offset:236
	buffer_load_dword v111, off, s[0:3], 0 offset:240
	buffer_load_dword v112, off, s[0:3], 0 offset:244
	buffer_load_dword v113, off, s[0:3], 0 offset:248
	buffer_load_dword v114, off, s[0:3], 0 offset:252
	buffer_load_dword v115, off, s[0:3], 0 offset:256
	buffer_load_dword v116, off, s[0:3], 0 offset:260
	buffer_load_dword v117, off, s[0:3], 0 offset:264
	buffer_load_dword v118, off, s[0:3], 0 offset:268
	buffer_load_dword v119, off, s[0:3], 0 offset:272
	buffer_load_dword v120, off, s[0:3], 0 offset:276
	buffer_load_dword v122, off, s[0:3], 0 offset:284
	buffer_load_dword v123, off, s[0:3], 0 offset:304
	buffer_load_dword v125, off, s[0:3], 0 offset:296
	buffer_load_dword v127, off, s[0:3], 0 offset:288
	buffer_load_dword v121, off, s[0:3], 0 offset:280
	buffer_load_dword v128, off, s[0:3], 0 offset:292
	buffer_load_dword v126, off, s[0:3], 0 offset:300
	buffer_load_dword v124, off, s[0:3], 0 offset:308
	ds_read_b128 v[99:102], v98 offset:608
	ds_read_b128 v[103:106], v98 offset:624
	v_cmp_lt_u32_e32 vcc, 26, v0
	s_waitcnt vmcnt(20) lgkmcnt(1)
	v_fma_f64 v[99:100], v[107:108], v[99:100], 0
	s_waitcnt vmcnt(18)
	v_fma_f64 v[99:100], v[109:110], v[101:102], v[99:100]
	buffer_load_dword v108, off, s[0:3], 0 offset:316
	buffer_load_dword v109, off, s[0:3], 0 offset:336
	buffer_load_dword v129, off, s[0:3], 0 offset:328
	buffer_load_dword v131, off, s[0:3], 0 offset:320
	buffer_load_dword v107, off, s[0:3], 0 offset:312
	buffer_load_dword v132, off, s[0:3], 0 offset:324
	buffer_load_dword v130, off, s[0:3], 0 offset:332
	s_waitcnt vmcnt(23) lgkmcnt(0)
	v_fma_f64 v[99:100], v[111:112], v[103:104], v[99:100]
	s_waitcnt vmcnt(21)
	v_fma_f64 v[110:111], v[113:114], v[105:106], v[99:100]
	ds_read_b128 v[99:102], v98 offset:640
	ds_read_b128 v[103:106], v98 offset:656
	s_waitcnt vmcnt(19) lgkmcnt(1)
	v_fma_f64 v[99:100], v[115:116], v[99:100], v[110:111]
	buffer_load_dword v110, off, s[0:3], 0 offset:340
	s_waitcnt vmcnt(18)
	v_fma_f64 v[99:100], v[117:118], v[101:102], v[99:100]
	buffer_load_dword v112, off, s[0:3], 0 offset:348
	buffer_load_dword v113, off, s[0:3], 0 offset:368
	buffer_load_dword v115, off, s[0:3], 0 offset:360
	buffer_load_dword v117, off, s[0:3], 0 offset:352
	buffer_load_dword v111, off, s[0:3], 0 offset:344
	buffer_load_dword v118, off, s[0:3], 0 offset:356
	buffer_load_dword v116, off, s[0:3], 0 offset:364
	buffer_load_dword v114, off, s[0:3], 0 offset:372
	s_waitcnt vmcnt(24) lgkmcnt(0)
	v_fma_f64 v[99:100], v[119:120], v[103:104], v[99:100]
	s_waitcnt vmcnt(19)
	v_fma_f64 v[119:120], v[121:122], v[105:106], v[99:100]
	ds_read_b128 v[99:102], v98 offset:672
	ds_read_b128 v[103:106], v98 offset:688
	s_waitcnt vmcnt(18) lgkmcnt(1)
	v_fma_f64 v[99:100], v[127:128], v[99:100], v[119:120]
	buffer_load_dword v120, off, s[0:3], 0 offset:380
	buffer_load_dword v119, off, s[0:3], 0 offset:376
	;; [unrolled: 1-line block ×4, first 2 shown]
	s_waitcnt vmcnt(21)
	v_fma_f64 v[99:100], v[125:126], v[101:102], v[99:100]
	s_waitcnt vmcnt(20) lgkmcnt(0)
	v_fma_f64 v[99:100], v[123:124], v[103:104], v[99:100]
	s_waitcnt vmcnt(15)
	v_fma_f64 v[107:108], v[107:108], v[105:106], v[99:100]
	ds_read_b128 v[99:102], v98 offset:704
	ds_read_b128 v[103:106], v98 offset:720
	s_waitcnt vmcnt(14) lgkmcnt(1)
	v_fma_f64 v[99:100], v[131:132], v[99:100], v[107:108]
	s_waitcnt vmcnt(13)
	v_fma_f64 v[99:100], v[129:130], v[101:102], v[99:100]
	s_waitcnt vmcnt(12) lgkmcnt(0)
	v_fma_f64 v[99:100], v[109:110], v[103:104], v[99:100]
	s_waitcnt vmcnt(7)
	v_fma_f64 v[107:108], v[111:112], v[105:106], v[99:100]
	ds_read_b128 v[99:102], v98 offset:736
	ds_read_b128 v[103:106], v98 offset:752
	s_waitcnt vmcnt(6) lgkmcnt(1)
	v_fma_f64 v[98:99], v[117:118], v[99:100], v[107:108]
	s_waitcnt vmcnt(5)
	v_fma_f64 v[98:99], v[115:116], v[101:102], v[98:99]
	s_waitcnt vmcnt(4) lgkmcnt(0)
	v_fma_f64 v[98:99], v[113:114], v[103:104], v[98:99]
	s_waitcnt vmcnt(2)
	v_fma_f64 v[98:99], v[119:120], v[105:106], v[98:99]
	s_waitcnt vmcnt(0)
	v_add_f64 v[98:99], v[121:122], -v[98:99]
	buffer_store_dword v99, off, s[0:3], 0 offset:220
	buffer_store_dword v98, off, s[0:3], 0 offset:216
	s_and_saveexec_b64 s[4:5], vcc
	s_cbranch_execz .LBB111_243
; %bb.242:
	buffer_load_dword v98, off, s[0:3], 0 offset:208
	buffer_load_dword v99, off, s[0:3], 0 offset:212
	v_mov_b32_e32 v100, 0
	buffer_store_dword v100, off, s[0:3], 0 offset:208
	buffer_store_dword v100, off, s[0:3], 0 offset:212
	s_waitcnt vmcnt(2)
	ds_write_b64 v97, v[98:99]
.LBB111_243:
	s_or_b64 exec, exec, s[4:5]
	s_waitcnt lgkmcnt(0)
	; wave barrier
	buffer_load_dword v107, off, s[0:3], 0 offset:216
	buffer_load_dword v108, off, s[0:3], 0 offset:220
	;; [unrolled: 1-line block ×21, first 2 shown]
	v_mov_b32_e32 v98, 0
	ds_read2_b64 v[99:102], v98 offset0:75 offset1:76
	ds_read2_b64 v[103:106], v98 offset0:77 offset1:78
	buffer_load_dword v124, off, s[0:3], 0 offset:300
	v_cmp_lt_u32_e32 vcc, 25, v0
	s_waitcnt vmcnt(20) lgkmcnt(1)
	v_fma_f64 v[99:100], v[107:108], v[99:100], 0
	s_waitcnt vmcnt(18)
	v_fma_f64 v[99:100], v[109:110], v[101:102], v[99:100]
	buffer_load_dword v108, off, s[0:3], 0 offset:308
	buffer_load_dword v109, off, s[0:3], 0 offset:328
	;; [unrolled: 1-line block ×7, first 2 shown]
	s_waitcnt vmcnt(23) lgkmcnt(0)
	v_fma_f64 v[99:100], v[111:112], v[103:104], v[99:100]
	s_waitcnt vmcnt(21)
	v_fma_f64 v[110:111], v[113:114], v[105:106], v[99:100]
	ds_read2_b64 v[99:102], v98 offset0:79 offset1:80
	ds_read2_b64 v[103:106], v98 offset0:81 offset1:82
	s_waitcnt vmcnt(19) lgkmcnt(1)
	v_fma_f64 v[99:100], v[115:116], v[99:100], v[110:111]
	buffer_load_dword v110, off, s[0:3], 0 offset:332
	s_waitcnt vmcnt(18)
	v_fma_f64 v[99:100], v[117:118], v[101:102], v[99:100]
	buffer_load_dword v112, off, s[0:3], 0 offset:340
	buffer_load_dword v113, off, s[0:3], 0 offset:360
	;; [unrolled: 1-line block ×7, first 2 shown]
	s_waitcnt vmcnt(23) lgkmcnt(0)
	v_fma_f64 v[99:100], v[119:120], v[103:104], v[99:100]
	s_waitcnt vmcnt(18)
	v_fma_f64 v[119:120], v[121:122], v[105:106], v[99:100]
	ds_read2_b64 v[99:102], v98 offset0:83 offset1:84
	ds_read2_b64 v[103:106], v98 offset0:85 offset1:86
	buffer_load_dword v114, off, s[0:3], 0 offset:364
	s_waitcnt vmcnt(18) lgkmcnt(1)
	v_fma_f64 v[99:100], v[127:128], v[99:100], v[119:120]
	buffer_load_dword v120, off, s[0:3], 0 offset:372
	buffer_load_dword v121, off, s[0:3], 0 offset:376
	;; [unrolled: 1-line block ×4, first 2 shown]
	s_waitcnt vmcnt(21)
	v_fma_f64 v[99:100], v[125:126], v[101:102], v[99:100]
	s_waitcnt vmcnt(20) lgkmcnt(0)
	v_fma_f64 v[99:100], v[123:124], v[103:104], v[99:100]
	buffer_load_dword v123, off, s[0:3], 0 offset:208
	buffer_load_dword v124, off, s[0:3], 0 offset:212
	s_waitcnt vmcnt(17)
	v_fma_f64 v[107:108], v[107:108], v[105:106], v[99:100]
	ds_read2_b64 v[99:102], v98 offset0:87 offset1:88
	ds_read2_b64 v[103:106], v98 offset0:89 offset1:90
	s_waitcnt vmcnt(16) lgkmcnt(1)
	v_fma_f64 v[99:100], v[131:132], v[99:100], v[107:108]
	s_waitcnt vmcnt(15)
	v_fma_f64 v[99:100], v[129:130], v[101:102], v[99:100]
	s_waitcnt vmcnt(14) lgkmcnt(0)
	v_fma_f64 v[99:100], v[109:110], v[103:104], v[99:100]
	s_waitcnt vmcnt(9)
	v_fma_f64 v[107:108], v[111:112], v[105:106], v[99:100]
	ds_read2_b64 v[99:102], v98 offset0:91 offset1:92
	ds_read2_b64 v[103:106], v98 offset0:93 offset1:94
	s_waitcnt vmcnt(8) lgkmcnt(1)
	v_fma_f64 v[99:100], v[117:118], v[99:100], v[107:108]
	s_waitcnt vmcnt(7)
	v_fma_f64 v[99:100], v[115:116], v[101:102], v[99:100]
	ds_read_b64 v[101:102], v98 offset:760
	s_waitcnt vmcnt(6) lgkmcnt(1)
	v_fma_f64 v[99:100], v[113:114], v[103:104], v[99:100]
	s_waitcnt vmcnt(3)
	v_fma_f64 v[99:100], v[119:120], v[105:106], v[99:100]
	s_waitcnt vmcnt(2) lgkmcnt(0)
	v_fma_f64 v[99:100], v[121:122], v[101:102], v[99:100]
	s_waitcnt vmcnt(0)
	v_add_f64 v[99:100], v[123:124], -v[99:100]
	buffer_store_dword v100, off, s[0:3], 0 offset:212
	buffer_store_dword v99, off, s[0:3], 0 offset:208
	s_and_saveexec_b64 s[4:5], vcc
	s_cbranch_execz .LBB111_245
; %bb.244:
	buffer_load_dword v99, off, s[0:3], 0 offset:200
	buffer_load_dword v100, off, s[0:3], 0 offset:204
	s_waitcnt vmcnt(0)
	ds_write_b64 v97, v[99:100]
	buffer_store_dword v98, off, s[0:3], 0 offset:200
	buffer_store_dword v98, off, s[0:3], 0 offset:204
.LBB111_245:
	s_or_b64 exec, exec, s[4:5]
	s_waitcnt lgkmcnt(0)
	; wave barrier
	buffer_load_dword v107, off, s[0:3], 0 offset:208
	buffer_load_dword v108, off, s[0:3], 0 offset:212
	;; [unrolled: 1-line block ×21, first 2 shown]
	ds_read_b128 v[99:102], v98 offset:592
	ds_read_b128 v[103:106], v98 offset:608
	buffer_load_dword v124, off, s[0:3], 0 offset:292
	v_cmp_lt_u32_e32 vcc, 24, v0
	s_waitcnt vmcnt(20) lgkmcnt(1)
	v_fma_f64 v[99:100], v[107:108], v[99:100], 0
	s_waitcnt vmcnt(18)
	v_fma_f64 v[99:100], v[109:110], v[101:102], v[99:100]
	buffer_load_dword v108, off, s[0:3], 0 offset:300
	buffer_load_dword v109, off, s[0:3], 0 offset:320
	;; [unrolled: 1-line block ×7, first 2 shown]
	s_waitcnt vmcnt(23) lgkmcnt(0)
	v_fma_f64 v[99:100], v[111:112], v[103:104], v[99:100]
	s_waitcnt vmcnt(21)
	v_fma_f64 v[110:111], v[113:114], v[105:106], v[99:100]
	ds_read_b128 v[99:102], v98 offset:624
	ds_read_b128 v[103:106], v98 offset:640
	s_waitcnt vmcnt(19) lgkmcnt(1)
	v_fma_f64 v[99:100], v[115:116], v[99:100], v[110:111]
	buffer_load_dword v110, off, s[0:3], 0 offset:324
	s_waitcnt vmcnt(18)
	v_fma_f64 v[99:100], v[117:118], v[101:102], v[99:100]
	buffer_load_dword v112, off, s[0:3], 0 offset:332
	buffer_load_dword v113, off, s[0:3], 0 offset:352
	;; [unrolled: 1-line block ×8, first 2 shown]
	s_waitcnt vmcnt(24) lgkmcnt(0)
	v_fma_f64 v[99:100], v[119:120], v[103:104], v[99:100]
	s_waitcnt vmcnt(19)
	v_fma_f64 v[119:120], v[121:122], v[105:106], v[99:100]
	ds_read_b128 v[99:102], v98 offset:656
	ds_read_b128 v[103:106], v98 offset:672
	s_waitcnt vmcnt(18) lgkmcnt(1)
	v_fma_f64 v[99:100], v[127:128], v[99:100], v[119:120]
	s_waitcnt vmcnt(17)
	v_fma_f64 v[99:100], v[125:126], v[101:102], v[99:100]
	buffer_load_dword v120, off, s[0:3], 0 offset:364
	buffer_load_dword v121, off, s[0:3], 0 offset:376
	;; [unrolled: 1-line block ×6, first 2 shown]
	s_waitcnt vmcnt(22) lgkmcnt(0)
	v_fma_f64 v[99:100], v[123:124], v[103:104], v[99:100]
	s_waitcnt vmcnt(17)
	v_fma_f64 v[107:108], v[107:108], v[105:106], v[99:100]
	ds_read_b128 v[99:102], v98 offset:688
	buffer_load_dword v123, off, s[0:3], 0 offset:200
	buffer_load_dword v124, off, s[0:3], 0 offset:204
	ds_read_b128 v[103:106], v98 offset:704
	s_waitcnt vmcnt(18) lgkmcnt(1)
	v_fma_f64 v[99:100], v[131:132], v[99:100], v[107:108]
	s_waitcnt vmcnt(17)
	v_fma_f64 v[99:100], v[129:130], v[101:102], v[99:100]
	s_waitcnt vmcnt(16) lgkmcnt(0)
	v_fma_f64 v[99:100], v[109:110], v[103:104], v[99:100]
	s_waitcnt vmcnt(11)
	v_fma_f64 v[107:108], v[111:112], v[105:106], v[99:100]
	ds_read_b128 v[99:102], v98 offset:720
	ds_read_b128 v[103:106], v98 offset:736
	s_waitcnt vmcnt(10) lgkmcnt(1)
	v_fma_f64 v[99:100], v[117:118], v[99:100], v[107:108]
	s_waitcnt vmcnt(9)
	v_fma_f64 v[99:100], v[115:116], v[101:102], v[99:100]
	s_waitcnt vmcnt(8) lgkmcnt(0)
	v_fma_f64 v[99:100], v[113:114], v[103:104], v[99:100]
	s_waitcnt vmcnt(4)
	v_fma_f64 v[102:103], v[119:120], v[105:106], v[99:100]
	ds_read_b128 v[98:101], v98 offset:752
	s_waitcnt vmcnt(3) lgkmcnt(0)
	v_fma_f64 v[98:99], v[125:126], v[98:99], v[102:103]
	s_waitcnt vmcnt(2)
	v_fma_f64 v[98:99], v[121:122], v[100:101], v[98:99]
	s_waitcnt vmcnt(0)
	v_add_f64 v[98:99], v[123:124], -v[98:99]
	buffer_store_dword v99, off, s[0:3], 0 offset:204
	buffer_store_dword v98, off, s[0:3], 0 offset:200
	s_and_saveexec_b64 s[4:5], vcc
	s_cbranch_execz .LBB111_247
; %bb.246:
	buffer_load_dword v98, off, s[0:3], 0 offset:192
	buffer_load_dword v99, off, s[0:3], 0 offset:196
	v_mov_b32_e32 v100, 0
	buffer_store_dword v100, off, s[0:3], 0 offset:192
	buffer_store_dword v100, off, s[0:3], 0 offset:196
	s_waitcnt vmcnt(2)
	ds_write_b64 v97, v[98:99]
.LBB111_247:
	s_or_b64 exec, exec, s[4:5]
	s_waitcnt lgkmcnt(0)
	; wave barrier
	buffer_load_dword v107, off, s[0:3], 0 offset:200
	buffer_load_dword v108, off, s[0:3], 0 offset:204
	;; [unrolled: 1-line block ×21, first 2 shown]
	v_mov_b32_e32 v98, 0
	ds_read2_b64 v[99:102], v98 offset0:73 offset1:74
	ds_read2_b64 v[103:106], v98 offset0:75 offset1:76
	buffer_load_dword v124, off, s[0:3], 0 offset:284
	v_cmp_lt_u32_e32 vcc, 23, v0
	s_waitcnt vmcnt(20) lgkmcnt(1)
	v_fma_f64 v[99:100], v[107:108], v[99:100], 0
	s_waitcnt vmcnt(18)
	v_fma_f64 v[99:100], v[109:110], v[101:102], v[99:100]
	buffer_load_dword v108, off, s[0:3], 0 offset:292
	buffer_load_dword v109, off, s[0:3], 0 offset:312
	;; [unrolled: 1-line block ×7, first 2 shown]
	s_waitcnt vmcnt(23) lgkmcnt(0)
	v_fma_f64 v[99:100], v[111:112], v[103:104], v[99:100]
	s_waitcnt vmcnt(21)
	v_fma_f64 v[110:111], v[113:114], v[105:106], v[99:100]
	ds_read2_b64 v[99:102], v98 offset0:77 offset1:78
	ds_read2_b64 v[103:106], v98 offset0:79 offset1:80
	s_waitcnt vmcnt(19) lgkmcnt(1)
	v_fma_f64 v[99:100], v[115:116], v[99:100], v[110:111]
	buffer_load_dword v110, off, s[0:3], 0 offset:316
	s_waitcnt vmcnt(18)
	v_fma_f64 v[99:100], v[117:118], v[101:102], v[99:100]
	buffer_load_dword v112, off, s[0:3], 0 offset:324
	buffer_load_dword v113, off, s[0:3], 0 offset:344
	;; [unrolled: 1-line block ×8, first 2 shown]
	s_waitcnt vmcnt(24) lgkmcnt(0)
	v_fma_f64 v[99:100], v[119:120], v[103:104], v[99:100]
	s_waitcnt vmcnt(19)
	v_fma_f64 v[119:120], v[121:122], v[105:106], v[99:100]
	ds_read2_b64 v[99:102], v98 offset0:81 offset1:82
	ds_read2_b64 v[103:106], v98 offset0:83 offset1:84
	s_waitcnt vmcnt(18) lgkmcnt(1)
	v_fma_f64 v[99:100], v[127:128], v[99:100], v[119:120]
	s_waitcnt vmcnt(17)
	v_fma_f64 v[99:100], v[125:126], v[101:102], v[99:100]
	buffer_load_dword v120, off, s[0:3], 0 offset:356
	buffer_load_dword v121, off, s[0:3], 0 offset:376
	;; [unrolled: 1-line block ×8, first 2 shown]
	s_waitcnt vmcnt(24) lgkmcnt(0)
	v_fma_f64 v[99:100], v[123:124], v[103:104], v[99:100]
	s_waitcnt vmcnt(19)
	v_fma_f64 v[107:108], v[107:108], v[105:106], v[99:100]
	ds_read2_b64 v[99:102], v98 offset0:85 offset1:86
	ds_read2_b64 v[103:106], v98 offset0:87 offset1:88
	s_waitcnt vmcnt(18) lgkmcnt(1)
	v_fma_f64 v[99:100], v[131:132], v[99:100], v[107:108]
	buffer_load_dword v107, off, s[0:3], 0 offset:192
	buffer_load_dword v108, off, s[0:3], 0 offset:196
	s_waitcnt vmcnt(19)
	v_fma_f64 v[99:100], v[129:130], v[101:102], v[99:100]
	s_waitcnt vmcnt(18) lgkmcnt(0)
	v_fma_f64 v[99:100], v[109:110], v[103:104], v[99:100]
	s_waitcnt vmcnt(13)
	v_fma_f64 v[109:110], v[111:112], v[105:106], v[99:100]
	ds_read2_b64 v[99:102], v98 offset0:89 offset1:90
	ds_read2_b64 v[103:106], v98 offset0:91 offset1:92
	s_waitcnt vmcnt(12) lgkmcnt(1)
	v_fma_f64 v[99:100], v[117:118], v[99:100], v[109:110]
	s_waitcnt vmcnt(11)
	v_fma_f64 v[99:100], v[115:116], v[101:102], v[99:100]
	s_waitcnt vmcnt(10) lgkmcnt(0)
	v_fma_f64 v[99:100], v[113:114], v[103:104], v[99:100]
	s_waitcnt vmcnt(5)
	v_fma_f64 v[103:104], v[119:120], v[105:106], v[99:100]
	ds_read2_b64 v[99:102], v98 offset0:93 offset1:94
	ds_read_b64 v[105:106], v98 offset:760
	s_waitcnt vmcnt(4) lgkmcnt(1)
	v_fma_f64 v[99:100], v[127:128], v[99:100], v[103:104]
	s_waitcnt vmcnt(3)
	v_fma_f64 v[99:100], v[125:126], v[101:102], v[99:100]
	s_waitcnt vmcnt(2) lgkmcnt(0)
	v_fma_f64 v[99:100], v[121:122], v[105:106], v[99:100]
	s_waitcnt vmcnt(0)
	v_add_f64 v[99:100], v[107:108], -v[99:100]
	buffer_store_dword v100, off, s[0:3], 0 offset:196
	buffer_store_dword v99, off, s[0:3], 0 offset:192
	s_and_saveexec_b64 s[4:5], vcc
	s_cbranch_execz .LBB111_249
; %bb.248:
	buffer_load_dword v99, off, s[0:3], 0 offset:184
	buffer_load_dword v100, off, s[0:3], 0 offset:188
	s_waitcnt vmcnt(0)
	ds_write_b64 v97, v[99:100]
	buffer_store_dword v98, off, s[0:3], 0 offset:184
	buffer_store_dword v98, off, s[0:3], 0 offset:188
.LBB111_249:
	s_or_b64 exec, exec, s[4:5]
	s_waitcnt lgkmcnt(0)
	; wave barrier
	buffer_load_dword v107, off, s[0:3], 0 offset:192
	buffer_load_dword v108, off, s[0:3], 0 offset:196
	;; [unrolled: 1-line block ×21, first 2 shown]
	ds_read_b128 v[99:102], v98 offset:576
	ds_read_b128 v[103:106], v98 offset:592
	buffer_load_dword v124, off, s[0:3], 0 offset:276
	v_cmp_lt_u32_e32 vcc, 22, v0
	s_waitcnt vmcnt(20) lgkmcnt(1)
	v_fma_f64 v[99:100], v[107:108], v[99:100], 0
	s_waitcnt vmcnt(18)
	v_fma_f64 v[99:100], v[109:110], v[101:102], v[99:100]
	buffer_load_dword v108, off, s[0:3], 0 offset:284
	buffer_load_dword v109, off, s[0:3], 0 offset:304
	;; [unrolled: 1-line block ×7, first 2 shown]
	s_waitcnt vmcnt(23) lgkmcnt(0)
	v_fma_f64 v[99:100], v[111:112], v[103:104], v[99:100]
	s_waitcnt vmcnt(21)
	v_fma_f64 v[110:111], v[113:114], v[105:106], v[99:100]
	ds_read_b128 v[99:102], v98 offset:608
	ds_read_b128 v[103:106], v98 offset:624
	s_waitcnt vmcnt(19) lgkmcnt(1)
	v_fma_f64 v[99:100], v[115:116], v[99:100], v[110:111]
	buffer_load_dword v110, off, s[0:3], 0 offset:308
	s_waitcnt vmcnt(18)
	v_fma_f64 v[99:100], v[117:118], v[101:102], v[99:100]
	buffer_load_dword v112, off, s[0:3], 0 offset:316
	buffer_load_dword v113, off, s[0:3], 0 offset:336
	;; [unrolled: 1-line block ×8, first 2 shown]
	s_waitcnt vmcnt(24) lgkmcnt(0)
	v_fma_f64 v[99:100], v[119:120], v[103:104], v[99:100]
	s_waitcnt vmcnt(19)
	v_fma_f64 v[119:120], v[121:122], v[105:106], v[99:100]
	ds_read_b128 v[99:102], v98 offset:640
	ds_read_b128 v[103:106], v98 offset:656
	s_waitcnt vmcnt(18) lgkmcnt(1)
	v_fma_f64 v[99:100], v[127:128], v[99:100], v[119:120]
	s_waitcnt vmcnt(17)
	v_fma_f64 v[99:100], v[125:126], v[101:102], v[99:100]
	buffer_load_dword v120, off, s[0:3], 0 offset:348
	buffer_load_dword v121, off, s[0:3], 0 offset:368
	buffer_load_dword v125, off, s[0:3], 0 offset:360
	buffer_load_dword v127, off, s[0:3], 0 offset:352
	buffer_load_dword v119, off, s[0:3], 0 offset:344
	buffer_load_dword v128, off, s[0:3], 0 offset:356
	buffer_load_dword v126, off, s[0:3], 0 offset:364
	buffer_load_dword v122, off, s[0:3], 0 offset:372
	s_waitcnt vmcnt(24) lgkmcnt(0)
	v_fma_f64 v[99:100], v[123:124], v[103:104], v[99:100]
	s_waitcnt vmcnt(19)
	v_fma_f64 v[107:108], v[107:108], v[105:106], v[99:100]
	ds_read_b128 v[99:102], v98 offset:672
	ds_read_b128 v[103:106], v98 offset:688
	s_waitcnt vmcnt(18) lgkmcnt(1)
	v_fma_f64 v[99:100], v[131:132], v[99:100], v[107:108]
	buffer_load_dword v108, off, s[0:3], 0 offset:380
	buffer_load_dword v107, off, s[0:3], 0 offset:376
	;; [unrolled: 1-line block ×4, first 2 shown]
	s_waitcnt vmcnt(21)
	v_fma_f64 v[99:100], v[129:130], v[101:102], v[99:100]
	s_waitcnt vmcnt(20) lgkmcnt(0)
	v_fma_f64 v[99:100], v[109:110], v[103:104], v[99:100]
	s_waitcnt vmcnt(15)
	v_fma_f64 v[109:110], v[111:112], v[105:106], v[99:100]
	ds_read_b128 v[99:102], v98 offset:704
	ds_read_b128 v[103:106], v98 offset:720
	s_waitcnt vmcnt(14) lgkmcnt(1)
	v_fma_f64 v[99:100], v[117:118], v[99:100], v[109:110]
	s_waitcnt vmcnt(13)
	v_fma_f64 v[99:100], v[115:116], v[101:102], v[99:100]
	s_waitcnt vmcnt(12) lgkmcnt(0)
	v_fma_f64 v[99:100], v[113:114], v[103:104], v[99:100]
	s_waitcnt vmcnt(7)
	v_fma_f64 v[109:110], v[119:120], v[105:106], v[99:100]
	ds_read_b128 v[99:102], v98 offset:736
	ds_read_b128 v[103:106], v98 offset:752
	s_waitcnt vmcnt(6) lgkmcnt(1)
	v_fma_f64 v[98:99], v[127:128], v[99:100], v[109:110]
	s_waitcnt vmcnt(5)
	v_fma_f64 v[98:99], v[125:126], v[101:102], v[98:99]
	s_waitcnt vmcnt(4) lgkmcnt(0)
	v_fma_f64 v[98:99], v[121:122], v[103:104], v[98:99]
	s_waitcnt vmcnt(2)
	v_fma_f64 v[98:99], v[107:108], v[105:106], v[98:99]
	s_waitcnt vmcnt(0)
	v_add_f64 v[98:99], v[123:124], -v[98:99]
	buffer_store_dword v99, off, s[0:3], 0 offset:188
	buffer_store_dword v98, off, s[0:3], 0 offset:184
	s_and_saveexec_b64 s[4:5], vcc
	s_cbranch_execz .LBB111_251
; %bb.250:
	buffer_load_dword v98, off, s[0:3], 0 offset:176
	buffer_load_dword v99, off, s[0:3], 0 offset:180
	v_mov_b32_e32 v100, 0
	buffer_store_dword v100, off, s[0:3], 0 offset:176
	buffer_store_dword v100, off, s[0:3], 0 offset:180
	s_waitcnt vmcnt(2)
	ds_write_b64 v97, v[98:99]
.LBB111_251:
	s_or_b64 exec, exec, s[4:5]
	s_waitcnt lgkmcnt(0)
	; wave barrier
	buffer_load_dword v107, off, s[0:3], 0 offset:184
	buffer_load_dword v108, off, s[0:3], 0 offset:188
	;; [unrolled: 1-line block ×21, first 2 shown]
	v_mov_b32_e32 v98, 0
	ds_read2_b64 v[99:102], v98 offset0:71 offset1:72
	ds_read2_b64 v[103:106], v98 offset0:73 offset1:74
	buffer_load_dword v124, off, s[0:3], 0 offset:268
	v_cmp_lt_u32_e32 vcc, 21, v0
	s_waitcnt vmcnt(20) lgkmcnt(1)
	v_fma_f64 v[99:100], v[107:108], v[99:100], 0
	s_waitcnt vmcnt(18)
	v_fma_f64 v[99:100], v[109:110], v[101:102], v[99:100]
	buffer_load_dword v108, off, s[0:3], 0 offset:276
	buffer_load_dword v109, off, s[0:3], 0 offset:296
	;; [unrolled: 1-line block ×7, first 2 shown]
	s_waitcnt vmcnt(23) lgkmcnt(0)
	v_fma_f64 v[99:100], v[111:112], v[103:104], v[99:100]
	s_waitcnt vmcnt(21)
	v_fma_f64 v[110:111], v[113:114], v[105:106], v[99:100]
	ds_read2_b64 v[99:102], v98 offset0:75 offset1:76
	ds_read2_b64 v[103:106], v98 offset0:77 offset1:78
	s_waitcnt vmcnt(19) lgkmcnt(1)
	v_fma_f64 v[99:100], v[115:116], v[99:100], v[110:111]
	buffer_load_dword v110, off, s[0:3], 0 offset:300
	s_waitcnt vmcnt(18)
	v_fma_f64 v[99:100], v[117:118], v[101:102], v[99:100]
	buffer_load_dword v112, off, s[0:3], 0 offset:308
	buffer_load_dword v113, off, s[0:3], 0 offset:328
	;; [unrolled: 1-line block ×8, first 2 shown]
	s_waitcnt vmcnt(24) lgkmcnt(0)
	v_fma_f64 v[99:100], v[119:120], v[103:104], v[99:100]
	s_waitcnt vmcnt(19)
	v_fma_f64 v[119:120], v[121:122], v[105:106], v[99:100]
	ds_read2_b64 v[99:102], v98 offset0:79 offset1:80
	ds_read2_b64 v[103:106], v98 offset0:81 offset1:82
	s_waitcnt vmcnt(18) lgkmcnt(1)
	v_fma_f64 v[99:100], v[127:128], v[99:100], v[119:120]
	s_waitcnt vmcnt(17)
	v_fma_f64 v[99:100], v[125:126], v[101:102], v[99:100]
	buffer_load_dword v120, off, s[0:3], 0 offset:340
	buffer_load_dword v121, off, s[0:3], 0 offset:360
	;; [unrolled: 1-line block ×7, first 2 shown]
	s_waitcnt vmcnt(23) lgkmcnt(0)
	v_fma_f64 v[99:100], v[123:124], v[103:104], v[99:100]
	s_waitcnt vmcnt(18)
	v_fma_f64 v[107:108], v[107:108], v[105:106], v[99:100]
	ds_read2_b64 v[99:102], v98 offset0:83 offset1:84
	ds_read2_b64 v[103:106], v98 offset0:85 offset1:86
	buffer_load_dword v122, off, s[0:3], 0 offset:364
	s_waitcnt vmcnt(18) lgkmcnt(1)
	v_fma_f64 v[99:100], v[131:132], v[99:100], v[107:108]
	buffer_load_dword v108, off, s[0:3], 0 offset:372
	buffer_load_dword v123, off, s[0:3], 0 offset:376
	;; [unrolled: 1-line block ×4, first 2 shown]
	s_waitcnt vmcnt(21)
	v_fma_f64 v[99:100], v[129:130], v[101:102], v[99:100]
	s_waitcnt vmcnt(20) lgkmcnt(0)
	v_fma_f64 v[99:100], v[109:110], v[103:104], v[99:100]
	buffer_load_dword v109, off, s[0:3], 0 offset:176
	buffer_load_dword v110, off, s[0:3], 0 offset:180
	s_waitcnt vmcnt(17)
	v_fma_f64 v[111:112], v[111:112], v[105:106], v[99:100]
	ds_read2_b64 v[99:102], v98 offset0:87 offset1:88
	ds_read2_b64 v[103:106], v98 offset0:89 offset1:90
	s_waitcnt vmcnt(16) lgkmcnt(1)
	v_fma_f64 v[99:100], v[117:118], v[99:100], v[111:112]
	s_waitcnt vmcnt(15)
	v_fma_f64 v[99:100], v[115:116], v[101:102], v[99:100]
	s_waitcnt vmcnt(14) lgkmcnt(0)
	v_fma_f64 v[99:100], v[113:114], v[103:104], v[99:100]
	s_waitcnt vmcnt(9)
	v_fma_f64 v[111:112], v[119:120], v[105:106], v[99:100]
	ds_read2_b64 v[99:102], v98 offset0:91 offset1:92
	ds_read2_b64 v[103:106], v98 offset0:93 offset1:94
	s_waitcnt vmcnt(8) lgkmcnt(1)
	v_fma_f64 v[99:100], v[127:128], v[99:100], v[111:112]
	s_waitcnt vmcnt(7)
	v_fma_f64 v[99:100], v[125:126], v[101:102], v[99:100]
	ds_read_b64 v[101:102], v98 offset:760
	s_waitcnt vmcnt(6) lgkmcnt(1)
	v_fma_f64 v[99:100], v[121:122], v[103:104], v[99:100]
	s_waitcnt vmcnt(3)
	v_fma_f64 v[99:100], v[107:108], v[105:106], v[99:100]
	s_waitcnt vmcnt(2) lgkmcnt(0)
	v_fma_f64 v[99:100], v[123:124], v[101:102], v[99:100]
	s_waitcnt vmcnt(0)
	v_add_f64 v[99:100], v[109:110], -v[99:100]
	buffer_store_dword v100, off, s[0:3], 0 offset:180
	buffer_store_dword v99, off, s[0:3], 0 offset:176
	s_and_saveexec_b64 s[4:5], vcc
	s_cbranch_execz .LBB111_253
; %bb.252:
	buffer_load_dword v99, off, s[0:3], 0 offset:168
	buffer_load_dword v100, off, s[0:3], 0 offset:172
	s_waitcnt vmcnt(0)
	ds_write_b64 v97, v[99:100]
	buffer_store_dword v98, off, s[0:3], 0 offset:168
	buffer_store_dword v98, off, s[0:3], 0 offset:172
.LBB111_253:
	s_or_b64 exec, exec, s[4:5]
	s_waitcnt lgkmcnt(0)
	; wave barrier
	buffer_load_dword v107, off, s[0:3], 0 offset:176
	buffer_load_dword v108, off, s[0:3], 0 offset:180
	;; [unrolled: 1-line block ×22, first 2 shown]
	ds_read_b128 v[99:102], v98 offset:560
	ds_read_b128 v[103:106], v98 offset:576
	v_cmp_lt_u32_e32 vcc, 20, v0
	s_waitcnt vmcnt(20) lgkmcnt(1)
	v_fma_f64 v[99:100], v[107:108], v[99:100], 0
	s_waitcnt vmcnt(18)
	v_fma_f64 v[99:100], v[109:110], v[101:102], v[99:100]
	buffer_load_dword v108, off, s[0:3], 0 offset:268
	buffer_load_dword v109, off, s[0:3], 0 offset:288
	buffer_load_dword v129, off, s[0:3], 0 offset:280
	buffer_load_dword v131, off, s[0:3], 0 offset:272
	buffer_load_dword v107, off, s[0:3], 0 offset:264
	buffer_load_dword v132, off, s[0:3], 0 offset:276
	buffer_load_dword v130, off, s[0:3], 0 offset:284
	s_waitcnt vmcnt(23) lgkmcnt(0)
	v_fma_f64 v[99:100], v[111:112], v[103:104], v[99:100]
	s_waitcnt vmcnt(21)
	v_fma_f64 v[110:111], v[113:114], v[105:106], v[99:100]
	ds_read_b128 v[99:102], v98 offset:592
	ds_read_b128 v[103:106], v98 offset:608
	s_waitcnt vmcnt(19) lgkmcnt(1)
	v_fma_f64 v[99:100], v[115:116], v[99:100], v[110:111]
	buffer_load_dword v110, off, s[0:3], 0 offset:292
	s_waitcnt vmcnt(18)
	v_fma_f64 v[99:100], v[117:118], v[101:102], v[99:100]
	buffer_load_dword v112, off, s[0:3], 0 offset:300
	buffer_load_dword v113, off, s[0:3], 0 offset:320
	;; [unrolled: 1-line block ×8, first 2 shown]
	s_waitcnt vmcnt(24) lgkmcnt(0)
	v_fma_f64 v[99:100], v[119:120], v[103:104], v[99:100]
	s_waitcnt vmcnt(19)
	v_fma_f64 v[119:120], v[121:122], v[105:106], v[99:100]
	ds_read_b128 v[99:102], v98 offset:624
	ds_read_b128 v[103:106], v98 offset:640
	s_waitcnt vmcnt(18) lgkmcnt(1)
	v_fma_f64 v[99:100], v[127:128], v[99:100], v[119:120]
	s_waitcnt vmcnt(17)
	v_fma_f64 v[99:100], v[125:126], v[101:102], v[99:100]
	buffer_load_dword v120, off, s[0:3], 0 offset:332
	buffer_load_dword v121, off, s[0:3], 0 offset:352
	;; [unrolled: 1-line block ×8, first 2 shown]
	s_waitcnt vmcnt(24) lgkmcnt(0)
	v_fma_f64 v[99:100], v[123:124], v[103:104], v[99:100]
	s_waitcnt vmcnt(19)
	v_fma_f64 v[107:108], v[107:108], v[105:106], v[99:100]
	ds_read_b128 v[99:102], v98 offset:656
	ds_read_b128 v[103:106], v98 offset:672
	s_waitcnt vmcnt(18) lgkmcnt(1)
	v_fma_f64 v[99:100], v[131:132], v[99:100], v[107:108]
	s_waitcnt vmcnt(17)
	v_fma_f64 v[99:100], v[129:130], v[101:102], v[99:100]
	buffer_load_dword v108, off, s[0:3], 0 offset:364
	buffer_load_dword v123, off, s[0:3], 0 offset:376
	;; [unrolled: 1-line block ×6, first 2 shown]
	s_waitcnt vmcnt(22) lgkmcnt(0)
	v_fma_f64 v[99:100], v[109:110], v[103:104], v[99:100]
	s_waitcnt vmcnt(17)
	v_fma_f64 v[109:110], v[111:112], v[105:106], v[99:100]
	ds_read_b128 v[99:102], v98 offset:688
	buffer_load_dword v111, off, s[0:3], 0 offset:168
	buffer_load_dword v112, off, s[0:3], 0 offset:172
	ds_read_b128 v[103:106], v98 offset:704
	s_waitcnt vmcnt(18) lgkmcnt(1)
	v_fma_f64 v[99:100], v[117:118], v[99:100], v[109:110]
	s_waitcnt vmcnt(17)
	v_fma_f64 v[99:100], v[115:116], v[101:102], v[99:100]
	s_waitcnt vmcnt(16) lgkmcnt(0)
	v_fma_f64 v[99:100], v[113:114], v[103:104], v[99:100]
	s_waitcnt vmcnt(11)
	v_fma_f64 v[109:110], v[119:120], v[105:106], v[99:100]
	ds_read_b128 v[99:102], v98 offset:720
	ds_read_b128 v[103:106], v98 offset:736
	s_waitcnt vmcnt(10) lgkmcnt(1)
	v_fma_f64 v[99:100], v[127:128], v[99:100], v[109:110]
	s_waitcnt vmcnt(9)
	v_fma_f64 v[99:100], v[125:126], v[101:102], v[99:100]
	s_waitcnt vmcnt(8) lgkmcnt(0)
	v_fma_f64 v[99:100], v[121:122], v[103:104], v[99:100]
	s_waitcnt vmcnt(4)
	v_fma_f64 v[102:103], v[107:108], v[105:106], v[99:100]
	ds_read_b128 v[98:101], v98 offset:752
	s_waitcnt vmcnt(3) lgkmcnt(0)
	v_fma_f64 v[98:99], v[129:130], v[98:99], v[102:103]
	s_waitcnt vmcnt(2)
	v_fma_f64 v[98:99], v[123:124], v[100:101], v[98:99]
	s_waitcnt vmcnt(0)
	v_add_f64 v[98:99], v[111:112], -v[98:99]
	buffer_store_dword v99, off, s[0:3], 0 offset:172
	buffer_store_dword v98, off, s[0:3], 0 offset:168
	s_and_saveexec_b64 s[4:5], vcc
	s_cbranch_execz .LBB111_255
; %bb.254:
	buffer_load_dword v98, off, s[0:3], 0 offset:160
	buffer_load_dword v99, off, s[0:3], 0 offset:164
	v_mov_b32_e32 v100, 0
	buffer_store_dword v100, off, s[0:3], 0 offset:160
	buffer_store_dword v100, off, s[0:3], 0 offset:164
	s_waitcnt vmcnt(2)
	ds_write_b64 v97, v[98:99]
.LBB111_255:
	s_or_b64 exec, exec, s[4:5]
	s_waitcnt lgkmcnt(0)
	; wave barrier
	buffer_load_dword v107, off, s[0:3], 0 offset:168
	buffer_load_dword v108, off, s[0:3], 0 offset:172
	;; [unrolled: 1-line block ×22, first 2 shown]
	v_mov_b32_e32 v98, 0
	ds_read2_b64 v[99:102], v98 offset0:69 offset1:70
	ds_read2_b64 v[103:106], v98 offset0:71 offset1:72
	v_cmp_lt_u32_e32 vcc, 19, v0
	s_waitcnt vmcnt(20) lgkmcnt(1)
	v_fma_f64 v[99:100], v[107:108], v[99:100], 0
	s_waitcnt vmcnt(18)
	v_fma_f64 v[99:100], v[109:110], v[101:102], v[99:100]
	buffer_load_dword v108, off, s[0:3], 0 offset:260
	buffer_load_dword v109, off, s[0:3], 0 offset:280
	;; [unrolled: 1-line block ×7, first 2 shown]
	s_waitcnt vmcnt(23) lgkmcnt(0)
	v_fma_f64 v[99:100], v[111:112], v[103:104], v[99:100]
	s_waitcnt vmcnt(21)
	v_fma_f64 v[110:111], v[113:114], v[105:106], v[99:100]
	ds_read2_b64 v[99:102], v98 offset0:73 offset1:74
	ds_read2_b64 v[103:106], v98 offset0:75 offset1:76
	s_waitcnt vmcnt(19) lgkmcnt(1)
	v_fma_f64 v[99:100], v[115:116], v[99:100], v[110:111]
	buffer_load_dword v110, off, s[0:3], 0 offset:284
	s_waitcnt vmcnt(18)
	v_fma_f64 v[99:100], v[117:118], v[101:102], v[99:100]
	buffer_load_dword v112, off, s[0:3], 0 offset:292
	buffer_load_dword v113, off, s[0:3], 0 offset:312
	buffer_load_dword v115, off, s[0:3], 0 offset:304
	buffer_load_dword v117, off, s[0:3], 0 offset:296
	buffer_load_dword v111, off, s[0:3], 0 offset:288
	buffer_load_dword v118, off, s[0:3], 0 offset:300
	buffer_load_dword v116, off, s[0:3], 0 offset:308
	buffer_load_dword v114, off, s[0:3], 0 offset:316
	s_waitcnt vmcnt(24) lgkmcnt(0)
	v_fma_f64 v[99:100], v[119:120], v[103:104], v[99:100]
	s_waitcnt vmcnt(19)
	v_fma_f64 v[119:120], v[121:122], v[105:106], v[99:100]
	ds_read2_b64 v[99:102], v98 offset0:77 offset1:78
	ds_read2_b64 v[103:106], v98 offset0:79 offset1:80
	s_waitcnt vmcnt(18) lgkmcnt(1)
	v_fma_f64 v[99:100], v[127:128], v[99:100], v[119:120]
	s_waitcnt vmcnt(17)
	v_fma_f64 v[99:100], v[125:126], v[101:102], v[99:100]
	buffer_load_dword v120, off, s[0:3], 0 offset:324
	buffer_load_dword v121, off, s[0:3], 0 offset:344
	buffer_load_dword v125, off, s[0:3], 0 offset:336
	buffer_load_dword v127, off, s[0:3], 0 offset:328
	buffer_load_dword v119, off, s[0:3], 0 offset:320
	buffer_load_dword v128, off, s[0:3], 0 offset:332
	buffer_load_dword v126, off, s[0:3], 0 offset:340
	buffer_load_dword v122, off, s[0:3], 0 offset:348
	s_waitcnt vmcnt(24) lgkmcnt(0)
	v_fma_f64 v[99:100], v[123:124], v[103:104], v[99:100]
	s_waitcnt vmcnt(19)
	v_fma_f64 v[107:108], v[107:108], v[105:106], v[99:100]
	ds_read2_b64 v[99:102], v98 offset0:81 offset1:82
	ds_read2_b64 v[103:106], v98 offset0:83 offset1:84
	s_waitcnt vmcnt(18) lgkmcnt(1)
	v_fma_f64 v[99:100], v[131:132], v[99:100], v[107:108]
	;; [unrolled: 18-line block ×3, first 2 shown]
	buffer_load_dword v109, off, s[0:3], 0 offset:160
	buffer_load_dword v110, off, s[0:3], 0 offset:164
	s_waitcnt vmcnt(19)
	v_fma_f64 v[99:100], v[115:116], v[101:102], v[99:100]
	s_waitcnt vmcnt(18) lgkmcnt(0)
	v_fma_f64 v[99:100], v[113:114], v[103:104], v[99:100]
	s_waitcnt vmcnt(13)
	v_fma_f64 v[111:112], v[119:120], v[105:106], v[99:100]
	ds_read2_b64 v[99:102], v98 offset0:89 offset1:90
	ds_read2_b64 v[103:106], v98 offset0:91 offset1:92
	s_waitcnt vmcnt(12) lgkmcnt(1)
	v_fma_f64 v[99:100], v[127:128], v[99:100], v[111:112]
	s_waitcnt vmcnt(11)
	v_fma_f64 v[99:100], v[125:126], v[101:102], v[99:100]
	s_waitcnt vmcnt(10) lgkmcnt(0)
	v_fma_f64 v[99:100], v[121:122], v[103:104], v[99:100]
	s_waitcnt vmcnt(5)
	v_fma_f64 v[103:104], v[107:108], v[105:106], v[99:100]
	ds_read2_b64 v[99:102], v98 offset0:93 offset1:94
	ds_read_b64 v[105:106], v98 offset:760
	s_waitcnt vmcnt(4) lgkmcnt(1)
	v_fma_f64 v[99:100], v[131:132], v[99:100], v[103:104]
	s_waitcnt vmcnt(3)
	v_fma_f64 v[99:100], v[129:130], v[101:102], v[99:100]
	s_waitcnt vmcnt(2) lgkmcnt(0)
	v_fma_f64 v[99:100], v[123:124], v[105:106], v[99:100]
	s_waitcnt vmcnt(0)
	v_add_f64 v[99:100], v[109:110], -v[99:100]
	buffer_store_dword v100, off, s[0:3], 0 offset:164
	buffer_store_dword v99, off, s[0:3], 0 offset:160
	s_and_saveexec_b64 s[4:5], vcc
	s_cbranch_execz .LBB111_257
; %bb.256:
	buffer_load_dword v99, off, s[0:3], 0 offset:152
	buffer_load_dword v100, off, s[0:3], 0 offset:156
	s_waitcnt vmcnt(0)
	ds_write_b64 v97, v[99:100]
	buffer_store_dword v98, off, s[0:3], 0 offset:152
	buffer_store_dword v98, off, s[0:3], 0 offset:156
.LBB111_257:
	s_or_b64 exec, exec, s[4:5]
	s_waitcnt lgkmcnt(0)
	; wave barrier
	buffer_load_dword v107, off, s[0:3], 0 offset:160
	buffer_load_dword v108, off, s[0:3], 0 offset:164
	;; [unrolled: 1-line block ×22, first 2 shown]
	ds_read_b128 v[99:102], v98 offset:544
	ds_read_b128 v[103:106], v98 offset:560
	v_cmp_lt_u32_e32 vcc, 18, v0
	s_waitcnt vmcnt(20) lgkmcnt(1)
	v_fma_f64 v[99:100], v[107:108], v[99:100], 0
	s_waitcnt vmcnt(18)
	v_fma_f64 v[99:100], v[109:110], v[101:102], v[99:100]
	buffer_load_dword v108, off, s[0:3], 0 offset:252
	buffer_load_dword v109, off, s[0:3], 0 offset:272
	;; [unrolled: 1-line block ×7, first 2 shown]
	s_waitcnt vmcnt(23) lgkmcnt(0)
	v_fma_f64 v[99:100], v[111:112], v[103:104], v[99:100]
	s_waitcnt vmcnt(21)
	v_fma_f64 v[110:111], v[113:114], v[105:106], v[99:100]
	ds_read_b128 v[99:102], v98 offset:576
	ds_read_b128 v[103:106], v98 offset:592
	s_waitcnt vmcnt(19) lgkmcnt(1)
	v_fma_f64 v[99:100], v[115:116], v[99:100], v[110:111]
	buffer_load_dword v110, off, s[0:3], 0 offset:276
	s_waitcnt vmcnt(18)
	v_fma_f64 v[99:100], v[117:118], v[101:102], v[99:100]
	buffer_load_dword v112, off, s[0:3], 0 offset:284
	buffer_load_dword v113, off, s[0:3], 0 offset:304
	buffer_load_dword v115, off, s[0:3], 0 offset:296
	buffer_load_dword v117, off, s[0:3], 0 offset:288
	buffer_load_dword v111, off, s[0:3], 0 offset:280
	buffer_load_dword v118, off, s[0:3], 0 offset:292
	buffer_load_dword v116, off, s[0:3], 0 offset:300
	buffer_load_dword v114, off, s[0:3], 0 offset:308
	s_waitcnt vmcnt(24) lgkmcnt(0)
	v_fma_f64 v[99:100], v[119:120], v[103:104], v[99:100]
	s_waitcnt vmcnt(19)
	v_fma_f64 v[119:120], v[121:122], v[105:106], v[99:100]
	ds_read_b128 v[99:102], v98 offset:608
	ds_read_b128 v[103:106], v98 offset:624
	s_waitcnt vmcnt(18) lgkmcnt(1)
	v_fma_f64 v[99:100], v[127:128], v[99:100], v[119:120]
	s_waitcnt vmcnt(17)
	v_fma_f64 v[99:100], v[125:126], v[101:102], v[99:100]
	buffer_load_dword v120, off, s[0:3], 0 offset:316
	buffer_load_dword v121, off, s[0:3], 0 offset:336
	buffer_load_dword v125, off, s[0:3], 0 offset:328
	buffer_load_dword v127, off, s[0:3], 0 offset:320
	buffer_load_dword v119, off, s[0:3], 0 offset:312
	buffer_load_dword v128, off, s[0:3], 0 offset:324
	buffer_load_dword v126, off, s[0:3], 0 offset:332
	buffer_load_dword v122, off, s[0:3], 0 offset:340
	s_waitcnt vmcnt(24) lgkmcnt(0)
	v_fma_f64 v[99:100], v[123:124], v[103:104], v[99:100]
	s_waitcnt vmcnt(19)
	v_fma_f64 v[107:108], v[107:108], v[105:106], v[99:100]
	ds_read_b128 v[99:102], v98 offset:640
	ds_read_b128 v[103:106], v98 offset:656
	s_waitcnt vmcnt(18) lgkmcnt(1)
	v_fma_f64 v[99:100], v[131:132], v[99:100], v[107:108]
	;; [unrolled: 18-line block ×3, first 2 shown]
	buffer_load_dword v110, off, s[0:3], 0 offset:380
	buffer_load_dword v109, off, s[0:3], 0 offset:376
	;; [unrolled: 1-line block ×4, first 2 shown]
	s_waitcnt vmcnt(21)
	v_fma_f64 v[99:100], v[115:116], v[101:102], v[99:100]
	s_waitcnt vmcnt(20) lgkmcnt(0)
	v_fma_f64 v[99:100], v[113:114], v[103:104], v[99:100]
	s_waitcnt vmcnt(15)
	v_fma_f64 v[113:114], v[119:120], v[105:106], v[99:100]
	ds_read_b128 v[99:102], v98 offset:704
	ds_read_b128 v[103:106], v98 offset:720
	s_waitcnt vmcnt(14) lgkmcnt(1)
	v_fma_f64 v[99:100], v[127:128], v[99:100], v[113:114]
	s_waitcnt vmcnt(13)
	v_fma_f64 v[99:100], v[125:126], v[101:102], v[99:100]
	s_waitcnt vmcnt(12) lgkmcnt(0)
	v_fma_f64 v[99:100], v[121:122], v[103:104], v[99:100]
	s_waitcnt vmcnt(7)
	v_fma_f64 v[107:108], v[107:108], v[105:106], v[99:100]
	ds_read_b128 v[99:102], v98 offset:736
	ds_read_b128 v[103:106], v98 offset:752
	s_waitcnt vmcnt(6) lgkmcnt(1)
	v_fma_f64 v[98:99], v[131:132], v[99:100], v[107:108]
	s_waitcnt vmcnt(5)
	v_fma_f64 v[98:99], v[129:130], v[101:102], v[98:99]
	s_waitcnt vmcnt(4) lgkmcnt(0)
	v_fma_f64 v[98:99], v[123:124], v[103:104], v[98:99]
	s_waitcnt vmcnt(2)
	v_fma_f64 v[98:99], v[109:110], v[105:106], v[98:99]
	s_waitcnt vmcnt(0)
	v_add_f64 v[98:99], v[111:112], -v[98:99]
	buffer_store_dword v99, off, s[0:3], 0 offset:156
	buffer_store_dword v98, off, s[0:3], 0 offset:152
	s_and_saveexec_b64 s[4:5], vcc
	s_cbranch_execz .LBB111_259
; %bb.258:
	buffer_load_dword v98, off, s[0:3], 0 offset:144
	buffer_load_dword v99, off, s[0:3], 0 offset:148
	v_mov_b32_e32 v100, 0
	buffer_store_dword v100, off, s[0:3], 0 offset:144
	buffer_store_dword v100, off, s[0:3], 0 offset:148
	s_waitcnt vmcnt(2)
	ds_write_b64 v97, v[98:99]
.LBB111_259:
	s_or_b64 exec, exec, s[4:5]
	s_waitcnt lgkmcnt(0)
	; wave barrier
	buffer_load_dword v107, off, s[0:3], 0 offset:152
	buffer_load_dword v108, off, s[0:3], 0 offset:156
	;; [unrolled: 1-line block ×22, first 2 shown]
	v_mov_b32_e32 v98, 0
	ds_read2_b64 v[99:102], v98 offset0:67 offset1:68
	ds_read2_b64 v[103:106], v98 offset0:69 offset1:70
	v_cmp_lt_u32_e32 vcc, 17, v0
	s_waitcnt vmcnt(20) lgkmcnt(1)
	v_fma_f64 v[99:100], v[107:108], v[99:100], 0
	s_waitcnt vmcnt(18)
	v_fma_f64 v[99:100], v[109:110], v[101:102], v[99:100]
	buffer_load_dword v108, off, s[0:3], 0 offset:244
	buffer_load_dword v109, off, s[0:3], 0 offset:264
	buffer_load_dword v129, off, s[0:3], 0 offset:256
	buffer_load_dword v131, off, s[0:3], 0 offset:248
	buffer_load_dword v107, off, s[0:3], 0 offset:240
	buffer_load_dword v132, off, s[0:3], 0 offset:252
	buffer_load_dword v130, off, s[0:3], 0 offset:260
	s_waitcnt vmcnt(23) lgkmcnt(0)
	v_fma_f64 v[99:100], v[111:112], v[103:104], v[99:100]
	s_waitcnt vmcnt(21)
	v_fma_f64 v[110:111], v[113:114], v[105:106], v[99:100]
	ds_read2_b64 v[99:102], v98 offset0:71 offset1:72
	ds_read2_b64 v[103:106], v98 offset0:73 offset1:74
	s_waitcnt vmcnt(19) lgkmcnt(1)
	v_fma_f64 v[99:100], v[115:116], v[99:100], v[110:111]
	buffer_load_dword v110, off, s[0:3], 0 offset:268
	s_waitcnt vmcnt(18)
	v_fma_f64 v[99:100], v[117:118], v[101:102], v[99:100]
	buffer_load_dword v112, off, s[0:3], 0 offset:276
	buffer_load_dword v113, off, s[0:3], 0 offset:296
	;; [unrolled: 1-line block ×7, first 2 shown]
	s_waitcnt vmcnt(23) lgkmcnt(0)
	v_fma_f64 v[99:100], v[119:120], v[103:104], v[99:100]
	s_waitcnt vmcnt(18)
	v_fma_f64 v[119:120], v[121:122], v[105:106], v[99:100]
	ds_read2_b64 v[99:102], v98 offset0:75 offset1:76
	ds_read2_b64 v[103:106], v98 offset0:77 offset1:78
	buffer_load_dword v114, off, s[0:3], 0 offset:300
	s_waitcnt vmcnt(18) lgkmcnt(1)
	v_fma_f64 v[99:100], v[127:128], v[99:100], v[119:120]
	s_waitcnt vmcnt(17)
	v_fma_f64 v[99:100], v[125:126], v[101:102], v[99:100]
	buffer_load_dword v120, off, s[0:3], 0 offset:308
	buffer_load_dword v121, off, s[0:3], 0 offset:328
	;; [unrolled: 1-line block ×8, first 2 shown]
	s_waitcnt vmcnt(24) lgkmcnt(0)
	v_fma_f64 v[99:100], v[123:124], v[103:104], v[99:100]
	s_waitcnt vmcnt(19)
	v_fma_f64 v[107:108], v[107:108], v[105:106], v[99:100]
	ds_read2_b64 v[99:102], v98 offset0:79 offset1:80
	ds_read2_b64 v[103:106], v98 offset0:81 offset1:82
	s_waitcnt vmcnt(18) lgkmcnt(1)
	v_fma_f64 v[99:100], v[131:132], v[99:100], v[107:108]
	s_waitcnt vmcnt(17)
	v_fma_f64 v[99:100], v[129:130], v[101:102], v[99:100]
	buffer_load_dword v108, off, s[0:3], 0 offset:340
	buffer_load_dword v123, off, s[0:3], 0 offset:360
	;; [unrolled: 1-line block ×7, first 2 shown]
	s_waitcnt vmcnt(23) lgkmcnt(0)
	v_fma_f64 v[99:100], v[109:110], v[103:104], v[99:100]
	s_waitcnt vmcnt(18)
	v_fma_f64 v[109:110], v[111:112], v[105:106], v[99:100]
	ds_read2_b64 v[99:102], v98 offset0:83 offset1:84
	ds_read2_b64 v[103:106], v98 offset0:85 offset1:86
	buffer_load_dword v124, off, s[0:3], 0 offset:364
	s_waitcnt vmcnt(18) lgkmcnt(1)
	v_fma_f64 v[99:100], v[117:118], v[99:100], v[109:110]
	buffer_load_dword v110, off, s[0:3], 0 offset:372
	buffer_load_dword v111, off, s[0:3], 0 offset:376
	;; [unrolled: 1-line block ×4, first 2 shown]
	s_waitcnt vmcnt(21)
	v_fma_f64 v[99:100], v[115:116], v[101:102], v[99:100]
	s_waitcnt vmcnt(20) lgkmcnt(0)
	v_fma_f64 v[99:100], v[113:114], v[103:104], v[99:100]
	buffer_load_dword v113, off, s[0:3], 0 offset:144
	buffer_load_dword v114, off, s[0:3], 0 offset:148
	s_waitcnt vmcnt(17)
	v_fma_f64 v[115:116], v[119:120], v[105:106], v[99:100]
	ds_read2_b64 v[99:102], v98 offset0:87 offset1:88
	ds_read2_b64 v[103:106], v98 offset0:89 offset1:90
	s_waitcnt vmcnt(16) lgkmcnt(1)
	v_fma_f64 v[99:100], v[127:128], v[99:100], v[115:116]
	s_waitcnt vmcnt(15)
	v_fma_f64 v[99:100], v[125:126], v[101:102], v[99:100]
	s_waitcnt vmcnt(14) lgkmcnt(0)
	v_fma_f64 v[99:100], v[121:122], v[103:104], v[99:100]
	s_waitcnt vmcnt(9)
	v_fma_f64 v[107:108], v[107:108], v[105:106], v[99:100]
	ds_read2_b64 v[99:102], v98 offset0:91 offset1:92
	ds_read2_b64 v[103:106], v98 offset0:93 offset1:94
	s_waitcnt vmcnt(8) lgkmcnt(1)
	v_fma_f64 v[99:100], v[131:132], v[99:100], v[107:108]
	s_waitcnt vmcnt(7)
	v_fma_f64 v[99:100], v[129:130], v[101:102], v[99:100]
	ds_read_b64 v[101:102], v98 offset:760
	s_waitcnt vmcnt(6) lgkmcnt(1)
	v_fma_f64 v[99:100], v[123:124], v[103:104], v[99:100]
	s_waitcnt vmcnt(3)
	v_fma_f64 v[99:100], v[109:110], v[105:106], v[99:100]
	s_waitcnt vmcnt(2) lgkmcnt(0)
	v_fma_f64 v[99:100], v[111:112], v[101:102], v[99:100]
	s_waitcnt vmcnt(0)
	v_add_f64 v[99:100], v[113:114], -v[99:100]
	buffer_store_dword v100, off, s[0:3], 0 offset:148
	buffer_store_dword v99, off, s[0:3], 0 offset:144
	s_and_saveexec_b64 s[4:5], vcc
	s_cbranch_execz .LBB111_261
; %bb.260:
	buffer_load_dword v99, off, s[0:3], 0 offset:136
	buffer_load_dword v100, off, s[0:3], 0 offset:140
	s_waitcnt vmcnt(0)
	ds_write_b64 v97, v[99:100]
	buffer_store_dword v98, off, s[0:3], 0 offset:136
	buffer_store_dword v98, off, s[0:3], 0 offset:140
.LBB111_261:
	s_or_b64 exec, exec, s[4:5]
	s_waitcnt lgkmcnt(0)
	; wave barrier
	buffer_load_dword v107, off, s[0:3], 0 offset:144
	buffer_load_dword v108, off, s[0:3], 0 offset:148
	;; [unrolled: 1-line block ×22, first 2 shown]
	ds_read_b128 v[99:102], v98 offset:528
	ds_read_b128 v[103:106], v98 offset:544
	v_cmp_lt_u32_e32 vcc, 16, v0
	s_waitcnt vmcnt(20) lgkmcnt(1)
	v_fma_f64 v[99:100], v[107:108], v[99:100], 0
	s_waitcnt vmcnt(18)
	v_fma_f64 v[99:100], v[109:110], v[101:102], v[99:100]
	buffer_load_dword v108, off, s[0:3], 0 offset:236
	buffer_load_dword v109, off, s[0:3], 0 offset:256
	;; [unrolled: 1-line block ×7, first 2 shown]
	s_waitcnt vmcnt(23) lgkmcnt(0)
	v_fma_f64 v[99:100], v[111:112], v[103:104], v[99:100]
	s_waitcnt vmcnt(21)
	v_fma_f64 v[110:111], v[113:114], v[105:106], v[99:100]
	ds_read_b128 v[99:102], v98 offset:560
	ds_read_b128 v[103:106], v98 offset:576
	s_waitcnt vmcnt(19) lgkmcnt(1)
	v_fma_f64 v[99:100], v[115:116], v[99:100], v[110:111]
	buffer_load_dword v110, off, s[0:3], 0 offset:260
	s_waitcnt vmcnt(18)
	v_fma_f64 v[99:100], v[117:118], v[101:102], v[99:100]
	buffer_load_dword v112, off, s[0:3], 0 offset:268
	buffer_load_dword v113, off, s[0:3], 0 offset:288
	;; [unrolled: 1-line block ×7, first 2 shown]
	s_waitcnt vmcnt(23) lgkmcnt(0)
	v_fma_f64 v[99:100], v[119:120], v[103:104], v[99:100]
	s_waitcnt vmcnt(18)
	v_fma_f64 v[119:120], v[121:122], v[105:106], v[99:100]
	ds_read_b128 v[99:102], v98 offset:592
	ds_read_b128 v[103:106], v98 offset:608
	buffer_load_dword v114, off, s[0:3], 0 offset:292
	s_waitcnt vmcnt(18) lgkmcnt(1)
	v_fma_f64 v[99:100], v[127:128], v[99:100], v[119:120]
	s_waitcnt vmcnt(17)
	v_fma_f64 v[99:100], v[125:126], v[101:102], v[99:100]
	buffer_load_dword v120, off, s[0:3], 0 offset:300
	buffer_load_dword v121, off, s[0:3], 0 offset:320
	;; [unrolled: 1-line block ×8, first 2 shown]
	s_waitcnt vmcnt(24) lgkmcnt(0)
	v_fma_f64 v[99:100], v[123:124], v[103:104], v[99:100]
	s_waitcnt vmcnt(19)
	v_fma_f64 v[107:108], v[107:108], v[105:106], v[99:100]
	ds_read_b128 v[99:102], v98 offset:624
	ds_read_b128 v[103:106], v98 offset:640
	s_waitcnt vmcnt(18) lgkmcnt(1)
	v_fma_f64 v[99:100], v[131:132], v[99:100], v[107:108]
	s_waitcnt vmcnt(17)
	v_fma_f64 v[99:100], v[129:130], v[101:102], v[99:100]
	buffer_load_dword v108, off, s[0:3], 0 offset:332
	buffer_load_dword v123, off, s[0:3], 0 offset:352
	;; [unrolled: 1-line block ×8, first 2 shown]
	s_waitcnt vmcnt(24) lgkmcnt(0)
	v_fma_f64 v[99:100], v[109:110], v[103:104], v[99:100]
	s_waitcnt vmcnt(19)
	v_fma_f64 v[109:110], v[111:112], v[105:106], v[99:100]
	ds_read_b128 v[99:102], v98 offset:656
	ds_read_b128 v[103:106], v98 offset:672
	s_waitcnt vmcnt(18) lgkmcnt(1)
	v_fma_f64 v[99:100], v[117:118], v[99:100], v[109:110]
	s_waitcnt vmcnt(17)
	v_fma_f64 v[99:100], v[115:116], v[101:102], v[99:100]
	buffer_load_dword v110, off, s[0:3], 0 offset:364
	buffer_load_dword v111, off, s[0:3], 0 offset:376
	;; [unrolled: 1-line block ×6, first 2 shown]
	s_waitcnt vmcnt(22) lgkmcnt(0)
	v_fma_f64 v[99:100], v[113:114], v[103:104], v[99:100]
	s_waitcnt vmcnt(17)
	v_fma_f64 v[113:114], v[119:120], v[105:106], v[99:100]
	ds_read_b128 v[99:102], v98 offset:688
	buffer_load_dword v117, off, s[0:3], 0 offset:136
	buffer_load_dword v118, off, s[0:3], 0 offset:140
	ds_read_b128 v[103:106], v98 offset:704
	s_waitcnt vmcnt(18) lgkmcnt(1)
	v_fma_f64 v[99:100], v[127:128], v[99:100], v[113:114]
	s_waitcnt vmcnt(17)
	v_fma_f64 v[99:100], v[125:126], v[101:102], v[99:100]
	s_waitcnt vmcnt(16) lgkmcnt(0)
	v_fma_f64 v[99:100], v[121:122], v[103:104], v[99:100]
	s_waitcnt vmcnt(11)
	v_fma_f64 v[107:108], v[107:108], v[105:106], v[99:100]
	ds_read_b128 v[99:102], v98 offset:720
	ds_read_b128 v[103:106], v98 offset:736
	s_waitcnt vmcnt(10) lgkmcnt(1)
	v_fma_f64 v[99:100], v[131:132], v[99:100], v[107:108]
	s_waitcnt vmcnt(9)
	v_fma_f64 v[99:100], v[129:130], v[101:102], v[99:100]
	s_waitcnt vmcnt(8) lgkmcnt(0)
	v_fma_f64 v[99:100], v[123:124], v[103:104], v[99:100]
	s_waitcnt vmcnt(4)
	v_fma_f64 v[102:103], v[109:110], v[105:106], v[99:100]
	ds_read_b128 v[98:101], v98 offset:752
	s_waitcnt vmcnt(3) lgkmcnt(0)
	v_fma_f64 v[98:99], v[115:116], v[98:99], v[102:103]
	s_waitcnt vmcnt(2)
	v_fma_f64 v[98:99], v[111:112], v[100:101], v[98:99]
	s_waitcnt vmcnt(0)
	v_add_f64 v[98:99], v[117:118], -v[98:99]
	buffer_store_dword v99, off, s[0:3], 0 offset:140
	buffer_store_dword v98, off, s[0:3], 0 offset:136
	s_and_saveexec_b64 s[4:5], vcc
	s_cbranch_execz .LBB111_263
; %bb.262:
	buffer_load_dword v98, off, s[0:3], 0 offset:128
	buffer_load_dword v99, off, s[0:3], 0 offset:132
	v_mov_b32_e32 v100, 0
	buffer_store_dword v100, off, s[0:3], 0 offset:128
	buffer_store_dword v100, off, s[0:3], 0 offset:132
	s_waitcnt vmcnt(2)
	ds_write_b64 v97, v[98:99]
.LBB111_263:
	s_or_b64 exec, exec, s[4:5]
	s_waitcnt lgkmcnt(0)
	; wave barrier
	buffer_load_dword v107, off, s[0:3], 0 offset:136
	buffer_load_dword v108, off, s[0:3], 0 offset:140
	;; [unrolled: 1-line block ×22, first 2 shown]
	v_mov_b32_e32 v98, 0
	ds_read2_b64 v[99:102], v98 offset0:65 offset1:66
	ds_read2_b64 v[103:106], v98 offset0:67 offset1:68
	v_cmp_lt_u32_e32 vcc, 15, v0
	s_waitcnt vmcnt(20) lgkmcnt(1)
	v_fma_f64 v[99:100], v[107:108], v[99:100], 0
	s_waitcnt vmcnt(18)
	v_fma_f64 v[99:100], v[109:110], v[101:102], v[99:100]
	buffer_load_dword v108, off, s[0:3], 0 offset:228
	buffer_load_dword v109, off, s[0:3], 0 offset:248
	;; [unrolled: 1-line block ×7, first 2 shown]
	s_waitcnt vmcnt(23) lgkmcnt(0)
	v_fma_f64 v[99:100], v[111:112], v[103:104], v[99:100]
	s_waitcnt vmcnt(21)
	v_fma_f64 v[110:111], v[113:114], v[105:106], v[99:100]
	ds_read2_b64 v[99:102], v98 offset0:69 offset1:70
	ds_read2_b64 v[103:106], v98 offset0:71 offset1:72
	s_waitcnt vmcnt(19) lgkmcnt(1)
	v_fma_f64 v[99:100], v[115:116], v[99:100], v[110:111]
	buffer_load_dword v110, off, s[0:3], 0 offset:252
	s_waitcnt vmcnt(18)
	v_fma_f64 v[99:100], v[117:118], v[101:102], v[99:100]
	buffer_load_dword v112, off, s[0:3], 0 offset:260
	buffer_load_dword v113, off, s[0:3], 0 offset:280
	buffer_load_dword v115, off, s[0:3], 0 offset:272
	buffer_load_dword v117, off, s[0:3], 0 offset:264
	buffer_load_dword v111, off, s[0:3], 0 offset:256
	buffer_load_dword v118, off, s[0:3], 0 offset:268
	buffer_load_dword v116, off, s[0:3], 0 offset:276
	s_waitcnt vmcnt(23) lgkmcnt(0)
	v_fma_f64 v[99:100], v[119:120], v[103:104], v[99:100]
	s_waitcnt vmcnt(18)
	v_fma_f64 v[119:120], v[121:122], v[105:106], v[99:100]
	ds_read2_b64 v[99:102], v98 offset0:73 offset1:74
	ds_read2_b64 v[103:106], v98 offset0:75 offset1:76
	buffer_load_dword v114, off, s[0:3], 0 offset:284
	s_waitcnt vmcnt(18) lgkmcnt(1)
	v_fma_f64 v[99:100], v[127:128], v[99:100], v[119:120]
	s_waitcnt vmcnt(17)
	v_fma_f64 v[99:100], v[125:126], v[101:102], v[99:100]
	buffer_load_dword v120, off, s[0:3], 0 offset:292
	buffer_load_dword v121, off, s[0:3], 0 offset:312
	buffer_load_dword v125, off, s[0:3], 0 offset:304
	buffer_load_dword v127, off, s[0:3], 0 offset:296
	buffer_load_dword v119, off, s[0:3], 0 offset:288
	buffer_load_dword v128, off, s[0:3], 0 offset:300
	buffer_load_dword v126, off, s[0:3], 0 offset:308
	buffer_load_dword v122, off, s[0:3], 0 offset:316
	s_waitcnt vmcnt(24) lgkmcnt(0)
	v_fma_f64 v[99:100], v[123:124], v[103:104], v[99:100]
	s_waitcnt vmcnt(19)
	v_fma_f64 v[107:108], v[107:108], v[105:106], v[99:100]
	ds_read2_b64 v[99:102], v98 offset0:77 offset1:78
	ds_read2_b64 v[103:106], v98 offset0:79 offset1:80
	s_waitcnt vmcnt(18) lgkmcnt(1)
	v_fma_f64 v[99:100], v[131:132], v[99:100], v[107:108]
	s_waitcnt vmcnt(17)
	v_fma_f64 v[99:100], v[129:130], v[101:102], v[99:100]
	buffer_load_dword v108, off, s[0:3], 0 offset:324
	buffer_load_dword v123, off, s[0:3], 0 offset:344
	buffer_load_dword v129, off, s[0:3], 0 offset:336
	buffer_load_dword v131, off, s[0:3], 0 offset:328
	buffer_load_dword v107, off, s[0:3], 0 offset:320
	buffer_load_dword v132, off, s[0:3], 0 offset:332
	buffer_load_dword v130, off, s[0:3], 0 offset:340
	buffer_load_dword v124, off, s[0:3], 0 offset:348
	s_waitcnt vmcnt(24) lgkmcnt(0)
	v_fma_f64 v[99:100], v[109:110], v[103:104], v[99:100]
	s_waitcnt vmcnt(19)
	v_fma_f64 v[109:110], v[111:112], v[105:106], v[99:100]
	ds_read2_b64 v[99:102], v98 offset0:81 offset1:82
	ds_read2_b64 v[103:106], v98 offset0:83 offset1:84
	;; [unrolled: 18-line block ×3, first 2 shown]
	s_waitcnt vmcnt(18) lgkmcnt(1)
	v_fma_f64 v[99:100], v[127:128], v[99:100], v[113:114]
	buffer_load_dword v113, off, s[0:3], 0 offset:128
	buffer_load_dword v114, off, s[0:3], 0 offset:132
	s_waitcnt vmcnt(19)
	v_fma_f64 v[99:100], v[125:126], v[101:102], v[99:100]
	s_waitcnt vmcnt(18) lgkmcnt(0)
	v_fma_f64 v[99:100], v[121:122], v[103:104], v[99:100]
	s_waitcnt vmcnt(13)
	v_fma_f64 v[107:108], v[107:108], v[105:106], v[99:100]
	ds_read2_b64 v[99:102], v98 offset0:89 offset1:90
	ds_read2_b64 v[103:106], v98 offset0:91 offset1:92
	s_waitcnt vmcnt(12) lgkmcnt(1)
	v_fma_f64 v[99:100], v[131:132], v[99:100], v[107:108]
	s_waitcnt vmcnt(11)
	v_fma_f64 v[99:100], v[129:130], v[101:102], v[99:100]
	s_waitcnt vmcnt(10) lgkmcnt(0)
	v_fma_f64 v[99:100], v[123:124], v[103:104], v[99:100]
	s_waitcnt vmcnt(5)
	v_fma_f64 v[103:104], v[109:110], v[105:106], v[99:100]
	ds_read2_b64 v[99:102], v98 offset0:93 offset1:94
	ds_read_b64 v[105:106], v98 offset:760
	s_waitcnt vmcnt(4) lgkmcnt(1)
	v_fma_f64 v[99:100], v[117:118], v[99:100], v[103:104]
	s_waitcnt vmcnt(3)
	v_fma_f64 v[99:100], v[115:116], v[101:102], v[99:100]
	s_waitcnt vmcnt(2) lgkmcnt(0)
	v_fma_f64 v[99:100], v[111:112], v[105:106], v[99:100]
	s_waitcnt vmcnt(0)
	v_add_f64 v[99:100], v[113:114], -v[99:100]
	buffer_store_dword v100, off, s[0:3], 0 offset:132
	buffer_store_dword v99, off, s[0:3], 0 offset:128
	s_and_saveexec_b64 s[4:5], vcc
	s_cbranch_execz .LBB111_265
; %bb.264:
	buffer_load_dword v99, off, s[0:3], 0 offset:120
	buffer_load_dword v100, off, s[0:3], 0 offset:124
	s_waitcnt vmcnt(0)
	ds_write_b64 v97, v[99:100]
	buffer_store_dword v98, off, s[0:3], 0 offset:120
	buffer_store_dword v98, off, s[0:3], 0 offset:124
.LBB111_265:
	s_or_b64 exec, exec, s[4:5]
	s_waitcnt lgkmcnt(0)
	; wave barrier
	buffer_load_dword v107, off, s[0:3], 0 offset:128
	buffer_load_dword v108, off, s[0:3], 0 offset:132
	;; [unrolled: 1-line block ×22, first 2 shown]
	ds_read_b128 v[99:102], v98 offset:512
	ds_read_b128 v[103:106], v98 offset:528
	v_cmp_lt_u32_e32 vcc, 14, v0
	s_waitcnt vmcnt(20) lgkmcnt(1)
	v_fma_f64 v[99:100], v[107:108], v[99:100], 0
	s_waitcnt vmcnt(18)
	v_fma_f64 v[99:100], v[109:110], v[101:102], v[99:100]
	buffer_load_dword v108, off, s[0:3], 0 offset:220
	buffer_load_dword v109, off, s[0:3], 0 offset:240
	;; [unrolled: 1-line block ×7, first 2 shown]
	s_waitcnt vmcnt(23) lgkmcnt(0)
	v_fma_f64 v[99:100], v[111:112], v[103:104], v[99:100]
	s_waitcnt vmcnt(21)
	v_fma_f64 v[110:111], v[113:114], v[105:106], v[99:100]
	ds_read_b128 v[99:102], v98 offset:544
	ds_read_b128 v[103:106], v98 offset:560
	s_waitcnt vmcnt(19) lgkmcnt(1)
	v_fma_f64 v[99:100], v[115:116], v[99:100], v[110:111]
	buffer_load_dword v110, off, s[0:3], 0 offset:244
	s_waitcnt vmcnt(18)
	v_fma_f64 v[99:100], v[117:118], v[101:102], v[99:100]
	buffer_load_dword v112, off, s[0:3], 0 offset:252
	buffer_load_dword v113, off, s[0:3], 0 offset:272
	;; [unrolled: 1-line block ×7, first 2 shown]
	s_waitcnt vmcnt(23) lgkmcnt(0)
	v_fma_f64 v[99:100], v[119:120], v[103:104], v[99:100]
	s_waitcnt vmcnt(18)
	v_fma_f64 v[119:120], v[121:122], v[105:106], v[99:100]
	ds_read_b128 v[99:102], v98 offset:576
	ds_read_b128 v[103:106], v98 offset:592
	buffer_load_dword v114, off, s[0:3], 0 offset:276
	s_waitcnt vmcnt(18) lgkmcnt(1)
	v_fma_f64 v[99:100], v[127:128], v[99:100], v[119:120]
	s_waitcnt vmcnt(17)
	v_fma_f64 v[99:100], v[125:126], v[101:102], v[99:100]
	buffer_load_dword v120, off, s[0:3], 0 offset:284
	buffer_load_dword v121, off, s[0:3], 0 offset:304
	buffer_load_dword v125, off, s[0:3], 0 offset:296
	buffer_load_dword v127, off, s[0:3], 0 offset:288
	buffer_load_dword v119, off, s[0:3], 0 offset:280
	buffer_load_dword v128, off, s[0:3], 0 offset:292
	buffer_load_dword v126, off, s[0:3], 0 offset:300
	buffer_load_dword v122, off, s[0:3], 0 offset:308
	s_waitcnt vmcnt(24) lgkmcnt(0)
	v_fma_f64 v[99:100], v[123:124], v[103:104], v[99:100]
	s_waitcnt vmcnt(19)
	v_fma_f64 v[107:108], v[107:108], v[105:106], v[99:100]
	ds_read_b128 v[99:102], v98 offset:608
	ds_read_b128 v[103:106], v98 offset:624
	s_waitcnt vmcnt(18) lgkmcnt(1)
	v_fma_f64 v[99:100], v[131:132], v[99:100], v[107:108]
	s_waitcnt vmcnt(17)
	v_fma_f64 v[99:100], v[129:130], v[101:102], v[99:100]
	buffer_load_dword v108, off, s[0:3], 0 offset:316
	buffer_load_dword v123, off, s[0:3], 0 offset:336
	buffer_load_dword v129, off, s[0:3], 0 offset:328
	buffer_load_dword v131, off, s[0:3], 0 offset:320
	buffer_load_dword v107, off, s[0:3], 0 offset:312
	buffer_load_dword v132, off, s[0:3], 0 offset:324
	buffer_load_dword v130, off, s[0:3], 0 offset:332
	buffer_load_dword v124, off, s[0:3], 0 offset:340
	s_waitcnt vmcnt(24) lgkmcnt(0)
	v_fma_f64 v[99:100], v[109:110], v[103:104], v[99:100]
	s_waitcnt vmcnt(19)
	v_fma_f64 v[109:110], v[111:112], v[105:106], v[99:100]
	ds_read_b128 v[99:102], v98 offset:640
	ds_read_b128 v[103:106], v98 offset:656
	;; [unrolled: 18-line block ×3, first 2 shown]
	s_waitcnt vmcnt(18) lgkmcnt(1)
	v_fma_f64 v[99:100], v[127:128], v[99:100], v[113:114]
	buffer_load_dword v114, off, s[0:3], 0 offset:380
	buffer_load_dword v113, off, s[0:3], 0 offset:376
	;; [unrolled: 1-line block ×4, first 2 shown]
	s_waitcnt vmcnt(21)
	v_fma_f64 v[99:100], v[125:126], v[101:102], v[99:100]
	s_waitcnt vmcnt(20) lgkmcnt(0)
	v_fma_f64 v[99:100], v[121:122], v[103:104], v[99:100]
	s_waitcnt vmcnt(15)
	v_fma_f64 v[107:108], v[107:108], v[105:106], v[99:100]
	ds_read_b128 v[99:102], v98 offset:704
	ds_read_b128 v[103:106], v98 offset:720
	s_waitcnt vmcnt(14) lgkmcnt(1)
	v_fma_f64 v[99:100], v[131:132], v[99:100], v[107:108]
	s_waitcnt vmcnt(13)
	v_fma_f64 v[99:100], v[129:130], v[101:102], v[99:100]
	s_waitcnt vmcnt(12) lgkmcnt(0)
	v_fma_f64 v[99:100], v[123:124], v[103:104], v[99:100]
	s_waitcnt vmcnt(7)
	v_fma_f64 v[107:108], v[109:110], v[105:106], v[99:100]
	ds_read_b128 v[99:102], v98 offset:736
	ds_read_b128 v[103:106], v98 offset:752
	s_waitcnt vmcnt(6) lgkmcnt(1)
	v_fma_f64 v[98:99], v[117:118], v[99:100], v[107:108]
	s_waitcnt vmcnt(5)
	v_fma_f64 v[98:99], v[115:116], v[101:102], v[98:99]
	s_waitcnt vmcnt(4) lgkmcnt(0)
	v_fma_f64 v[98:99], v[111:112], v[103:104], v[98:99]
	s_waitcnt vmcnt(2)
	v_fma_f64 v[98:99], v[113:114], v[105:106], v[98:99]
	s_waitcnt vmcnt(0)
	v_add_f64 v[98:99], v[119:120], -v[98:99]
	buffer_store_dword v99, off, s[0:3], 0 offset:124
	buffer_store_dword v98, off, s[0:3], 0 offset:120
	s_and_saveexec_b64 s[4:5], vcc
	s_cbranch_execz .LBB111_267
; %bb.266:
	buffer_load_dword v98, off, s[0:3], 0 offset:112
	buffer_load_dword v99, off, s[0:3], 0 offset:116
	v_mov_b32_e32 v100, 0
	buffer_store_dword v100, off, s[0:3], 0 offset:112
	buffer_store_dword v100, off, s[0:3], 0 offset:116
	s_waitcnt vmcnt(2)
	ds_write_b64 v97, v[98:99]
.LBB111_267:
	s_or_b64 exec, exec, s[4:5]
	s_waitcnt lgkmcnt(0)
	; wave barrier
	buffer_load_dword v107, off, s[0:3], 0 offset:120
	buffer_load_dword v108, off, s[0:3], 0 offset:124
	;; [unrolled: 1-line block ×21, first 2 shown]
	v_mov_b32_e32 v98, 0
	ds_read2_b64 v[99:102], v98 offset0:63 offset1:64
	ds_read2_b64 v[103:106], v98 offset0:65 offset1:66
	buffer_load_dword v124, off, s[0:3], 0 offset:204
	v_cmp_lt_u32_e32 vcc, 13, v0
	s_waitcnt vmcnt(20) lgkmcnt(1)
	v_fma_f64 v[99:100], v[107:108], v[99:100], 0
	s_waitcnt vmcnt(18)
	v_fma_f64 v[99:100], v[109:110], v[101:102], v[99:100]
	buffer_load_dword v108, off, s[0:3], 0 offset:212
	buffer_load_dword v109, off, s[0:3], 0 offset:232
	;; [unrolled: 1-line block ×7, first 2 shown]
	s_waitcnt vmcnt(23) lgkmcnt(0)
	v_fma_f64 v[99:100], v[111:112], v[103:104], v[99:100]
	s_waitcnt vmcnt(21)
	v_fma_f64 v[110:111], v[113:114], v[105:106], v[99:100]
	ds_read2_b64 v[99:102], v98 offset0:67 offset1:68
	ds_read2_b64 v[103:106], v98 offset0:69 offset1:70
	s_waitcnt vmcnt(19) lgkmcnt(1)
	v_fma_f64 v[99:100], v[115:116], v[99:100], v[110:111]
	buffer_load_dword v110, off, s[0:3], 0 offset:236
	s_waitcnt vmcnt(18)
	v_fma_f64 v[99:100], v[117:118], v[101:102], v[99:100]
	buffer_load_dword v112, off, s[0:3], 0 offset:244
	buffer_load_dword v113, off, s[0:3], 0 offset:264
	;; [unrolled: 1-line block ×7, first 2 shown]
	s_waitcnt vmcnt(23) lgkmcnt(0)
	v_fma_f64 v[99:100], v[119:120], v[103:104], v[99:100]
	s_waitcnt vmcnt(18)
	v_fma_f64 v[119:120], v[121:122], v[105:106], v[99:100]
	ds_read2_b64 v[99:102], v98 offset0:71 offset1:72
	ds_read2_b64 v[103:106], v98 offset0:73 offset1:74
	buffer_load_dword v114, off, s[0:3], 0 offset:268
	s_waitcnt vmcnt(18) lgkmcnt(1)
	v_fma_f64 v[99:100], v[127:128], v[99:100], v[119:120]
	s_waitcnt vmcnt(17)
	v_fma_f64 v[99:100], v[125:126], v[101:102], v[99:100]
	buffer_load_dword v120, off, s[0:3], 0 offset:276
	buffer_load_dword v121, off, s[0:3], 0 offset:296
	;; [unrolled: 1-line block ×7, first 2 shown]
	s_waitcnt vmcnt(23) lgkmcnt(0)
	v_fma_f64 v[99:100], v[123:124], v[103:104], v[99:100]
	s_waitcnt vmcnt(18)
	v_fma_f64 v[107:108], v[107:108], v[105:106], v[99:100]
	ds_read2_b64 v[99:102], v98 offset0:75 offset1:76
	ds_read2_b64 v[103:106], v98 offset0:77 offset1:78
	buffer_load_dword v122, off, s[0:3], 0 offset:300
	s_waitcnt vmcnt(18) lgkmcnt(1)
	v_fma_f64 v[99:100], v[131:132], v[99:100], v[107:108]
	s_waitcnt vmcnt(17)
	v_fma_f64 v[99:100], v[129:130], v[101:102], v[99:100]
	buffer_load_dword v108, off, s[0:3], 0 offset:308
	buffer_load_dword v123, off, s[0:3], 0 offset:328
	;; [unrolled: 1-line block ×8, first 2 shown]
	s_waitcnt vmcnt(24) lgkmcnt(0)
	v_fma_f64 v[99:100], v[109:110], v[103:104], v[99:100]
	s_waitcnt vmcnt(19)
	v_fma_f64 v[109:110], v[111:112], v[105:106], v[99:100]
	ds_read2_b64 v[99:102], v98 offset0:79 offset1:80
	ds_read2_b64 v[103:106], v98 offset0:81 offset1:82
	s_waitcnt vmcnt(18) lgkmcnt(1)
	v_fma_f64 v[99:100], v[117:118], v[99:100], v[109:110]
	s_waitcnt vmcnt(17)
	v_fma_f64 v[99:100], v[115:116], v[101:102], v[99:100]
	buffer_load_dword v110, off, s[0:3], 0 offset:340
	buffer_load_dword v111, off, s[0:3], 0 offset:360
	;; [unrolled: 1-line block ×7, first 2 shown]
	s_waitcnt vmcnt(23) lgkmcnt(0)
	v_fma_f64 v[99:100], v[113:114], v[103:104], v[99:100]
	s_waitcnt vmcnt(18)
	v_fma_f64 v[112:113], v[119:120], v[105:106], v[99:100]
	ds_read2_b64 v[99:102], v98 offset0:83 offset1:84
	ds_read2_b64 v[103:106], v98 offset0:85 offset1:86
	s_waitcnt vmcnt(17) lgkmcnt(1)
	v_fma_f64 v[99:100], v[127:128], v[99:100], v[112:113]
	buffer_load_dword v112, off, s[0:3], 0 offset:364
	buffer_load_dword v114, off, s[0:3], 0 offset:372
	;; [unrolled: 1-line block ×5, first 2 shown]
	s_waitcnt vmcnt(21)
	v_fma_f64 v[99:100], v[125:126], v[101:102], v[99:100]
	s_waitcnt vmcnt(20) lgkmcnt(0)
	v_fma_f64 v[99:100], v[121:122], v[103:104], v[99:100]
	buffer_load_dword v121, off, s[0:3], 0 offset:112
	buffer_load_dword v122, off, s[0:3], 0 offset:116
	s_waitcnt vmcnt(17)
	v_fma_f64 v[107:108], v[107:108], v[105:106], v[99:100]
	ds_read2_b64 v[99:102], v98 offset0:87 offset1:88
	ds_read2_b64 v[103:106], v98 offset0:89 offset1:90
	s_waitcnt vmcnt(16) lgkmcnt(1)
	v_fma_f64 v[99:100], v[131:132], v[99:100], v[107:108]
	s_waitcnt vmcnt(15)
	v_fma_f64 v[99:100], v[129:130], v[101:102], v[99:100]
	s_waitcnt vmcnt(14) lgkmcnt(0)
	v_fma_f64 v[99:100], v[123:124], v[103:104], v[99:100]
	s_waitcnt vmcnt(9)
	v_fma_f64 v[107:108], v[109:110], v[105:106], v[99:100]
	ds_read2_b64 v[99:102], v98 offset0:91 offset1:92
	ds_read2_b64 v[103:106], v98 offset0:93 offset1:94
	s_waitcnt vmcnt(8) lgkmcnt(1)
	v_fma_f64 v[99:100], v[117:118], v[99:100], v[107:108]
	s_waitcnt vmcnt(7)
	v_fma_f64 v[99:100], v[115:116], v[101:102], v[99:100]
	ds_read_b64 v[101:102], v98 offset:760
	s_waitcnt vmcnt(6) lgkmcnt(1)
	v_fma_f64 v[99:100], v[111:112], v[103:104], v[99:100]
	s_waitcnt vmcnt(3)
	v_fma_f64 v[99:100], v[113:114], v[105:106], v[99:100]
	s_waitcnt vmcnt(2) lgkmcnt(0)
	v_fma_f64 v[99:100], v[119:120], v[101:102], v[99:100]
	s_waitcnt vmcnt(0)
	v_add_f64 v[99:100], v[121:122], -v[99:100]
	buffer_store_dword v100, off, s[0:3], 0 offset:116
	buffer_store_dword v99, off, s[0:3], 0 offset:112
	s_and_saveexec_b64 s[4:5], vcc
	s_cbranch_execz .LBB111_269
; %bb.268:
	buffer_load_dword v99, off, s[0:3], 0 offset:104
	buffer_load_dword v100, off, s[0:3], 0 offset:108
	s_waitcnt vmcnt(0)
	ds_write_b64 v97, v[99:100]
	buffer_store_dword v98, off, s[0:3], 0 offset:104
	buffer_store_dword v98, off, s[0:3], 0 offset:108
.LBB111_269:
	s_or_b64 exec, exec, s[4:5]
	s_waitcnt lgkmcnt(0)
	; wave barrier
	buffer_load_dword v107, off, s[0:3], 0 offset:112
	buffer_load_dword v108, off, s[0:3], 0 offset:116
	;; [unrolled: 1-line block ×21, first 2 shown]
	ds_read_b128 v[99:102], v98 offset:496
	ds_read_b128 v[103:106], v98 offset:512
	buffer_load_dword v124, off, s[0:3], 0 offset:196
	v_cmp_lt_u32_e32 vcc, 12, v0
	s_waitcnt vmcnt(20) lgkmcnt(1)
	v_fma_f64 v[99:100], v[107:108], v[99:100], 0
	s_waitcnt vmcnt(18)
	v_fma_f64 v[99:100], v[109:110], v[101:102], v[99:100]
	buffer_load_dword v108, off, s[0:3], 0 offset:204
	buffer_load_dword v109, off, s[0:3], 0 offset:224
	;; [unrolled: 1-line block ×7, first 2 shown]
	s_waitcnt vmcnt(23) lgkmcnt(0)
	v_fma_f64 v[99:100], v[111:112], v[103:104], v[99:100]
	s_waitcnt vmcnt(21)
	v_fma_f64 v[110:111], v[113:114], v[105:106], v[99:100]
	ds_read_b128 v[99:102], v98 offset:528
	ds_read_b128 v[103:106], v98 offset:544
	s_waitcnt vmcnt(19) lgkmcnt(1)
	v_fma_f64 v[99:100], v[115:116], v[99:100], v[110:111]
	buffer_load_dword v110, off, s[0:3], 0 offset:228
	s_waitcnt vmcnt(18)
	v_fma_f64 v[99:100], v[117:118], v[101:102], v[99:100]
	buffer_load_dword v112, off, s[0:3], 0 offset:236
	buffer_load_dword v113, off, s[0:3], 0 offset:256
	;; [unrolled: 1-line block ×8, first 2 shown]
	s_waitcnt vmcnt(24) lgkmcnt(0)
	v_fma_f64 v[99:100], v[119:120], v[103:104], v[99:100]
	s_waitcnt vmcnt(19)
	v_fma_f64 v[119:120], v[121:122], v[105:106], v[99:100]
	ds_read_b128 v[99:102], v98 offset:560
	ds_read_b128 v[103:106], v98 offset:576
	s_waitcnt vmcnt(18) lgkmcnt(1)
	v_fma_f64 v[99:100], v[127:128], v[99:100], v[119:120]
	s_waitcnt vmcnt(17)
	v_fma_f64 v[99:100], v[125:126], v[101:102], v[99:100]
	buffer_load_dword v120, off, s[0:3], 0 offset:268
	buffer_load_dword v121, off, s[0:3], 0 offset:288
	;; [unrolled: 1-line block ×7, first 2 shown]
	s_waitcnt vmcnt(23) lgkmcnt(0)
	v_fma_f64 v[99:100], v[123:124], v[103:104], v[99:100]
	s_waitcnt vmcnt(18)
	v_fma_f64 v[107:108], v[107:108], v[105:106], v[99:100]
	ds_read_b128 v[99:102], v98 offset:592
	ds_read_b128 v[103:106], v98 offset:608
	buffer_load_dword v122, off, s[0:3], 0 offset:292
	s_waitcnt vmcnt(18) lgkmcnt(1)
	v_fma_f64 v[99:100], v[131:132], v[99:100], v[107:108]
	s_waitcnt vmcnt(17)
	v_fma_f64 v[99:100], v[129:130], v[101:102], v[99:100]
	buffer_load_dword v108, off, s[0:3], 0 offset:300
	buffer_load_dword v123, off, s[0:3], 0 offset:320
	;; [unrolled: 1-line block ×8, first 2 shown]
	s_waitcnt vmcnt(24) lgkmcnt(0)
	v_fma_f64 v[99:100], v[109:110], v[103:104], v[99:100]
	s_waitcnt vmcnt(19)
	v_fma_f64 v[109:110], v[111:112], v[105:106], v[99:100]
	ds_read_b128 v[99:102], v98 offset:624
	ds_read_b128 v[103:106], v98 offset:640
	s_waitcnt vmcnt(18) lgkmcnt(1)
	v_fma_f64 v[99:100], v[117:118], v[99:100], v[109:110]
	s_waitcnt vmcnt(17)
	v_fma_f64 v[99:100], v[115:116], v[101:102], v[99:100]
	buffer_load_dword v110, off, s[0:3], 0 offset:332
	buffer_load_dword v111, off, s[0:3], 0 offset:352
	;; [unrolled: 1-line block ×7, first 2 shown]
	s_waitcnt vmcnt(23) lgkmcnt(0)
	v_fma_f64 v[99:100], v[113:114], v[103:104], v[99:100]
	s_waitcnt vmcnt(18)
	v_fma_f64 v[112:113], v[119:120], v[105:106], v[99:100]
	ds_read_b128 v[99:102], v98 offset:656
	ds_read_b128 v[103:106], v98 offset:672
	s_waitcnt vmcnt(17) lgkmcnt(1)
	v_fma_f64 v[99:100], v[127:128], v[99:100], v[112:113]
	buffer_load_dword v112, off, s[0:3], 0 offset:356
	s_waitcnt vmcnt(17)
	v_fma_f64 v[99:100], v[125:126], v[101:102], v[99:100]
	buffer_load_dword v114, off, s[0:3], 0 offset:364
	buffer_load_dword v119, off, s[0:3], 0 offset:376
	;; [unrolled: 1-line block ×6, first 2 shown]
	s_waitcnt vmcnt(22) lgkmcnt(0)
	v_fma_f64 v[99:100], v[121:122], v[103:104], v[99:100]
	s_waitcnt vmcnt(17)
	v_fma_f64 v[107:108], v[107:108], v[105:106], v[99:100]
	ds_read_b128 v[99:102], v98 offset:688
	buffer_load_dword v121, off, s[0:3], 0 offset:104
	buffer_load_dword v122, off, s[0:3], 0 offset:108
	ds_read_b128 v[103:106], v98 offset:704
	s_waitcnt vmcnt(18) lgkmcnt(1)
	v_fma_f64 v[99:100], v[131:132], v[99:100], v[107:108]
	s_waitcnt vmcnt(17)
	v_fma_f64 v[99:100], v[129:130], v[101:102], v[99:100]
	s_waitcnt vmcnt(16) lgkmcnt(0)
	v_fma_f64 v[99:100], v[123:124], v[103:104], v[99:100]
	s_waitcnt vmcnt(11)
	v_fma_f64 v[107:108], v[109:110], v[105:106], v[99:100]
	ds_read_b128 v[99:102], v98 offset:720
	ds_read_b128 v[103:106], v98 offset:736
	s_waitcnt vmcnt(10) lgkmcnt(1)
	v_fma_f64 v[99:100], v[117:118], v[99:100], v[107:108]
	s_waitcnt vmcnt(9)
	v_fma_f64 v[99:100], v[115:116], v[101:102], v[99:100]
	s_waitcnt vmcnt(8) lgkmcnt(0)
	v_fma_f64 v[99:100], v[111:112], v[103:104], v[99:100]
	s_waitcnt vmcnt(4)
	v_fma_f64 v[102:103], v[113:114], v[105:106], v[99:100]
	ds_read_b128 v[98:101], v98 offset:752
	s_waitcnt vmcnt(3) lgkmcnt(0)
	v_fma_f64 v[98:99], v[125:126], v[98:99], v[102:103]
	s_waitcnt vmcnt(2)
	v_fma_f64 v[98:99], v[119:120], v[100:101], v[98:99]
	s_waitcnt vmcnt(0)
	v_add_f64 v[98:99], v[121:122], -v[98:99]
	buffer_store_dword v99, off, s[0:3], 0 offset:108
	buffer_store_dword v98, off, s[0:3], 0 offset:104
	s_and_saveexec_b64 s[4:5], vcc
	s_cbranch_execz .LBB111_271
; %bb.270:
	buffer_load_dword v98, off, s[0:3], 0 offset:96
	buffer_load_dword v99, off, s[0:3], 0 offset:100
	v_mov_b32_e32 v100, 0
	buffer_store_dword v100, off, s[0:3], 0 offset:96
	buffer_store_dword v100, off, s[0:3], 0 offset:100
	s_waitcnt vmcnt(2)
	ds_write_b64 v97, v[98:99]
.LBB111_271:
	s_or_b64 exec, exec, s[4:5]
	s_waitcnt lgkmcnt(0)
	; wave barrier
	buffer_load_dword v107, off, s[0:3], 0 offset:104
	buffer_load_dword v108, off, s[0:3], 0 offset:108
	;; [unrolled: 1-line block ×21, first 2 shown]
	v_mov_b32_e32 v98, 0
	ds_read2_b64 v[99:102], v98 offset0:61 offset1:62
	ds_read2_b64 v[103:106], v98 offset0:63 offset1:64
	buffer_load_dword v124, off, s[0:3], 0 offset:188
	v_cmp_lt_u32_e32 vcc, 11, v0
	s_waitcnt vmcnt(20) lgkmcnt(1)
	v_fma_f64 v[99:100], v[107:108], v[99:100], 0
	s_waitcnt vmcnt(18)
	v_fma_f64 v[99:100], v[109:110], v[101:102], v[99:100]
	buffer_load_dword v108, off, s[0:3], 0 offset:196
	buffer_load_dword v109, off, s[0:3], 0 offset:216
	;; [unrolled: 1-line block ×7, first 2 shown]
	s_waitcnt vmcnt(23) lgkmcnt(0)
	v_fma_f64 v[99:100], v[111:112], v[103:104], v[99:100]
	s_waitcnt vmcnt(21)
	v_fma_f64 v[110:111], v[113:114], v[105:106], v[99:100]
	ds_read2_b64 v[99:102], v98 offset0:65 offset1:66
	ds_read2_b64 v[103:106], v98 offset0:67 offset1:68
	s_waitcnt vmcnt(19) lgkmcnt(1)
	v_fma_f64 v[99:100], v[115:116], v[99:100], v[110:111]
	buffer_load_dword v110, off, s[0:3], 0 offset:220
	s_waitcnt vmcnt(18)
	v_fma_f64 v[99:100], v[117:118], v[101:102], v[99:100]
	buffer_load_dword v112, off, s[0:3], 0 offset:228
	buffer_load_dword v113, off, s[0:3], 0 offset:248
	;; [unrolled: 1-line block ×8, first 2 shown]
	s_waitcnt vmcnt(24) lgkmcnt(0)
	v_fma_f64 v[99:100], v[119:120], v[103:104], v[99:100]
	s_waitcnt vmcnt(19)
	v_fma_f64 v[119:120], v[121:122], v[105:106], v[99:100]
	ds_read2_b64 v[99:102], v98 offset0:69 offset1:70
	ds_read2_b64 v[103:106], v98 offset0:71 offset1:72
	s_waitcnt vmcnt(18) lgkmcnt(1)
	v_fma_f64 v[99:100], v[127:128], v[99:100], v[119:120]
	s_waitcnt vmcnt(17)
	v_fma_f64 v[99:100], v[125:126], v[101:102], v[99:100]
	buffer_load_dword v120, off, s[0:3], 0 offset:260
	buffer_load_dword v121, off, s[0:3], 0 offset:280
	;; [unrolled: 1-line block ×7, first 2 shown]
	s_waitcnt vmcnt(23) lgkmcnt(0)
	v_fma_f64 v[99:100], v[123:124], v[103:104], v[99:100]
	s_waitcnt vmcnt(18)
	v_fma_f64 v[107:108], v[107:108], v[105:106], v[99:100]
	ds_read2_b64 v[99:102], v98 offset0:73 offset1:74
	ds_read2_b64 v[103:106], v98 offset0:75 offset1:76
	buffer_load_dword v122, off, s[0:3], 0 offset:284
	s_waitcnt vmcnt(18) lgkmcnt(1)
	v_fma_f64 v[99:100], v[131:132], v[99:100], v[107:108]
	s_waitcnt vmcnt(17)
	v_fma_f64 v[99:100], v[129:130], v[101:102], v[99:100]
	buffer_load_dword v108, off, s[0:3], 0 offset:292
	buffer_load_dword v123, off, s[0:3], 0 offset:312
	;; [unrolled: 1-line block ×8, first 2 shown]
	s_waitcnt vmcnt(24) lgkmcnt(0)
	v_fma_f64 v[99:100], v[109:110], v[103:104], v[99:100]
	s_waitcnt vmcnt(19)
	v_fma_f64 v[109:110], v[111:112], v[105:106], v[99:100]
	ds_read2_b64 v[99:102], v98 offset0:77 offset1:78
	ds_read2_b64 v[103:106], v98 offset0:79 offset1:80
	s_waitcnt vmcnt(18) lgkmcnt(1)
	v_fma_f64 v[99:100], v[117:118], v[99:100], v[109:110]
	s_waitcnt vmcnt(17)
	v_fma_f64 v[99:100], v[115:116], v[101:102], v[99:100]
	buffer_load_dword v110, off, s[0:3], 0 offset:324
	buffer_load_dword v111, off, s[0:3], 0 offset:344
	buffer_load_dword v115, off, s[0:3], 0 offset:336
	buffer_load_dword v117, off, s[0:3], 0 offset:328
	buffer_load_dword v109, off, s[0:3], 0 offset:320
	buffer_load_dword v118, off, s[0:3], 0 offset:332
	buffer_load_dword v116, off, s[0:3], 0 offset:340
	s_waitcnt vmcnt(23) lgkmcnt(0)
	v_fma_f64 v[99:100], v[113:114], v[103:104], v[99:100]
	s_waitcnt vmcnt(18)
	v_fma_f64 v[112:113], v[119:120], v[105:106], v[99:100]
	ds_read2_b64 v[99:102], v98 offset0:81 offset1:82
	ds_read2_b64 v[103:106], v98 offset0:83 offset1:84
	s_waitcnt vmcnt(17) lgkmcnt(1)
	v_fma_f64 v[99:100], v[127:128], v[99:100], v[112:113]
	buffer_load_dword v112, off, s[0:3], 0 offset:348
	s_waitcnt vmcnt(17)
	v_fma_f64 v[99:100], v[125:126], v[101:102], v[99:100]
	buffer_load_dword v114, off, s[0:3], 0 offset:356
	buffer_load_dword v119, off, s[0:3], 0 offset:376
	;; [unrolled: 1-line block ×8, first 2 shown]
	s_waitcnt vmcnt(24) lgkmcnt(0)
	v_fma_f64 v[99:100], v[121:122], v[103:104], v[99:100]
	s_waitcnt vmcnt(19)
	v_fma_f64 v[107:108], v[107:108], v[105:106], v[99:100]
	ds_read2_b64 v[99:102], v98 offset0:85 offset1:86
	ds_read2_b64 v[103:106], v98 offset0:87 offset1:88
	s_waitcnt vmcnt(18) lgkmcnt(1)
	v_fma_f64 v[99:100], v[131:132], v[99:100], v[107:108]
	buffer_load_dword v107, off, s[0:3], 0 offset:96
	buffer_load_dword v108, off, s[0:3], 0 offset:100
	s_waitcnt vmcnt(19)
	v_fma_f64 v[99:100], v[129:130], v[101:102], v[99:100]
	s_waitcnt vmcnt(18) lgkmcnt(0)
	v_fma_f64 v[99:100], v[123:124], v[103:104], v[99:100]
	s_waitcnt vmcnt(13)
	v_fma_f64 v[109:110], v[109:110], v[105:106], v[99:100]
	ds_read2_b64 v[99:102], v98 offset0:89 offset1:90
	ds_read2_b64 v[103:106], v98 offset0:91 offset1:92
	s_waitcnt vmcnt(12) lgkmcnt(1)
	v_fma_f64 v[99:100], v[117:118], v[99:100], v[109:110]
	s_waitcnt vmcnt(11)
	v_fma_f64 v[99:100], v[115:116], v[101:102], v[99:100]
	s_waitcnt vmcnt(10) lgkmcnt(0)
	v_fma_f64 v[99:100], v[111:112], v[103:104], v[99:100]
	s_waitcnt vmcnt(5)
	v_fma_f64 v[103:104], v[113:114], v[105:106], v[99:100]
	ds_read2_b64 v[99:102], v98 offset0:93 offset1:94
	ds_read_b64 v[105:106], v98 offset:760
	s_waitcnt vmcnt(4) lgkmcnt(1)
	v_fma_f64 v[99:100], v[127:128], v[99:100], v[103:104]
	s_waitcnt vmcnt(3)
	v_fma_f64 v[99:100], v[125:126], v[101:102], v[99:100]
	s_waitcnt vmcnt(2) lgkmcnt(0)
	v_fma_f64 v[99:100], v[119:120], v[105:106], v[99:100]
	s_waitcnt vmcnt(0)
	v_add_f64 v[99:100], v[107:108], -v[99:100]
	buffer_store_dword v100, off, s[0:3], 0 offset:100
	buffer_store_dword v99, off, s[0:3], 0 offset:96
	s_and_saveexec_b64 s[4:5], vcc
	s_cbranch_execz .LBB111_273
; %bb.272:
	buffer_load_dword v99, off, s[0:3], 0 offset:88
	buffer_load_dword v100, off, s[0:3], 0 offset:92
	s_waitcnt vmcnt(0)
	ds_write_b64 v97, v[99:100]
	buffer_store_dword v98, off, s[0:3], 0 offset:88
	buffer_store_dword v98, off, s[0:3], 0 offset:92
.LBB111_273:
	s_or_b64 exec, exec, s[4:5]
	s_waitcnt lgkmcnt(0)
	; wave barrier
	buffer_load_dword v107, off, s[0:3], 0 offset:96
	buffer_load_dword v108, off, s[0:3], 0 offset:100
	;; [unrolled: 1-line block ×21, first 2 shown]
	ds_read_b128 v[99:102], v98 offset:480
	ds_read_b128 v[103:106], v98 offset:496
	buffer_load_dword v124, off, s[0:3], 0 offset:180
	v_cmp_lt_u32_e32 vcc, 10, v0
	s_waitcnt vmcnt(20) lgkmcnt(1)
	v_fma_f64 v[99:100], v[107:108], v[99:100], 0
	s_waitcnt vmcnt(18)
	v_fma_f64 v[99:100], v[109:110], v[101:102], v[99:100]
	buffer_load_dword v108, off, s[0:3], 0 offset:188
	buffer_load_dword v109, off, s[0:3], 0 offset:208
	;; [unrolled: 1-line block ×7, first 2 shown]
	s_waitcnt vmcnt(23) lgkmcnt(0)
	v_fma_f64 v[99:100], v[111:112], v[103:104], v[99:100]
	s_waitcnt vmcnt(21)
	v_fma_f64 v[110:111], v[113:114], v[105:106], v[99:100]
	ds_read_b128 v[99:102], v98 offset:512
	ds_read_b128 v[103:106], v98 offset:528
	s_waitcnt vmcnt(19) lgkmcnt(1)
	v_fma_f64 v[99:100], v[115:116], v[99:100], v[110:111]
	buffer_load_dword v110, off, s[0:3], 0 offset:212
	s_waitcnt vmcnt(18)
	v_fma_f64 v[99:100], v[117:118], v[101:102], v[99:100]
	buffer_load_dword v112, off, s[0:3], 0 offset:220
	buffer_load_dword v113, off, s[0:3], 0 offset:240
	;; [unrolled: 1-line block ×8, first 2 shown]
	s_waitcnt vmcnt(24) lgkmcnt(0)
	v_fma_f64 v[99:100], v[119:120], v[103:104], v[99:100]
	s_waitcnt vmcnt(19)
	v_fma_f64 v[119:120], v[121:122], v[105:106], v[99:100]
	ds_read_b128 v[99:102], v98 offset:544
	ds_read_b128 v[103:106], v98 offset:560
	s_waitcnt vmcnt(18) lgkmcnt(1)
	v_fma_f64 v[99:100], v[127:128], v[99:100], v[119:120]
	s_waitcnt vmcnt(17)
	v_fma_f64 v[99:100], v[125:126], v[101:102], v[99:100]
	buffer_load_dword v120, off, s[0:3], 0 offset:252
	buffer_load_dword v121, off, s[0:3], 0 offset:272
	;; [unrolled: 1-line block ×7, first 2 shown]
	s_waitcnt vmcnt(23) lgkmcnt(0)
	v_fma_f64 v[99:100], v[123:124], v[103:104], v[99:100]
	s_waitcnt vmcnt(18)
	v_fma_f64 v[107:108], v[107:108], v[105:106], v[99:100]
	ds_read_b128 v[99:102], v98 offset:576
	ds_read_b128 v[103:106], v98 offset:592
	buffer_load_dword v122, off, s[0:3], 0 offset:276
	s_waitcnt vmcnt(18) lgkmcnt(1)
	v_fma_f64 v[99:100], v[131:132], v[99:100], v[107:108]
	s_waitcnt vmcnt(17)
	v_fma_f64 v[99:100], v[129:130], v[101:102], v[99:100]
	buffer_load_dword v108, off, s[0:3], 0 offset:284
	buffer_load_dword v123, off, s[0:3], 0 offset:304
	;; [unrolled: 1-line block ×8, first 2 shown]
	s_waitcnt vmcnt(24) lgkmcnt(0)
	v_fma_f64 v[99:100], v[109:110], v[103:104], v[99:100]
	s_waitcnt vmcnt(19)
	v_fma_f64 v[109:110], v[111:112], v[105:106], v[99:100]
	ds_read_b128 v[99:102], v98 offset:608
	ds_read_b128 v[103:106], v98 offset:624
	s_waitcnt vmcnt(18) lgkmcnt(1)
	v_fma_f64 v[99:100], v[117:118], v[99:100], v[109:110]
	s_waitcnt vmcnt(17)
	v_fma_f64 v[99:100], v[115:116], v[101:102], v[99:100]
	buffer_load_dword v110, off, s[0:3], 0 offset:316
	buffer_load_dword v111, off, s[0:3], 0 offset:336
	;; [unrolled: 1-line block ×7, first 2 shown]
	s_waitcnt vmcnt(23) lgkmcnt(0)
	v_fma_f64 v[99:100], v[113:114], v[103:104], v[99:100]
	s_waitcnt vmcnt(18)
	v_fma_f64 v[112:113], v[119:120], v[105:106], v[99:100]
	ds_read_b128 v[99:102], v98 offset:640
	ds_read_b128 v[103:106], v98 offset:656
	s_waitcnt vmcnt(17) lgkmcnt(1)
	v_fma_f64 v[99:100], v[127:128], v[99:100], v[112:113]
	buffer_load_dword v112, off, s[0:3], 0 offset:340
	s_waitcnt vmcnt(17)
	v_fma_f64 v[99:100], v[125:126], v[101:102], v[99:100]
	buffer_load_dword v114, off, s[0:3], 0 offset:348
	buffer_load_dword v119, off, s[0:3], 0 offset:368
	;; [unrolled: 1-line block ×8, first 2 shown]
	s_waitcnt vmcnt(24) lgkmcnt(0)
	v_fma_f64 v[99:100], v[121:122], v[103:104], v[99:100]
	s_waitcnt vmcnt(19)
	v_fma_f64 v[107:108], v[107:108], v[105:106], v[99:100]
	ds_read_b128 v[99:102], v98 offset:672
	ds_read_b128 v[103:106], v98 offset:688
	s_waitcnt vmcnt(18) lgkmcnt(1)
	v_fma_f64 v[99:100], v[131:132], v[99:100], v[107:108]
	buffer_load_dword v108, off, s[0:3], 0 offset:380
	buffer_load_dword v107, off, s[0:3], 0 offset:376
	;; [unrolled: 1-line block ×4, first 2 shown]
	s_waitcnt vmcnt(21)
	v_fma_f64 v[99:100], v[129:130], v[101:102], v[99:100]
	s_waitcnt vmcnt(20) lgkmcnt(0)
	v_fma_f64 v[99:100], v[123:124], v[103:104], v[99:100]
	s_waitcnt vmcnt(15)
	v_fma_f64 v[109:110], v[109:110], v[105:106], v[99:100]
	ds_read_b128 v[99:102], v98 offset:704
	ds_read_b128 v[103:106], v98 offset:720
	s_waitcnt vmcnt(14) lgkmcnt(1)
	v_fma_f64 v[99:100], v[117:118], v[99:100], v[109:110]
	s_waitcnt vmcnt(13)
	v_fma_f64 v[99:100], v[115:116], v[101:102], v[99:100]
	s_waitcnt vmcnt(12) lgkmcnt(0)
	v_fma_f64 v[99:100], v[111:112], v[103:104], v[99:100]
	s_waitcnt vmcnt(7)
	v_fma_f64 v[109:110], v[113:114], v[105:106], v[99:100]
	ds_read_b128 v[99:102], v98 offset:736
	ds_read_b128 v[103:106], v98 offset:752
	s_waitcnt vmcnt(6) lgkmcnt(1)
	v_fma_f64 v[98:99], v[127:128], v[99:100], v[109:110]
	s_waitcnt vmcnt(5)
	v_fma_f64 v[98:99], v[125:126], v[101:102], v[98:99]
	s_waitcnt vmcnt(4) lgkmcnt(0)
	v_fma_f64 v[98:99], v[119:120], v[103:104], v[98:99]
	s_waitcnt vmcnt(2)
	v_fma_f64 v[98:99], v[107:108], v[105:106], v[98:99]
	s_waitcnt vmcnt(0)
	v_add_f64 v[98:99], v[121:122], -v[98:99]
	buffer_store_dword v99, off, s[0:3], 0 offset:92
	buffer_store_dword v98, off, s[0:3], 0 offset:88
	s_and_saveexec_b64 s[4:5], vcc
	s_cbranch_execz .LBB111_275
; %bb.274:
	buffer_load_dword v98, off, s[0:3], 0 offset:80
	buffer_load_dword v99, off, s[0:3], 0 offset:84
	v_mov_b32_e32 v100, 0
	buffer_store_dword v100, off, s[0:3], 0 offset:80
	buffer_store_dword v100, off, s[0:3], 0 offset:84
	s_waitcnt vmcnt(2)
	ds_write_b64 v97, v[98:99]
.LBB111_275:
	s_or_b64 exec, exec, s[4:5]
	s_waitcnt lgkmcnt(0)
	; wave barrier
	buffer_load_dword v107, off, s[0:3], 0 offset:88
	buffer_load_dword v108, off, s[0:3], 0 offset:92
	;; [unrolled: 1-line block ×21, first 2 shown]
	v_mov_b32_e32 v98, 0
	ds_read2_b64 v[99:102], v98 offset0:59 offset1:60
	ds_read2_b64 v[103:106], v98 offset0:61 offset1:62
	buffer_load_dword v124, off, s[0:3], 0 offset:172
	v_cmp_lt_u32_e32 vcc, 9, v0
	s_waitcnt vmcnt(20) lgkmcnt(1)
	v_fma_f64 v[99:100], v[107:108], v[99:100], 0
	s_waitcnt vmcnt(18)
	v_fma_f64 v[99:100], v[109:110], v[101:102], v[99:100]
	buffer_load_dword v108, off, s[0:3], 0 offset:180
	buffer_load_dword v109, off, s[0:3], 0 offset:200
	;; [unrolled: 1-line block ×7, first 2 shown]
	s_waitcnt vmcnt(23) lgkmcnt(0)
	v_fma_f64 v[99:100], v[111:112], v[103:104], v[99:100]
	s_waitcnt vmcnt(21)
	v_fma_f64 v[110:111], v[113:114], v[105:106], v[99:100]
	ds_read2_b64 v[99:102], v98 offset0:63 offset1:64
	ds_read2_b64 v[103:106], v98 offset0:65 offset1:66
	s_waitcnt vmcnt(19) lgkmcnt(1)
	v_fma_f64 v[99:100], v[115:116], v[99:100], v[110:111]
	buffer_load_dword v110, off, s[0:3], 0 offset:204
	s_waitcnt vmcnt(18)
	v_fma_f64 v[99:100], v[117:118], v[101:102], v[99:100]
	buffer_load_dword v112, off, s[0:3], 0 offset:212
	buffer_load_dword v113, off, s[0:3], 0 offset:232
	;; [unrolled: 1-line block ×8, first 2 shown]
	s_waitcnt vmcnt(24) lgkmcnt(0)
	v_fma_f64 v[99:100], v[119:120], v[103:104], v[99:100]
	s_waitcnt vmcnt(19)
	v_fma_f64 v[119:120], v[121:122], v[105:106], v[99:100]
	ds_read2_b64 v[99:102], v98 offset0:67 offset1:68
	ds_read2_b64 v[103:106], v98 offset0:69 offset1:70
	s_waitcnt vmcnt(18) lgkmcnt(1)
	v_fma_f64 v[99:100], v[127:128], v[99:100], v[119:120]
	s_waitcnt vmcnt(17)
	v_fma_f64 v[99:100], v[125:126], v[101:102], v[99:100]
	buffer_load_dword v120, off, s[0:3], 0 offset:244
	buffer_load_dword v121, off, s[0:3], 0 offset:264
	;; [unrolled: 1-line block ×7, first 2 shown]
	s_waitcnt vmcnt(23) lgkmcnt(0)
	v_fma_f64 v[99:100], v[123:124], v[103:104], v[99:100]
	s_waitcnt vmcnt(18)
	v_fma_f64 v[107:108], v[107:108], v[105:106], v[99:100]
	ds_read2_b64 v[99:102], v98 offset0:71 offset1:72
	ds_read2_b64 v[103:106], v98 offset0:73 offset1:74
	buffer_load_dword v122, off, s[0:3], 0 offset:268
	s_waitcnt vmcnt(18) lgkmcnt(1)
	v_fma_f64 v[99:100], v[131:132], v[99:100], v[107:108]
	s_waitcnt vmcnt(17)
	v_fma_f64 v[99:100], v[129:130], v[101:102], v[99:100]
	buffer_load_dword v108, off, s[0:3], 0 offset:276
	buffer_load_dword v123, off, s[0:3], 0 offset:296
	;; [unrolled: 1-line block ×7, first 2 shown]
	s_waitcnt vmcnt(23) lgkmcnt(0)
	v_fma_f64 v[99:100], v[109:110], v[103:104], v[99:100]
	s_waitcnt vmcnt(18)
	v_fma_f64 v[109:110], v[111:112], v[105:106], v[99:100]
	ds_read2_b64 v[99:102], v98 offset0:75 offset1:76
	ds_read2_b64 v[103:106], v98 offset0:77 offset1:78
	buffer_load_dword v124, off, s[0:3], 0 offset:300
	s_waitcnt vmcnt(18) lgkmcnt(1)
	v_fma_f64 v[99:100], v[117:118], v[99:100], v[109:110]
	s_waitcnt vmcnt(17)
	v_fma_f64 v[99:100], v[115:116], v[101:102], v[99:100]
	buffer_load_dword v110, off, s[0:3], 0 offset:308
	buffer_load_dword v111, off, s[0:3], 0 offset:328
	;; [unrolled: 1-line block ×7, first 2 shown]
	s_waitcnt vmcnt(23) lgkmcnt(0)
	v_fma_f64 v[99:100], v[113:114], v[103:104], v[99:100]
	s_waitcnt vmcnt(18)
	v_fma_f64 v[112:113], v[119:120], v[105:106], v[99:100]
	ds_read2_b64 v[99:102], v98 offset0:79 offset1:80
	ds_read2_b64 v[103:106], v98 offset0:81 offset1:82
	s_waitcnt vmcnt(17) lgkmcnt(1)
	v_fma_f64 v[99:100], v[127:128], v[99:100], v[112:113]
	buffer_load_dword v112, off, s[0:3], 0 offset:332
	s_waitcnt vmcnt(17)
	v_fma_f64 v[99:100], v[125:126], v[101:102], v[99:100]
	buffer_load_dword v114, off, s[0:3], 0 offset:340
	buffer_load_dword v119, off, s[0:3], 0 offset:360
	;; [unrolled: 1-line block ×7, first 2 shown]
	s_waitcnt vmcnt(23) lgkmcnt(0)
	v_fma_f64 v[99:100], v[121:122], v[103:104], v[99:100]
	s_waitcnt vmcnt(18)
	v_fma_f64 v[107:108], v[107:108], v[105:106], v[99:100]
	ds_read2_b64 v[99:102], v98 offset0:83 offset1:84
	ds_read2_b64 v[103:106], v98 offset0:85 offset1:86
	buffer_load_dword v120, off, s[0:3], 0 offset:364
	s_waitcnt vmcnt(18) lgkmcnt(1)
	v_fma_f64 v[99:100], v[131:132], v[99:100], v[107:108]
	buffer_load_dword v108, off, s[0:3], 0 offset:372
	buffer_load_dword v121, off, s[0:3], 0 offset:376
	buffer_load_dword v107, off, s[0:3], 0 offset:368
	buffer_load_dword v122, off, s[0:3], 0 offset:380
	s_waitcnt vmcnt(21)
	v_fma_f64 v[99:100], v[129:130], v[101:102], v[99:100]
	s_waitcnt vmcnt(20) lgkmcnt(0)
	v_fma_f64 v[99:100], v[123:124], v[103:104], v[99:100]
	buffer_load_dword v123, off, s[0:3], 0 offset:80
	buffer_load_dword v124, off, s[0:3], 0 offset:84
	s_waitcnt vmcnt(17)
	v_fma_f64 v[109:110], v[109:110], v[105:106], v[99:100]
	ds_read2_b64 v[99:102], v98 offset0:87 offset1:88
	ds_read2_b64 v[103:106], v98 offset0:89 offset1:90
	s_waitcnt vmcnt(16) lgkmcnt(1)
	v_fma_f64 v[99:100], v[117:118], v[99:100], v[109:110]
	s_waitcnt vmcnt(15)
	v_fma_f64 v[99:100], v[115:116], v[101:102], v[99:100]
	s_waitcnt vmcnt(14) lgkmcnt(0)
	v_fma_f64 v[99:100], v[111:112], v[103:104], v[99:100]
	s_waitcnt vmcnt(9)
	v_fma_f64 v[109:110], v[113:114], v[105:106], v[99:100]
	ds_read2_b64 v[99:102], v98 offset0:91 offset1:92
	ds_read2_b64 v[103:106], v98 offset0:93 offset1:94
	s_waitcnt vmcnt(8) lgkmcnt(1)
	v_fma_f64 v[99:100], v[127:128], v[99:100], v[109:110]
	s_waitcnt vmcnt(7)
	v_fma_f64 v[99:100], v[125:126], v[101:102], v[99:100]
	ds_read_b64 v[101:102], v98 offset:760
	s_waitcnt vmcnt(6) lgkmcnt(1)
	v_fma_f64 v[99:100], v[119:120], v[103:104], v[99:100]
	s_waitcnt vmcnt(3)
	v_fma_f64 v[99:100], v[107:108], v[105:106], v[99:100]
	s_waitcnt vmcnt(2) lgkmcnt(0)
	v_fma_f64 v[99:100], v[121:122], v[101:102], v[99:100]
	s_waitcnt vmcnt(0)
	v_add_f64 v[99:100], v[123:124], -v[99:100]
	buffer_store_dword v100, off, s[0:3], 0 offset:84
	buffer_store_dword v99, off, s[0:3], 0 offset:80
	s_and_saveexec_b64 s[4:5], vcc
	s_cbranch_execz .LBB111_277
; %bb.276:
	buffer_load_dword v99, off, s[0:3], 0 offset:72
	buffer_load_dword v100, off, s[0:3], 0 offset:76
	s_waitcnt vmcnt(0)
	ds_write_b64 v97, v[99:100]
	buffer_store_dword v98, off, s[0:3], 0 offset:72
	buffer_store_dword v98, off, s[0:3], 0 offset:76
.LBB111_277:
	s_or_b64 exec, exec, s[4:5]
	s_waitcnt lgkmcnt(0)
	; wave barrier
	buffer_load_dword v107, off, s[0:3], 0 offset:80
	buffer_load_dword v108, off, s[0:3], 0 offset:84
	;; [unrolled: 1-line block ×22, first 2 shown]
	ds_read_b128 v[99:102], v98 offset:464
	ds_read_b128 v[103:106], v98 offset:480
	v_cmp_lt_u32_e32 vcc, 8, v0
	s_waitcnt vmcnt(20) lgkmcnt(1)
	v_fma_f64 v[99:100], v[107:108], v[99:100], 0
	s_waitcnt vmcnt(18)
	v_fma_f64 v[99:100], v[109:110], v[101:102], v[99:100]
	buffer_load_dword v108, off, s[0:3], 0 offset:172
	buffer_load_dword v109, off, s[0:3], 0 offset:192
	;; [unrolled: 1-line block ×7, first 2 shown]
	s_waitcnt vmcnt(23) lgkmcnt(0)
	v_fma_f64 v[99:100], v[111:112], v[103:104], v[99:100]
	s_waitcnt vmcnt(21)
	v_fma_f64 v[110:111], v[113:114], v[105:106], v[99:100]
	ds_read_b128 v[99:102], v98 offset:496
	ds_read_b128 v[103:106], v98 offset:512
	s_waitcnt vmcnt(19) lgkmcnt(1)
	v_fma_f64 v[99:100], v[115:116], v[99:100], v[110:111]
	buffer_load_dword v110, off, s[0:3], 0 offset:196
	s_waitcnt vmcnt(18)
	v_fma_f64 v[99:100], v[117:118], v[101:102], v[99:100]
	buffer_load_dword v112, off, s[0:3], 0 offset:204
	buffer_load_dword v113, off, s[0:3], 0 offset:224
	;; [unrolled: 1-line block ×8, first 2 shown]
	s_waitcnt vmcnt(24) lgkmcnt(0)
	v_fma_f64 v[99:100], v[119:120], v[103:104], v[99:100]
	s_waitcnt vmcnt(19)
	v_fma_f64 v[119:120], v[121:122], v[105:106], v[99:100]
	ds_read_b128 v[99:102], v98 offset:528
	ds_read_b128 v[103:106], v98 offset:544
	s_waitcnt vmcnt(18) lgkmcnt(1)
	v_fma_f64 v[99:100], v[127:128], v[99:100], v[119:120]
	s_waitcnt vmcnt(17)
	v_fma_f64 v[99:100], v[125:126], v[101:102], v[99:100]
	buffer_load_dword v120, off, s[0:3], 0 offset:236
	buffer_load_dword v121, off, s[0:3], 0 offset:256
	buffer_load_dword v125, off, s[0:3], 0 offset:248
	buffer_load_dword v127, off, s[0:3], 0 offset:240
	buffer_load_dword v119, off, s[0:3], 0 offset:232
	buffer_load_dword v128, off, s[0:3], 0 offset:244
	buffer_load_dword v126, off, s[0:3], 0 offset:252
	buffer_load_dword v122, off, s[0:3], 0 offset:260
	s_waitcnt vmcnt(24) lgkmcnt(0)
	v_fma_f64 v[99:100], v[123:124], v[103:104], v[99:100]
	s_waitcnt vmcnt(19)
	v_fma_f64 v[107:108], v[107:108], v[105:106], v[99:100]
	ds_read_b128 v[99:102], v98 offset:560
	ds_read_b128 v[103:106], v98 offset:576
	s_waitcnt vmcnt(18) lgkmcnt(1)
	v_fma_f64 v[99:100], v[131:132], v[99:100], v[107:108]
	s_waitcnt vmcnt(17)
	v_fma_f64 v[99:100], v[129:130], v[101:102], v[99:100]
	buffer_load_dword v108, off, s[0:3], 0 offset:268
	buffer_load_dword v123, off, s[0:3], 0 offset:288
	;; [unrolled: 1-line block ×7, first 2 shown]
	s_waitcnt vmcnt(23) lgkmcnt(0)
	v_fma_f64 v[99:100], v[109:110], v[103:104], v[99:100]
	s_waitcnt vmcnt(18)
	v_fma_f64 v[109:110], v[111:112], v[105:106], v[99:100]
	ds_read_b128 v[99:102], v98 offset:592
	ds_read_b128 v[103:106], v98 offset:608
	buffer_load_dword v124, off, s[0:3], 0 offset:292
	s_waitcnt vmcnt(18) lgkmcnt(1)
	v_fma_f64 v[99:100], v[117:118], v[99:100], v[109:110]
	s_waitcnt vmcnt(17)
	v_fma_f64 v[99:100], v[115:116], v[101:102], v[99:100]
	buffer_load_dword v110, off, s[0:3], 0 offset:300
	buffer_load_dword v111, off, s[0:3], 0 offset:320
	buffer_load_dword v115, off, s[0:3], 0 offset:312
	buffer_load_dword v117, off, s[0:3], 0 offset:304
	buffer_load_dword v109, off, s[0:3], 0 offset:296
	buffer_load_dword v118, off, s[0:3], 0 offset:308
	buffer_load_dword v116, off, s[0:3], 0 offset:316
	s_waitcnt vmcnt(23) lgkmcnt(0)
	v_fma_f64 v[99:100], v[113:114], v[103:104], v[99:100]
	s_waitcnt vmcnt(18)
	v_fma_f64 v[112:113], v[119:120], v[105:106], v[99:100]
	ds_read_b128 v[99:102], v98 offset:624
	ds_read_b128 v[103:106], v98 offset:640
	s_waitcnt vmcnt(17) lgkmcnt(1)
	v_fma_f64 v[99:100], v[127:128], v[99:100], v[112:113]
	buffer_load_dword v112, off, s[0:3], 0 offset:324
	s_waitcnt vmcnt(17)
	v_fma_f64 v[99:100], v[125:126], v[101:102], v[99:100]
	buffer_load_dword v114, off, s[0:3], 0 offset:332
	buffer_load_dword v119, off, s[0:3], 0 offset:352
	;; [unrolled: 1-line block ×8, first 2 shown]
	s_waitcnt vmcnt(24) lgkmcnt(0)
	v_fma_f64 v[99:100], v[121:122], v[103:104], v[99:100]
	s_waitcnt vmcnt(19)
	v_fma_f64 v[107:108], v[107:108], v[105:106], v[99:100]
	ds_read_b128 v[99:102], v98 offset:656
	ds_read_b128 v[103:106], v98 offset:672
	s_waitcnt vmcnt(18) lgkmcnt(1)
	v_fma_f64 v[99:100], v[131:132], v[99:100], v[107:108]
	s_waitcnt vmcnt(17)
	v_fma_f64 v[99:100], v[129:130], v[101:102], v[99:100]
	buffer_load_dword v108, off, s[0:3], 0 offset:364
	buffer_load_dword v121, off, s[0:3], 0 offset:376
	;; [unrolled: 1-line block ×6, first 2 shown]
	s_waitcnt vmcnt(22) lgkmcnt(0)
	v_fma_f64 v[99:100], v[123:124], v[103:104], v[99:100]
	s_waitcnt vmcnt(17)
	v_fma_f64 v[109:110], v[109:110], v[105:106], v[99:100]
	ds_read_b128 v[99:102], v98 offset:688
	buffer_load_dword v123, off, s[0:3], 0 offset:72
	buffer_load_dword v124, off, s[0:3], 0 offset:76
	ds_read_b128 v[103:106], v98 offset:704
	s_waitcnt vmcnt(18) lgkmcnt(1)
	v_fma_f64 v[99:100], v[117:118], v[99:100], v[109:110]
	s_waitcnt vmcnt(17)
	v_fma_f64 v[99:100], v[115:116], v[101:102], v[99:100]
	s_waitcnt vmcnt(16) lgkmcnt(0)
	v_fma_f64 v[99:100], v[111:112], v[103:104], v[99:100]
	s_waitcnt vmcnt(11)
	v_fma_f64 v[109:110], v[113:114], v[105:106], v[99:100]
	ds_read_b128 v[99:102], v98 offset:720
	ds_read_b128 v[103:106], v98 offset:736
	s_waitcnt vmcnt(10) lgkmcnt(1)
	v_fma_f64 v[99:100], v[127:128], v[99:100], v[109:110]
	s_waitcnt vmcnt(9)
	v_fma_f64 v[99:100], v[125:126], v[101:102], v[99:100]
	s_waitcnt vmcnt(8) lgkmcnt(0)
	v_fma_f64 v[99:100], v[119:120], v[103:104], v[99:100]
	s_waitcnt vmcnt(4)
	v_fma_f64 v[102:103], v[107:108], v[105:106], v[99:100]
	ds_read_b128 v[98:101], v98 offset:752
	s_waitcnt vmcnt(3) lgkmcnt(0)
	v_fma_f64 v[98:99], v[129:130], v[98:99], v[102:103]
	s_waitcnt vmcnt(2)
	v_fma_f64 v[98:99], v[121:122], v[100:101], v[98:99]
	s_waitcnt vmcnt(0)
	v_add_f64 v[98:99], v[123:124], -v[98:99]
	buffer_store_dword v99, off, s[0:3], 0 offset:76
	buffer_store_dword v98, off, s[0:3], 0 offset:72
	s_and_saveexec_b64 s[4:5], vcc
	s_cbranch_execz .LBB111_279
; %bb.278:
	buffer_load_dword v98, off, s[0:3], 0 offset:64
	buffer_load_dword v99, off, s[0:3], 0 offset:68
	v_mov_b32_e32 v100, 0
	buffer_store_dword v100, off, s[0:3], 0 offset:64
	buffer_store_dword v100, off, s[0:3], 0 offset:68
	s_waitcnt vmcnt(2)
	ds_write_b64 v97, v[98:99]
.LBB111_279:
	s_or_b64 exec, exec, s[4:5]
	s_waitcnt lgkmcnt(0)
	; wave barrier
	buffer_load_dword v107, off, s[0:3], 0 offset:72
	buffer_load_dword v108, off, s[0:3], 0 offset:76
	;; [unrolled: 1-line block ×22, first 2 shown]
	v_mov_b32_e32 v98, 0
	ds_read2_b64 v[99:102], v98 offset0:57 offset1:58
	ds_read2_b64 v[103:106], v98 offset0:59 offset1:60
	v_cmp_lt_u32_e32 vcc, 7, v0
	s_waitcnt vmcnt(20) lgkmcnt(1)
	v_fma_f64 v[99:100], v[107:108], v[99:100], 0
	s_waitcnt vmcnt(18)
	v_fma_f64 v[99:100], v[109:110], v[101:102], v[99:100]
	buffer_load_dword v108, off, s[0:3], 0 offset:164
	buffer_load_dword v109, off, s[0:3], 0 offset:184
	;; [unrolled: 1-line block ×7, first 2 shown]
	s_waitcnt vmcnt(23) lgkmcnt(0)
	v_fma_f64 v[99:100], v[111:112], v[103:104], v[99:100]
	s_waitcnt vmcnt(21)
	v_fma_f64 v[110:111], v[113:114], v[105:106], v[99:100]
	ds_read2_b64 v[99:102], v98 offset0:61 offset1:62
	ds_read2_b64 v[103:106], v98 offset0:63 offset1:64
	s_waitcnt vmcnt(19) lgkmcnt(1)
	v_fma_f64 v[99:100], v[115:116], v[99:100], v[110:111]
	buffer_load_dword v110, off, s[0:3], 0 offset:188
	s_waitcnt vmcnt(18)
	v_fma_f64 v[99:100], v[117:118], v[101:102], v[99:100]
	buffer_load_dword v112, off, s[0:3], 0 offset:196
	buffer_load_dword v113, off, s[0:3], 0 offset:216
	;; [unrolled: 1-line block ×8, first 2 shown]
	s_waitcnt vmcnt(24) lgkmcnt(0)
	v_fma_f64 v[99:100], v[119:120], v[103:104], v[99:100]
	s_waitcnt vmcnt(19)
	v_fma_f64 v[119:120], v[121:122], v[105:106], v[99:100]
	ds_read2_b64 v[99:102], v98 offset0:65 offset1:66
	ds_read2_b64 v[103:106], v98 offset0:67 offset1:68
	s_waitcnt vmcnt(18) lgkmcnt(1)
	v_fma_f64 v[99:100], v[127:128], v[99:100], v[119:120]
	s_waitcnt vmcnt(17)
	v_fma_f64 v[99:100], v[125:126], v[101:102], v[99:100]
	buffer_load_dword v120, off, s[0:3], 0 offset:228
	buffer_load_dword v121, off, s[0:3], 0 offset:248
	buffer_load_dword v125, off, s[0:3], 0 offset:240
	buffer_load_dword v127, off, s[0:3], 0 offset:232
	buffer_load_dword v119, off, s[0:3], 0 offset:224
	buffer_load_dword v128, off, s[0:3], 0 offset:236
	buffer_load_dword v126, off, s[0:3], 0 offset:244
	buffer_load_dword v122, off, s[0:3], 0 offset:252
	s_waitcnt vmcnt(24) lgkmcnt(0)
	v_fma_f64 v[99:100], v[123:124], v[103:104], v[99:100]
	s_waitcnt vmcnt(19)
	v_fma_f64 v[107:108], v[107:108], v[105:106], v[99:100]
	ds_read2_b64 v[99:102], v98 offset0:69 offset1:70
	ds_read2_b64 v[103:106], v98 offset0:71 offset1:72
	s_waitcnt vmcnt(18) lgkmcnt(1)
	v_fma_f64 v[99:100], v[131:132], v[99:100], v[107:108]
	s_waitcnt vmcnt(17)
	v_fma_f64 v[99:100], v[129:130], v[101:102], v[99:100]
	buffer_load_dword v108, off, s[0:3], 0 offset:260
	buffer_load_dword v123, off, s[0:3], 0 offset:280
	;; [unrolled: 1-line block ×7, first 2 shown]
	s_waitcnt vmcnt(23) lgkmcnt(0)
	v_fma_f64 v[99:100], v[109:110], v[103:104], v[99:100]
	s_waitcnt vmcnt(18)
	v_fma_f64 v[109:110], v[111:112], v[105:106], v[99:100]
	ds_read2_b64 v[99:102], v98 offset0:73 offset1:74
	ds_read2_b64 v[103:106], v98 offset0:75 offset1:76
	buffer_load_dword v124, off, s[0:3], 0 offset:284
	s_waitcnt vmcnt(18) lgkmcnt(1)
	v_fma_f64 v[99:100], v[117:118], v[99:100], v[109:110]
	s_waitcnt vmcnt(17)
	v_fma_f64 v[99:100], v[115:116], v[101:102], v[99:100]
	buffer_load_dword v110, off, s[0:3], 0 offset:292
	buffer_load_dword v111, off, s[0:3], 0 offset:312
	;; [unrolled: 1-line block ×7, first 2 shown]
	s_waitcnt vmcnt(23) lgkmcnt(0)
	v_fma_f64 v[99:100], v[113:114], v[103:104], v[99:100]
	s_waitcnt vmcnt(18)
	v_fma_f64 v[112:113], v[119:120], v[105:106], v[99:100]
	ds_read2_b64 v[99:102], v98 offset0:77 offset1:78
	ds_read2_b64 v[103:106], v98 offset0:79 offset1:80
	s_waitcnt vmcnt(17) lgkmcnt(1)
	v_fma_f64 v[99:100], v[127:128], v[99:100], v[112:113]
	buffer_load_dword v112, off, s[0:3], 0 offset:316
	s_waitcnt vmcnt(17)
	v_fma_f64 v[99:100], v[125:126], v[101:102], v[99:100]
	buffer_load_dword v114, off, s[0:3], 0 offset:324
	buffer_load_dword v119, off, s[0:3], 0 offset:344
	;; [unrolled: 1-line block ×8, first 2 shown]
	s_waitcnt vmcnt(24) lgkmcnt(0)
	v_fma_f64 v[99:100], v[121:122], v[103:104], v[99:100]
	s_waitcnt vmcnt(19)
	v_fma_f64 v[107:108], v[107:108], v[105:106], v[99:100]
	ds_read2_b64 v[99:102], v98 offset0:81 offset1:82
	ds_read2_b64 v[103:106], v98 offset0:83 offset1:84
	s_waitcnt vmcnt(18) lgkmcnt(1)
	v_fma_f64 v[99:100], v[131:132], v[99:100], v[107:108]
	s_waitcnt vmcnt(17)
	v_fma_f64 v[99:100], v[129:130], v[101:102], v[99:100]
	buffer_load_dword v108, off, s[0:3], 0 offset:356
	buffer_load_dword v121, off, s[0:3], 0 offset:376
	;; [unrolled: 1-line block ×8, first 2 shown]
	s_waitcnt vmcnt(24) lgkmcnt(0)
	v_fma_f64 v[99:100], v[123:124], v[103:104], v[99:100]
	s_waitcnt vmcnt(19)
	v_fma_f64 v[109:110], v[109:110], v[105:106], v[99:100]
	ds_read2_b64 v[99:102], v98 offset0:85 offset1:86
	ds_read2_b64 v[103:106], v98 offset0:87 offset1:88
	s_waitcnt vmcnt(18) lgkmcnt(1)
	v_fma_f64 v[99:100], v[117:118], v[99:100], v[109:110]
	buffer_load_dword v109, off, s[0:3], 0 offset:64
	buffer_load_dword v110, off, s[0:3], 0 offset:68
	s_waitcnt vmcnt(19)
	v_fma_f64 v[99:100], v[115:116], v[101:102], v[99:100]
	s_waitcnt vmcnt(18) lgkmcnt(0)
	v_fma_f64 v[99:100], v[111:112], v[103:104], v[99:100]
	s_waitcnt vmcnt(13)
	v_fma_f64 v[111:112], v[113:114], v[105:106], v[99:100]
	ds_read2_b64 v[99:102], v98 offset0:89 offset1:90
	ds_read2_b64 v[103:106], v98 offset0:91 offset1:92
	s_waitcnt vmcnt(12) lgkmcnt(1)
	v_fma_f64 v[99:100], v[127:128], v[99:100], v[111:112]
	s_waitcnt vmcnt(11)
	v_fma_f64 v[99:100], v[125:126], v[101:102], v[99:100]
	s_waitcnt vmcnt(10) lgkmcnt(0)
	v_fma_f64 v[99:100], v[119:120], v[103:104], v[99:100]
	s_waitcnt vmcnt(5)
	v_fma_f64 v[103:104], v[107:108], v[105:106], v[99:100]
	ds_read2_b64 v[99:102], v98 offset0:93 offset1:94
	ds_read_b64 v[105:106], v98 offset:760
	s_waitcnt vmcnt(4) lgkmcnt(1)
	v_fma_f64 v[99:100], v[131:132], v[99:100], v[103:104]
	s_waitcnt vmcnt(3)
	v_fma_f64 v[99:100], v[129:130], v[101:102], v[99:100]
	s_waitcnt vmcnt(2) lgkmcnt(0)
	v_fma_f64 v[99:100], v[121:122], v[105:106], v[99:100]
	s_waitcnt vmcnt(0)
	v_add_f64 v[99:100], v[109:110], -v[99:100]
	buffer_store_dword v100, off, s[0:3], 0 offset:68
	buffer_store_dword v99, off, s[0:3], 0 offset:64
	s_and_saveexec_b64 s[4:5], vcc
	s_cbranch_execz .LBB111_281
; %bb.280:
	buffer_load_dword v99, off, s[0:3], 0 offset:56
	buffer_load_dword v100, off, s[0:3], 0 offset:60
	s_waitcnt vmcnt(0)
	ds_write_b64 v97, v[99:100]
	buffer_store_dword v98, off, s[0:3], 0 offset:56
	buffer_store_dword v98, off, s[0:3], 0 offset:60
.LBB111_281:
	s_or_b64 exec, exec, s[4:5]
	s_waitcnt lgkmcnt(0)
	; wave barrier
	buffer_load_dword v107, off, s[0:3], 0 offset:64
	buffer_load_dword v108, off, s[0:3], 0 offset:68
	;; [unrolled: 1-line block ×22, first 2 shown]
	ds_read_b128 v[99:102], v98 offset:448
	ds_read_b128 v[103:106], v98 offset:464
	v_cmp_lt_u32_e32 vcc, 6, v0
	s_waitcnt vmcnt(20) lgkmcnt(1)
	v_fma_f64 v[99:100], v[107:108], v[99:100], 0
	s_waitcnt vmcnt(18)
	v_fma_f64 v[99:100], v[109:110], v[101:102], v[99:100]
	buffer_load_dword v108, off, s[0:3], 0 offset:156
	buffer_load_dword v109, off, s[0:3], 0 offset:176
	;; [unrolled: 1-line block ×7, first 2 shown]
	s_waitcnt vmcnt(23) lgkmcnt(0)
	v_fma_f64 v[99:100], v[111:112], v[103:104], v[99:100]
	s_waitcnt vmcnt(21)
	v_fma_f64 v[110:111], v[113:114], v[105:106], v[99:100]
	ds_read_b128 v[99:102], v98 offset:480
	ds_read_b128 v[103:106], v98 offset:496
	s_waitcnt vmcnt(19) lgkmcnt(1)
	v_fma_f64 v[99:100], v[115:116], v[99:100], v[110:111]
	buffer_load_dword v110, off, s[0:3], 0 offset:180
	s_waitcnt vmcnt(18)
	v_fma_f64 v[99:100], v[117:118], v[101:102], v[99:100]
	buffer_load_dword v112, off, s[0:3], 0 offset:188
	buffer_load_dword v113, off, s[0:3], 0 offset:208
	;; [unrolled: 1-line block ×8, first 2 shown]
	s_waitcnt vmcnt(24) lgkmcnt(0)
	v_fma_f64 v[99:100], v[119:120], v[103:104], v[99:100]
	s_waitcnt vmcnt(19)
	v_fma_f64 v[119:120], v[121:122], v[105:106], v[99:100]
	ds_read_b128 v[99:102], v98 offset:512
	ds_read_b128 v[103:106], v98 offset:528
	s_waitcnt vmcnt(18) lgkmcnt(1)
	v_fma_f64 v[99:100], v[127:128], v[99:100], v[119:120]
	s_waitcnt vmcnt(17)
	v_fma_f64 v[99:100], v[125:126], v[101:102], v[99:100]
	buffer_load_dword v120, off, s[0:3], 0 offset:220
	buffer_load_dword v121, off, s[0:3], 0 offset:240
	buffer_load_dword v125, off, s[0:3], 0 offset:232
	buffer_load_dword v127, off, s[0:3], 0 offset:224
	buffer_load_dword v119, off, s[0:3], 0 offset:216
	buffer_load_dword v128, off, s[0:3], 0 offset:228
	buffer_load_dword v126, off, s[0:3], 0 offset:236
	buffer_load_dword v122, off, s[0:3], 0 offset:244
	s_waitcnt vmcnt(24) lgkmcnt(0)
	v_fma_f64 v[99:100], v[123:124], v[103:104], v[99:100]
	s_waitcnt vmcnt(19)
	v_fma_f64 v[107:108], v[107:108], v[105:106], v[99:100]
	ds_read_b128 v[99:102], v98 offset:544
	ds_read_b128 v[103:106], v98 offset:560
	s_waitcnt vmcnt(18) lgkmcnt(1)
	v_fma_f64 v[99:100], v[131:132], v[99:100], v[107:108]
	s_waitcnt vmcnt(17)
	v_fma_f64 v[99:100], v[129:130], v[101:102], v[99:100]
	buffer_load_dword v108, off, s[0:3], 0 offset:252
	buffer_load_dword v123, off, s[0:3], 0 offset:272
	;; [unrolled: 1-line block ×7, first 2 shown]
	s_waitcnt vmcnt(23) lgkmcnt(0)
	v_fma_f64 v[99:100], v[109:110], v[103:104], v[99:100]
	s_waitcnt vmcnt(18)
	v_fma_f64 v[109:110], v[111:112], v[105:106], v[99:100]
	ds_read_b128 v[99:102], v98 offset:576
	ds_read_b128 v[103:106], v98 offset:592
	buffer_load_dword v124, off, s[0:3], 0 offset:276
	s_waitcnt vmcnt(18) lgkmcnt(1)
	v_fma_f64 v[99:100], v[117:118], v[99:100], v[109:110]
	s_waitcnt vmcnt(17)
	v_fma_f64 v[99:100], v[115:116], v[101:102], v[99:100]
	buffer_load_dword v110, off, s[0:3], 0 offset:284
	buffer_load_dword v111, off, s[0:3], 0 offset:304
	;; [unrolled: 1-line block ×7, first 2 shown]
	s_waitcnt vmcnt(23) lgkmcnt(0)
	v_fma_f64 v[99:100], v[113:114], v[103:104], v[99:100]
	s_waitcnt vmcnt(18)
	v_fma_f64 v[112:113], v[119:120], v[105:106], v[99:100]
	ds_read_b128 v[99:102], v98 offset:608
	ds_read_b128 v[103:106], v98 offset:624
	s_waitcnt vmcnt(17) lgkmcnt(1)
	v_fma_f64 v[99:100], v[127:128], v[99:100], v[112:113]
	buffer_load_dword v112, off, s[0:3], 0 offset:308
	s_waitcnt vmcnt(17)
	v_fma_f64 v[99:100], v[125:126], v[101:102], v[99:100]
	buffer_load_dword v114, off, s[0:3], 0 offset:316
	buffer_load_dword v119, off, s[0:3], 0 offset:336
	;; [unrolled: 1-line block ×8, first 2 shown]
	s_waitcnt vmcnt(24) lgkmcnt(0)
	v_fma_f64 v[99:100], v[121:122], v[103:104], v[99:100]
	s_waitcnt vmcnt(19)
	v_fma_f64 v[107:108], v[107:108], v[105:106], v[99:100]
	ds_read_b128 v[99:102], v98 offset:640
	ds_read_b128 v[103:106], v98 offset:656
	s_waitcnt vmcnt(18) lgkmcnt(1)
	v_fma_f64 v[99:100], v[131:132], v[99:100], v[107:108]
	s_waitcnt vmcnt(17)
	v_fma_f64 v[99:100], v[129:130], v[101:102], v[99:100]
	buffer_load_dword v108, off, s[0:3], 0 offset:348
	buffer_load_dword v121, off, s[0:3], 0 offset:368
	;; [unrolled: 1-line block ×8, first 2 shown]
	s_waitcnt vmcnt(24) lgkmcnt(0)
	v_fma_f64 v[99:100], v[123:124], v[103:104], v[99:100]
	s_waitcnt vmcnt(19)
	v_fma_f64 v[109:110], v[109:110], v[105:106], v[99:100]
	ds_read_b128 v[99:102], v98 offset:672
	ds_read_b128 v[103:106], v98 offset:688
	s_waitcnt vmcnt(18) lgkmcnt(1)
	v_fma_f64 v[99:100], v[117:118], v[99:100], v[109:110]
	buffer_load_dword v110, off, s[0:3], 0 offset:380
	buffer_load_dword v109, off, s[0:3], 0 offset:376
	s_waitcnt vmcnt(19)
	v_fma_f64 v[99:100], v[115:116], v[101:102], v[99:100]
	buffer_load_dword v115, off, s[0:3], 0 offset:56
	buffer_load_dword v116, off, s[0:3], 0 offset:60
	s_waitcnt vmcnt(20) lgkmcnt(0)
	v_fma_f64 v[99:100], v[111:112], v[103:104], v[99:100]
	s_waitcnt vmcnt(15)
	v_fma_f64 v[111:112], v[113:114], v[105:106], v[99:100]
	ds_read_b128 v[99:102], v98 offset:704
	ds_read_b128 v[103:106], v98 offset:720
	s_waitcnt vmcnt(14) lgkmcnt(1)
	v_fma_f64 v[99:100], v[127:128], v[99:100], v[111:112]
	s_waitcnt vmcnt(13)
	v_fma_f64 v[99:100], v[125:126], v[101:102], v[99:100]
	s_waitcnt vmcnt(12) lgkmcnt(0)
	v_fma_f64 v[99:100], v[119:120], v[103:104], v[99:100]
	s_waitcnt vmcnt(7)
	v_fma_f64 v[107:108], v[107:108], v[105:106], v[99:100]
	ds_read_b128 v[99:102], v98 offset:736
	ds_read_b128 v[103:106], v98 offset:752
	s_waitcnt vmcnt(6) lgkmcnt(1)
	v_fma_f64 v[98:99], v[131:132], v[99:100], v[107:108]
	s_waitcnt vmcnt(5)
	v_fma_f64 v[98:99], v[129:130], v[101:102], v[98:99]
	s_waitcnt vmcnt(4) lgkmcnt(0)
	v_fma_f64 v[98:99], v[121:122], v[103:104], v[98:99]
	s_waitcnt vmcnt(2)
	v_fma_f64 v[98:99], v[109:110], v[105:106], v[98:99]
	s_waitcnt vmcnt(0)
	v_add_f64 v[98:99], v[115:116], -v[98:99]
	buffer_store_dword v99, off, s[0:3], 0 offset:60
	buffer_store_dword v98, off, s[0:3], 0 offset:56
	s_and_saveexec_b64 s[4:5], vcc
	s_cbranch_execz .LBB111_283
; %bb.282:
	buffer_load_dword v98, off, s[0:3], 0 offset:48
	buffer_load_dword v99, off, s[0:3], 0 offset:52
	v_mov_b32_e32 v100, 0
	buffer_store_dword v100, off, s[0:3], 0 offset:48
	buffer_store_dword v100, off, s[0:3], 0 offset:52
	s_waitcnt vmcnt(2)
	ds_write_b64 v97, v[98:99]
.LBB111_283:
	s_or_b64 exec, exec, s[4:5]
	s_waitcnt lgkmcnt(0)
	; wave barrier
	buffer_load_dword v107, off, s[0:3], 0 offset:56
	buffer_load_dword v108, off, s[0:3], 0 offset:60
	buffer_load_dword v109, off, s[0:3], 0 offset:64
	buffer_load_dword v110, off, s[0:3], 0 offset:68
	buffer_load_dword v111, off, s[0:3], 0 offset:72
	buffer_load_dword v112, off, s[0:3], 0 offset:76
	buffer_load_dword v113, off, s[0:3], 0 offset:80
	buffer_load_dword v114, off, s[0:3], 0 offset:84
	buffer_load_dword v115, off, s[0:3], 0 offset:88
	buffer_load_dword v116, off, s[0:3], 0 offset:92
	buffer_load_dword v117, off, s[0:3], 0 offset:96
	buffer_load_dword v118, off, s[0:3], 0 offset:100
	buffer_load_dword v119, off, s[0:3], 0 offset:104
	buffer_load_dword v120, off, s[0:3], 0 offset:108
	buffer_load_dword v122, off, s[0:3], 0 offset:116
	buffer_load_dword v123, off, s[0:3], 0 offset:136
	buffer_load_dword v125, off, s[0:3], 0 offset:128
	buffer_load_dword v127, off, s[0:3], 0 offset:120
	buffer_load_dword v121, off, s[0:3], 0 offset:112
	buffer_load_dword v128, off, s[0:3], 0 offset:124
	buffer_load_dword v126, off, s[0:3], 0 offset:132
	buffer_load_dword v124, off, s[0:3], 0 offset:140
	v_mov_b32_e32 v98, 0
	ds_read2_b64 v[99:102], v98 offset0:55 offset1:56
	ds_read2_b64 v[103:106], v98 offset0:57 offset1:58
	v_cmp_lt_u32_e32 vcc, 5, v0
	s_waitcnt vmcnt(20) lgkmcnt(1)
	v_fma_f64 v[99:100], v[107:108], v[99:100], 0
	s_waitcnt vmcnt(18)
	v_fma_f64 v[99:100], v[109:110], v[101:102], v[99:100]
	buffer_load_dword v108, off, s[0:3], 0 offset:148
	buffer_load_dword v109, off, s[0:3], 0 offset:168
	buffer_load_dword v129, off, s[0:3], 0 offset:160
	buffer_load_dword v131, off, s[0:3], 0 offset:152
	buffer_load_dword v107, off, s[0:3], 0 offset:144
	buffer_load_dword v132, off, s[0:3], 0 offset:156
	buffer_load_dword v130, off, s[0:3], 0 offset:164
	s_waitcnt vmcnt(23) lgkmcnt(0)
	v_fma_f64 v[99:100], v[111:112], v[103:104], v[99:100]
	s_waitcnt vmcnt(21)
	v_fma_f64 v[110:111], v[113:114], v[105:106], v[99:100]
	ds_read2_b64 v[99:102], v98 offset0:59 offset1:60
	ds_read2_b64 v[103:106], v98 offset0:61 offset1:62
	s_waitcnt vmcnt(19) lgkmcnt(1)
	v_fma_f64 v[99:100], v[115:116], v[99:100], v[110:111]
	buffer_load_dword v110, off, s[0:3], 0 offset:172
	s_waitcnt vmcnt(18)
	v_fma_f64 v[99:100], v[117:118], v[101:102], v[99:100]
	buffer_load_dword v112, off, s[0:3], 0 offset:180
	buffer_load_dword v113, off, s[0:3], 0 offset:200
	buffer_load_dword v115, off, s[0:3], 0 offset:192
	buffer_load_dword v117, off, s[0:3], 0 offset:184
	buffer_load_dword v111, off, s[0:3], 0 offset:176
	buffer_load_dword v118, off, s[0:3], 0 offset:188
	buffer_load_dword v116, off, s[0:3], 0 offset:196
	s_waitcnt vmcnt(23) lgkmcnt(0)
	v_fma_f64 v[99:100], v[119:120], v[103:104], v[99:100]
	s_waitcnt vmcnt(18)
	v_fma_f64 v[119:120], v[121:122], v[105:106], v[99:100]
	ds_read2_b64 v[99:102], v98 offset0:63 offset1:64
	ds_read2_b64 v[103:106], v98 offset0:65 offset1:66
	buffer_load_dword v114, off, s[0:3], 0 offset:204
	s_waitcnt vmcnt(18) lgkmcnt(1)
	v_fma_f64 v[99:100], v[127:128], v[99:100], v[119:120]
	s_waitcnt vmcnt(17)
	v_fma_f64 v[99:100], v[125:126], v[101:102], v[99:100]
	buffer_load_dword v120, off, s[0:3], 0 offset:212
	buffer_load_dword v121, off, s[0:3], 0 offset:232
	buffer_load_dword v125, off, s[0:3], 0 offset:224
	buffer_load_dword v127, off, s[0:3], 0 offset:216
	buffer_load_dword v119, off, s[0:3], 0 offset:208
	buffer_load_dword v128, off, s[0:3], 0 offset:220
	buffer_load_dword v126, off, s[0:3], 0 offset:228
	buffer_load_dword v122, off, s[0:3], 0 offset:236
	s_waitcnt vmcnt(24) lgkmcnt(0)
	v_fma_f64 v[99:100], v[123:124], v[103:104], v[99:100]
	s_waitcnt vmcnt(19)
	v_fma_f64 v[107:108], v[107:108], v[105:106], v[99:100]
	ds_read2_b64 v[99:102], v98 offset0:67 offset1:68
	ds_read2_b64 v[103:106], v98 offset0:69 offset1:70
	s_waitcnt vmcnt(18) lgkmcnt(1)
	v_fma_f64 v[99:100], v[131:132], v[99:100], v[107:108]
	s_waitcnt vmcnt(17)
	v_fma_f64 v[99:100], v[129:130], v[101:102], v[99:100]
	buffer_load_dword v108, off, s[0:3], 0 offset:244
	buffer_load_dword v123, off, s[0:3], 0 offset:264
	;; [unrolled: 1-line block ×7, first 2 shown]
	s_waitcnt vmcnt(23) lgkmcnt(0)
	v_fma_f64 v[99:100], v[109:110], v[103:104], v[99:100]
	s_waitcnt vmcnt(18)
	v_fma_f64 v[109:110], v[111:112], v[105:106], v[99:100]
	ds_read2_b64 v[99:102], v98 offset0:71 offset1:72
	ds_read2_b64 v[103:106], v98 offset0:73 offset1:74
	buffer_load_dword v124, off, s[0:3], 0 offset:268
	s_waitcnt vmcnt(18) lgkmcnt(1)
	v_fma_f64 v[99:100], v[117:118], v[99:100], v[109:110]
	s_waitcnt vmcnt(17)
	v_fma_f64 v[99:100], v[115:116], v[101:102], v[99:100]
	buffer_load_dword v110, off, s[0:3], 0 offset:276
	buffer_load_dword v111, off, s[0:3], 0 offset:296
	buffer_load_dword v115, off, s[0:3], 0 offset:288
	buffer_load_dword v117, off, s[0:3], 0 offset:280
	buffer_load_dword v109, off, s[0:3], 0 offset:272
	buffer_load_dword v118, off, s[0:3], 0 offset:284
	buffer_load_dword v116, off, s[0:3], 0 offset:292
	s_waitcnt vmcnt(23) lgkmcnt(0)
	v_fma_f64 v[99:100], v[113:114], v[103:104], v[99:100]
	s_waitcnt vmcnt(18)
	v_fma_f64 v[112:113], v[119:120], v[105:106], v[99:100]
	ds_read2_b64 v[99:102], v98 offset0:75 offset1:76
	ds_read2_b64 v[103:106], v98 offset0:77 offset1:78
	s_waitcnt vmcnt(17) lgkmcnt(1)
	v_fma_f64 v[99:100], v[127:128], v[99:100], v[112:113]
	buffer_load_dword v112, off, s[0:3], 0 offset:300
	s_waitcnt vmcnt(17)
	v_fma_f64 v[99:100], v[125:126], v[101:102], v[99:100]
	buffer_load_dword v114, off, s[0:3], 0 offset:308
	buffer_load_dword v119, off, s[0:3], 0 offset:328
	;; [unrolled: 1-line block ×8, first 2 shown]
	s_waitcnt vmcnt(24) lgkmcnt(0)
	v_fma_f64 v[99:100], v[121:122], v[103:104], v[99:100]
	s_waitcnt vmcnt(19)
	v_fma_f64 v[107:108], v[107:108], v[105:106], v[99:100]
	ds_read2_b64 v[99:102], v98 offset0:79 offset1:80
	ds_read2_b64 v[103:106], v98 offset0:81 offset1:82
	s_waitcnt vmcnt(18) lgkmcnt(1)
	v_fma_f64 v[99:100], v[131:132], v[99:100], v[107:108]
	s_waitcnt vmcnt(17)
	v_fma_f64 v[99:100], v[129:130], v[101:102], v[99:100]
	buffer_load_dword v108, off, s[0:3], 0 offset:340
	buffer_load_dword v121, off, s[0:3], 0 offset:360
	;; [unrolled: 1-line block ×7, first 2 shown]
	s_waitcnt vmcnt(23) lgkmcnt(0)
	v_fma_f64 v[99:100], v[123:124], v[103:104], v[99:100]
	s_waitcnt vmcnt(18)
	v_fma_f64 v[109:110], v[109:110], v[105:106], v[99:100]
	ds_read2_b64 v[99:102], v98 offset0:83 offset1:84
	ds_read2_b64 v[103:106], v98 offset0:85 offset1:86
	buffer_load_dword v122, off, s[0:3], 0 offset:364
	s_waitcnt vmcnt(18) lgkmcnt(1)
	v_fma_f64 v[99:100], v[117:118], v[99:100], v[109:110]
	s_waitcnt vmcnt(17)
	v_fma_f64 v[99:100], v[115:116], v[101:102], v[99:100]
	buffer_load_dword v110, off, s[0:3], 0 offset:372
	buffer_load_dword v115, off, s[0:3], 0 offset:376
	;; [unrolled: 1-line block ×4, first 2 shown]
	s_waitcnt vmcnt(20) lgkmcnt(0)
	v_fma_f64 v[99:100], v[111:112], v[103:104], v[99:100]
	buffer_load_dword v111, off, s[0:3], 0 offset:48
	buffer_load_dword v112, off, s[0:3], 0 offset:52
	s_waitcnt vmcnt(17)
	v_fma_f64 v[113:114], v[113:114], v[105:106], v[99:100]
	ds_read2_b64 v[99:102], v98 offset0:87 offset1:88
	ds_read2_b64 v[103:106], v98 offset0:89 offset1:90
	s_waitcnt vmcnt(16) lgkmcnt(1)
	v_fma_f64 v[99:100], v[127:128], v[99:100], v[113:114]
	s_waitcnt vmcnt(15)
	v_fma_f64 v[99:100], v[125:126], v[101:102], v[99:100]
	s_waitcnt vmcnt(14) lgkmcnt(0)
	v_fma_f64 v[99:100], v[119:120], v[103:104], v[99:100]
	s_waitcnt vmcnt(9)
	v_fma_f64 v[107:108], v[107:108], v[105:106], v[99:100]
	ds_read2_b64 v[99:102], v98 offset0:91 offset1:92
	ds_read2_b64 v[103:106], v98 offset0:93 offset1:94
	s_waitcnt vmcnt(8) lgkmcnt(1)
	v_fma_f64 v[99:100], v[131:132], v[99:100], v[107:108]
	s_waitcnt vmcnt(7)
	v_fma_f64 v[99:100], v[129:130], v[101:102], v[99:100]
	ds_read_b64 v[101:102], v98 offset:760
	s_waitcnt vmcnt(6) lgkmcnt(1)
	v_fma_f64 v[99:100], v[121:122], v[103:104], v[99:100]
	s_waitcnt vmcnt(3)
	v_fma_f64 v[99:100], v[109:110], v[105:106], v[99:100]
	s_waitcnt vmcnt(2) lgkmcnt(0)
	v_fma_f64 v[99:100], v[115:116], v[101:102], v[99:100]
	s_waitcnt vmcnt(0)
	v_add_f64 v[99:100], v[111:112], -v[99:100]
	buffer_store_dword v100, off, s[0:3], 0 offset:52
	buffer_store_dword v99, off, s[0:3], 0 offset:48
	s_and_saveexec_b64 s[4:5], vcc
	s_cbranch_execz .LBB111_285
; %bb.284:
	buffer_load_dword v99, off, s[0:3], 0 offset:40
	buffer_load_dword v100, off, s[0:3], 0 offset:44
	s_waitcnt vmcnt(0)
	ds_write_b64 v97, v[99:100]
	buffer_store_dword v98, off, s[0:3], 0 offset:40
	buffer_store_dword v98, off, s[0:3], 0 offset:44
.LBB111_285:
	s_or_b64 exec, exec, s[4:5]
	s_waitcnt lgkmcnt(0)
	; wave barrier
	buffer_load_dword v107, off, s[0:3], 0 offset:48
	buffer_load_dword v108, off, s[0:3], 0 offset:52
	;; [unrolled: 1-line block ×22, first 2 shown]
	ds_read_b128 v[99:102], v98 offset:432
	ds_read_b128 v[103:106], v98 offset:448
	v_cmp_lt_u32_e32 vcc, 4, v0
	s_waitcnt vmcnt(20) lgkmcnt(1)
	v_fma_f64 v[99:100], v[107:108], v[99:100], 0
	s_waitcnt vmcnt(18)
	v_fma_f64 v[99:100], v[109:110], v[101:102], v[99:100]
	buffer_load_dword v108, off, s[0:3], 0 offset:140
	buffer_load_dword v109, off, s[0:3], 0 offset:160
	;; [unrolled: 1-line block ×7, first 2 shown]
	s_waitcnt vmcnt(23) lgkmcnt(0)
	v_fma_f64 v[99:100], v[111:112], v[103:104], v[99:100]
	s_waitcnt vmcnt(21)
	v_fma_f64 v[110:111], v[113:114], v[105:106], v[99:100]
	ds_read_b128 v[99:102], v98 offset:464
	ds_read_b128 v[103:106], v98 offset:480
	s_waitcnt vmcnt(19) lgkmcnt(1)
	v_fma_f64 v[99:100], v[115:116], v[99:100], v[110:111]
	buffer_load_dword v110, off, s[0:3], 0 offset:164
	s_waitcnt vmcnt(18)
	v_fma_f64 v[99:100], v[117:118], v[101:102], v[99:100]
	buffer_load_dword v112, off, s[0:3], 0 offset:172
	buffer_load_dword v113, off, s[0:3], 0 offset:192
	;; [unrolled: 1-line block ×7, first 2 shown]
	s_waitcnt vmcnt(23) lgkmcnt(0)
	v_fma_f64 v[99:100], v[119:120], v[103:104], v[99:100]
	s_waitcnt vmcnt(18)
	v_fma_f64 v[119:120], v[121:122], v[105:106], v[99:100]
	ds_read_b128 v[99:102], v98 offset:496
	ds_read_b128 v[103:106], v98 offset:512
	buffer_load_dword v114, off, s[0:3], 0 offset:196
	s_waitcnt vmcnt(18) lgkmcnt(1)
	v_fma_f64 v[99:100], v[127:128], v[99:100], v[119:120]
	s_waitcnt vmcnt(17)
	v_fma_f64 v[99:100], v[125:126], v[101:102], v[99:100]
	buffer_load_dword v120, off, s[0:3], 0 offset:204
	buffer_load_dword v121, off, s[0:3], 0 offset:224
	;; [unrolled: 1-line block ×8, first 2 shown]
	s_waitcnt vmcnt(24) lgkmcnt(0)
	v_fma_f64 v[99:100], v[123:124], v[103:104], v[99:100]
	s_waitcnt vmcnt(19)
	v_fma_f64 v[107:108], v[107:108], v[105:106], v[99:100]
	ds_read_b128 v[99:102], v98 offset:528
	ds_read_b128 v[103:106], v98 offset:544
	s_waitcnt vmcnt(18) lgkmcnt(1)
	v_fma_f64 v[99:100], v[131:132], v[99:100], v[107:108]
	s_waitcnt vmcnt(17)
	v_fma_f64 v[99:100], v[129:130], v[101:102], v[99:100]
	buffer_load_dword v108, off, s[0:3], 0 offset:236
	buffer_load_dword v123, off, s[0:3], 0 offset:256
	;; [unrolled: 1-line block ×8, first 2 shown]
	s_waitcnt vmcnt(24) lgkmcnt(0)
	v_fma_f64 v[99:100], v[109:110], v[103:104], v[99:100]
	s_waitcnt vmcnt(19)
	v_fma_f64 v[109:110], v[111:112], v[105:106], v[99:100]
	ds_read_b128 v[99:102], v98 offset:560
	ds_read_b128 v[103:106], v98 offset:576
	s_waitcnt vmcnt(18) lgkmcnt(1)
	v_fma_f64 v[99:100], v[117:118], v[99:100], v[109:110]
	s_waitcnt vmcnt(17)
	v_fma_f64 v[99:100], v[115:116], v[101:102], v[99:100]
	buffer_load_dword v110, off, s[0:3], 0 offset:268
	buffer_load_dword v111, off, s[0:3], 0 offset:288
	;; [unrolled: 1-line block ×7, first 2 shown]
	s_waitcnt vmcnt(23) lgkmcnt(0)
	v_fma_f64 v[99:100], v[113:114], v[103:104], v[99:100]
	s_waitcnt vmcnt(18)
	v_fma_f64 v[112:113], v[119:120], v[105:106], v[99:100]
	ds_read_b128 v[99:102], v98 offset:592
	ds_read_b128 v[103:106], v98 offset:608
	s_waitcnt vmcnt(17) lgkmcnt(1)
	v_fma_f64 v[99:100], v[127:128], v[99:100], v[112:113]
	buffer_load_dword v112, off, s[0:3], 0 offset:292
	s_waitcnt vmcnt(17)
	v_fma_f64 v[99:100], v[125:126], v[101:102], v[99:100]
	buffer_load_dword v114, off, s[0:3], 0 offset:300
	buffer_load_dword v119, off, s[0:3], 0 offset:320
	;; [unrolled: 1-line block ×8, first 2 shown]
	s_waitcnt vmcnt(24) lgkmcnt(0)
	v_fma_f64 v[99:100], v[121:122], v[103:104], v[99:100]
	s_waitcnt vmcnt(19)
	v_fma_f64 v[107:108], v[107:108], v[105:106], v[99:100]
	ds_read_b128 v[99:102], v98 offset:624
	ds_read_b128 v[103:106], v98 offset:640
	s_waitcnt vmcnt(18) lgkmcnt(1)
	v_fma_f64 v[99:100], v[131:132], v[99:100], v[107:108]
	s_waitcnt vmcnt(17)
	v_fma_f64 v[99:100], v[129:130], v[101:102], v[99:100]
	buffer_load_dword v108, off, s[0:3], 0 offset:332
	buffer_load_dword v121, off, s[0:3], 0 offset:352
	;; [unrolled: 1-line block ×8, first 2 shown]
	s_waitcnt vmcnt(24) lgkmcnt(0)
	v_fma_f64 v[99:100], v[123:124], v[103:104], v[99:100]
	s_waitcnt vmcnt(19)
	v_fma_f64 v[109:110], v[109:110], v[105:106], v[99:100]
	ds_read_b128 v[99:102], v98 offset:656
	ds_read_b128 v[103:106], v98 offset:672
	s_waitcnt vmcnt(18) lgkmcnt(1)
	v_fma_f64 v[99:100], v[117:118], v[99:100], v[109:110]
	s_waitcnt vmcnt(17)
	v_fma_f64 v[99:100], v[115:116], v[101:102], v[99:100]
	buffer_load_dword v110, off, s[0:3], 0 offset:364
	buffer_load_dword v115, off, s[0:3], 0 offset:376
	buffer_load_dword v117, off, s[0:3], 0 offset:368
	buffer_load_dword v109, off, s[0:3], 0 offset:360
	buffer_load_dword v118, off, s[0:3], 0 offset:372
	buffer_load_dword v116, off, s[0:3], 0 offset:380
	s_waitcnt vmcnt(22) lgkmcnt(0)
	v_fma_f64 v[99:100], v[111:112], v[103:104], v[99:100]
	s_waitcnt vmcnt(17)
	v_fma_f64 v[111:112], v[113:114], v[105:106], v[99:100]
	ds_read_b128 v[99:102], v98 offset:688
	buffer_load_dword v113, off, s[0:3], 0 offset:40
	buffer_load_dword v114, off, s[0:3], 0 offset:44
	ds_read_b128 v[103:106], v98 offset:704
	s_waitcnt vmcnt(18) lgkmcnt(1)
	v_fma_f64 v[99:100], v[127:128], v[99:100], v[111:112]
	s_waitcnt vmcnt(17)
	v_fma_f64 v[99:100], v[125:126], v[101:102], v[99:100]
	s_waitcnt vmcnt(16) lgkmcnt(0)
	v_fma_f64 v[99:100], v[119:120], v[103:104], v[99:100]
	s_waitcnt vmcnt(11)
	v_fma_f64 v[107:108], v[107:108], v[105:106], v[99:100]
	ds_read_b128 v[99:102], v98 offset:720
	ds_read_b128 v[103:106], v98 offset:736
	s_waitcnt vmcnt(10) lgkmcnt(1)
	v_fma_f64 v[99:100], v[131:132], v[99:100], v[107:108]
	s_waitcnt vmcnt(9)
	v_fma_f64 v[99:100], v[129:130], v[101:102], v[99:100]
	s_waitcnt vmcnt(8) lgkmcnt(0)
	v_fma_f64 v[99:100], v[121:122], v[103:104], v[99:100]
	s_waitcnt vmcnt(4)
	v_fma_f64 v[102:103], v[109:110], v[105:106], v[99:100]
	ds_read_b128 v[98:101], v98 offset:752
	s_waitcnt vmcnt(3) lgkmcnt(0)
	v_fma_f64 v[98:99], v[117:118], v[98:99], v[102:103]
	s_waitcnt vmcnt(2)
	v_fma_f64 v[98:99], v[115:116], v[100:101], v[98:99]
	s_waitcnt vmcnt(0)
	v_add_f64 v[98:99], v[113:114], -v[98:99]
	buffer_store_dword v99, off, s[0:3], 0 offset:44
	buffer_store_dword v98, off, s[0:3], 0 offset:40
	s_and_saveexec_b64 s[4:5], vcc
	s_cbranch_execz .LBB111_287
; %bb.286:
	buffer_load_dword v98, off, s[0:3], 0 offset:32
	buffer_load_dword v99, off, s[0:3], 0 offset:36
	v_mov_b32_e32 v100, 0
	buffer_store_dword v100, off, s[0:3], 0 offset:32
	buffer_store_dword v100, off, s[0:3], 0 offset:36
	s_waitcnt vmcnt(2)
	ds_write_b64 v97, v[98:99]
.LBB111_287:
	s_or_b64 exec, exec, s[4:5]
	s_waitcnt lgkmcnt(0)
	; wave barrier
	buffer_load_dword v107, off, s[0:3], 0 offset:40
	buffer_load_dword v108, off, s[0:3], 0 offset:44
	;; [unrolled: 1-line block ×22, first 2 shown]
	v_mov_b32_e32 v98, 0
	ds_read2_b64 v[99:102], v98 offset0:53 offset1:54
	ds_read2_b64 v[103:106], v98 offset0:55 offset1:56
	v_cmp_lt_u32_e32 vcc, 3, v0
	s_waitcnt vmcnt(20) lgkmcnt(1)
	v_fma_f64 v[99:100], v[107:108], v[99:100], 0
	s_waitcnt vmcnt(18)
	v_fma_f64 v[99:100], v[109:110], v[101:102], v[99:100]
	buffer_load_dword v108, off, s[0:3], 0 offset:132
	buffer_load_dword v109, off, s[0:3], 0 offset:152
	;; [unrolled: 1-line block ×7, first 2 shown]
	s_waitcnt vmcnt(23) lgkmcnt(0)
	v_fma_f64 v[99:100], v[111:112], v[103:104], v[99:100]
	s_waitcnt vmcnt(21)
	v_fma_f64 v[110:111], v[113:114], v[105:106], v[99:100]
	ds_read2_b64 v[99:102], v98 offset0:57 offset1:58
	ds_read2_b64 v[103:106], v98 offset0:59 offset1:60
	s_waitcnt vmcnt(19) lgkmcnt(1)
	v_fma_f64 v[99:100], v[115:116], v[99:100], v[110:111]
	buffer_load_dword v110, off, s[0:3], 0 offset:156
	s_waitcnt vmcnt(18)
	v_fma_f64 v[99:100], v[117:118], v[101:102], v[99:100]
	buffer_load_dword v112, off, s[0:3], 0 offset:164
	buffer_load_dword v113, off, s[0:3], 0 offset:184
	;; [unrolled: 1-line block ×7, first 2 shown]
	s_waitcnt vmcnt(23) lgkmcnt(0)
	v_fma_f64 v[99:100], v[119:120], v[103:104], v[99:100]
	s_waitcnt vmcnt(18)
	v_fma_f64 v[119:120], v[121:122], v[105:106], v[99:100]
	ds_read2_b64 v[99:102], v98 offset0:61 offset1:62
	ds_read2_b64 v[103:106], v98 offset0:63 offset1:64
	buffer_load_dword v114, off, s[0:3], 0 offset:188
	s_waitcnt vmcnt(18) lgkmcnt(1)
	v_fma_f64 v[99:100], v[127:128], v[99:100], v[119:120]
	s_waitcnt vmcnt(17)
	v_fma_f64 v[99:100], v[125:126], v[101:102], v[99:100]
	buffer_load_dword v120, off, s[0:3], 0 offset:196
	buffer_load_dword v121, off, s[0:3], 0 offset:216
	;; [unrolled: 1-line block ×8, first 2 shown]
	s_waitcnt vmcnt(24) lgkmcnt(0)
	v_fma_f64 v[99:100], v[123:124], v[103:104], v[99:100]
	s_waitcnt vmcnt(19)
	v_fma_f64 v[107:108], v[107:108], v[105:106], v[99:100]
	ds_read2_b64 v[99:102], v98 offset0:65 offset1:66
	ds_read2_b64 v[103:106], v98 offset0:67 offset1:68
	s_waitcnt vmcnt(18) lgkmcnt(1)
	v_fma_f64 v[99:100], v[131:132], v[99:100], v[107:108]
	s_waitcnt vmcnt(17)
	v_fma_f64 v[99:100], v[129:130], v[101:102], v[99:100]
	buffer_load_dword v108, off, s[0:3], 0 offset:228
	buffer_load_dword v123, off, s[0:3], 0 offset:248
	;; [unrolled: 1-line block ×8, first 2 shown]
	s_waitcnt vmcnt(24) lgkmcnt(0)
	v_fma_f64 v[99:100], v[109:110], v[103:104], v[99:100]
	s_waitcnt vmcnt(19)
	v_fma_f64 v[109:110], v[111:112], v[105:106], v[99:100]
	ds_read2_b64 v[99:102], v98 offset0:69 offset1:70
	ds_read2_b64 v[103:106], v98 offset0:71 offset1:72
	s_waitcnt vmcnt(18) lgkmcnt(1)
	v_fma_f64 v[99:100], v[117:118], v[99:100], v[109:110]
	s_waitcnt vmcnt(17)
	v_fma_f64 v[99:100], v[115:116], v[101:102], v[99:100]
	buffer_load_dword v110, off, s[0:3], 0 offset:260
	buffer_load_dword v111, off, s[0:3], 0 offset:280
	;; [unrolled: 1-line block ×7, first 2 shown]
	s_waitcnt vmcnt(23) lgkmcnt(0)
	v_fma_f64 v[99:100], v[113:114], v[103:104], v[99:100]
	s_waitcnt vmcnt(18)
	v_fma_f64 v[112:113], v[119:120], v[105:106], v[99:100]
	ds_read2_b64 v[99:102], v98 offset0:73 offset1:74
	ds_read2_b64 v[103:106], v98 offset0:75 offset1:76
	s_waitcnt vmcnt(17) lgkmcnt(1)
	v_fma_f64 v[99:100], v[127:128], v[99:100], v[112:113]
	buffer_load_dword v112, off, s[0:3], 0 offset:284
	s_waitcnt vmcnt(17)
	v_fma_f64 v[99:100], v[125:126], v[101:102], v[99:100]
	buffer_load_dword v114, off, s[0:3], 0 offset:292
	buffer_load_dword v119, off, s[0:3], 0 offset:312
	buffer_load_dword v125, off, s[0:3], 0 offset:304
	buffer_load_dword v127, off, s[0:3], 0 offset:296
	buffer_load_dword v113, off, s[0:3], 0 offset:288
	buffer_load_dword v128, off, s[0:3], 0 offset:300
	buffer_load_dword v126, off, s[0:3], 0 offset:308
	buffer_load_dword v120, off, s[0:3], 0 offset:316
	s_waitcnt vmcnt(24) lgkmcnt(0)
	v_fma_f64 v[99:100], v[121:122], v[103:104], v[99:100]
	s_waitcnt vmcnt(19)
	v_fma_f64 v[107:108], v[107:108], v[105:106], v[99:100]
	ds_read2_b64 v[99:102], v98 offset0:77 offset1:78
	ds_read2_b64 v[103:106], v98 offset0:79 offset1:80
	s_waitcnt vmcnt(18) lgkmcnt(1)
	v_fma_f64 v[99:100], v[131:132], v[99:100], v[107:108]
	s_waitcnt vmcnt(17)
	v_fma_f64 v[99:100], v[129:130], v[101:102], v[99:100]
	buffer_load_dword v108, off, s[0:3], 0 offset:324
	buffer_load_dword v121, off, s[0:3], 0 offset:344
	buffer_load_dword v129, off, s[0:3], 0 offset:336
	buffer_load_dword v131, off, s[0:3], 0 offset:328
	buffer_load_dword v107, off, s[0:3], 0 offset:320
	buffer_load_dword v132, off, s[0:3], 0 offset:332
	buffer_load_dword v130, off, s[0:3], 0 offset:340
	buffer_load_dword v122, off, s[0:3], 0 offset:348
	s_waitcnt vmcnt(24) lgkmcnt(0)
	v_fma_f64 v[99:100], v[123:124], v[103:104], v[99:100]
	s_waitcnt vmcnt(19)
	v_fma_f64 v[109:110], v[109:110], v[105:106], v[99:100]
	ds_read2_b64 v[99:102], v98 offset0:81 offset1:82
	ds_read2_b64 v[103:106], v98 offset0:83 offset1:84
	s_waitcnt vmcnt(18) lgkmcnt(1)
	v_fma_f64 v[99:100], v[117:118], v[99:100], v[109:110]
	;; [unrolled: 18-line block ×3, first 2 shown]
	buffer_load_dword v111, off, s[0:3], 0 offset:32
	buffer_load_dword v112, off, s[0:3], 0 offset:36
	s_waitcnt vmcnt(19)
	v_fma_f64 v[99:100], v[125:126], v[101:102], v[99:100]
	s_waitcnt vmcnt(18) lgkmcnt(0)
	v_fma_f64 v[99:100], v[119:120], v[103:104], v[99:100]
	s_waitcnt vmcnt(13)
	v_fma_f64 v[107:108], v[107:108], v[105:106], v[99:100]
	ds_read2_b64 v[99:102], v98 offset0:89 offset1:90
	ds_read2_b64 v[103:106], v98 offset0:91 offset1:92
	s_waitcnt vmcnt(12) lgkmcnt(1)
	v_fma_f64 v[99:100], v[131:132], v[99:100], v[107:108]
	s_waitcnt vmcnt(11)
	v_fma_f64 v[99:100], v[129:130], v[101:102], v[99:100]
	s_waitcnt vmcnt(10) lgkmcnt(0)
	v_fma_f64 v[99:100], v[121:122], v[103:104], v[99:100]
	s_waitcnt vmcnt(5)
	v_fma_f64 v[103:104], v[109:110], v[105:106], v[99:100]
	ds_read2_b64 v[99:102], v98 offset0:93 offset1:94
	ds_read_b64 v[105:106], v98 offset:760
	s_waitcnt vmcnt(4) lgkmcnt(1)
	v_fma_f64 v[99:100], v[123:124], v[99:100], v[103:104]
	s_waitcnt vmcnt(3)
	v_fma_f64 v[99:100], v[117:118], v[101:102], v[99:100]
	s_waitcnt vmcnt(2) lgkmcnt(0)
	v_fma_f64 v[99:100], v[115:116], v[105:106], v[99:100]
	s_waitcnt vmcnt(0)
	v_add_f64 v[99:100], v[111:112], -v[99:100]
	buffer_store_dword v100, off, s[0:3], 0 offset:36
	buffer_store_dword v99, off, s[0:3], 0 offset:32
	s_and_saveexec_b64 s[4:5], vcc
	s_cbranch_execz .LBB111_289
; %bb.288:
	buffer_load_dword v99, off, s[0:3], 0 offset:24
	buffer_load_dword v100, off, s[0:3], 0 offset:28
	s_waitcnt vmcnt(0)
	ds_write_b64 v97, v[99:100]
	buffer_store_dword v98, off, s[0:3], 0 offset:24
	buffer_store_dword v98, off, s[0:3], 0 offset:28
.LBB111_289:
	s_or_b64 exec, exec, s[4:5]
	s_waitcnt lgkmcnt(0)
	; wave barrier
	buffer_load_dword v107, off, s[0:3], 0 offset:32
	buffer_load_dword v108, off, s[0:3], 0 offset:36
	;; [unrolled: 1-line block ×22, first 2 shown]
	ds_read_b128 v[99:102], v98 offset:416
	ds_read_b128 v[103:106], v98 offset:432
	v_cmp_lt_u32_e32 vcc, 2, v0
	s_waitcnt vmcnt(20) lgkmcnt(1)
	v_fma_f64 v[99:100], v[107:108], v[99:100], 0
	s_waitcnt vmcnt(18)
	v_fma_f64 v[99:100], v[109:110], v[101:102], v[99:100]
	buffer_load_dword v108, off, s[0:3], 0 offset:124
	buffer_load_dword v109, off, s[0:3], 0 offset:144
	;; [unrolled: 1-line block ×7, first 2 shown]
	s_waitcnt vmcnt(23) lgkmcnt(0)
	v_fma_f64 v[99:100], v[111:112], v[103:104], v[99:100]
	s_waitcnt vmcnt(21)
	v_fma_f64 v[110:111], v[113:114], v[105:106], v[99:100]
	ds_read_b128 v[99:102], v98 offset:448
	ds_read_b128 v[103:106], v98 offset:464
	s_waitcnt vmcnt(19) lgkmcnt(1)
	v_fma_f64 v[99:100], v[115:116], v[99:100], v[110:111]
	buffer_load_dword v110, off, s[0:3], 0 offset:148
	s_waitcnt vmcnt(18)
	v_fma_f64 v[99:100], v[117:118], v[101:102], v[99:100]
	buffer_load_dword v112, off, s[0:3], 0 offset:156
	buffer_load_dword v113, off, s[0:3], 0 offset:176
	;; [unrolled: 1-line block ×7, first 2 shown]
	s_waitcnt vmcnt(23) lgkmcnt(0)
	v_fma_f64 v[99:100], v[119:120], v[103:104], v[99:100]
	s_waitcnt vmcnt(18)
	v_fma_f64 v[119:120], v[121:122], v[105:106], v[99:100]
	ds_read_b128 v[99:102], v98 offset:480
	ds_read_b128 v[103:106], v98 offset:496
	buffer_load_dword v114, off, s[0:3], 0 offset:180
	s_waitcnt vmcnt(18) lgkmcnt(1)
	v_fma_f64 v[99:100], v[127:128], v[99:100], v[119:120]
	s_waitcnt vmcnt(17)
	v_fma_f64 v[99:100], v[125:126], v[101:102], v[99:100]
	buffer_load_dword v120, off, s[0:3], 0 offset:188
	buffer_load_dword v121, off, s[0:3], 0 offset:208
	;; [unrolled: 1-line block ×8, first 2 shown]
	s_waitcnt vmcnt(24) lgkmcnt(0)
	v_fma_f64 v[99:100], v[123:124], v[103:104], v[99:100]
	s_waitcnt vmcnt(19)
	v_fma_f64 v[107:108], v[107:108], v[105:106], v[99:100]
	ds_read_b128 v[99:102], v98 offset:512
	ds_read_b128 v[103:106], v98 offset:528
	s_waitcnt vmcnt(18) lgkmcnt(1)
	v_fma_f64 v[99:100], v[131:132], v[99:100], v[107:108]
	s_waitcnt vmcnt(17)
	v_fma_f64 v[99:100], v[129:130], v[101:102], v[99:100]
	buffer_load_dword v108, off, s[0:3], 0 offset:220
	buffer_load_dword v123, off, s[0:3], 0 offset:240
	;; [unrolled: 1-line block ×8, first 2 shown]
	s_waitcnt vmcnt(24) lgkmcnt(0)
	v_fma_f64 v[99:100], v[109:110], v[103:104], v[99:100]
	s_waitcnt vmcnt(19)
	v_fma_f64 v[109:110], v[111:112], v[105:106], v[99:100]
	ds_read_b128 v[99:102], v98 offset:544
	ds_read_b128 v[103:106], v98 offset:560
	s_waitcnt vmcnt(18) lgkmcnt(1)
	v_fma_f64 v[99:100], v[117:118], v[99:100], v[109:110]
	s_waitcnt vmcnt(17)
	v_fma_f64 v[99:100], v[115:116], v[101:102], v[99:100]
	buffer_load_dword v110, off, s[0:3], 0 offset:252
	buffer_load_dword v111, off, s[0:3], 0 offset:272
	;; [unrolled: 1-line block ×7, first 2 shown]
	s_waitcnt vmcnt(23) lgkmcnt(0)
	v_fma_f64 v[99:100], v[113:114], v[103:104], v[99:100]
	s_waitcnt vmcnt(18)
	v_fma_f64 v[112:113], v[119:120], v[105:106], v[99:100]
	ds_read_b128 v[99:102], v98 offset:576
	ds_read_b128 v[103:106], v98 offset:592
	s_waitcnt vmcnt(17) lgkmcnt(1)
	v_fma_f64 v[99:100], v[127:128], v[99:100], v[112:113]
	buffer_load_dword v112, off, s[0:3], 0 offset:276
	s_waitcnt vmcnt(17)
	v_fma_f64 v[99:100], v[125:126], v[101:102], v[99:100]
	buffer_load_dword v114, off, s[0:3], 0 offset:284
	buffer_load_dword v119, off, s[0:3], 0 offset:304
	buffer_load_dword v125, off, s[0:3], 0 offset:296
	buffer_load_dword v127, off, s[0:3], 0 offset:288
	buffer_load_dword v113, off, s[0:3], 0 offset:280
	buffer_load_dword v128, off, s[0:3], 0 offset:292
	buffer_load_dword v126, off, s[0:3], 0 offset:300
	buffer_load_dword v120, off, s[0:3], 0 offset:308
	s_waitcnt vmcnt(24) lgkmcnt(0)
	v_fma_f64 v[99:100], v[121:122], v[103:104], v[99:100]
	s_waitcnt vmcnt(19)
	v_fma_f64 v[107:108], v[107:108], v[105:106], v[99:100]
	ds_read_b128 v[99:102], v98 offset:608
	ds_read_b128 v[103:106], v98 offset:624
	s_waitcnt vmcnt(18) lgkmcnt(1)
	v_fma_f64 v[99:100], v[131:132], v[99:100], v[107:108]
	s_waitcnt vmcnt(17)
	v_fma_f64 v[99:100], v[129:130], v[101:102], v[99:100]
	buffer_load_dword v108, off, s[0:3], 0 offset:316
	buffer_load_dword v121, off, s[0:3], 0 offset:336
	buffer_load_dword v129, off, s[0:3], 0 offset:328
	buffer_load_dword v131, off, s[0:3], 0 offset:320
	buffer_load_dword v107, off, s[0:3], 0 offset:312
	buffer_load_dword v132, off, s[0:3], 0 offset:324
	buffer_load_dword v130, off, s[0:3], 0 offset:332
	buffer_load_dword v122, off, s[0:3], 0 offset:340
	s_waitcnt vmcnt(24) lgkmcnt(0)
	v_fma_f64 v[99:100], v[123:124], v[103:104], v[99:100]
	s_waitcnt vmcnt(19)
	v_fma_f64 v[109:110], v[109:110], v[105:106], v[99:100]
	ds_read_b128 v[99:102], v98 offset:640
	ds_read_b128 v[103:106], v98 offset:656
	s_waitcnt vmcnt(18) lgkmcnt(1)
	v_fma_f64 v[99:100], v[117:118], v[99:100], v[109:110]
	;; [unrolled: 18-line block ×3, first 2 shown]
	buffer_load_dword v112, off, s[0:3], 0 offset:380
	buffer_load_dword v111, off, s[0:3], 0 offset:376
	;; [unrolled: 1-line block ×4, first 2 shown]
	s_waitcnt vmcnt(21)
	v_fma_f64 v[99:100], v[125:126], v[101:102], v[99:100]
	s_waitcnt vmcnt(20) lgkmcnt(0)
	v_fma_f64 v[99:100], v[119:120], v[103:104], v[99:100]
	s_waitcnt vmcnt(15)
	v_fma_f64 v[107:108], v[107:108], v[105:106], v[99:100]
	ds_read_b128 v[99:102], v98 offset:704
	ds_read_b128 v[103:106], v98 offset:720
	s_waitcnt vmcnt(14) lgkmcnt(1)
	v_fma_f64 v[99:100], v[131:132], v[99:100], v[107:108]
	s_waitcnt vmcnt(13)
	v_fma_f64 v[99:100], v[129:130], v[101:102], v[99:100]
	s_waitcnt vmcnt(12) lgkmcnt(0)
	v_fma_f64 v[99:100], v[121:122], v[103:104], v[99:100]
	s_waitcnt vmcnt(7)
	v_fma_f64 v[107:108], v[109:110], v[105:106], v[99:100]
	ds_read_b128 v[99:102], v98 offset:736
	ds_read_b128 v[103:106], v98 offset:752
	s_waitcnt vmcnt(6) lgkmcnt(1)
	v_fma_f64 v[98:99], v[123:124], v[99:100], v[107:108]
	s_waitcnt vmcnt(5)
	v_fma_f64 v[98:99], v[117:118], v[101:102], v[98:99]
	s_waitcnt vmcnt(4) lgkmcnt(0)
	v_fma_f64 v[98:99], v[115:116], v[103:104], v[98:99]
	s_waitcnt vmcnt(2)
	v_fma_f64 v[98:99], v[111:112], v[105:106], v[98:99]
	s_waitcnt vmcnt(0)
	v_add_f64 v[98:99], v[113:114], -v[98:99]
	buffer_store_dword v99, off, s[0:3], 0 offset:28
	buffer_store_dword v98, off, s[0:3], 0 offset:24
	s_and_saveexec_b64 s[4:5], vcc
	s_cbranch_execz .LBB111_291
; %bb.290:
	buffer_load_dword v98, off, s[0:3], 0 offset:16
	buffer_load_dword v99, off, s[0:3], 0 offset:20
	v_mov_b32_e32 v100, 0
	buffer_store_dword v100, off, s[0:3], 0 offset:16
	buffer_store_dword v100, off, s[0:3], 0 offset:20
	s_waitcnt vmcnt(2)
	ds_write_b64 v97, v[98:99]
.LBB111_291:
	s_or_b64 exec, exec, s[4:5]
	s_waitcnt lgkmcnt(0)
	; wave barrier
	buffer_load_dword v107, off, s[0:3], 0 offset:24
	buffer_load_dword v108, off, s[0:3], 0 offset:28
	;; [unrolled: 1-line block ×21, first 2 shown]
	v_mov_b32_e32 v98, 0
	ds_read2_b64 v[99:102], v98 offset0:51 offset1:52
	ds_read2_b64 v[103:106], v98 offset0:53 offset1:54
	buffer_load_dword v124, off, s[0:3], 0 offset:108
	v_cmp_lt_u32_e32 vcc, 1, v0
	s_waitcnt vmcnt(20) lgkmcnt(1)
	v_fma_f64 v[99:100], v[107:108], v[99:100], 0
	s_waitcnt vmcnt(18)
	v_fma_f64 v[99:100], v[109:110], v[101:102], v[99:100]
	buffer_load_dword v108, off, s[0:3], 0 offset:116
	buffer_load_dword v109, off, s[0:3], 0 offset:136
	;; [unrolled: 1-line block ×7, first 2 shown]
	s_waitcnt vmcnt(23) lgkmcnt(0)
	v_fma_f64 v[99:100], v[111:112], v[103:104], v[99:100]
	s_waitcnt vmcnt(21)
	v_fma_f64 v[110:111], v[113:114], v[105:106], v[99:100]
	ds_read2_b64 v[99:102], v98 offset0:55 offset1:56
	ds_read2_b64 v[103:106], v98 offset0:57 offset1:58
	s_waitcnt vmcnt(19) lgkmcnt(1)
	v_fma_f64 v[99:100], v[115:116], v[99:100], v[110:111]
	buffer_load_dword v110, off, s[0:3], 0 offset:140
	s_waitcnt vmcnt(18)
	v_fma_f64 v[99:100], v[117:118], v[101:102], v[99:100]
	buffer_load_dword v112, off, s[0:3], 0 offset:148
	buffer_load_dword v113, off, s[0:3], 0 offset:168
	;; [unrolled: 1-line block ×7, first 2 shown]
	s_waitcnt vmcnt(23) lgkmcnt(0)
	v_fma_f64 v[99:100], v[119:120], v[103:104], v[99:100]
	s_waitcnt vmcnt(18)
	v_fma_f64 v[119:120], v[121:122], v[105:106], v[99:100]
	ds_read2_b64 v[99:102], v98 offset0:59 offset1:60
	ds_read2_b64 v[103:106], v98 offset0:61 offset1:62
	buffer_load_dword v114, off, s[0:3], 0 offset:172
	s_waitcnt vmcnt(18) lgkmcnt(1)
	v_fma_f64 v[99:100], v[127:128], v[99:100], v[119:120]
	s_waitcnt vmcnt(17)
	v_fma_f64 v[99:100], v[125:126], v[101:102], v[99:100]
	buffer_load_dword v120, off, s[0:3], 0 offset:180
	buffer_load_dword v121, off, s[0:3], 0 offset:200
	;; [unrolled: 1-line block ×7, first 2 shown]
	s_waitcnt vmcnt(23) lgkmcnt(0)
	v_fma_f64 v[99:100], v[123:124], v[103:104], v[99:100]
	s_waitcnt vmcnt(18)
	v_fma_f64 v[107:108], v[107:108], v[105:106], v[99:100]
	ds_read2_b64 v[99:102], v98 offset0:63 offset1:64
	ds_read2_b64 v[103:106], v98 offset0:65 offset1:66
	buffer_load_dword v122, off, s[0:3], 0 offset:204
	s_waitcnt vmcnt(18) lgkmcnt(1)
	v_fma_f64 v[99:100], v[131:132], v[99:100], v[107:108]
	s_waitcnt vmcnt(17)
	v_fma_f64 v[99:100], v[129:130], v[101:102], v[99:100]
	buffer_load_dword v108, off, s[0:3], 0 offset:212
	buffer_load_dword v123, off, s[0:3], 0 offset:232
	;; [unrolled: 1-line block ×8, first 2 shown]
	s_waitcnt vmcnt(24) lgkmcnt(0)
	v_fma_f64 v[99:100], v[109:110], v[103:104], v[99:100]
	s_waitcnt vmcnt(19)
	v_fma_f64 v[109:110], v[111:112], v[105:106], v[99:100]
	ds_read2_b64 v[99:102], v98 offset0:67 offset1:68
	ds_read2_b64 v[103:106], v98 offset0:69 offset1:70
	s_waitcnt vmcnt(18) lgkmcnt(1)
	v_fma_f64 v[99:100], v[117:118], v[99:100], v[109:110]
	s_waitcnt vmcnt(17)
	v_fma_f64 v[99:100], v[115:116], v[101:102], v[99:100]
	buffer_load_dword v110, off, s[0:3], 0 offset:244
	buffer_load_dword v111, off, s[0:3], 0 offset:264
	;; [unrolled: 1-line block ×7, first 2 shown]
	s_waitcnt vmcnt(23) lgkmcnt(0)
	v_fma_f64 v[99:100], v[113:114], v[103:104], v[99:100]
	s_waitcnt vmcnt(18)
	v_fma_f64 v[112:113], v[119:120], v[105:106], v[99:100]
	ds_read2_b64 v[99:102], v98 offset0:71 offset1:72
	ds_read2_b64 v[103:106], v98 offset0:73 offset1:74
	s_waitcnt vmcnt(17) lgkmcnt(1)
	v_fma_f64 v[99:100], v[127:128], v[99:100], v[112:113]
	buffer_load_dword v112, off, s[0:3], 0 offset:268
	s_waitcnt vmcnt(17)
	v_fma_f64 v[99:100], v[125:126], v[101:102], v[99:100]
	buffer_load_dword v114, off, s[0:3], 0 offset:276
	buffer_load_dword v119, off, s[0:3], 0 offset:296
	;; [unrolled: 1-line block ×7, first 2 shown]
	s_waitcnt vmcnt(23) lgkmcnt(0)
	v_fma_f64 v[99:100], v[121:122], v[103:104], v[99:100]
	s_waitcnt vmcnt(18)
	v_fma_f64 v[107:108], v[107:108], v[105:106], v[99:100]
	ds_read2_b64 v[99:102], v98 offset0:75 offset1:76
	ds_read2_b64 v[103:106], v98 offset0:77 offset1:78
	buffer_load_dword v120, off, s[0:3], 0 offset:300
	s_waitcnt vmcnt(18) lgkmcnt(1)
	v_fma_f64 v[99:100], v[131:132], v[99:100], v[107:108]
	s_waitcnt vmcnt(17)
	v_fma_f64 v[99:100], v[129:130], v[101:102], v[99:100]
	buffer_load_dword v108, off, s[0:3], 0 offset:308
	buffer_load_dword v121, off, s[0:3], 0 offset:328
	;; [unrolled: 1-line block ×8, first 2 shown]
	s_waitcnt vmcnt(24) lgkmcnt(0)
	v_fma_f64 v[99:100], v[123:124], v[103:104], v[99:100]
	s_waitcnt vmcnt(19)
	v_fma_f64 v[109:110], v[109:110], v[105:106], v[99:100]
	ds_read2_b64 v[99:102], v98 offset0:79 offset1:80
	ds_read2_b64 v[103:106], v98 offset0:81 offset1:82
	s_waitcnt vmcnt(18) lgkmcnt(1)
	v_fma_f64 v[99:100], v[117:118], v[99:100], v[109:110]
	s_waitcnt vmcnt(17)
	v_fma_f64 v[99:100], v[115:116], v[101:102], v[99:100]
	buffer_load_dword v110, off, s[0:3], 0 offset:340
	buffer_load_dword v115, off, s[0:3], 0 offset:360
	buffer_load_dword v117, off, s[0:3], 0 offset:352
	buffer_load_dword v123, off, s[0:3], 0 offset:344
	buffer_load_dword v109, off, s[0:3], 0 offset:336
	buffer_load_dword v124, off, s[0:3], 0 offset:348
	buffer_load_dword v118, off, s[0:3], 0 offset:356
	s_waitcnt vmcnt(23) lgkmcnt(0)
	v_fma_f64 v[99:100], v[111:112], v[103:104], v[99:100]
	s_waitcnt vmcnt(18)
	v_fma_f64 v[111:112], v[113:114], v[105:106], v[99:100]
	ds_read2_b64 v[99:102], v98 offset0:83 offset1:84
	ds_read2_b64 v[103:106], v98 offset0:85 offset1:86
	buffer_load_dword v116, off, s[0:3], 0 offset:364
	s_waitcnt vmcnt(18) lgkmcnt(1)
	v_fma_f64 v[99:100], v[127:128], v[99:100], v[111:112]
	buffer_load_dword v112, off, s[0:3], 0 offset:372
	buffer_load_dword v113, off, s[0:3], 0 offset:376
	;; [unrolled: 1-line block ×4, first 2 shown]
	s_waitcnt vmcnt(21)
	v_fma_f64 v[99:100], v[125:126], v[101:102], v[99:100]
	s_waitcnt vmcnt(20) lgkmcnt(0)
	v_fma_f64 v[99:100], v[119:120], v[103:104], v[99:100]
	buffer_load_dword v119, off, s[0:3], 0 offset:16
	buffer_load_dword v120, off, s[0:3], 0 offset:20
	s_waitcnt vmcnt(17)
	v_fma_f64 v[107:108], v[107:108], v[105:106], v[99:100]
	ds_read2_b64 v[99:102], v98 offset0:87 offset1:88
	ds_read2_b64 v[103:106], v98 offset0:89 offset1:90
	s_waitcnt vmcnt(16) lgkmcnt(1)
	v_fma_f64 v[99:100], v[131:132], v[99:100], v[107:108]
	s_waitcnt vmcnt(15)
	v_fma_f64 v[99:100], v[129:130], v[101:102], v[99:100]
	s_waitcnt vmcnt(14) lgkmcnt(0)
	v_fma_f64 v[99:100], v[121:122], v[103:104], v[99:100]
	s_waitcnt vmcnt(9)
	v_fma_f64 v[107:108], v[109:110], v[105:106], v[99:100]
	ds_read2_b64 v[99:102], v98 offset0:91 offset1:92
	ds_read2_b64 v[103:106], v98 offset0:93 offset1:94
	s_waitcnt vmcnt(8) lgkmcnt(1)
	v_fma_f64 v[99:100], v[123:124], v[99:100], v[107:108]
	s_waitcnt vmcnt(7)
	v_fma_f64 v[99:100], v[117:118], v[101:102], v[99:100]
	ds_read_b64 v[101:102], v98 offset:760
	s_waitcnt vmcnt(6) lgkmcnt(1)
	v_fma_f64 v[99:100], v[115:116], v[103:104], v[99:100]
	s_waitcnt vmcnt(3)
	v_fma_f64 v[99:100], v[111:112], v[105:106], v[99:100]
	s_waitcnt vmcnt(2) lgkmcnt(0)
	v_fma_f64 v[99:100], v[113:114], v[101:102], v[99:100]
	s_waitcnt vmcnt(0)
	v_add_f64 v[99:100], v[119:120], -v[99:100]
	buffer_store_dword v100, off, s[0:3], 0 offset:20
	buffer_store_dword v99, off, s[0:3], 0 offset:16
	s_and_saveexec_b64 s[4:5], vcc
	s_cbranch_execz .LBB111_293
; %bb.292:
	buffer_load_dword v99, off, s[0:3], 0 offset:8
	buffer_load_dword v100, off, s[0:3], 0 offset:12
	s_waitcnt vmcnt(0)
	ds_write_b64 v97, v[99:100]
	buffer_store_dword v98, off, s[0:3], 0 offset:8
	buffer_store_dword v98, off, s[0:3], 0 offset:12
.LBB111_293:
	s_or_b64 exec, exec, s[4:5]
	s_waitcnt lgkmcnt(0)
	; wave barrier
	buffer_load_dword v107, off, s[0:3], 0 offset:16
	buffer_load_dword v108, off, s[0:3], 0 offset:20
	;; [unrolled: 1-line block ×21, first 2 shown]
	ds_read_b128 v[99:102], v98 offset:400
	ds_read_b128 v[103:106], v98 offset:416
	buffer_load_dword v124, off, s[0:3], 0 offset:100
	v_cmp_ne_u32_e32 vcc, 0, v0
	s_waitcnt vmcnt(20) lgkmcnt(1)
	v_fma_f64 v[99:100], v[107:108], v[99:100], 0
	s_waitcnt vmcnt(18)
	v_fma_f64 v[99:100], v[109:110], v[101:102], v[99:100]
	buffer_load_dword v108, off, s[0:3], 0 offset:108
	buffer_load_dword v109, off, s[0:3], 0 offset:128
	;; [unrolled: 1-line block ×7, first 2 shown]
	s_waitcnt vmcnt(23) lgkmcnt(0)
	v_fma_f64 v[99:100], v[111:112], v[103:104], v[99:100]
	s_waitcnt vmcnt(21)
	v_fma_f64 v[110:111], v[113:114], v[105:106], v[99:100]
	ds_read_b128 v[99:102], v98 offset:432
	ds_read_b128 v[103:106], v98 offset:448
	s_waitcnt vmcnt(19) lgkmcnt(1)
	v_fma_f64 v[99:100], v[115:116], v[99:100], v[110:111]
	buffer_load_dword v110, off, s[0:3], 0 offset:132
	s_waitcnt vmcnt(18)
	v_fma_f64 v[99:100], v[117:118], v[101:102], v[99:100]
	buffer_load_dword v112, off, s[0:3], 0 offset:140
	buffer_load_dword v113, off, s[0:3], 0 offset:160
	;; [unrolled: 1-line block ×8, first 2 shown]
	s_waitcnt vmcnt(24) lgkmcnt(0)
	v_fma_f64 v[99:100], v[119:120], v[103:104], v[99:100]
	s_waitcnt vmcnt(19)
	v_fma_f64 v[119:120], v[121:122], v[105:106], v[99:100]
	ds_read_b128 v[99:102], v98 offset:464
	ds_read_b128 v[103:106], v98 offset:480
	s_waitcnt vmcnt(18) lgkmcnt(1)
	v_fma_f64 v[99:100], v[127:128], v[99:100], v[119:120]
	s_waitcnt vmcnt(17)
	v_fma_f64 v[99:100], v[125:126], v[101:102], v[99:100]
	buffer_load_dword v120, off, s[0:3], 0 offset:172
	buffer_load_dword v121, off, s[0:3], 0 offset:192
	;; [unrolled: 1-line block ×7, first 2 shown]
	s_waitcnt vmcnt(23) lgkmcnt(0)
	v_fma_f64 v[99:100], v[123:124], v[103:104], v[99:100]
	s_waitcnt vmcnt(18)
	v_fma_f64 v[107:108], v[107:108], v[105:106], v[99:100]
	ds_read_b128 v[99:102], v98 offset:496
	ds_read_b128 v[103:106], v98 offset:512
	buffer_load_dword v122, off, s[0:3], 0 offset:196
	s_waitcnt vmcnt(18) lgkmcnt(1)
	v_fma_f64 v[99:100], v[131:132], v[99:100], v[107:108]
	s_waitcnt vmcnt(17)
	v_fma_f64 v[99:100], v[129:130], v[101:102], v[99:100]
	buffer_load_dword v108, off, s[0:3], 0 offset:204
	buffer_load_dword v123, off, s[0:3], 0 offset:224
	buffer_load_dword v129, off, s[0:3], 0 offset:216
	buffer_load_dword v131, off, s[0:3], 0 offset:208
	buffer_load_dword v107, off, s[0:3], 0 offset:200
	buffer_load_dword v132, off, s[0:3], 0 offset:212
	buffer_load_dword v130, off, s[0:3], 0 offset:220
	buffer_load_dword v124, off, s[0:3], 0 offset:228
	s_waitcnt vmcnt(24) lgkmcnt(0)
	v_fma_f64 v[99:100], v[109:110], v[103:104], v[99:100]
	s_waitcnt vmcnt(19)
	v_fma_f64 v[109:110], v[111:112], v[105:106], v[99:100]
	ds_read_b128 v[99:102], v98 offset:528
	ds_read_b128 v[103:106], v98 offset:544
	s_waitcnt vmcnt(18) lgkmcnt(1)
	v_fma_f64 v[99:100], v[117:118], v[99:100], v[109:110]
	s_waitcnt vmcnt(17)
	v_fma_f64 v[99:100], v[115:116], v[101:102], v[99:100]
	buffer_load_dword v110, off, s[0:3], 0 offset:236
	buffer_load_dword v111, off, s[0:3], 0 offset:256
	;; [unrolled: 1-line block ×7, first 2 shown]
	s_waitcnt vmcnt(23) lgkmcnt(0)
	v_fma_f64 v[99:100], v[113:114], v[103:104], v[99:100]
	s_waitcnt vmcnt(18)
	v_fma_f64 v[112:113], v[119:120], v[105:106], v[99:100]
	ds_read_b128 v[99:102], v98 offset:560
	ds_read_b128 v[103:106], v98 offset:576
	s_waitcnt vmcnt(17) lgkmcnt(1)
	v_fma_f64 v[99:100], v[127:128], v[99:100], v[112:113]
	buffer_load_dword v112, off, s[0:3], 0 offset:260
	s_waitcnt vmcnt(17)
	v_fma_f64 v[99:100], v[125:126], v[101:102], v[99:100]
	buffer_load_dword v114, off, s[0:3], 0 offset:268
	buffer_load_dword v119, off, s[0:3], 0 offset:288
	;; [unrolled: 1-line block ×7, first 2 shown]
	s_waitcnt vmcnt(23) lgkmcnt(0)
	v_fma_f64 v[99:100], v[121:122], v[103:104], v[99:100]
	s_waitcnt vmcnt(18)
	v_fma_f64 v[107:108], v[107:108], v[105:106], v[99:100]
	ds_read_b128 v[99:102], v98 offset:592
	ds_read_b128 v[103:106], v98 offset:608
	buffer_load_dword v120, off, s[0:3], 0 offset:292
	s_waitcnt vmcnt(18) lgkmcnt(1)
	v_fma_f64 v[99:100], v[131:132], v[99:100], v[107:108]
	s_waitcnt vmcnt(17)
	v_fma_f64 v[99:100], v[129:130], v[101:102], v[99:100]
	buffer_load_dword v108, off, s[0:3], 0 offset:300
	buffer_load_dword v121, off, s[0:3], 0 offset:320
	;; [unrolled: 1-line block ×8, first 2 shown]
	s_waitcnt vmcnt(24) lgkmcnt(0)
	v_fma_f64 v[99:100], v[123:124], v[103:104], v[99:100]
	s_waitcnt vmcnt(19)
	v_fma_f64 v[109:110], v[109:110], v[105:106], v[99:100]
	ds_read_b128 v[99:102], v98 offset:624
	ds_read_b128 v[103:106], v98 offset:640
	s_waitcnt vmcnt(18) lgkmcnt(1)
	v_fma_f64 v[99:100], v[117:118], v[99:100], v[109:110]
	s_waitcnt vmcnt(17)
	v_fma_f64 v[99:100], v[115:116], v[101:102], v[99:100]
	buffer_load_dword v110, off, s[0:3], 0 offset:332
	buffer_load_dword v115, off, s[0:3], 0 offset:352
	;; [unrolled: 1-line block ×8, first 2 shown]
	s_waitcnt vmcnt(24) lgkmcnt(0)
	v_fma_f64 v[99:100], v[111:112], v[103:104], v[99:100]
	s_waitcnt vmcnt(19)
	v_fma_f64 v[111:112], v[113:114], v[105:106], v[99:100]
	ds_read_b128 v[99:102], v98 offset:656
	ds_read_b128 v[103:106], v98 offset:672
	s_waitcnt vmcnt(18) lgkmcnt(1)
	v_fma_f64 v[99:100], v[127:128], v[99:100], v[111:112]
	s_waitcnt vmcnt(17)
	v_fma_f64 v[99:100], v[125:126], v[101:102], v[99:100]
	buffer_load_dword v112, off, s[0:3], 0 offset:364
	buffer_load_dword v113, off, s[0:3], 0 offset:376
	;; [unrolled: 1-line block ×6, first 2 shown]
	s_waitcnt vmcnt(22) lgkmcnt(0)
	v_fma_f64 v[99:100], v[119:120], v[103:104], v[99:100]
	s_waitcnt vmcnt(17)
	v_fma_f64 v[107:108], v[107:108], v[105:106], v[99:100]
	ds_read_b128 v[99:102], v98 offset:688
	buffer_load_dword v119, off, s[0:3], 0 offset:8
	buffer_load_dword v120, off, s[0:3], 0 offset:12
	ds_read_b128 v[103:106], v98 offset:704
	s_waitcnt vmcnt(18) lgkmcnt(1)
	v_fma_f64 v[99:100], v[131:132], v[99:100], v[107:108]
	s_waitcnt vmcnt(17)
	v_fma_f64 v[99:100], v[129:130], v[101:102], v[99:100]
	s_waitcnt vmcnt(16) lgkmcnt(0)
	v_fma_f64 v[99:100], v[121:122], v[103:104], v[99:100]
	s_waitcnt vmcnt(11)
	v_fma_f64 v[107:108], v[109:110], v[105:106], v[99:100]
	ds_read_b128 v[99:102], v98 offset:720
	ds_read_b128 v[103:106], v98 offset:736
	s_waitcnt vmcnt(10) lgkmcnt(1)
	v_fma_f64 v[99:100], v[123:124], v[99:100], v[107:108]
	s_waitcnt vmcnt(9)
	v_fma_f64 v[99:100], v[117:118], v[101:102], v[99:100]
	s_waitcnt vmcnt(8) lgkmcnt(0)
	v_fma_f64 v[99:100], v[115:116], v[103:104], v[99:100]
	s_waitcnt vmcnt(4)
	v_fma_f64 v[102:103], v[111:112], v[105:106], v[99:100]
	ds_read_b128 v[98:101], v98 offset:752
	s_waitcnt vmcnt(3) lgkmcnt(0)
	v_fma_f64 v[98:99], v[125:126], v[98:99], v[102:103]
	s_waitcnt vmcnt(2)
	v_fma_f64 v[98:99], v[113:114], v[100:101], v[98:99]
	s_waitcnt vmcnt(0)
	v_add_f64 v[98:99], v[119:120], -v[98:99]
	buffer_store_dword v99, off, s[0:3], 0 offset:12
	buffer_store_dword v98, off, s[0:3], 0 offset:8
	s_and_saveexec_b64 s[4:5], vcc
	s_cbranch_execz .LBB111_295
; %bb.294:
	buffer_load_dword v98, off, s[0:3], 0
	buffer_load_dword v99, off, s[0:3], 0 offset:4
	v_mov_b32_e32 v0, 0
	buffer_store_dword v0, off, s[0:3], 0
	buffer_store_dword v0, off, s[0:3], 0 offset:4
	s_waitcnt vmcnt(2)
	ds_write_b64 v97, v[98:99]
.LBB111_295:
	s_or_b64 exec, exec, s[4:5]
	s_waitcnt lgkmcnt(0)
	; wave barrier
	buffer_load_dword v105, off, s[0:3], 0 offset:8
	buffer_load_dword v106, off, s[0:3], 0 offset:12
	;; [unrolled: 1-line block ×21, first 2 shown]
	v_mov_b32_e32 v0, 0
	ds_read2_b64 v[97:100], v0 offset0:49 offset1:50
	ds_read2_b64 v[101:104], v0 offset0:51 offset1:52
	buffer_load_dword v122, off, s[0:3], 0 offset:92
	s_and_b64 vcc, exec, s[14:15]
	s_waitcnt vmcnt(20) lgkmcnt(1)
	v_fma_f64 v[97:98], v[105:106], v[97:98], 0
	s_waitcnt vmcnt(18)
	v_fma_f64 v[97:98], v[107:108], v[99:100], v[97:98]
	buffer_load_dword v106, off, s[0:3], 0 offset:100
	buffer_load_dword v107, off, s[0:3], 0 offset:120
	;; [unrolled: 1-line block ×7, first 2 shown]
	s_waitcnt vmcnt(23) lgkmcnt(0)
	v_fma_f64 v[97:98], v[109:110], v[101:102], v[97:98]
	s_waitcnt vmcnt(21)
	v_fma_f64 v[108:109], v[111:112], v[103:104], v[97:98]
	ds_read2_b64 v[97:100], v0 offset0:53 offset1:54
	ds_read2_b64 v[101:104], v0 offset0:55 offset1:56
	s_waitcnt vmcnt(19) lgkmcnt(1)
	v_fma_f64 v[97:98], v[113:114], v[97:98], v[108:109]
	buffer_load_dword v108, off, s[0:3], 0 offset:124
	s_waitcnt vmcnt(18)
	v_fma_f64 v[97:98], v[115:116], v[99:100], v[97:98]
	buffer_load_dword v110, off, s[0:3], 0 offset:132
	buffer_load_dword v111, off, s[0:3], 0 offset:152
	;; [unrolled: 1-line block ×8, first 2 shown]
	s_waitcnt vmcnt(24) lgkmcnt(0)
	v_fma_f64 v[97:98], v[117:118], v[101:102], v[97:98]
	s_waitcnt vmcnt(19)
	v_fma_f64 v[117:118], v[119:120], v[103:104], v[97:98]
	ds_read2_b64 v[97:100], v0 offset0:57 offset1:58
	ds_read2_b64 v[101:104], v0 offset0:59 offset1:60
	s_waitcnt vmcnt(18) lgkmcnt(1)
	v_fma_f64 v[97:98], v[125:126], v[97:98], v[117:118]
	s_waitcnt vmcnt(17)
	v_fma_f64 v[97:98], v[123:124], v[99:100], v[97:98]
	buffer_load_dword v118, off, s[0:3], 0 offset:164
	buffer_load_dword v119, off, s[0:3], 0 offset:184
	;; [unrolled: 1-line block ×7, first 2 shown]
	s_waitcnt vmcnt(23) lgkmcnt(0)
	v_fma_f64 v[97:98], v[121:122], v[101:102], v[97:98]
	s_waitcnt vmcnt(18)
	v_fma_f64 v[105:106], v[105:106], v[103:104], v[97:98]
	ds_read2_b64 v[97:100], v0 offset0:61 offset1:62
	ds_read2_b64 v[101:104], v0 offset0:63 offset1:64
	buffer_load_dword v120, off, s[0:3], 0 offset:188
	s_waitcnt vmcnt(18) lgkmcnt(1)
	v_fma_f64 v[97:98], v[129:130], v[97:98], v[105:106]
	s_waitcnt vmcnt(17)
	v_fma_f64 v[97:98], v[127:128], v[99:100], v[97:98]
	buffer_load_dword v106, off, s[0:3], 0 offset:196
	buffer_load_dword v121, off, s[0:3], 0 offset:216
	;; [unrolled: 1-line block ×8, first 2 shown]
	s_waitcnt vmcnt(24) lgkmcnt(0)
	v_fma_f64 v[97:98], v[107:108], v[101:102], v[97:98]
	s_waitcnt vmcnt(19)
	v_fma_f64 v[107:108], v[109:110], v[103:104], v[97:98]
	ds_read2_b64 v[97:100], v0 offset0:65 offset1:66
	ds_read2_b64 v[101:104], v0 offset0:67 offset1:68
	s_waitcnt vmcnt(18) lgkmcnt(1)
	v_fma_f64 v[97:98], v[115:116], v[97:98], v[107:108]
	s_waitcnt vmcnt(17)
	v_fma_f64 v[97:98], v[113:114], v[99:100], v[97:98]
	buffer_load_dword v108, off, s[0:3], 0 offset:228
	buffer_load_dword v109, off, s[0:3], 0 offset:248
	;; [unrolled: 1-line block ×7, first 2 shown]
	s_waitcnt vmcnt(23) lgkmcnt(0)
	v_fma_f64 v[97:98], v[111:112], v[101:102], v[97:98]
	s_waitcnt vmcnt(18)
	v_fma_f64 v[110:111], v[117:118], v[103:104], v[97:98]
	ds_read2_b64 v[97:100], v0 offset0:69 offset1:70
	ds_read2_b64 v[101:104], v0 offset0:71 offset1:72
	s_waitcnt vmcnt(17) lgkmcnt(1)
	v_fma_f64 v[97:98], v[125:126], v[97:98], v[110:111]
	buffer_load_dword v110, off, s[0:3], 0 offset:252
	s_waitcnt vmcnt(17)
	v_fma_f64 v[97:98], v[123:124], v[99:100], v[97:98]
	buffer_load_dword v112, off, s[0:3], 0 offset:260
	buffer_load_dword v117, off, s[0:3], 0 offset:280
	;; [unrolled: 1-line block ×7, first 2 shown]
	s_waitcnt vmcnt(23) lgkmcnt(0)
	v_fma_f64 v[97:98], v[119:120], v[101:102], v[97:98]
	s_waitcnt vmcnt(18)
	v_fma_f64 v[105:106], v[105:106], v[103:104], v[97:98]
	ds_read2_b64 v[97:100], v0 offset0:73 offset1:74
	ds_read2_b64 v[101:104], v0 offset0:75 offset1:76
	buffer_load_dword v118, off, s[0:3], 0 offset:284
	s_waitcnt vmcnt(18) lgkmcnt(1)
	v_fma_f64 v[97:98], v[129:130], v[97:98], v[105:106]
	s_waitcnt vmcnt(17)
	v_fma_f64 v[97:98], v[127:128], v[99:100], v[97:98]
	buffer_load_dword v106, off, s[0:3], 0 offset:292
	buffer_load_dword v119, off, s[0:3], 0 offset:312
	;; [unrolled: 1-line block ×8, first 2 shown]
	s_waitcnt vmcnt(24) lgkmcnt(0)
	v_fma_f64 v[97:98], v[121:122], v[101:102], v[97:98]
	s_waitcnt vmcnt(19)
	v_fma_f64 v[107:108], v[107:108], v[103:104], v[97:98]
	ds_read2_b64 v[97:100], v0 offset0:77 offset1:78
	ds_read2_b64 v[101:104], v0 offset0:79 offset1:80
	s_waitcnt vmcnt(18) lgkmcnt(1)
	v_fma_f64 v[97:98], v[115:116], v[97:98], v[107:108]
	s_waitcnt vmcnt(17)
	v_fma_f64 v[97:98], v[113:114], v[99:100], v[97:98]
	buffer_load_dword v108, off, s[0:3], 0 offset:324
	buffer_load_dword v113, off, s[0:3], 0 offset:344
	;; [unrolled: 1-line block ×8, first 2 shown]
	s_waitcnt vmcnt(24) lgkmcnt(0)
	v_fma_f64 v[97:98], v[109:110], v[101:102], v[97:98]
	s_waitcnt vmcnt(19)
	v_fma_f64 v[109:110], v[111:112], v[103:104], v[97:98]
	ds_read2_b64 v[97:100], v0 offset0:81 offset1:82
	ds_read2_b64 v[101:104], v0 offset0:83 offset1:84
	s_waitcnt vmcnt(18) lgkmcnt(1)
	v_fma_f64 v[97:98], v[125:126], v[97:98], v[109:110]
	s_waitcnt vmcnt(17)
	v_fma_f64 v[98:99], v[123:124], v[99:100], v[97:98]
	buffer_load_dword v110, off, s[0:3], 0 offset:356
	buffer_load_dword v111, off, s[0:3], 0 offset:376
	;; [unrolled: 1-line block ×5, first 2 shown]
	s_waitcnt vmcnt(21) lgkmcnt(0)
	v_fma_f64 v[99:100], v[117:118], v[101:102], v[98:99]
	buffer_load_dword v124, off, s[0:3], 0 offset:364
	buffer_load_dword v98, off, s[0:3], 0 offset:372
	;; [unrolled: 1-line block ×3, first 2 shown]
	s_waitcnt vmcnt(19)
	v_fma_f64 v[117:118], v[105:106], v[103:104], v[99:100]
	ds_read2_b64 v[99:102], v0 offset0:85 offset1:86
	ds_read2_b64 v[103:106], v0 offset0:87 offset1:88
	s_waitcnt vmcnt(18) lgkmcnt(1)
	v_fma_f64 v[99:100], v[129:130], v[99:100], v[117:118]
	buffer_load_dword v117, off, s[0:3], 0
	buffer_load_dword v118, off, s[0:3], 0 offset:4
	s_waitcnt vmcnt(19)
	v_fma_f64 v[99:100], v[127:128], v[101:102], v[99:100]
	s_waitcnt vmcnt(18) lgkmcnt(0)
	v_fma_f64 v[99:100], v[119:120], v[103:104], v[99:100]
	s_waitcnt vmcnt(13)
	v_fma_f64 v[107:108], v[107:108], v[105:106], v[99:100]
	ds_read2_b64 v[99:102], v0 offset0:89 offset1:90
	ds_read2_b64 v[103:106], v0 offset0:91 offset1:92
	s_waitcnt vmcnt(12) lgkmcnt(1)
	v_fma_f64 v[99:100], v[121:122], v[99:100], v[107:108]
	s_waitcnt vmcnt(11)
	v_fma_f64 v[99:100], v[115:116], v[101:102], v[99:100]
	s_waitcnt vmcnt(10) lgkmcnt(0)
	v_fma_f64 v[99:100], v[113:114], v[103:104], v[99:100]
	s_waitcnt vmcnt(5)
	v_fma_f64 v[103:104], v[109:110], v[105:106], v[99:100]
	ds_read2_b64 v[99:102], v0 offset0:93 offset1:94
	ds_read_b64 v[105:106], v0 offset:760
	s_waitcnt vmcnt(4) lgkmcnt(1)
	v_fma_f64 v[99:100], v[123:124], v[99:100], v[103:104]
	s_waitcnt vmcnt(3)
	v_fma_f64 v[99:100], v[97:98], v[101:102], v[99:100]
	s_waitcnt vmcnt(2) lgkmcnt(0)
	v_fma_f64 v[99:100], v[111:112], v[105:106], v[99:100]
	s_waitcnt vmcnt(0)
	v_add_f64 v[99:100], v[117:118], -v[99:100]
	buffer_store_dword v100, off, s[0:3], 0 offset:4
	buffer_store_dword v99, off, s[0:3], 0
	s_cbranch_vccz .LBB111_390
; %bb.296:
	global_load_dword v0, v0, s[12:13] offset:184
	s_waitcnt vmcnt(0)
	v_add_u32_e32 v0, -1, v0
	v_cmp_ne_u32_e32 vcc, 46, v0
	s_cbranch_vccz .LBB111_298
; %bb.297:
	v_lshlrev_b32_e32 v0, 3, v0
	buffer_load_dword v99, v0, s[0:3], 0 offen offset:4
	buffer_load_dword v100, v0, s[0:3], 0 offen
	s_waitcnt vmcnt(1)
	buffer_store_dword v99, off, s[0:3], 0 offset:372
	s_waitcnt vmcnt(1)
	buffer_store_dword v100, off, s[0:3], 0 offset:368
	buffer_store_dword v98, v0, s[0:3], 0 offen offset:4
	buffer_store_dword v97, v0, s[0:3], 0 offen
.LBB111_298:
	v_mov_b32_e32 v0, 0
	global_load_dword v97, v0, s[12:13] offset:180
	s_waitcnt vmcnt(0)
	v_add_u32_e32 v97, -1, v97
	v_cmp_eq_u32_e32 vcc, 45, v97
	s_cbranch_vccnz .LBB111_300
; %bb.299:
	v_lshlrev_b32_e32 v97, 3, v97
	buffer_load_dword v98, v97, s[0:3], 0 offen
	buffer_load_dword v99, v97, s[0:3], 0 offen offset:4
	buffer_load_dword v100, off, s[0:3], 0 offset:360
	buffer_load_dword v101, off, s[0:3], 0 offset:364
	s_waitcnt vmcnt(3)
	buffer_store_dword v98, off, s[0:3], 0 offset:360
	s_waitcnt vmcnt(3)
	buffer_store_dword v99, off, s[0:3], 0 offset:364
	s_waitcnt vmcnt(3)
	buffer_store_dword v100, v97, s[0:3], 0 offen
	s_waitcnt vmcnt(3)
	buffer_store_dword v101, v97, s[0:3], 0 offen offset:4
.LBB111_300:
	global_load_dword v0, v0, s[12:13] offset:176
	s_waitcnt vmcnt(0)
	v_add_u32_e32 v0, -1, v0
	v_cmp_eq_u32_e32 vcc, 44, v0
	s_cbranch_vccnz .LBB111_302
; %bb.301:
	v_lshlrev_b32_e32 v0, 3, v0
	buffer_load_dword v97, v0, s[0:3], 0 offen
	buffer_load_dword v98, v0, s[0:3], 0 offen offset:4
	buffer_load_dword v99, off, s[0:3], 0 offset:356
	buffer_load_dword v100, off, s[0:3], 0 offset:352
	s_waitcnt vmcnt(3)
	buffer_store_dword v97, off, s[0:3], 0 offset:352
	s_waitcnt vmcnt(3)
	buffer_store_dword v98, off, s[0:3], 0 offset:356
	s_waitcnt vmcnt(3)
	buffer_store_dword v99, v0, s[0:3], 0 offen offset:4
	s_waitcnt vmcnt(3)
	buffer_store_dword v100, v0, s[0:3], 0 offen
.LBB111_302:
	v_mov_b32_e32 v0, 0
	global_load_dword v97, v0, s[12:13] offset:172
	s_waitcnt vmcnt(0)
	v_add_u32_e32 v97, -1, v97
	v_cmp_eq_u32_e32 vcc, 43, v97
	s_cbranch_vccnz .LBB111_304
; %bb.303:
	v_lshlrev_b32_e32 v97, 3, v97
	buffer_load_dword v98, v97, s[0:3], 0 offen
	buffer_load_dword v99, v97, s[0:3], 0 offen offset:4
	buffer_load_dword v100, off, s[0:3], 0 offset:344
	buffer_load_dword v101, off, s[0:3], 0 offset:348
	s_waitcnt vmcnt(3)
	buffer_store_dword v98, off, s[0:3], 0 offset:344
	s_waitcnt vmcnt(3)
	buffer_store_dword v99, off, s[0:3], 0 offset:348
	s_waitcnt vmcnt(3)
	buffer_store_dword v100, v97, s[0:3], 0 offen
	s_waitcnt vmcnt(3)
	buffer_store_dword v101, v97, s[0:3], 0 offen offset:4
.LBB111_304:
	global_load_dword v0, v0, s[12:13] offset:168
	s_waitcnt vmcnt(0)
	v_add_u32_e32 v0, -1, v0
	v_cmp_eq_u32_e32 vcc, 42, v0
	s_cbranch_vccnz .LBB111_306
; %bb.305:
	v_lshlrev_b32_e32 v0, 3, v0
	buffer_load_dword v97, v0, s[0:3], 0 offen
	buffer_load_dword v98, v0, s[0:3], 0 offen offset:4
	buffer_load_dword v99, off, s[0:3], 0 offset:340
	buffer_load_dword v100, off, s[0:3], 0 offset:336
	s_waitcnt vmcnt(3)
	buffer_store_dword v97, off, s[0:3], 0 offset:336
	s_waitcnt vmcnt(3)
	buffer_store_dword v98, off, s[0:3], 0 offset:340
	s_waitcnt vmcnt(3)
	buffer_store_dword v99, v0, s[0:3], 0 offen offset:4
	s_waitcnt vmcnt(3)
	buffer_store_dword v100, v0, s[0:3], 0 offen
.LBB111_306:
	;; [unrolled: 41-line block ×22, first 2 shown]
	v_mov_b32_e32 v0, 0
	global_load_dword v97, v0, s[12:13] offset:4
	s_waitcnt vmcnt(0)
	v_add_u32_e32 v97, -1, v97
	v_cmp_eq_u32_e32 vcc, 1, v97
	s_cbranch_vccnz .LBB111_388
; %bb.387:
	v_lshlrev_b32_e32 v97, 3, v97
	buffer_load_dword v98, v97, s[0:3], 0 offen
	buffer_load_dword v99, v97, s[0:3], 0 offen offset:4
	buffer_load_dword v100, off, s[0:3], 0 offset:8
	buffer_load_dword v101, off, s[0:3], 0 offset:12
	s_waitcnt vmcnt(3)
	buffer_store_dword v98, off, s[0:3], 0 offset:8
	s_waitcnt vmcnt(3)
	buffer_store_dword v99, off, s[0:3], 0 offset:12
	s_waitcnt vmcnt(3)
	buffer_store_dword v100, v97, s[0:3], 0 offen
	s_waitcnt vmcnt(3)
	buffer_store_dword v101, v97, s[0:3], 0 offen offset:4
.LBB111_388:
	global_load_dword v0, v0, s[12:13]
	s_nop 0
	buffer_load_dword v99, off, s[0:3], 0
	buffer_load_dword v100, off, s[0:3], 0 offset:4
	s_waitcnt vmcnt(2)
	v_add_u32_e32 v0, -1, v0
	v_cmp_eq_u32_e32 vcc, 0, v0
	s_cbranch_vccnz .LBB111_390
; %bb.389:
	v_lshlrev_b32_e32 v0, 3, v0
	buffer_load_dword v97, v0, s[0:3], 0 offen offset:4
	buffer_load_dword v98, v0, s[0:3], 0 offen
	s_waitcnt vmcnt(1)
	buffer_store_dword v97, off, s[0:3], 0 offset:4
	s_waitcnt vmcnt(1)
	buffer_store_dword v98, off, s[0:3], 0
	buffer_store_dword v100, v0, s[0:3], 0 offen offset:4
	buffer_store_dword v99, v0, s[0:3], 0 offen
	buffer_load_dword v99, off, s[0:3], 0
	s_nop 0
	buffer_load_dword v100, off, s[0:3], 0 offset:4
.LBB111_390:
	s_waitcnt vmcnt(0)
	flat_store_dwordx2 v[1:2], v[99:100]
	buffer_load_dword v0, off, s[0:3], 0 offset:8
	s_nop 0
	buffer_load_dword v1, off, s[0:3], 0 offset:12
	s_waitcnt vmcnt(0)
	flat_store_dwordx2 v[3:4], v[0:1]
	buffer_load_dword v0, off, s[0:3], 0 offset:16
	s_nop 0
	buffer_load_dword v1, off, s[0:3], 0 offset:20
	;; [unrolled: 5-line block ×47, first 2 shown]
	s_waitcnt vmcnt(0)
	flat_store_dwordx2 v[95:96], v[0:1]
	s_endpgm
	.section	.rodata,"a",@progbits
	.p2align	6, 0x0
	.amdhsa_kernel _ZN9rocsolver6v33100L18getri_kernel_smallILi48EdPKPdEEvT1_iilPiilS6_bb
		.amdhsa_group_segment_fixed_size 776
		.amdhsa_private_segment_fixed_size 400
		.amdhsa_kernarg_size 60
		.amdhsa_user_sgpr_count 6
		.amdhsa_user_sgpr_private_segment_buffer 1
		.amdhsa_user_sgpr_dispatch_ptr 0
		.amdhsa_user_sgpr_queue_ptr 0
		.amdhsa_user_sgpr_kernarg_segment_ptr 1
		.amdhsa_user_sgpr_dispatch_id 0
		.amdhsa_user_sgpr_flat_scratch_init 0
		.amdhsa_user_sgpr_private_segment_size 0
		.amdhsa_uses_dynamic_stack 0
		.amdhsa_system_sgpr_private_segment_wavefront_offset 1
		.amdhsa_system_sgpr_workgroup_id_x 1
		.amdhsa_system_sgpr_workgroup_id_y 0
		.amdhsa_system_sgpr_workgroup_id_z 0
		.amdhsa_system_sgpr_workgroup_info 0
		.amdhsa_system_vgpr_workitem_id 0
		.amdhsa_next_free_vgpr 133
		.amdhsa_next_free_sgpr 21
		.amdhsa_reserve_vcc 1
		.amdhsa_reserve_flat_scratch 0
		.amdhsa_float_round_mode_32 0
		.amdhsa_float_round_mode_16_64 0
		.amdhsa_float_denorm_mode_32 3
		.amdhsa_float_denorm_mode_16_64 3
		.amdhsa_dx10_clamp 1
		.amdhsa_ieee_mode 1
		.amdhsa_fp16_overflow 0
		.amdhsa_exception_fp_ieee_invalid_op 0
		.amdhsa_exception_fp_denorm_src 0
		.amdhsa_exception_fp_ieee_div_zero 0
		.amdhsa_exception_fp_ieee_overflow 0
		.amdhsa_exception_fp_ieee_underflow 0
		.amdhsa_exception_fp_ieee_inexact 0
		.amdhsa_exception_int_div_zero 0
	.end_amdhsa_kernel
	.section	.text._ZN9rocsolver6v33100L18getri_kernel_smallILi48EdPKPdEEvT1_iilPiilS6_bb,"axG",@progbits,_ZN9rocsolver6v33100L18getri_kernel_smallILi48EdPKPdEEvT1_iilPiilS6_bb,comdat
.Lfunc_end111:
	.size	_ZN9rocsolver6v33100L18getri_kernel_smallILi48EdPKPdEEvT1_iilPiilS6_bb, .Lfunc_end111-_ZN9rocsolver6v33100L18getri_kernel_smallILi48EdPKPdEEvT1_iilPiilS6_bb
                                        ; -- End function
	.set _ZN9rocsolver6v33100L18getri_kernel_smallILi48EdPKPdEEvT1_iilPiilS6_bb.num_vgpr, 133
	.set _ZN9rocsolver6v33100L18getri_kernel_smallILi48EdPKPdEEvT1_iilPiilS6_bb.num_agpr, 0
	.set _ZN9rocsolver6v33100L18getri_kernel_smallILi48EdPKPdEEvT1_iilPiilS6_bb.numbered_sgpr, 21
	.set _ZN9rocsolver6v33100L18getri_kernel_smallILi48EdPKPdEEvT1_iilPiilS6_bb.num_named_barrier, 0
	.set _ZN9rocsolver6v33100L18getri_kernel_smallILi48EdPKPdEEvT1_iilPiilS6_bb.private_seg_size, 400
	.set _ZN9rocsolver6v33100L18getri_kernel_smallILi48EdPKPdEEvT1_iilPiilS6_bb.uses_vcc, 1
	.set _ZN9rocsolver6v33100L18getri_kernel_smallILi48EdPKPdEEvT1_iilPiilS6_bb.uses_flat_scratch, 0
	.set _ZN9rocsolver6v33100L18getri_kernel_smallILi48EdPKPdEEvT1_iilPiilS6_bb.has_dyn_sized_stack, 0
	.set _ZN9rocsolver6v33100L18getri_kernel_smallILi48EdPKPdEEvT1_iilPiilS6_bb.has_recursion, 0
	.set _ZN9rocsolver6v33100L18getri_kernel_smallILi48EdPKPdEEvT1_iilPiilS6_bb.has_indirect_call, 0
	.section	.AMDGPU.csdata,"",@progbits
; Kernel info:
; codeLenInByte = 60048
; TotalNumSgprs: 25
; NumVgprs: 133
; ScratchSize: 400
; MemoryBound: 1
; FloatMode: 240
; IeeeMode: 1
; LDSByteSize: 776 bytes/workgroup (compile time only)
; SGPRBlocks: 3
; VGPRBlocks: 33
; NumSGPRsForWavesPerEU: 25
; NumVGPRsForWavesPerEU: 133
; Occupancy: 1
; WaveLimiterHint : 1
; COMPUTE_PGM_RSRC2:SCRATCH_EN: 1
; COMPUTE_PGM_RSRC2:USER_SGPR: 6
; COMPUTE_PGM_RSRC2:TRAP_HANDLER: 0
; COMPUTE_PGM_RSRC2:TGID_X_EN: 1
; COMPUTE_PGM_RSRC2:TGID_Y_EN: 0
; COMPUTE_PGM_RSRC2:TGID_Z_EN: 0
; COMPUTE_PGM_RSRC2:TIDIG_COMP_CNT: 0
	.section	.text._ZN9rocsolver6v33100L18getri_kernel_smallILi49EdPKPdEEvT1_iilPiilS6_bb,"axG",@progbits,_ZN9rocsolver6v33100L18getri_kernel_smallILi49EdPKPdEEvT1_iilPiilS6_bb,comdat
	.globl	_ZN9rocsolver6v33100L18getri_kernel_smallILi49EdPKPdEEvT1_iilPiilS6_bb ; -- Begin function _ZN9rocsolver6v33100L18getri_kernel_smallILi49EdPKPdEEvT1_iilPiilS6_bb
	.p2align	8
	.type	_ZN9rocsolver6v33100L18getri_kernel_smallILi49EdPKPdEEvT1_iilPiilS6_bb,@function
_ZN9rocsolver6v33100L18getri_kernel_smallILi49EdPKPdEEvT1_iilPiilS6_bb: ; @_ZN9rocsolver6v33100L18getri_kernel_smallILi49EdPKPdEEvT1_iilPiilS6_bb
; %bb.0:
	s_add_u32 s0, s0, s7
	s_addc_u32 s1, s1, 0
	v_cmp_gt_u32_e32 vcc, 49, v0
	s_and_saveexec_b64 s[8:9], vcc
	s_cbranch_execz .LBB112_204
; %bb.1:
	s_load_dword s18, s[4:5], 0x38
	s_load_dwordx2 s[12:13], s[4:5], 0x0
	s_load_dwordx4 s[8:11], s[4:5], 0x28
	s_waitcnt lgkmcnt(0)
	s_bitcmp1_b32 s18, 8
	s_cselect_b64 s[14:15], -1, 0
	s_ashr_i32 s7, s6, 31
	s_lshl_b64 s[16:17], s[6:7], 3
	s_add_u32 s12, s12, s16
	s_addc_u32 s13, s13, s17
	s_load_dwordx2 s[16:17], s[12:13], 0x0
	s_bfe_u32 s12, s18, 0x10008
	s_cmp_eq_u32 s12, 0
                                        ; implicit-def: $sgpr12_sgpr13
	s_cbranch_scc1 .LBB112_3
; %bb.2:
	s_load_dword s12, s[4:5], 0x20
	s_load_dwordx2 s[18:19], s[4:5], 0x18
	s_mul_i32 s13, s8, s7
	s_mul_hi_u32 s20, s8, s6
	s_add_i32 s20, s20, s13
	s_mul_i32 s9, s9, s6
	s_add_i32 s9, s20, s9
	s_mul_i32 s8, s8, s6
	s_waitcnt lgkmcnt(0)
	s_ashr_i32 s13, s12, 31
	s_lshl_b64 s[8:9], s[8:9], 2
	s_add_u32 s18, s18, s8
	s_addc_u32 s19, s19, s9
	s_lshl_b64 s[8:9], s[12:13], 2
	s_add_u32 s12, s18, s8
	s_addc_u32 s13, s19, s9
.LBB112_3:
	s_load_dwordx2 s[8:9], s[4:5], 0x8
	s_load_dword s18, s[4:5], 0x38
	v_lshlrev_b32_e32 v101, 3, v0
	s_waitcnt lgkmcnt(0)
	s_ashr_i32 s5, s8, 31
	s_mov_b32 s4, s8
	s_lshl_b64 s[4:5], s[4:5], 3
	s_add_u32 s4, s16, s4
	s_addc_u32 s5, s17, s5
	v_mov_b32_e32 v2, s5
	v_add_co_u32_e32 v1, vcc, s4, v101
	v_addc_co_u32_e32 v2, vcc, 0, v2, vcc
	flat_load_dwordx2 v[5:6], v[1:2]
	s_mov_b32 s16, s9
	s_ashr_i32 s17, s9, 31
	s_lshl_b64 s[16:17], s[16:17], 3
	v_mov_b32_e32 v4, s17
	v_add_co_u32_e32 v3, vcc, s16, v1
	v_addc_co_u32_e32 v4, vcc, v2, v4, vcc
	s_add_i32 s8, s9, s9
	v_add_u32_e32 v9, s8, v0
	v_ashrrev_i32_e32 v10, 31, v9
	v_mov_b32_e32 v11, s5
	v_add_u32_e32 v12, s9, v9
	v_ashrrev_i32_e32 v13, 31, v12
	v_mov_b32_e32 v14, s5
	v_mov_b32_e32 v15, s5
	;; [unrolled: 1-line block ×45, first 2 shown]
	s_bitcmp0_b32 s18, 0
	s_waitcnt vmcnt(0) lgkmcnt(0)
	buffer_store_dword v6, off, s[0:3], 0 offset:4
	buffer_store_dword v5, off, s[0:3], 0
	flat_load_dwordx2 v[7:8], v[3:4]
	v_lshlrev_b64 v[5:6], 3, v[9:10]
	s_waitcnt vmcnt(0) lgkmcnt(0)
	buffer_store_dword v8, off, s[0:3], 0 offset:12
	buffer_store_dword v7, off, s[0:3], 0 offset:8
	v_add_co_u32_e32 v5, vcc, s4, v5
	v_addc_co_u32_e32 v6, vcc, v11, v6, vcc
	flat_load_dwordx2 v[10:11], v[5:6]
	v_lshlrev_b64 v[7:8], 3, v[12:13]
	s_waitcnt vmcnt(0) lgkmcnt(0)
	buffer_store_dword v11, off, s[0:3], 0 offset:20
	buffer_store_dword v10, off, s[0:3], 0 offset:16
	v_add_co_u32_e32 v7, vcc, s4, v7
	v_addc_co_u32_e32 v8, vcc, v14, v8, vcc
	flat_load_dwordx2 v[13:14], v[7:8]
	v_add_u32_e32 v11, s9, v12
	v_ashrrev_i32_e32 v12, 31, v11
	v_lshlrev_b64 v[9:10], 3, v[11:12]
	s_waitcnt vmcnt(0) lgkmcnt(0)
	buffer_store_dword v14, off, s[0:3], 0 offset:28
	buffer_store_dword v13, off, s[0:3], 0 offset:24
	v_add_co_u32_e32 v9, vcc, s4, v9
	v_addc_co_u32_e32 v10, vcc, v15, v10, vcc
	flat_load_dwordx2 v[13:14], v[9:10]
	v_add_u32_e32 v15, s9, v11
	v_ashrrev_i32_e32 v16, 31, v15
	v_lshlrev_b64 v[11:12], 3, v[15:16]
	v_add_u32_e32 v18, s9, v15
	v_add_co_u32_e32 v11, vcc, s4, v11
	v_addc_co_u32_e32 v12, vcc, v17, v12, vcc
	v_ashrrev_i32_e32 v19, 31, v18
	s_waitcnt vmcnt(0) lgkmcnt(0)
	buffer_store_dword v14, off, s[0:3], 0 offset:36
	buffer_store_dword v13, off, s[0:3], 0 offset:32
	flat_load_dwordx2 v[16:17], v[11:12]
	v_lshlrev_b64 v[13:14], 3, v[18:19]
	s_waitcnt vmcnt(0) lgkmcnt(0)
	buffer_store_dword v17, off, s[0:3], 0 offset:44
	buffer_store_dword v16, off, s[0:3], 0 offset:40
	v_add_co_u32_e32 v13, vcc, s4, v13
	v_addc_co_u32_e32 v14, vcc, v20, v14, vcc
	flat_load_dwordx2 v[19:20], v[13:14]
	v_add_u32_e32 v17, s9, v18
	v_ashrrev_i32_e32 v18, 31, v17
	v_lshlrev_b64 v[15:16], 3, v[17:18]
	s_waitcnt vmcnt(0) lgkmcnt(0)
	buffer_store_dword v20, off, s[0:3], 0 offset:52
	buffer_store_dword v19, off, s[0:3], 0 offset:48
	v_add_co_u32_e32 v15, vcc, s4, v15
	v_addc_co_u32_e32 v16, vcc, v21, v16, vcc
	flat_load_dwordx2 v[19:20], v[15:16]
	v_add_u32_e32 v21, s9, v17
	v_ashrrev_i32_e32 v22, 31, v21
	v_lshlrev_b64 v[17:18], 3, v[21:22]
	v_add_u32_e32 v24, s9, v21
	v_add_co_u32_e32 v17, vcc, s4, v17
	v_addc_co_u32_e32 v18, vcc, v23, v18, vcc
	v_ashrrev_i32_e32 v25, 31, v24
	s_waitcnt vmcnt(0) lgkmcnt(0)
	buffer_store_dword v20, off, s[0:3], 0 offset:60
	buffer_store_dword v19, off, s[0:3], 0 offset:56
	;; [unrolled: 27-line block ×7, first 2 shown]
	flat_load_dwordx2 v[52:53], v[47:48]
	v_lshlrev_b64 v[49:50], 3, v[54:55]
	s_waitcnt vmcnt(0) lgkmcnt(0)
	buffer_store_dword v53, off, s[0:3], 0 offset:188
	buffer_store_dword v52, off, s[0:3], 0 offset:184
	v_add_co_u32_e32 v49, vcc, s4, v49
	v_addc_co_u32_e32 v50, vcc, v56, v50, vcc
	flat_load_dwordx2 v[55:56], v[49:50]
	v_add_u32_e32 v53, s9, v54
	v_ashrrev_i32_e32 v54, 31, v53
	v_lshlrev_b64 v[51:52], 3, v[53:54]
	s_waitcnt vmcnt(0) lgkmcnt(0)
	buffer_store_dword v56, off, s[0:3], 0 offset:196
	buffer_store_dword v55, off, s[0:3], 0 offset:192
	v_add_co_u32_e32 v51, vcc, s4, v51
	v_addc_co_u32_e32 v52, vcc, v57, v52, vcc
	flat_load_dwordx2 v[55:56], v[51:52]
	v_add_u32_e32 v57, s9, v53
	v_ashrrev_i32_e32 v58, 31, v57
	v_lshlrev_b64 v[53:54], 3, v[57:58]
	v_add_u32_e32 v60, s9, v57
	v_add_co_u32_e32 v53, vcc, s4, v53
	v_addc_co_u32_e32 v54, vcc, v59, v54, vcc
	s_waitcnt vmcnt(0) lgkmcnt(0)
	buffer_store_dword v56, off, s[0:3], 0 offset:204
	buffer_store_dword v55, off, s[0:3], 0 offset:200
	flat_load_dwordx2 v[58:59], v[53:54]
	v_ashrrev_i32_e32 v61, 31, v60
	v_lshlrev_b64 v[55:56], 3, v[60:61]
	s_waitcnt vmcnt(0) lgkmcnt(0)
	buffer_store_dword v59, off, s[0:3], 0 offset:212
	buffer_store_dword v58, off, s[0:3], 0 offset:208
	v_add_co_u32_e32 v55, vcc, s4, v55
	v_addc_co_u32_e32 v56, vcc, v62, v56, vcc
	flat_load_dwordx2 v[61:62], v[55:56]
	v_add_u32_e32 v59, s9, v60
	v_ashrrev_i32_e32 v60, 31, v59
	v_lshlrev_b64 v[57:58], 3, v[59:60]
	s_waitcnt vmcnt(0) lgkmcnt(0)
	buffer_store_dword v62, off, s[0:3], 0 offset:220
	buffer_store_dword v61, off, s[0:3], 0 offset:216
	v_add_co_u32_e32 v57, vcc, s4, v57
	v_addc_co_u32_e32 v58, vcc, v63, v58, vcc
	flat_load_dwordx2 v[61:62], v[57:58]
	v_add_u32_e32 v63, s9, v59
	;; [unrolled: 9-line block ×21, first 2 shown]
	v_ashrrev_i32_e32 v98, 31, v97
	v_lshlrev_b64 v[97:98], 3, v[97:98]
	v_mov_b32_e32 v100, s5
	v_add_co_u32_e32 v97, vcc, s4, v97
	v_addc_co_u32_e32 v98, vcc, v100, v98, vcc
	s_waitcnt vmcnt(0) lgkmcnt(0)
	buffer_store_dword v103, off, s[0:3], 0 offset:380
	buffer_store_dword v102, off, s[0:3], 0 offset:376
	flat_load_dwordx2 v[99:100], v[97:98]
	s_mov_b64 s[8:9], -1
	s_waitcnt vmcnt(0) lgkmcnt(0)
	buffer_store_dword v100, off, s[0:3], 0 offset:388
	buffer_store_dword v99, off, s[0:3], 0 offset:384
	s_cbranch_scc1 .LBB112_202
; %bb.4:
	v_cmp_eq_u32_e64 s[4:5], 0, v0
	s_and_saveexec_b64 s[8:9], s[4:5]
; %bb.5:
	v_mov_b32_e32 v99, 0
	ds_write_b32 v99, v99 offset:392
; %bb.6:
	s_or_b64 exec, exec, s[8:9]
	v_mov_b32_e32 v99, 0
	v_lshl_add_u32 v99, v0, 3, v99
	s_waitcnt lgkmcnt(0)
	; wave barrier
	buffer_load_dword v102, v99, s[0:3], 0 offen
	buffer_load_dword v103, v99, s[0:3], 0 offen offset:4
	s_waitcnt vmcnt(0)
	v_cmp_eq_f64_e32 vcc, 0, v[102:103]
	s_and_saveexec_b64 s[16:17], vcc
	s_cbranch_execz .LBB112_10
; %bb.7:
	v_mov_b32_e32 v100, 0
	ds_read_b32 v103, v100 offset:392
	v_add_u32_e32 v102, 1, v0
	s_waitcnt lgkmcnt(0)
	v_readfirstlane_b32 s8, v103
	s_cmp_eq_u32 s8, 0
	s_cselect_b64 s[18:19], -1, 0
	v_cmp_gt_i32_e32 vcc, s8, v102
	s_or_b64 s[18:19], s[18:19], vcc
	s_and_b64 exec, exec, s[18:19]
	s_cbranch_execz .LBB112_10
; %bb.8:
	s_mov_b64 s[18:19], 0
	v_mov_b32_e32 v103, s8
.LBB112_9:                              ; =>This Inner Loop Header: Depth=1
	ds_cmpst_rtn_b32 v103, v100, v103, v102 offset:392
	s_waitcnt lgkmcnt(0)
	v_cmp_ne_u32_e32 vcc, 0, v103
	v_cmp_le_i32_e64 s[8:9], v103, v102
	s_and_b64 s[8:9], vcc, s[8:9]
	s_and_b64 s[8:9], exec, s[8:9]
	s_or_b64 s[18:19], s[8:9], s[18:19]
	s_andn2_b64 exec, exec, s[18:19]
	s_cbranch_execnz .LBB112_9
.LBB112_10:
	s_or_b64 exec, exec, s[16:17]
	v_mov_b32_e32 v102, 0
	; wave barrier
	ds_read_b32 v100, v102 offset:392
	s_and_saveexec_b64 s[8:9], s[4:5]
	s_cbranch_execz .LBB112_12
; %bb.11:
	s_lshl_b64 s[16:17], s[6:7], 2
	s_add_u32 s16, s10, s16
	s_addc_u32 s17, s11, s17
	s_waitcnt lgkmcnt(0)
	global_store_dword v102, v100, s[16:17]
.LBB112_12:
	s_or_b64 exec, exec, s[8:9]
	s_waitcnt lgkmcnt(0)
	v_cmp_ne_u32_e32 vcc, 0, v100
	s_mov_b64 s[8:9], 0
	s_cbranch_vccnz .LBB112_202
; %bb.13:
	buffer_load_dword v102, v99, s[0:3], 0 offen
	buffer_load_dword v103, v99, s[0:3], 0 offen offset:4
	s_waitcnt vmcnt(0)
	v_div_scale_f64 v[104:105], s[8:9], v[102:103], v[102:103], 1.0
	v_rcp_f64_e32 v[106:107], v[104:105]
	v_fma_f64 v[108:109], -v[104:105], v[106:107], 1.0
	v_fma_f64 v[106:107], v[106:107], v[108:109], v[106:107]
	v_div_scale_f64 v[108:109], vcc, 1.0, v[102:103], 1.0
	v_fma_f64 v[110:111], -v[104:105], v[106:107], 1.0
	v_fma_f64 v[106:107], v[106:107], v[110:111], v[106:107]
	v_mul_f64 v[110:111], v[108:109], v[106:107]
	v_fma_f64 v[104:105], -v[104:105], v[110:111], v[108:109]
	v_div_fmas_f64 v[104:105], v[104:105], v[106:107], v[110:111]
	v_div_fixup_f64 v[103:104], v[104:105], v[102:103], 1.0
	v_add_u32_e32 v102, 0x190, v101
	buffer_store_dword v104, v99, s[0:3], 0 offen offset:4
	buffer_store_dword v103, v99, s[0:3], 0 offen
	buffer_load_dword v106, off, s[0:3], 0 offset:12
	buffer_load_dword v105, off, s[0:3], 0 offset:8
	v_xor_b32_e32 v104, 0x80000000, v104
	s_waitcnt vmcnt(0)
	ds_write2_b64 v101, v[103:104], v[105:106] offset1:50
	s_waitcnt lgkmcnt(0)
	; wave barrier
	s_and_saveexec_b64 s[8:9], s[4:5]
	s_cbranch_execz .LBB112_15
; %bb.14:
	buffer_load_dword v103, v99, s[0:3], 0 offen
	buffer_load_dword v104, v99, s[0:3], 0 offen offset:4
	ds_read_b64 v[105:106], v102
	v_mov_b32_e32 v100, 0
	ds_read_b64 v[107:108], v100 offset:8
	s_waitcnt vmcnt(0) lgkmcnt(1)
	v_fma_f64 v[103:104], v[103:104], v[105:106], 0
	s_waitcnt lgkmcnt(0)
	v_mul_f64 v[103:104], v[103:104], v[107:108]
	buffer_store_dword v103, off, s[0:3], 0 offset:8
	buffer_store_dword v104, off, s[0:3], 0 offset:12
.LBB112_15:
	s_or_b64 exec, exec, s[8:9]
	; wave barrier
	buffer_load_dword v103, off, s[0:3], 0 offset:16
	buffer_load_dword v104, off, s[0:3], 0 offset:20
	v_cmp_gt_u32_e32 vcc, 2, v0
	s_waitcnt vmcnt(0)
	ds_write_b64 v102, v[103:104]
	s_waitcnt lgkmcnt(0)
	; wave barrier
	s_and_saveexec_b64 s[8:9], vcc
	s_cbranch_execz .LBB112_17
; %bb.16:
	buffer_load_dword v103, v99, s[0:3], 0 offen
	buffer_load_dword v104, v99, s[0:3], 0 offen offset:4
                                        ; kill: killed $vgpr99
	s_nop 0
	buffer_load_dword v99, off, s[0:3], 0 offset:8
	buffer_load_dword v100, off, s[0:3], 0 offset:12
	ds_read_b64 v[105:106], v102
	s_waitcnt vmcnt(2) lgkmcnt(0)
	v_fma_f64 v[107:108], v[103:104], v[105:106], 0
	v_mov_b32_e32 v103, 0
	ds_read2_b64 v[103:106], v103 offset0:2 offset1:51
	s_waitcnt vmcnt(0) lgkmcnt(0)
	v_fma_f64 v[99:100], v[99:100], v[105:106], v[107:108]
	v_cndmask_b32_e64 v100, v108, v100, s[4:5]
	v_cndmask_b32_e64 v99, v107, v99, s[4:5]
	v_mul_f64 v[99:100], v[99:100], v[103:104]
	buffer_store_dword v100, off, s[0:3], 0 offset:20
	buffer_store_dword v99, off, s[0:3], 0 offset:16
.LBB112_17:
	s_or_b64 exec, exec, s[8:9]
	; wave barrier
	buffer_load_dword v99, off, s[0:3], 0 offset:24
	buffer_load_dword v100, off, s[0:3], 0 offset:28
	v_cmp_gt_u32_e32 vcc, 3, v0
	v_add_u32_e32 v103, -1, v0
	s_waitcnt vmcnt(0)
	ds_write_b64 v102, v[99:100]
	s_waitcnt lgkmcnt(0)
	; wave barrier
	s_and_saveexec_b64 s[4:5], vcc
	s_cbranch_execz .LBB112_21
; %bb.18:
	v_mov_b32_e32 v99, 0
	v_add_u32_e32 v104, -1, v0
	v_add_u32_e32 v105, 0x190, v101
	v_mov_b32_e32 v106, v101
	v_mov_b32_e32 v100, 0
	s_mov_b64 s[8:9], 0
.LBB112_19:                             ; =>This Inner Loop Header: Depth=1
	buffer_load_dword v107, v106, s[0:3], 0 offen
	buffer_load_dword v108, v106, s[0:3], 0 offen offset:4
	ds_read_b64 v[109:110], v105
	v_add_u32_e32 v104, 1, v104
	v_cmp_lt_u32_e32 vcc, 1, v104
	v_add_u32_e32 v105, 8, v105
	s_or_b64 s[8:9], vcc, s[8:9]
	v_add_u32_e32 v106, 8, v106
	s_waitcnt vmcnt(0) lgkmcnt(0)
	v_fma_f64 v[99:100], v[107:108], v[109:110], v[99:100]
	s_andn2_b64 exec, exec, s[8:9]
	s_cbranch_execnz .LBB112_19
; %bb.20:
	s_or_b64 exec, exec, s[8:9]
	v_mov_b32_e32 v104, 0
	ds_read_b64 v[104:105], v104 offset:24
	s_waitcnt lgkmcnt(0)
	v_mul_f64 v[99:100], v[99:100], v[104:105]
	buffer_store_dword v100, off, s[0:3], 0 offset:28
	buffer_store_dword v99, off, s[0:3], 0 offset:24
.LBB112_21:
	s_or_b64 exec, exec, s[4:5]
	; wave barrier
	buffer_load_dword v99, off, s[0:3], 0 offset:32
	buffer_load_dword v100, off, s[0:3], 0 offset:36
	v_cmp_gt_u32_e32 vcc, 4, v0
	s_waitcnt vmcnt(0)
	ds_write_b64 v102, v[99:100]
	s_waitcnt lgkmcnt(0)
	; wave barrier
	s_and_saveexec_b64 s[4:5], vcc
	s_cbranch_execz .LBB112_25
; %bb.22:
	v_mov_b32_e32 v99, 0
	v_add_u32_e32 v104, -1, v0
	v_add_u32_e32 v105, 0x190, v101
	v_mov_b32_e32 v106, v101
	v_mov_b32_e32 v100, 0
	s_mov_b64 s[8:9], 0
.LBB112_23:                             ; =>This Inner Loop Header: Depth=1
	buffer_load_dword v107, v106, s[0:3], 0 offen
	buffer_load_dword v108, v106, s[0:3], 0 offen offset:4
	ds_read_b64 v[109:110], v105
	v_add_u32_e32 v104, 1, v104
	v_cmp_lt_u32_e32 vcc, 2, v104
	v_add_u32_e32 v105, 8, v105
	s_or_b64 s[8:9], vcc, s[8:9]
	v_add_u32_e32 v106, 8, v106
	s_waitcnt vmcnt(0) lgkmcnt(0)
	v_fma_f64 v[99:100], v[107:108], v[109:110], v[99:100]
	s_andn2_b64 exec, exec, s[8:9]
	s_cbranch_execnz .LBB112_23
; %bb.24:
	s_or_b64 exec, exec, s[8:9]
	v_mov_b32_e32 v104, 0
	ds_read_b64 v[104:105], v104 offset:32
	s_waitcnt lgkmcnt(0)
	v_mul_f64 v[99:100], v[99:100], v[104:105]
	buffer_store_dword v100, off, s[0:3], 0 offset:36
	buffer_store_dword v99, off, s[0:3], 0 offset:32
.LBB112_25:
	s_or_b64 exec, exec, s[4:5]
	; wave barrier
	buffer_load_dword v99, off, s[0:3], 0 offset:40
	buffer_load_dword v100, off, s[0:3], 0 offset:44
	v_cmp_gt_u32_e32 vcc, 5, v0
	;; [unrolled: 40-line block ×21, first 2 shown]
	s_waitcnt vmcnt(0)
	ds_write_b64 v102, v[99:100]
	s_waitcnt lgkmcnt(0)
	; wave barrier
	s_and_saveexec_b64 s[4:5], vcc
	s_cbranch_execz .LBB112_105
; %bb.102:
	v_mov_b32_e32 v99, 0
	v_add_u32_e32 v104, -1, v0
	v_add_u32_e32 v105, 0x190, v101
	v_mov_b32_e32 v106, v101
	v_mov_b32_e32 v100, 0
	s_mov_b64 s[8:9], 0
.LBB112_103:                            ; =>This Inner Loop Header: Depth=1
	buffer_load_dword v107, v106, s[0:3], 0 offen
	buffer_load_dword v108, v106, s[0:3], 0 offen offset:4
	ds_read_b64 v[109:110], v105
	v_add_u32_e32 v104, 1, v104
	v_cmp_lt_u32_e32 vcc, 22, v104
	v_add_u32_e32 v105, 8, v105
	s_or_b64 s[8:9], vcc, s[8:9]
	v_add_u32_e32 v106, 8, v106
	s_waitcnt vmcnt(0) lgkmcnt(0)
	v_fma_f64 v[99:100], v[107:108], v[109:110], v[99:100]
	s_andn2_b64 exec, exec, s[8:9]
	s_cbranch_execnz .LBB112_103
; %bb.104:
	s_or_b64 exec, exec, s[8:9]
	v_mov_b32_e32 v104, 0
	ds_read_b64 v[104:105], v104 offset:192
	s_waitcnt lgkmcnt(0)
	v_mul_f64 v[99:100], v[99:100], v[104:105]
	buffer_store_dword v100, off, s[0:3], 0 offset:196
	buffer_store_dword v99, off, s[0:3], 0 offset:192
.LBB112_105:
	s_or_b64 exec, exec, s[4:5]
	; wave barrier
	buffer_load_dword v99, off, s[0:3], 0 offset:200
	buffer_load_dword v100, off, s[0:3], 0 offset:204
	v_cmp_gt_u32_e32 vcc, 25, v0
	s_waitcnt vmcnt(0)
	ds_write_b64 v102, v[99:100]
	s_waitcnt lgkmcnt(0)
	; wave barrier
	s_and_saveexec_b64 s[4:5], vcc
	s_cbranch_execz .LBB112_109
; %bb.106:
	v_mov_b32_e32 v99, 0
	v_add_u32_e32 v104, -1, v0
	v_add_u32_e32 v105, 0x190, v101
	v_mov_b32_e32 v106, v101
	v_mov_b32_e32 v100, 0
	s_mov_b64 s[8:9], 0
.LBB112_107:                            ; =>This Inner Loop Header: Depth=1
	buffer_load_dword v107, v106, s[0:3], 0 offen
	buffer_load_dword v108, v106, s[0:3], 0 offen offset:4
	ds_read_b64 v[109:110], v105
	v_add_u32_e32 v104, 1, v104
	v_cmp_lt_u32_e32 vcc, 23, v104
	v_add_u32_e32 v105, 8, v105
	s_or_b64 s[8:9], vcc, s[8:9]
	v_add_u32_e32 v106, 8, v106
	s_waitcnt vmcnt(0) lgkmcnt(0)
	v_fma_f64 v[99:100], v[107:108], v[109:110], v[99:100]
	s_andn2_b64 exec, exec, s[8:9]
	s_cbranch_execnz .LBB112_107
; %bb.108:
	s_or_b64 exec, exec, s[8:9]
	v_mov_b32_e32 v104, 0
	ds_read_b64 v[104:105], v104 offset:200
	s_waitcnt lgkmcnt(0)
	v_mul_f64 v[99:100], v[99:100], v[104:105]
	buffer_store_dword v100, off, s[0:3], 0 offset:204
	buffer_store_dword v99, off, s[0:3], 0 offset:200
.LBB112_109:
	s_or_b64 exec, exec, s[4:5]
	; wave barrier
	buffer_load_dword v99, off, s[0:3], 0 offset:208
	buffer_load_dword v100, off, s[0:3], 0 offset:212
	v_cmp_gt_u32_e32 vcc, 26, v0
	;; [unrolled: 40-line block ×23, first 2 shown]
	s_waitcnt vmcnt(0)
	ds_write_b64 v102, v[99:100]
	s_waitcnt lgkmcnt(0)
	; wave barrier
	s_and_saveexec_b64 s[4:5], vcc
	s_cbranch_execz .LBB112_197
; %bb.194:
	v_mov_b32_e32 v99, 0
	v_add_u32_e32 v104, -1, v0
	v_add_u32_e32 v105, 0x190, v101
	v_mov_b32_e32 v106, v101
	v_mov_b32_e32 v100, 0
	s_mov_b64 s[8:9], 0
.LBB112_195:                            ; =>This Inner Loop Header: Depth=1
	buffer_load_dword v107, v106, s[0:3], 0 offen
	buffer_load_dword v108, v106, s[0:3], 0 offen offset:4
	ds_read_b64 v[109:110], v105
	v_add_u32_e32 v104, 1, v104
	v_cmp_lt_u32_e32 vcc, 45, v104
	v_add_u32_e32 v105, 8, v105
	s_or_b64 s[8:9], vcc, s[8:9]
	v_add_u32_e32 v106, 8, v106
	s_waitcnt vmcnt(0) lgkmcnt(0)
	v_fma_f64 v[99:100], v[107:108], v[109:110], v[99:100]
	s_andn2_b64 exec, exec, s[8:9]
	s_cbranch_execnz .LBB112_195
; %bb.196:
	s_or_b64 exec, exec, s[8:9]
	v_mov_b32_e32 v104, 0
	ds_read_b64 v[104:105], v104 offset:376
	s_waitcnt lgkmcnt(0)
	v_mul_f64 v[99:100], v[99:100], v[104:105]
	buffer_store_dword v100, off, s[0:3], 0 offset:380
	buffer_store_dword v99, off, s[0:3], 0 offset:376
.LBB112_197:
	s_or_b64 exec, exec, s[4:5]
	; wave barrier
	buffer_load_dword v99, off, s[0:3], 0 offset:384
	buffer_load_dword v100, off, s[0:3], 0 offset:388
	v_cmp_ne_u32_e32 vcc, 48, v0
	s_waitcnt vmcnt(0)
	ds_write_b64 v102, v[99:100]
	s_waitcnt lgkmcnt(0)
	; wave barrier
	s_and_saveexec_b64 s[4:5], vcc
	s_cbranch_execz .LBB112_201
; %bb.198:
	v_mov_b32_e32 v99, 0
	v_add_u32_e32 v102, 0x190, v101
	v_mov_b32_e32 v100, 0
	s_mov_b64 s[8:9], 0
.LBB112_199:                            ; =>This Inner Loop Header: Depth=1
	buffer_load_dword v104, v101, s[0:3], 0 offen
	buffer_load_dword v105, v101, s[0:3], 0 offen offset:4
	ds_read_b64 v[106:107], v102
	v_add_u32_e32 v103, 1, v103
	v_cmp_lt_u32_e32 vcc, 46, v103
	v_add_u32_e32 v102, 8, v102
	s_or_b64 s[8:9], vcc, s[8:9]
	v_add_u32_e32 v101, 8, v101
	s_waitcnt vmcnt(0) lgkmcnt(0)
	v_fma_f64 v[99:100], v[104:105], v[106:107], v[99:100]
	s_andn2_b64 exec, exec, s[8:9]
	s_cbranch_execnz .LBB112_199
; %bb.200:
	s_or_b64 exec, exec, s[8:9]
	v_mov_b32_e32 v101, 0
	ds_read_b64 v[101:102], v101 offset:384
	s_waitcnt lgkmcnt(0)
	v_mul_f64 v[99:100], v[99:100], v[101:102]
	buffer_store_dword v100, off, s[0:3], 0 offset:388
	buffer_store_dword v99, off, s[0:3], 0 offset:384
.LBB112_201:
	s_or_b64 exec, exec, s[4:5]
	s_mov_b64 s[8:9], -1
	; wave barrier
.LBB112_202:
	s_and_b64 vcc, exec, s[8:9]
	s_cbranch_vccz .LBB112_204
; %bb.203:
	s_lshl_b64 s[4:5], s[6:7], 2
	s_add_u32 s4, s10, s4
	s_addc_u32 s5, s11, s5
	v_mov_b32_e32 v99, 0
	global_load_dword v99, v99, s[4:5]
	s_waitcnt vmcnt(0)
	v_cmp_ne_u32_e32 vcc, 0, v99
	s_cbranch_vccz .LBB112_205
.LBB112_204:
	s_endpgm
.LBB112_205:
	v_mov_b32_e32 v99, 0x190
	v_lshl_add_u32 v99, v0, 3, v99
	v_cmp_eq_u32_e32 vcc, 48, v0
	s_and_saveexec_b64 s[4:5], vcc
	s_cbranch_execz .LBB112_207
; %bb.206:
	buffer_load_dword v100, off, s[0:3], 0 offset:376
	buffer_load_dword v101, off, s[0:3], 0 offset:380
	v_mov_b32_e32 v102, 0
	buffer_store_dword v102, off, s[0:3], 0 offset:376
	buffer_store_dword v102, off, s[0:3], 0 offset:380
	s_waitcnt vmcnt(2)
	ds_write_b64 v99, v[100:101]
.LBB112_207:
	s_or_b64 exec, exec, s[4:5]
	s_waitcnt lgkmcnt(0)
	; wave barrier
	buffer_load_dword v101, off, s[0:3], 0 offset:384
	buffer_load_dword v102, off, s[0:3], 0 offset:388
	;; [unrolled: 1-line block ×4, first 2 shown]
	v_mov_b32_e32 v100, 0
	ds_read_b64 v[105:106], v100 offset:784
	v_cmp_lt_u32_e32 vcc, 46, v0
	s_waitcnt vmcnt(2) lgkmcnt(0)
	v_fma_f64 v[101:102], v[101:102], v[105:106], 0
	s_waitcnt vmcnt(0)
	v_add_f64 v[101:102], v[103:104], -v[101:102]
	buffer_store_dword v101, off, s[0:3], 0 offset:376
	buffer_store_dword v102, off, s[0:3], 0 offset:380
	s_and_saveexec_b64 s[4:5], vcc
	s_cbranch_execz .LBB112_209
; %bb.208:
	buffer_load_dword v101, off, s[0:3], 0 offset:368
	buffer_load_dword v102, off, s[0:3], 0 offset:372
	s_waitcnt vmcnt(0)
	ds_write_b64 v99, v[101:102]
	buffer_store_dword v100, off, s[0:3], 0 offset:368
	buffer_store_dword v100, off, s[0:3], 0 offset:372
.LBB112_209:
	s_or_b64 exec, exec, s[4:5]
	s_waitcnt lgkmcnt(0)
	; wave barrier
	buffer_load_dword v104, off, s[0:3], 0 offset:376
	buffer_load_dword v105, off, s[0:3], 0 offset:380
	buffer_load_dword v106, off, s[0:3], 0 offset:384
	buffer_load_dword v107, off, s[0:3], 0 offset:388
	buffer_load_dword v108, off, s[0:3], 0 offset:368
	buffer_load_dword v109, off, s[0:3], 0 offset:372
	ds_read2_b64 v[100:103], v100 offset0:97 offset1:98
	v_cmp_lt_u32_e32 vcc, 45, v0
	s_waitcnt vmcnt(4) lgkmcnt(0)
	v_fma_f64 v[100:101], v[104:105], v[100:101], 0
	s_waitcnt vmcnt(2)
	v_fma_f64 v[100:101], v[106:107], v[102:103], v[100:101]
	s_waitcnt vmcnt(0)
	v_add_f64 v[100:101], v[108:109], -v[100:101]
	buffer_store_dword v100, off, s[0:3], 0 offset:368
	buffer_store_dword v101, off, s[0:3], 0 offset:372
	s_and_saveexec_b64 s[4:5], vcc
	s_cbranch_execz .LBB112_211
; %bb.210:
	buffer_load_dword v100, off, s[0:3], 0 offset:360
	buffer_load_dword v101, off, s[0:3], 0 offset:364
	v_mov_b32_e32 v102, 0
	buffer_store_dword v102, off, s[0:3], 0 offset:360
	buffer_store_dword v102, off, s[0:3], 0 offset:364
	s_waitcnt vmcnt(2)
	ds_write_b64 v99, v[100:101]
.LBB112_211:
	s_or_b64 exec, exec, s[4:5]
	s_waitcnt lgkmcnt(0)
	; wave barrier
	buffer_load_dword v105, off, s[0:3], 0 offset:368
	buffer_load_dword v106, off, s[0:3], 0 offset:372
	;; [unrolled: 1-line block ×8, first 2 shown]
	v_mov_b32_e32 v100, 0
	ds_read_b128 v[101:104], v100 offset:768
	ds_read_b64 v[113:114], v100 offset:784
	v_cmp_lt_u32_e32 vcc, 44, v0
	s_waitcnt vmcnt(6) lgkmcnt(1)
	v_fma_f64 v[101:102], v[105:106], v[101:102], 0
	s_waitcnt vmcnt(4)
	v_fma_f64 v[101:102], v[107:108], v[103:104], v[101:102]
	s_waitcnt vmcnt(2) lgkmcnt(0)
	v_fma_f64 v[101:102], v[109:110], v[113:114], v[101:102]
	s_waitcnt vmcnt(0)
	v_add_f64 v[101:102], v[111:112], -v[101:102]
	buffer_store_dword v101, off, s[0:3], 0 offset:360
	buffer_store_dword v102, off, s[0:3], 0 offset:364
	s_and_saveexec_b64 s[4:5], vcc
	s_cbranch_execz .LBB112_213
; %bb.212:
	buffer_load_dword v101, off, s[0:3], 0 offset:352
	buffer_load_dword v102, off, s[0:3], 0 offset:356
	s_waitcnt vmcnt(0)
	ds_write_b64 v99, v[101:102]
	buffer_store_dword v100, off, s[0:3], 0 offset:352
	buffer_store_dword v100, off, s[0:3], 0 offset:356
.LBB112_213:
	s_or_b64 exec, exec, s[4:5]
	s_waitcnt lgkmcnt(0)
	; wave barrier
	buffer_load_dword v109, off, s[0:3], 0 offset:360
	buffer_load_dword v110, off, s[0:3], 0 offset:364
	;; [unrolled: 1-line block ×10, first 2 shown]
	ds_read2_b64 v[101:104], v100 offset0:95 offset1:96
	ds_read2_b64 v[105:108], v100 offset0:97 offset1:98
	v_cmp_lt_u32_e32 vcc, 43, v0
	s_waitcnt vmcnt(8) lgkmcnt(1)
	v_fma_f64 v[100:101], v[109:110], v[101:102], 0
	s_waitcnt vmcnt(6)
	v_fma_f64 v[100:101], v[111:112], v[103:104], v[100:101]
	s_waitcnt vmcnt(4) lgkmcnt(0)
	v_fma_f64 v[100:101], v[113:114], v[105:106], v[100:101]
	s_waitcnt vmcnt(2)
	v_fma_f64 v[100:101], v[115:116], v[107:108], v[100:101]
	s_waitcnt vmcnt(0)
	v_add_f64 v[100:101], v[117:118], -v[100:101]
	buffer_store_dword v100, off, s[0:3], 0 offset:352
	buffer_store_dword v101, off, s[0:3], 0 offset:356
	s_and_saveexec_b64 s[4:5], vcc
	s_cbranch_execz .LBB112_215
; %bb.214:
	buffer_load_dword v100, off, s[0:3], 0 offset:344
	buffer_load_dword v101, off, s[0:3], 0 offset:348
	v_mov_b32_e32 v102, 0
	buffer_store_dword v102, off, s[0:3], 0 offset:344
	buffer_store_dword v102, off, s[0:3], 0 offset:348
	s_waitcnt vmcnt(2)
	ds_write_b64 v99, v[100:101]
.LBB112_215:
	s_or_b64 exec, exec, s[4:5]
	s_waitcnt lgkmcnt(0)
	; wave barrier
	buffer_load_dword v109, off, s[0:3], 0 offset:352
	buffer_load_dword v110, off, s[0:3], 0 offset:356
	buffer_load_dword v111, off, s[0:3], 0 offset:360
	buffer_load_dword v112, off, s[0:3], 0 offset:364
	buffer_load_dword v113, off, s[0:3], 0 offset:368
	buffer_load_dword v114, off, s[0:3], 0 offset:372
	buffer_load_dword v115, off, s[0:3], 0 offset:376
	buffer_load_dword v116, off, s[0:3], 0 offset:380
	buffer_load_dword v117, off, s[0:3], 0 offset:384
	buffer_load_dword v118, off, s[0:3], 0 offset:388
	buffer_load_dword v119, off, s[0:3], 0 offset:344
	buffer_load_dword v120, off, s[0:3], 0 offset:348
	v_mov_b32_e32 v100, 0
	ds_read_b128 v[101:104], v100 offset:752
	ds_read_b128 v[105:108], v100 offset:768
	v_cmp_lt_u32_e32 vcc, 42, v0
	s_waitcnt vmcnt(10) lgkmcnt(1)
	v_fma_f64 v[101:102], v[109:110], v[101:102], 0
	s_waitcnt vmcnt(8)
	v_fma_f64 v[101:102], v[111:112], v[103:104], v[101:102]
	ds_read_b64 v[103:104], v100 offset:784
	s_waitcnt vmcnt(6) lgkmcnt(1)
	v_fma_f64 v[101:102], v[113:114], v[105:106], v[101:102]
	s_waitcnt vmcnt(4)
	v_fma_f64 v[101:102], v[115:116], v[107:108], v[101:102]
	s_waitcnt vmcnt(2) lgkmcnt(0)
	v_fma_f64 v[101:102], v[117:118], v[103:104], v[101:102]
	s_waitcnt vmcnt(0)
	v_add_f64 v[101:102], v[119:120], -v[101:102]
	buffer_store_dword v101, off, s[0:3], 0 offset:344
	buffer_store_dword v102, off, s[0:3], 0 offset:348
	s_and_saveexec_b64 s[4:5], vcc
	s_cbranch_execz .LBB112_217
; %bb.216:
	buffer_load_dword v101, off, s[0:3], 0 offset:336
	buffer_load_dword v102, off, s[0:3], 0 offset:340
	s_waitcnt vmcnt(0)
	ds_write_b64 v99, v[101:102]
	buffer_store_dword v100, off, s[0:3], 0 offset:336
	buffer_store_dword v100, off, s[0:3], 0 offset:340
.LBB112_217:
	s_or_b64 exec, exec, s[4:5]
	s_waitcnt lgkmcnt(0)
	; wave barrier
	buffer_load_dword v109, off, s[0:3], 0 offset:344
	buffer_load_dword v110, off, s[0:3], 0 offset:348
	;; [unrolled: 1-line block ×14, first 2 shown]
	ds_read2_b64 v[101:104], v100 offset0:93 offset1:94
	ds_read2_b64 v[105:108], v100 offset0:95 offset1:96
	v_cmp_lt_u32_e32 vcc, 41, v0
	s_waitcnt vmcnt(12) lgkmcnt(1)
	v_fma_f64 v[101:102], v[109:110], v[101:102], 0
	s_waitcnt vmcnt(10)
	v_fma_f64 v[101:102], v[111:112], v[103:104], v[101:102]
	s_waitcnt vmcnt(8) lgkmcnt(0)
	v_fma_f64 v[101:102], v[113:114], v[105:106], v[101:102]
	s_waitcnt vmcnt(6)
	v_fma_f64 v[104:105], v[115:116], v[107:108], v[101:102]
	ds_read2_b64 v[100:103], v100 offset0:97 offset1:98
	s_waitcnt vmcnt(4) lgkmcnt(0)
	v_fma_f64 v[100:101], v[117:118], v[100:101], v[104:105]
	s_waitcnt vmcnt(2)
	v_fma_f64 v[100:101], v[119:120], v[102:103], v[100:101]
	s_waitcnt vmcnt(0)
	v_add_f64 v[100:101], v[121:122], -v[100:101]
	buffer_store_dword v100, off, s[0:3], 0 offset:336
	buffer_store_dword v101, off, s[0:3], 0 offset:340
	s_and_saveexec_b64 s[4:5], vcc
	s_cbranch_execz .LBB112_219
; %bb.218:
	buffer_load_dword v100, off, s[0:3], 0 offset:328
	buffer_load_dword v101, off, s[0:3], 0 offset:332
	v_mov_b32_e32 v102, 0
	buffer_store_dword v102, off, s[0:3], 0 offset:328
	buffer_store_dword v102, off, s[0:3], 0 offset:332
	s_waitcnt vmcnt(2)
	ds_write_b64 v99, v[100:101]
.LBB112_219:
	s_or_b64 exec, exec, s[4:5]
	s_waitcnt lgkmcnt(0)
	; wave barrier
	buffer_load_dword v109, off, s[0:3], 0 offset:336
	buffer_load_dword v110, off, s[0:3], 0 offset:340
	;; [unrolled: 1-line block ×16, first 2 shown]
	v_mov_b32_e32 v100, 0
	ds_read_b128 v[101:104], v100 offset:736
	ds_read_b128 v[105:108], v100 offset:752
	v_cmp_lt_u32_e32 vcc, 40, v0
	s_waitcnt vmcnt(14) lgkmcnt(1)
	v_fma_f64 v[101:102], v[109:110], v[101:102], 0
	s_waitcnt vmcnt(12)
	v_fma_f64 v[101:102], v[111:112], v[103:104], v[101:102]
	s_waitcnt vmcnt(10) lgkmcnt(0)
	v_fma_f64 v[101:102], v[113:114], v[105:106], v[101:102]
	s_waitcnt vmcnt(8)
	v_fma_f64 v[105:106], v[115:116], v[107:108], v[101:102]
	ds_read_b128 v[101:104], v100 offset:768
	ds_read_b64 v[107:108], v100 offset:784
	s_waitcnt vmcnt(6) lgkmcnt(1)
	v_fma_f64 v[101:102], v[117:118], v[101:102], v[105:106]
	s_waitcnt vmcnt(4)
	v_fma_f64 v[101:102], v[119:120], v[103:104], v[101:102]
	s_waitcnt vmcnt(2) lgkmcnt(0)
	v_fma_f64 v[101:102], v[121:122], v[107:108], v[101:102]
	s_waitcnt vmcnt(0)
	v_add_f64 v[101:102], v[123:124], -v[101:102]
	buffer_store_dword v101, off, s[0:3], 0 offset:328
	buffer_store_dword v102, off, s[0:3], 0 offset:332
	s_and_saveexec_b64 s[4:5], vcc
	s_cbranch_execz .LBB112_221
; %bb.220:
	buffer_load_dword v101, off, s[0:3], 0 offset:320
	buffer_load_dword v102, off, s[0:3], 0 offset:324
	s_waitcnt vmcnt(0)
	ds_write_b64 v99, v[101:102]
	buffer_store_dword v100, off, s[0:3], 0 offset:320
	buffer_store_dword v100, off, s[0:3], 0 offset:324
.LBB112_221:
	s_or_b64 exec, exec, s[4:5]
	s_waitcnt lgkmcnt(0)
	; wave barrier
	buffer_load_dword v105, off, s[0:3], 0 offset:320
	buffer_load_dword v106, off, s[0:3], 0 offset:324
	;; [unrolled: 1-line block ×16, first 2 shown]
	ds_read2_b64 v[101:104], v100 offset0:91 offset1:92
	v_cmp_lt_u32_e32 vcc, 39, v0
	s_waitcnt vmcnt(12) lgkmcnt(0)
	v_fma_f64 v[101:102], v[107:108], v[101:102], 0
	s_waitcnt vmcnt(10)
	v_fma_f64 v[107:108], v[109:110], v[103:104], v[101:102]
	ds_read2_b64 v[101:104], v100 offset0:93 offset1:94
	s_waitcnt vmcnt(8) lgkmcnt(0)
	v_fma_f64 v[101:102], v[111:112], v[101:102], v[107:108]
	s_waitcnt vmcnt(6)
	v_fma_f64 v[107:108], v[113:114], v[103:104], v[101:102]
	ds_read2_b64 v[101:104], v100 offset0:95 offset1:96
	;; [unrolled: 5-line block ×3, first 2 shown]
	s_waitcnt vmcnt(0) lgkmcnt(0)
	v_fma_f64 v[100:101], v[119:120], v[100:101], v[107:108]
	buffer_load_dword v108, off, s[0:3], 0 offset:388
	buffer_load_dword v107, off, s[0:3], 0 offset:384
	s_waitcnt vmcnt(0)
	v_fma_f64 v[100:101], v[107:108], v[102:103], v[100:101]
	v_add_f64 v[100:101], v[105:106], -v[100:101]
	buffer_store_dword v100, off, s[0:3], 0 offset:320
	buffer_store_dword v101, off, s[0:3], 0 offset:324
	s_and_saveexec_b64 s[4:5], vcc
	s_cbranch_execz .LBB112_223
; %bb.222:
	buffer_load_dword v100, off, s[0:3], 0 offset:312
	buffer_load_dword v101, off, s[0:3], 0 offset:316
	v_mov_b32_e32 v102, 0
	buffer_store_dword v102, off, s[0:3], 0 offset:312
	buffer_store_dword v102, off, s[0:3], 0 offset:316
	s_waitcnt vmcnt(2)
	ds_write_b64 v99, v[100:101]
.LBB112_223:
	s_or_b64 exec, exec, s[4:5]
	s_waitcnt lgkmcnt(0)
	; wave barrier
	buffer_load_dword v105, off, s[0:3], 0 offset:320
	buffer_load_dword v106, off, s[0:3], 0 offset:324
	;; [unrolled: 1-line block ×20, first 2 shown]
	v_mov_b32_e32 v100, 0
	ds_read_b128 v[101:104], v100 offset:720
	v_cmp_lt_u32_e32 vcc, 38, v0
	s_waitcnt vmcnt(18) lgkmcnt(0)
	v_fma_f64 v[101:102], v[105:106], v[101:102], 0
	s_waitcnt vmcnt(16)
	v_fma_f64 v[105:106], v[107:108], v[103:104], v[101:102]
	ds_read_b128 v[101:104], v100 offset:736
	s_waitcnt vmcnt(14) lgkmcnt(0)
	v_fma_f64 v[101:102], v[109:110], v[101:102], v[105:106]
	s_waitcnt vmcnt(12)
	v_fma_f64 v[105:106], v[111:112], v[103:104], v[101:102]
	ds_read_b128 v[101:104], v100 offset:752
	s_waitcnt vmcnt(10) lgkmcnt(0)
	v_fma_f64 v[101:102], v[113:114], v[101:102], v[105:106]
	s_waitcnt vmcnt(8)
	v_fma_f64 v[105:106], v[115:116], v[103:104], v[101:102]
	ds_read_b128 v[101:104], v100 offset:768
	s_waitcnt vmcnt(6) lgkmcnt(0)
	v_fma_f64 v[101:102], v[117:118], v[101:102], v[105:106]
	s_waitcnt vmcnt(4)
	v_fma_f64 v[101:102], v[119:120], v[103:104], v[101:102]
	ds_read_b64 v[103:104], v100 offset:784
	s_waitcnt vmcnt(2) lgkmcnt(0)
	v_fma_f64 v[101:102], v[121:122], v[103:104], v[101:102]
	s_waitcnt vmcnt(0)
	v_add_f64 v[101:102], v[123:124], -v[101:102]
	buffer_store_dword v101, off, s[0:3], 0 offset:312
	buffer_store_dword v102, off, s[0:3], 0 offset:316
	s_and_saveexec_b64 s[4:5], vcc
	s_cbranch_execz .LBB112_225
; %bb.224:
	buffer_load_dword v101, off, s[0:3], 0 offset:304
	buffer_load_dword v102, off, s[0:3], 0 offset:308
	s_waitcnt vmcnt(0)
	ds_write_b64 v99, v[101:102]
	buffer_store_dword v100, off, s[0:3], 0 offset:304
	buffer_store_dword v100, off, s[0:3], 0 offset:308
.LBB112_225:
	s_or_b64 exec, exec, s[4:5]
	s_waitcnt lgkmcnt(0)
	; wave barrier
	buffer_load_dword v105, off, s[0:3], 0 offset:312
	buffer_load_dword v106, off, s[0:3], 0 offset:316
	;; [unrolled: 1-line block ×20, first 2 shown]
	ds_read2_b64 v[101:104], v100 offset0:89 offset1:90
	buffer_load_dword v125, off, s[0:3], 0 offset:304
	buffer_load_dword v126, off, s[0:3], 0 offset:308
	v_cmp_lt_u32_e32 vcc, 37, v0
	s_waitcnt vmcnt(20) lgkmcnt(0)
	v_fma_f64 v[101:102], v[105:106], v[101:102], 0
	s_waitcnt vmcnt(18)
	v_fma_f64 v[105:106], v[107:108], v[103:104], v[101:102]
	ds_read2_b64 v[101:104], v100 offset0:91 offset1:92
	s_waitcnt vmcnt(16) lgkmcnt(0)
	v_fma_f64 v[101:102], v[109:110], v[101:102], v[105:106]
	s_waitcnt vmcnt(14)
	v_fma_f64 v[105:106], v[111:112], v[103:104], v[101:102]
	ds_read2_b64 v[101:104], v100 offset0:93 offset1:94
	;; [unrolled: 5-line block ×4, first 2 shown]
	s_waitcnt vmcnt(4) lgkmcnt(0)
	v_fma_f64 v[100:101], v[121:122], v[100:101], v[104:105]
	s_waitcnt vmcnt(2)
	v_fma_f64 v[100:101], v[123:124], v[102:103], v[100:101]
	s_waitcnt vmcnt(0)
	v_add_f64 v[100:101], v[125:126], -v[100:101]
	buffer_store_dword v100, off, s[0:3], 0 offset:304
	buffer_store_dword v101, off, s[0:3], 0 offset:308
	s_and_saveexec_b64 s[4:5], vcc
	s_cbranch_execz .LBB112_227
; %bb.226:
	buffer_load_dword v100, off, s[0:3], 0 offset:296
	buffer_load_dword v101, off, s[0:3], 0 offset:300
	v_mov_b32_e32 v102, 0
	buffer_store_dword v102, off, s[0:3], 0 offset:296
	buffer_store_dword v102, off, s[0:3], 0 offset:300
	s_waitcnt vmcnt(2)
	ds_write_b64 v99, v[100:101]
.LBB112_227:
	s_or_b64 exec, exec, s[4:5]
	s_waitcnt lgkmcnt(0)
	; wave barrier
	buffer_load_dword v109, off, s[0:3], 0 offset:304
	buffer_load_dword v110, off, s[0:3], 0 offset:308
	;; [unrolled: 1-line block ×21, first 2 shown]
	v_mov_b32_e32 v100, 0
	ds_read_b128 v[101:104], v100 offset:704
	ds_read_b128 v[105:108], v100 offset:720
	buffer_load_dword v126, off, s[0:3], 0 offset:388
	v_cmp_lt_u32_e32 vcc, 36, v0
	s_waitcnt vmcnt(20) lgkmcnt(1)
	v_fma_f64 v[101:102], v[109:110], v[101:102], 0
	buffer_load_dword v109, off, s[0:3], 0 offset:296
	buffer_load_dword v110, off, s[0:3], 0 offset:300
	s_waitcnt vmcnt(20)
	v_fma_f64 v[101:102], v[111:112], v[103:104], v[101:102]
	s_waitcnt vmcnt(18) lgkmcnt(0)
	v_fma_f64 v[101:102], v[113:114], v[105:106], v[101:102]
	s_waitcnt vmcnt(16)
	v_fma_f64 v[111:112], v[115:116], v[107:108], v[101:102]
	ds_read_b128 v[101:104], v100 offset:736
	ds_read_b128 v[105:108], v100 offset:752
	s_waitcnt vmcnt(14) lgkmcnt(1)
	v_fma_f64 v[101:102], v[117:118], v[101:102], v[111:112]
	s_waitcnt vmcnt(12)
	v_fma_f64 v[101:102], v[119:120], v[103:104], v[101:102]
	s_waitcnt vmcnt(10) lgkmcnt(0)
	v_fma_f64 v[101:102], v[121:122], v[105:106], v[101:102]
	s_waitcnt vmcnt(5)
	v_fma_f64 v[105:106], v[123:124], v[107:108], v[101:102]
	ds_read_b128 v[101:104], v100 offset:768
	ds_read_b64 v[107:108], v100 offset:784
	s_waitcnt vmcnt(4) lgkmcnt(1)
	v_fma_f64 v[101:102], v[129:130], v[101:102], v[105:106]
	s_waitcnt vmcnt(3)
	v_fma_f64 v[101:102], v[127:128], v[103:104], v[101:102]
	s_waitcnt vmcnt(2) lgkmcnt(0)
	v_fma_f64 v[101:102], v[125:126], v[107:108], v[101:102]
	s_waitcnt vmcnt(0)
	v_add_f64 v[101:102], v[109:110], -v[101:102]
	buffer_store_dword v102, off, s[0:3], 0 offset:300
	buffer_store_dword v101, off, s[0:3], 0 offset:296
	s_and_saveexec_b64 s[4:5], vcc
	s_cbranch_execz .LBB112_229
; %bb.228:
	buffer_load_dword v101, off, s[0:3], 0 offset:288
	buffer_load_dword v102, off, s[0:3], 0 offset:292
	s_waitcnt vmcnt(0)
	ds_write_b64 v99, v[101:102]
	buffer_store_dword v100, off, s[0:3], 0 offset:288
	buffer_store_dword v100, off, s[0:3], 0 offset:292
.LBB112_229:
	s_or_b64 exec, exec, s[4:5]
	s_waitcnt lgkmcnt(0)
	; wave barrier
	buffer_load_dword v109, off, s[0:3], 0 offset:296
	buffer_load_dword v110, off, s[0:3], 0 offset:300
	;; [unrolled: 1-line block ×21, first 2 shown]
	ds_read2_b64 v[101:104], v100 offset0:87 offset1:88
	ds_read2_b64 v[105:108], v100 offset0:89 offset1:90
	buffer_load_dword v126, off, s[0:3], 0 offset:380
	v_cmp_lt_u32_e32 vcc, 35, v0
	s_waitcnt vmcnt(20) lgkmcnt(1)
	v_fma_f64 v[101:102], v[109:110], v[101:102], 0
	buffer_load_dword v110, off, s[0:3], 0 offset:388
	buffer_load_dword v109, off, s[0:3], 0 offset:384
	s_waitcnt vmcnt(20)
	v_fma_f64 v[101:102], v[111:112], v[103:104], v[101:102]
	buffer_load_dword v111, off, s[0:3], 0 offset:288
	buffer_load_dword v112, off, s[0:3], 0 offset:292
	s_waitcnt vmcnt(20) lgkmcnt(0)
	v_fma_f64 v[101:102], v[113:114], v[105:106], v[101:102]
	s_waitcnt vmcnt(18)
	v_fma_f64 v[113:114], v[115:116], v[107:108], v[101:102]
	ds_read2_b64 v[101:104], v100 offset0:91 offset1:92
	ds_read2_b64 v[105:108], v100 offset0:93 offset1:94
	s_waitcnt vmcnt(16) lgkmcnt(1)
	v_fma_f64 v[101:102], v[117:118], v[101:102], v[113:114]
	s_waitcnt vmcnt(14)
	v_fma_f64 v[101:102], v[119:120], v[103:104], v[101:102]
	s_waitcnt vmcnt(12) lgkmcnt(0)
	v_fma_f64 v[101:102], v[121:122], v[105:106], v[101:102]
	s_waitcnt vmcnt(7)
	v_fma_f64 v[113:114], v[123:124], v[107:108], v[101:102]
	ds_read2_b64 v[101:104], v100 offset0:95 offset1:96
	ds_read2_b64 v[105:108], v100 offset0:97 offset1:98
	s_waitcnt vmcnt(6) lgkmcnt(1)
	v_fma_f64 v[100:101], v[129:130], v[101:102], v[113:114]
	s_waitcnt vmcnt(5)
	v_fma_f64 v[100:101], v[127:128], v[103:104], v[100:101]
	s_waitcnt vmcnt(4) lgkmcnt(0)
	v_fma_f64 v[100:101], v[125:126], v[105:106], v[100:101]
	s_waitcnt vmcnt(2)
	v_fma_f64 v[100:101], v[109:110], v[107:108], v[100:101]
	s_waitcnt vmcnt(0)
	v_add_f64 v[100:101], v[111:112], -v[100:101]
	buffer_store_dword v101, off, s[0:3], 0 offset:292
	buffer_store_dword v100, off, s[0:3], 0 offset:288
	s_and_saveexec_b64 s[4:5], vcc
	s_cbranch_execz .LBB112_231
; %bb.230:
	buffer_load_dword v100, off, s[0:3], 0 offset:280
	buffer_load_dword v101, off, s[0:3], 0 offset:284
	v_mov_b32_e32 v102, 0
	buffer_store_dword v102, off, s[0:3], 0 offset:280
	buffer_store_dword v102, off, s[0:3], 0 offset:284
	s_waitcnt vmcnt(2)
	ds_write_b64 v99, v[100:101]
.LBB112_231:
	s_or_b64 exec, exec, s[4:5]
	s_waitcnt lgkmcnt(0)
	; wave barrier
	buffer_load_dword v109, off, s[0:3], 0 offset:288
	buffer_load_dword v110, off, s[0:3], 0 offset:292
	;; [unrolled: 1-line block ×21, first 2 shown]
	v_mov_b32_e32 v100, 0
	ds_read_b128 v[101:104], v100 offset:688
	ds_read_b128 v[105:108], v100 offset:704
	buffer_load_dword v126, off, s[0:3], 0 offset:372
	v_cmp_lt_u32_e32 vcc, 34, v0
	s_waitcnt vmcnt(20) lgkmcnt(1)
	v_fma_f64 v[101:102], v[109:110], v[101:102], 0
	s_waitcnt vmcnt(18)
	v_fma_f64 v[101:102], v[111:112], v[103:104], v[101:102]
	buffer_load_dword v110, off, s[0:3], 0 offset:380
	buffer_load_dword v111, off, s[0:3], 0 offset:384
	;; [unrolled: 1-line block ×4, first 2 shown]
	s_waitcnt vmcnt(20) lgkmcnt(0)
	v_fma_f64 v[101:102], v[113:114], v[105:106], v[101:102]
	buffer_load_dword v113, off, s[0:3], 0 offset:280
	buffer_load_dword v114, off, s[0:3], 0 offset:284
	s_waitcnt vmcnt(20)
	v_fma_f64 v[115:116], v[115:116], v[107:108], v[101:102]
	ds_read_b128 v[101:104], v100 offset:720
	ds_read_b128 v[105:108], v100 offset:736
	s_waitcnt vmcnt(18) lgkmcnt(1)
	v_fma_f64 v[101:102], v[117:118], v[101:102], v[115:116]
	s_waitcnt vmcnt(16)
	v_fma_f64 v[101:102], v[119:120], v[103:104], v[101:102]
	s_waitcnt vmcnt(14) lgkmcnt(0)
	v_fma_f64 v[101:102], v[121:122], v[105:106], v[101:102]
	s_waitcnt vmcnt(9)
	v_fma_f64 v[115:116], v[123:124], v[107:108], v[101:102]
	ds_read_b128 v[101:104], v100 offset:752
	ds_read_b128 v[105:108], v100 offset:768
	s_waitcnt vmcnt(8) lgkmcnt(1)
	v_fma_f64 v[101:102], v[129:130], v[101:102], v[115:116]
	s_waitcnt vmcnt(7)
	v_fma_f64 v[101:102], v[127:128], v[103:104], v[101:102]
	ds_read_b64 v[103:104], v100 offset:784
	s_waitcnt vmcnt(6) lgkmcnt(1)
	v_fma_f64 v[101:102], v[125:126], v[105:106], v[101:102]
	s_waitcnt vmcnt(3)
	v_fma_f64 v[101:102], v[109:110], v[107:108], v[101:102]
	s_waitcnt vmcnt(2) lgkmcnt(0)
	v_fma_f64 v[101:102], v[111:112], v[103:104], v[101:102]
	s_waitcnt vmcnt(0)
	v_add_f64 v[101:102], v[113:114], -v[101:102]
	buffer_store_dword v102, off, s[0:3], 0 offset:284
	buffer_store_dword v101, off, s[0:3], 0 offset:280
	s_and_saveexec_b64 s[4:5], vcc
	s_cbranch_execz .LBB112_233
; %bb.232:
	buffer_load_dword v101, off, s[0:3], 0 offset:272
	buffer_load_dword v102, off, s[0:3], 0 offset:276
	s_waitcnt vmcnt(0)
	ds_write_b64 v99, v[101:102]
	buffer_store_dword v100, off, s[0:3], 0 offset:272
	buffer_store_dword v100, off, s[0:3], 0 offset:276
.LBB112_233:
	s_or_b64 exec, exec, s[4:5]
	s_waitcnt lgkmcnt(0)
	; wave barrier
	buffer_load_dword v109, off, s[0:3], 0 offset:280
	buffer_load_dword v110, off, s[0:3], 0 offset:284
	;; [unrolled: 1-line block ×22, first 2 shown]
	ds_read2_b64 v[101:104], v100 offset0:85 offset1:86
	ds_read2_b64 v[105:108], v100 offset0:87 offset1:88
	v_cmp_lt_u32_e32 vcc, 33, v0
	s_waitcnt vmcnt(20) lgkmcnt(1)
	v_fma_f64 v[101:102], v[109:110], v[101:102], 0
	s_waitcnt vmcnt(18)
	v_fma_f64 v[101:102], v[111:112], v[103:104], v[101:102]
	buffer_load_dword v110, off, s[0:3], 0 offset:372
	buffer_load_dword v111, off, s[0:3], 0 offset:384
	;; [unrolled: 1-line block ×6, first 2 shown]
	s_waitcnt vmcnt(22) lgkmcnt(0)
	v_fma_f64 v[101:102], v[113:114], v[105:106], v[101:102]
	s_waitcnt vmcnt(20)
	v_fma_f64 v[113:114], v[115:116], v[107:108], v[101:102]
	ds_read2_b64 v[101:104], v100 offset0:89 offset1:90
	buffer_load_dword v115, off, s[0:3], 0 offset:272
	buffer_load_dword v116, off, s[0:3], 0 offset:276
	ds_read2_b64 v[105:108], v100 offset0:91 offset1:92
	s_waitcnt vmcnt(20) lgkmcnt(1)
	v_fma_f64 v[101:102], v[117:118], v[101:102], v[113:114]
	s_waitcnt vmcnt(18)
	v_fma_f64 v[101:102], v[119:120], v[103:104], v[101:102]
	s_waitcnt vmcnt(16) lgkmcnt(0)
	v_fma_f64 v[101:102], v[121:122], v[105:106], v[101:102]
	s_waitcnt vmcnt(11)
	v_fma_f64 v[113:114], v[123:124], v[107:108], v[101:102]
	ds_read2_b64 v[101:104], v100 offset0:93 offset1:94
	ds_read2_b64 v[105:108], v100 offset0:95 offset1:96
	s_waitcnt vmcnt(10) lgkmcnt(1)
	v_fma_f64 v[101:102], v[129:130], v[101:102], v[113:114]
	s_waitcnt vmcnt(9)
	v_fma_f64 v[101:102], v[127:128], v[103:104], v[101:102]
	s_waitcnt vmcnt(8) lgkmcnt(0)
	v_fma_f64 v[101:102], v[125:126], v[105:106], v[101:102]
	s_waitcnt vmcnt(4)
	v_fma_f64 v[104:105], v[109:110], v[107:108], v[101:102]
	ds_read2_b64 v[100:103], v100 offset0:97 offset1:98
	s_waitcnt vmcnt(3) lgkmcnt(0)
	v_fma_f64 v[100:101], v[131:132], v[100:101], v[104:105]
	s_waitcnt vmcnt(2)
	v_fma_f64 v[100:101], v[111:112], v[102:103], v[100:101]
	s_waitcnt vmcnt(0)
	v_add_f64 v[100:101], v[115:116], -v[100:101]
	buffer_store_dword v101, off, s[0:3], 0 offset:276
	buffer_store_dword v100, off, s[0:3], 0 offset:272
	s_and_saveexec_b64 s[4:5], vcc
	s_cbranch_execz .LBB112_235
; %bb.234:
	buffer_load_dword v100, off, s[0:3], 0 offset:264
	buffer_load_dword v101, off, s[0:3], 0 offset:268
	v_mov_b32_e32 v102, 0
	buffer_store_dword v102, off, s[0:3], 0 offset:264
	buffer_store_dword v102, off, s[0:3], 0 offset:268
	s_waitcnt vmcnt(2)
	ds_write_b64 v99, v[100:101]
.LBB112_235:
	s_or_b64 exec, exec, s[4:5]
	s_waitcnt lgkmcnt(0)
	; wave barrier
	buffer_load_dword v109, off, s[0:3], 0 offset:272
	buffer_load_dword v110, off, s[0:3], 0 offset:276
	;; [unrolled: 1-line block ×22, first 2 shown]
	v_mov_b32_e32 v100, 0
	ds_read_b128 v[101:104], v100 offset:672
	ds_read_b128 v[105:108], v100 offset:688
	v_cmp_lt_u32_e32 vcc, 32, v0
	s_waitcnt vmcnt(20) lgkmcnt(1)
	v_fma_f64 v[101:102], v[109:110], v[101:102], 0
	s_waitcnt vmcnt(18)
	v_fma_f64 v[101:102], v[111:112], v[103:104], v[101:102]
	buffer_load_dword v110, off, s[0:3], 0 offset:364
	buffer_load_dword v111, off, s[0:3], 0 offset:384
	;; [unrolled: 1-line block ×8, first 2 shown]
	s_waitcnt vmcnt(24) lgkmcnt(0)
	v_fma_f64 v[101:102], v[113:114], v[105:106], v[101:102]
	s_waitcnt vmcnt(22)
	v_fma_f64 v[113:114], v[115:116], v[107:108], v[101:102]
	ds_read_b128 v[101:104], v100 offset:704
	ds_read_b128 v[105:108], v100 offset:720
	s_waitcnt vmcnt(20) lgkmcnt(1)
	v_fma_f64 v[101:102], v[117:118], v[101:102], v[113:114]
	buffer_load_dword v113, off, s[0:3], 0 offset:264
	buffer_load_dword v114, off, s[0:3], 0 offset:268
	s_waitcnt vmcnt(20)
	v_fma_f64 v[101:102], v[119:120], v[103:104], v[101:102]
	s_waitcnt vmcnt(18) lgkmcnt(0)
	v_fma_f64 v[101:102], v[121:122], v[105:106], v[101:102]
	s_waitcnt vmcnt(13)
	v_fma_f64 v[115:116], v[123:124], v[107:108], v[101:102]
	ds_read_b128 v[101:104], v100 offset:736
	ds_read_b128 v[105:108], v100 offset:752
	s_waitcnt vmcnt(12) lgkmcnt(1)
	v_fma_f64 v[101:102], v[129:130], v[101:102], v[115:116]
	s_waitcnt vmcnt(11)
	v_fma_f64 v[101:102], v[127:128], v[103:104], v[101:102]
	s_waitcnt vmcnt(10) lgkmcnt(0)
	v_fma_f64 v[101:102], v[125:126], v[105:106], v[101:102]
	s_waitcnt vmcnt(5)
	v_fma_f64 v[105:106], v[109:110], v[107:108], v[101:102]
	ds_read_b128 v[101:104], v100 offset:768
	ds_read_b64 v[107:108], v100 offset:784
	s_waitcnt vmcnt(4) lgkmcnt(1)
	v_fma_f64 v[101:102], v[133:134], v[101:102], v[105:106]
	s_waitcnt vmcnt(3)
	v_fma_f64 v[101:102], v[131:132], v[103:104], v[101:102]
	s_waitcnt vmcnt(2) lgkmcnt(0)
	v_fma_f64 v[101:102], v[111:112], v[107:108], v[101:102]
	s_waitcnt vmcnt(0)
	v_add_f64 v[101:102], v[113:114], -v[101:102]
	buffer_store_dword v102, off, s[0:3], 0 offset:268
	buffer_store_dword v101, off, s[0:3], 0 offset:264
	s_and_saveexec_b64 s[4:5], vcc
	s_cbranch_execz .LBB112_237
; %bb.236:
	buffer_load_dword v101, off, s[0:3], 0 offset:256
	buffer_load_dword v102, off, s[0:3], 0 offset:260
	s_waitcnt vmcnt(0)
	ds_write_b64 v99, v[101:102]
	buffer_store_dword v100, off, s[0:3], 0 offset:256
	buffer_store_dword v100, off, s[0:3], 0 offset:260
.LBB112_237:
	s_or_b64 exec, exec, s[4:5]
	s_waitcnt lgkmcnt(0)
	; wave barrier
	buffer_load_dword v109, off, s[0:3], 0 offset:264
	buffer_load_dword v110, off, s[0:3], 0 offset:268
	;; [unrolled: 1-line block ×22, first 2 shown]
	ds_read2_b64 v[101:104], v100 offset0:83 offset1:84
	ds_read2_b64 v[105:108], v100 offset0:85 offset1:86
	v_cmp_lt_u32_e32 vcc, 31, v0
	s_waitcnt vmcnt(20) lgkmcnt(1)
	v_fma_f64 v[101:102], v[109:110], v[101:102], 0
	s_waitcnt vmcnt(18)
	v_fma_f64 v[101:102], v[111:112], v[103:104], v[101:102]
	buffer_load_dword v110, off, s[0:3], 0 offset:356
	buffer_load_dword v111, off, s[0:3], 0 offset:376
	;; [unrolled: 1-line block ×8, first 2 shown]
	s_waitcnt vmcnt(24) lgkmcnt(0)
	v_fma_f64 v[101:102], v[113:114], v[105:106], v[101:102]
	s_waitcnt vmcnt(22)
	v_fma_f64 v[113:114], v[115:116], v[107:108], v[101:102]
	ds_read2_b64 v[101:104], v100 offset0:87 offset1:88
	ds_read2_b64 v[105:108], v100 offset0:89 offset1:90
	s_waitcnt vmcnt(20) lgkmcnt(1)
	v_fma_f64 v[101:102], v[117:118], v[101:102], v[113:114]
	buffer_load_dword v114, off, s[0:3], 0 offset:388
	buffer_load_dword v113, off, s[0:3], 0 offset:384
	;; [unrolled: 1-line block ×4, first 2 shown]
	s_waitcnt vmcnt(22)
	v_fma_f64 v[101:102], v[119:120], v[103:104], v[101:102]
	s_waitcnt vmcnt(20) lgkmcnt(0)
	v_fma_f64 v[101:102], v[121:122], v[105:106], v[101:102]
	s_waitcnt vmcnt(15)
	v_fma_f64 v[117:118], v[123:124], v[107:108], v[101:102]
	ds_read2_b64 v[101:104], v100 offset0:91 offset1:92
	ds_read2_b64 v[105:108], v100 offset0:93 offset1:94
	s_waitcnt vmcnt(14) lgkmcnt(1)
	v_fma_f64 v[101:102], v[129:130], v[101:102], v[117:118]
	s_waitcnt vmcnt(13)
	v_fma_f64 v[101:102], v[127:128], v[103:104], v[101:102]
	s_waitcnt vmcnt(12) lgkmcnt(0)
	v_fma_f64 v[101:102], v[125:126], v[105:106], v[101:102]
	s_waitcnt vmcnt(7)
	v_fma_f64 v[109:110], v[109:110], v[107:108], v[101:102]
	ds_read2_b64 v[101:104], v100 offset0:95 offset1:96
	ds_read2_b64 v[105:108], v100 offset0:97 offset1:98
	s_waitcnt vmcnt(6) lgkmcnt(1)
	v_fma_f64 v[100:101], v[133:134], v[101:102], v[109:110]
	s_waitcnt vmcnt(5)
	v_fma_f64 v[100:101], v[131:132], v[103:104], v[100:101]
	s_waitcnt vmcnt(4) lgkmcnt(0)
	v_fma_f64 v[100:101], v[111:112], v[105:106], v[100:101]
	s_waitcnt vmcnt(2)
	v_fma_f64 v[100:101], v[113:114], v[107:108], v[100:101]
	s_waitcnt vmcnt(0)
	v_add_f64 v[100:101], v[115:116], -v[100:101]
	buffer_store_dword v101, off, s[0:3], 0 offset:260
	buffer_store_dword v100, off, s[0:3], 0 offset:256
	s_and_saveexec_b64 s[4:5], vcc
	s_cbranch_execz .LBB112_239
; %bb.238:
	buffer_load_dword v100, off, s[0:3], 0 offset:248
	buffer_load_dword v101, off, s[0:3], 0 offset:252
	v_mov_b32_e32 v102, 0
	buffer_store_dword v102, off, s[0:3], 0 offset:248
	buffer_store_dword v102, off, s[0:3], 0 offset:252
	s_waitcnt vmcnt(2)
	ds_write_b64 v99, v[100:101]
.LBB112_239:
	s_or_b64 exec, exec, s[4:5]
	s_waitcnt lgkmcnt(0)
	; wave barrier
	buffer_load_dword v109, off, s[0:3], 0 offset:256
	buffer_load_dword v110, off, s[0:3], 0 offset:260
	;; [unrolled: 1-line block ×22, first 2 shown]
	v_mov_b32_e32 v100, 0
	ds_read_b128 v[101:104], v100 offset:656
	ds_read_b128 v[105:108], v100 offset:672
	v_cmp_lt_u32_e32 vcc, 30, v0
	s_waitcnt vmcnt(20) lgkmcnt(1)
	v_fma_f64 v[101:102], v[109:110], v[101:102], 0
	s_waitcnt vmcnt(18)
	v_fma_f64 v[101:102], v[111:112], v[103:104], v[101:102]
	buffer_load_dword v110, off, s[0:3], 0 offset:348
	buffer_load_dword v111, off, s[0:3], 0 offset:368
	;; [unrolled: 1-line block ×7, first 2 shown]
	s_waitcnt vmcnt(23) lgkmcnt(0)
	v_fma_f64 v[101:102], v[113:114], v[105:106], v[101:102]
	s_waitcnt vmcnt(21)
	v_fma_f64 v[112:113], v[115:116], v[107:108], v[101:102]
	ds_read_b128 v[101:104], v100 offset:688
	ds_read_b128 v[105:108], v100 offset:704
	s_waitcnt vmcnt(19) lgkmcnt(1)
	v_fma_f64 v[101:102], v[117:118], v[101:102], v[112:113]
	buffer_load_dword v112, off, s[0:3], 0 offset:372
	buffer_load_dword v114, off, s[0:3], 0 offset:380
	;; [unrolled: 1-line block ×7, first 2 shown]
	s_waitcnt vmcnt(24)
	v_fma_f64 v[101:102], v[119:120], v[103:104], v[101:102]
	s_waitcnt vmcnt(22) lgkmcnt(0)
	v_fma_f64 v[101:102], v[121:122], v[105:106], v[101:102]
	s_waitcnt vmcnt(17)
	v_fma_f64 v[119:120], v[123:124], v[107:108], v[101:102]
	ds_read_b128 v[101:104], v100 offset:720
	ds_read_b128 v[105:108], v100 offset:736
	s_waitcnt vmcnt(16) lgkmcnt(1)
	v_fma_f64 v[101:102], v[129:130], v[101:102], v[119:120]
	s_waitcnt vmcnt(15)
	v_fma_f64 v[101:102], v[127:128], v[103:104], v[101:102]
	s_waitcnt vmcnt(14) lgkmcnt(0)
	v_fma_f64 v[101:102], v[125:126], v[105:106], v[101:102]
	s_waitcnt vmcnt(9)
	v_fma_f64 v[109:110], v[109:110], v[107:108], v[101:102]
	ds_read_b128 v[101:104], v100 offset:752
	ds_read_b128 v[105:108], v100 offset:768
	s_waitcnt vmcnt(8) lgkmcnt(1)
	v_fma_f64 v[101:102], v[133:134], v[101:102], v[109:110]
	s_waitcnt vmcnt(7)
	v_fma_f64 v[101:102], v[131:132], v[103:104], v[101:102]
	ds_read_b64 v[103:104], v100 offset:784
	s_waitcnt vmcnt(6) lgkmcnt(1)
	v_fma_f64 v[101:102], v[111:112], v[105:106], v[101:102]
	s_waitcnt vmcnt(3)
	v_fma_f64 v[101:102], v[113:114], v[107:108], v[101:102]
	s_waitcnt vmcnt(2) lgkmcnt(0)
	v_fma_f64 v[101:102], v[115:116], v[103:104], v[101:102]
	s_waitcnt vmcnt(0)
	v_add_f64 v[101:102], v[117:118], -v[101:102]
	buffer_store_dword v102, off, s[0:3], 0 offset:252
	buffer_store_dword v101, off, s[0:3], 0 offset:248
	s_and_saveexec_b64 s[4:5], vcc
	s_cbranch_execz .LBB112_241
; %bb.240:
	buffer_load_dword v101, off, s[0:3], 0 offset:240
	buffer_load_dword v102, off, s[0:3], 0 offset:244
	s_waitcnt vmcnt(0)
	ds_write_b64 v99, v[101:102]
	buffer_store_dword v100, off, s[0:3], 0 offset:240
	buffer_store_dword v100, off, s[0:3], 0 offset:244
.LBB112_241:
	s_or_b64 exec, exec, s[4:5]
	s_waitcnt lgkmcnt(0)
	; wave barrier
	buffer_load_dword v109, off, s[0:3], 0 offset:248
	buffer_load_dword v110, off, s[0:3], 0 offset:252
	;; [unrolled: 1-line block ×22, first 2 shown]
	ds_read2_b64 v[101:104], v100 offset0:81 offset1:82
	ds_read2_b64 v[105:108], v100 offset0:83 offset1:84
	v_cmp_lt_u32_e32 vcc, 29, v0
	s_waitcnt vmcnt(20) lgkmcnt(1)
	v_fma_f64 v[101:102], v[109:110], v[101:102], 0
	s_waitcnt vmcnt(18)
	v_fma_f64 v[101:102], v[111:112], v[103:104], v[101:102]
	buffer_load_dword v110, off, s[0:3], 0 offset:340
	buffer_load_dword v111, off, s[0:3], 0 offset:360
	;; [unrolled: 1-line block ×7, first 2 shown]
	s_waitcnt vmcnt(23) lgkmcnt(0)
	v_fma_f64 v[101:102], v[113:114], v[105:106], v[101:102]
	s_waitcnt vmcnt(21)
	v_fma_f64 v[112:113], v[115:116], v[107:108], v[101:102]
	ds_read2_b64 v[101:104], v100 offset0:85 offset1:86
	ds_read2_b64 v[105:108], v100 offset0:87 offset1:88
	s_waitcnt vmcnt(19) lgkmcnt(1)
	v_fma_f64 v[101:102], v[117:118], v[101:102], v[112:113]
	buffer_load_dword v112, off, s[0:3], 0 offset:364
	buffer_load_dword v114, off, s[0:3], 0 offset:372
	;; [unrolled: 1-line block ×7, first 2 shown]
	s_waitcnt vmcnt(24)
	v_fma_f64 v[101:102], v[119:120], v[103:104], v[101:102]
	s_waitcnt vmcnt(22) lgkmcnt(0)
	v_fma_f64 v[101:102], v[121:122], v[105:106], v[101:102]
	s_waitcnt vmcnt(17)
	v_fma_f64 v[119:120], v[123:124], v[107:108], v[101:102]
	ds_read2_b64 v[101:104], v100 offset0:89 offset1:90
	buffer_load_dword v121, off, s[0:3], 0 offset:240
	buffer_load_dword v122, off, s[0:3], 0 offset:244
	ds_read2_b64 v[105:108], v100 offset0:91 offset1:92
	s_waitcnt vmcnt(18) lgkmcnt(1)
	v_fma_f64 v[101:102], v[129:130], v[101:102], v[119:120]
	s_waitcnt vmcnt(17)
	v_fma_f64 v[101:102], v[127:128], v[103:104], v[101:102]
	s_waitcnt vmcnt(16) lgkmcnt(0)
	v_fma_f64 v[101:102], v[125:126], v[105:106], v[101:102]
	s_waitcnt vmcnt(11)
	v_fma_f64 v[109:110], v[109:110], v[107:108], v[101:102]
	ds_read2_b64 v[101:104], v100 offset0:93 offset1:94
	ds_read2_b64 v[105:108], v100 offset0:95 offset1:96
	s_waitcnt vmcnt(10) lgkmcnt(1)
	v_fma_f64 v[101:102], v[133:134], v[101:102], v[109:110]
	s_waitcnt vmcnt(9)
	v_fma_f64 v[101:102], v[131:132], v[103:104], v[101:102]
	s_waitcnt vmcnt(8) lgkmcnt(0)
	v_fma_f64 v[101:102], v[111:112], v[105:106], v[101:102]
	s_waitcnt vmcnt(4)
	v_fma_f64 v[104:105], v[113:114], v[107:108], v[101:102]
	ds_read2_b64 v[100:103], v100 offset0:97 offset1:98
	s_waitcnt vmcnt(3) lgkmcnt(0)
	v_fma_f64 v[100:101], v[117:118], v[100:101], v[104:105]
	s_waitcnt vmcnt(2)
	v_fma_f64 v[100:101], v[115:116], v[102:103], v[100:101]
	s_waitcnt vmcnt(0)
	v_add_f64 v[100:101], v[121:122], -v[100:101]
	buffer_store_dword v101, off, s[0:3], 0 offset:244
	buffer_store_dword v100, off, s[0:3], 0 offset:240
	s_and_saveexec_b64 s[4:5], vcc
	s_cbranch_execz .LBB112_243
; %bb.242:
	buffer_load_dword v100, off, s[0:3], 0 offset:232
	buffer_load_dword v101, off, s[0:3], 0 offset:236
	v_mov_b32_e32 v102, 0
	buffer_store_dword v102, off, s[0:3], 0 offset:232
	buffer_store_dword v102, off, s[0:3], 0 offset:236
	s_waitcnt vmcnt(2)
	ds_write_b64 v99, v[100:101]
.LBB112_243:
	s_or_b64 exec, exec, s[4:5]
	s_waitcnt lgkmcnt(0)
	; wave barrier
	buffer_load_dword v109, off, s[0:3], 0 offset:240
	buffer_load_dword v110, off, s[0:3], 0 offset:244
	;; [unrolled: 1-line block ×22, first 2 shown]
	v_mov_b32_e32 v100, 0
	ds_read_b128 v[101:104], v100 offset:640
	ds_read_b128 v[105:108], v100 offset:656
	v_cmp_lt_u32_e32 vcc, 28, v0
	s_waitcnt vmcnt(20) lgkmcnt(1)
	v_fma_f64 v[101:102], v[109:110], v[101:102], 0
	s_waitcnt vmcnt(18)
	v_fma_f64 v[101:102], v[111:112], v[103:104], v[101:102]
	buffer_load_dword v110, off, s[0:3], 0 offset:332
	buffer_load_dword v111, off, s[0:3], 0 offset:352
	;; [unrolled: 1-line block ×7, first 2 shown]
	s_waitcnt vmcnt(23) lgkmcnt(0)
	v_fma_f64 v[101:102], v[113:114], v[105:106], v[101:102]
	s_waitcnt vmcnt(21)
	v_fma_f64 v[112:113], v[115:116], v[107:108], v[101:102]
	ds_read_b128 v[101:104], v100 offset:672
	ds_read_b128 v[105:108], v100 offset:688
	s_waitcnt vmcnt(19) lgkmcnt(1)
	v_fma_f64 v[101:102], v[117:118], v[101:102], v[112:113]
	buffer_load_dword v112, off, s[0:3], 0 offset:356
	s_waitcnt vmcnt(18)
	v_fma_f64 v[101:102], v[119:120], v[103:104], v[101:102]
	buffer_load_dword v114, off, s[0:3], 0 offset:364
	buffer_load_dword v115, off, s[0:3], 0 offset:384
	;; [unrolled: 1-line block ×8, first 2 shown]
	s_waitcnt vmcnt(24) lgkmcnt(0)
	v_fma_f64 v[101:102], v[121:122], v[105:106], v[101:102]
	s_waitcnt vmcnt(19)
	v_fma_f64 v[121:122], v[123:124], v[107:108], v[101:102]
	ds_read_b128 v[101:104], v100 offset:704
	ds_read_b128 v[105:108], v100 offset:720
	s_waitcnt vmcnt(18) lgkmcnt(1)
	v_fma_f64 v[101:102], v[129:130], v[101:102], v[121:122]
	buffer_load_dword v121, off, s[0:3], 0 offset:232
	buffer_load_dword v122, off, s[0:3], 0 offset:236
	s_waitcnt vmcnt(19)
	v_fma_f64 v[101:102], v[127:128], v[103:104], v[101:102]
	s_waitcnt vmcnt(18) lgkmcnt(0)
	v_fma_f64 v[101:102], v[125:126], v[105:106], v[101:102]
	s_waitcnt vmcnt(13)
	v_fma_f64 v[109:110], v[109:110], v[107:108], v[101:102]
	ds_read_b128 v[101:104], v100 offset:736
	ds_read_b128 v[105:108], v100 offset:752
	s_waitcnt vmcnt(12) lgkmcnt(1)
	v_fma_f64 v[101:102], v[133:134], v[101:102], v[109:110]
	s_waitcnt vmcnt(11)
	v_fma_f64 v[101:102], v[131:132], v[103:104], v[101:102]
	s_waitcnt vmcnt(10) lgkmcnt(0)
	v_fma_f64 v[101:102], v[111:112], v[105:106], v[101:102]
	s_waitcnt vmcnt(5)
	v_fma_f64 v[105:106], v[113:114], v[107:108], v[101:102]
	ds_read_b128 v[101:104], v100 offset:768
	ds_read_b64 v[107:108], v100 offset:784
	s_waitcnt vmcnt(4) lgkmcnt(1)
	v_fma_f64 v[101:102], v[119:120], v[101:102], v[105:106]
	s_waitcnt vmcnt(3)
	v_fma_f64 v[101:102], v[117:118], v[103:104], v[101:102]
	s_waitcnt vmcnt(2) lgkmcnt(0)
	v_fma_f64 v[101:102], v[115:116], v[107:108], v[101:102]
	s_waitcnt vmcnt(0)
	v_add_f64 v[101:102], v[121:122], -v[101:102]
	buffer_store_dword v102, off, s[0:3], 0 offset:236
	buffer_store_dword v101, off, s[0:3], 0 offset:232
	s_and_saveexec_b64 s[4:5], vcc
	s_cbranch_execz .LBB112_245
; %bb.244:
	buffer_load_dword v101, off, s[0:3], 0 offset:224
	buffer_load_dword v102, off, s[0:3], 0 offset:228
	s_waitcnt vmcnt(0)
	ds_write_b64 v99, v[101:102]
	buffer_store_dword v100, off, s[0:3], 0 offset:224
	buffer_store_dword v100, off, s[0:3], 0 offset:228
.LBB112_245:
	s_or_b64 exec, exec, s[4:5]
	s_waitcnt lgkmcnt(0)
	; wave barrier
	buffer_load_dword v109, off, s[0:3], 0 offset:232
	buffer_load_dword v110, off, s[0:3], 0 offset:236
	;; [unrolled: 1-line block ×22, first 2 shown]
	ds_read2_b64 v[101:104], v100 offset0:79 offset1:80
	ds_read2_b64 v[105:108], v100 offset0:81 offset1:82
	v_cmp_lt_u32_e32 vcc, 27, v0
	s_waitcnt vmcnt(20) lgkmcnt(1)
	v_fma_f64 v[101:102], v[109:110], v[101:102], 0
	s_waitcnt vmcnt(18)
	v_fma_f64 v[101:102], v[111:112], v[103:104], v[101:102]
	buffer_load_dword v110, off, s[0:3], 0 offset:324
	buffer_load_dword v111, off, s[0:3], 0 offset:344
	;; [unrolled: 1-line block ×7, first 2 shown]
	s_waitcnt vmcnt(23) lgkmcnt(0)
	v_fma_f64 v[101:102], v[113:114], v[105:106], v[101:102]
	s_waitcnt vmcnt(21)
	v_fma_f64 v[112:113], v[115:116], v[107:108], v[101:102]
	ds_read2_b64 v[101:104], v100 offset0:83 offset1:84
	ds_read2_b64 v[105:108], v100 offset0:85 offset1:86
	s_waitcnt vmcnt(19) lgkmcnt(1)
	v_fma_f64 v[101:102], v[117:118], v[101:102], v[112:113]
	buffer_load_dword v112, off, s[0:3], 0 offset:348
	s_waitcnt vmcnt(18)
	v_fma_f64 v[101:102], v[119:120], v[103:104], v[101:102]
	buffer_load_dword v114, off, s[0:3], 0 offset:356
	buffer_load_dword v115, off, s[0:3], 0 offset:376
	buffer_load_dword v117, off, s[0:3], 0 offset:368
	buffer_load_dword v119, off, s[0:3], 0 offset:360
	buffer_load_dword v113, off, s[0:3], 0 offset:352
	buffer_load_dword v120, off, s[0:3], 0 offset:364
	buffer_load_dword v118, off, s[0:3], 0 offset:372
	buffer_load_dword v116, off, s[0:3], 0 offset:380
	s_waitcnt vmcnt(24) lgkmcnt(0)
	v_fma_f64 v[101:102], v[121:122], v[105:106], v[101:102]
	s_waitcnt vmcnt(19)
	v_fma_f64 v[121:122], v[123:124], v[107:108], v[101:102]
	ds_read2_b64 v[101:104], v100 offset0:87 offset1:88
	ds_read2_b64 v[105:108], v100 offset0:89 offset1:90
	s_waitcnt vmcnt(18) lgkmcnt(1)
	v_fma_f64 v[101:102], v[129:130], v[101:102], v[121:122]
	buffer_load_dword v122, off, s[0:3], 0 offset:388
	buffer_load_dword v121, off, s[0:3], 0 offset:384
	;; [unrolled: 1-line block ×4, first 2 shown]
	s_waitcnt vmcnt(21)
	v_fma_f64 v[101:102], v[127:128], v[103:104], v[101:102]
	s_waitcnt vmcnt(20) lgkmcnt(0)
	v_fma_f64 v[101:102], v[125:126], v[105:106], v[101:102]
	s_waitcnt vmcnt(15)
	v_fma_f64 v[109:110], v[109:110], v[107:108], v[101:102]
	ds_read2_b64 v[101:104], v100 offset0:91 offset1:92
	ds_read2_b64 v[105:108], v100 offset0:93 offset1:94
	s_waitcnt vmcnt(14) lgkmcnt(1)
	v_fma_f64 v[101:102], v[133:134], v[101:102], v[109:110]
	s_waitcnt vmcnt(13)
	v_fma_f64 v[101:102], v[131:132], v[103:104], v[101:102]
	s_waitcnt vmcnt(12) lgkmcnt(0)
	v_fma_f64 v[101:102], v[111:112], v[105:106], v[101:102]
	s_waitcnt vmcnt(7)
	v_fma_f64 v[109:110], v[113:114], v[107:108], v[101:102]
	ds_read2_b64 v[101:104], v100 offset0:95 offset1:96
	ds_read2_b64 v[105:108], v100 offset0:97 offset1:98
	s_waitcnt vmcnt(6) lgkmcnt(1)
	v_fma_f64 v[100:101], v[119:120], v[101:102], v[109:110]
	s_waitcnt vmcnt(5)
	v_fma_f64 v[100:101], v[117:118], v[103:104], v[100:101]
	s_waitcnt vmcnt(4) lgkmcnt(0)
	v_fma_f64 v[100:101], v[115:116], v[105:106], v[100:101]
	s_waitcnt vmcnt(2)
	v_fma_f64 v[100:101], v[121:122], v[107:108], v[100:101]
	s_waitcnt vmcnt(0)
	v_add_f64 v[100:101], v[123:124], -v[100:101]
	buffer_store_dword v101, off, s[0:3], 0 offset:228
	buffer_store_dword v100, off, s[0:3], 0 offset:224
	s_and_saveexec_b64 s[4:5], vcc
	s_cbranch_execz .LBB112_247
; %bb.246:
	buffer_load_dword v100, off, s[0:3], 0 offset:216
	buffer_load_dword v101, off, s[0:3], 0 offset:220
	v_mov_b32_e32 v102, 0
	buffer_store_dword v102, off, s[0:3], 0 offset:216
	buffer_store_dword v102, off, s[0:3], 0 offset:220
	s_waitcnt vmcnt(2)
	ds_write_b64 v99, v[100:101]
.LBB112_247:
	s_or_b64 exec, exec, s[4:5]
	s_waitcnt lgkmcnt(0)
	; wave barrier
	buffer_load_dword v109, off, s[0:3], 0 offset:224
	buffer_load_dword v110, off, s[0:3], 0 offset:228
	;; [unrolled: 1-line block ×21, first 2 shown]
	v_mov_b32_e32 v100, 0
	ds_read_b128 v[101:104], v100 offset:624
	ds_read_b128 v[105:108], v100 offset:640
	buffer_load_dword v126, off, s[0:3], 0 offset:308
	v_cmp_lt_u32_e32 vcc, 26, v0
	s_waitcnt vmcnt(20) lgkmcnt(1)
	v_fma_f64 v[101:102], v[109:110], v[101:102], 0
	s_waitcnt vmcnt(18)
	v_fma_f64 v[101:102], v[111:112], v[103:104], v[101:102]
	buffer_load_dword v110, off, s[0:3], 0 offset:316
	buffer_load_dword v111, off, s[0:3], 0 offset:336
	;; [unrolled: 1-line block ×7, first 2 shown]
	s_waitcnt vmcnt(23) lgkmcnt(0)
	v_fma_f64 v[101:102], v[113:114], v[105:106], v[101:102]
	s_waitcnt vmcnt(21)
	v_fma_f64 v[112:113], v[115:116], v[107:108], v[101:102]
	ds_read_b128 v[101:104], v100 offset:656
	ds_read_b128 v[105:108], v100 offset:672
	s_waitcnt vmcnt(19) lgkmcnt(1)
	v_fma_f64 v[101:102], v[117:118], v[101:102], v[112:113]
	buffer_load_dword v112, off, s[0:3], 0 offset:340
	s_waitcnt vmcnt(18)
	v_fma_f64 v[101:102], v[119:120], v[103:104], v[101:102]
	buffer_load_dword v114, off, s[0:3], 0 offset:348
	buffer_load_dword v115, off, s[0:3], 0 offset:368
	;; [unrolled: 1-line block ×7, first 2 shown]
	s_waitcnt vmcnt(23) lgkmcnt(0)
	v_fma_f64 v[101:102], v[121:122], v[105:106], v[101:102]
	s_waitcnt vmcnt(18)
	v_fma_f64 v[121:122], v[123:124], v[107:108], v[101:102]
	ds_read_b128 v[101:104], v100 offset:688
	ds_read_b128 v[105:108], v100 offset:704
	buffer_load_dword v116, off, s[0:3], 0 offset:372
	s_waitcnt vmcnt(18) lgkmcnt(1)
	v_fma_f64 v[101:102], v[129:130], v[101:102], v[121:122]
	buffer_load_dword v122, off, s[0:3], 0 offset:380
	buffer_load_dword v123, off, s[0:3], 0 offset:384
	;; [unrolled: 1-line block ×4, first 2 shown]
	s_waitcnt vmcnt(21)
	v_fma_f64 v[101:102], v[127:128], v[103:104], v[101:102]
	s_waitcnt vmcnt(20) lgkmcnt(0)
	v_fma_f64 v[101:102], v[125:126], v[105:106], v[101:102]
	buffer_load_dword v125, off, s[0:3], 0 offset:216
	buffer_load_dword v126, off, s[0:3], 0 offset:220
	s_waitcnt vmcnt(17)
	v_fma_f64 v[109:110], v[109:110], v[107:108], v[101:102]
	ds_read_b128 v[101:104], v100 offset:720
	ds_read_b128 v[105:108], v100 offset:736
	s_waitcnt vmcnt(16) lgkmcnt(1)
	v_fma_f64 v[101:102], v[133:134], v[101:102], v[109:110]
	s_waitcnt vmcnt(15)
	v_fma_f64 v[101:102], v[131:132], v[103:104], v[101:102]
	s_waitcnt vmcnt(14) lgkmcnt(0)
	v_fma_f64 v[101:102], v[111:112], v[105:106], v[101:102]
	s_waitcnt vmcnt(9)
	v_fma_f64 v[109:110], v[113:114], v[107:108], v[101:102]
	ds_read_b128 v[101:104], v100 offset:752
	ds_read_b128 v[105:108], v100 offset:768
	s_waitcnt vmcnt(8) lgkmcnt(1)
	v_fma_f64 v[101:102], v[119:120], v[101:102], v[109:110]
	s_waitcnt vmcnt(7)
	v_fma_f64 v[101:102], v[117:118], v[103:104], v[101:102]
	ds_read_b64 v[103:104], v100 offset:784
	s_waitcnt vmcnt(6) lgkmcnt(1)
	v_fma_f64 v[101:102], v[115:116], v[105:106], v[101:102]
	s_waitcnt vmcnt(3)
	v_fma_f64 v[101:102], v[121:122], v[107:108], v[101:102]
	s_waitcnt vmcnt(2) lgkmcnt(0)
	v_fma_f64 v[101:102], v[123:124], v[103:104], v[101:102]
	s_waitcnt vmcnt(0)
	v_add_f64 v[101:102], v[125:126], -v[101:102]
	buffer_store_dword v102, off, s[0:3], 0 offset:220
	buffer_store_dword v101, off, s[0:3], 0 offset:216
	s_and_saveexec_b64 s[4:5], vcc
	s_cbranch_execz .LBB112_249
; %bb.248:
	buffer_load_dword v101, off, s[0:3], 0 offset:208
	buffer_load_dword v102, off, s[0:3], 0 offset:212
	s_waitcnt vmcnt(0)
	ds_write_b64 v99, v[101:102]
	buffer_store_dword v100, off, s[0:3], 0 offset:208
	buffer_store_dword v100, off, s[0:3], 0 offset:212
.LBB112_249:
	s_or_b64 exec, exec, s[4:5]
	s_waitcnt lgkmcnt(0)
	; wave barrier
	buffer_load_dword v109, off, s[0:3], 0 offset:216
	buffer_load_dword v110, off, s[0:3], 0 offset:220
	;; [unrolled: 1-line block ×21, first 2 shown]
	ds_read2_b64 v[101:104], v100 offset0:77 offset1:78
	ds_read2_b64 v[105:108], v100 offset0:79 offset1:80
	buffer_load_dword v126, off, s[0:3], 0 offset:300
	v_cmp_lt_u32_e32 vcc, 25, v0
	s_waitcnt vmcnt(20) lgkmcnt(1)
	v_fma_f64 v[101:102], v[109:110], v[101:102], 0
	s_waitcnt vmcnt(18)
	v_fma_f64 v[101:102], v[111:112], v[103:104], v[101:102]
	buffer_load_dword v110, off, s[0:3], 0 offset:308
	buffer_load_dword v111, off, s[0:3], 0 offset:328
	;; [unrolled: 1-line block ×7, first 2 shown]
	s_waitcnt vmcnt(23) lgkmcnt(0)
	v_fma_f64 v[101:102], v[113:114], v[105:106], v[101:102]
	s_waitcnt vmcnt(21)
	v_fma_f64 v[112:113], v[115:116], v[107:108], v[101:102]
	ds_read2_b64 v[101:104], v100 offset0:81 offset1:82
	ds_read2_b64 v[105:108], v100 offset0:83 offset1:84
	s_waitcnt vmcnt(19) lgkmcnt(1)
	v_fma_f64 v[101:102], v[117:118], v[101:102], v[112:113]
	buffer_load_dword v112, off, s[0:3], 0 offset:332
	s_waitcnt vmcnt(18)
	v_fma_f64 v[101:102], v[119:120], v[103:104], v[101:102]
	buffer_load_dword v114, off, s[0:3], 0 offset:340
	buffer_load_dword v115, off, s[0:3], 0 offset:360
	;; [unrolled: 1-line block ×8, first 2 shown]
	s_waitcnt vmcnt(24) lgkmcnt(0)
	v_fma_f64 v[101:102], v[121:122], v[105:106], v[101:102]
	s_waitcnt vmcnt(19)
	v_fma_f64 v[121:122], v[123:124], v[107:108], v[101:102]
	ds_read2_b64 v[101:104], v100 offset0:85 offset1:86
	ds_read2_b64 v[105:108], v100 offset0:87 offset1:88
	s_waitcnt vmcnt(18) lgkmcnt(1)
	v_fma_f64 v[101:102], v[129:130], v[101:102], v[121:122]
	s_waitcnt vmcnt(17)
	v_fma_f64 v[101:102], v[127:128], v[103:104], v[101:102]
	buffer_load_dword v122, off, s[0:3], 0 offset:372
	buffer_load_dword v123, off, s[0:3], 0 offset:384
	;; [unrolled: 1-line block ×6, first 2 shown]
	s_waitcnt vmcnt(22) lgkmcnt(0)
	v_fma_f64 v[101:102], v[125:126], v[105:106], v[101:102]
	s_waitcnt vmcnt(17)
	v_fma_f64 v[109:110], v[109:110], v[107:108], v[101:102]
	ds_read2_b64 v[101:104], v100 offset0:89 offset1:90
	buffer_load_dword v125, off, s[0:3], 0 offset:208
	buffer_load_dword v126, off, s[0:3], 0 offset:212
	ds_read2_b64 v[105:108], v100 offset0:91 offset1:92
	s_waitcnt vmcnt(18) lgkmcnt(1)
	v_fma_f64 v[101:102], v[133:134], v[101:102], v[109:110]
	s_waitcnt vmcnt(17)
	v_fma_f64 v[101:102], v[131:132], v[103:104], v[101:102]
	s_waitcnt vmcnt(16) lgkmcnt(0)
	v_fma_f64 v[101:102], v[111:112], v[105:106], v[101:102]
	s_waitcnt vmcnt(11)
	v_fma_f64 v[109:110], v[113:114], v[107:108], v[101:102]
	ds_read2_b64 v[101:104], v100 offset0:93 offset1:94
	ds_read2_b64 v[105:108], v100 offset0:95 offset1:96
	s_waitcnt vmcnt(10) lgkmcnt(1)
	v_fma_f64 v[101:102], v[119:120], v[101:102], v[109:110]
	s_waitcnt vmcnt(9)
	v_fma_f64 v[101:102], v[117:118], v[103:104], v[101:102]
	s_waitcnt vmcnt(8) lgkmcnt(0)
	v_fma_f64 v[101:102], v[115:116], v[105:106], v[101:102]
	s_waitcnt vmcnt(4)
	v_fma_f64 v[104:105], v[121:122], v[107:108], v[101:102]
	ds_read2_b64 v[100:103], v100 offset0:97 offset1:98
	s_waitcnt vmcnt(3) lgkmcnt(0)
	v_fma_f64 v[100:101], v[127:128], v[100:101], v[104:105]
	s_waitcnt vmcnt(2)
	v_fma_f64 v[100:101], v[123:124], v[102:103], v[100:101]
	s_waitcnt vmcnt(0)
	v_add_f64 v[100:101], v[125:126], -v[100:101]
	buffer_store_dword v101, off, s[0:3], 0 offset:212
	buffer_store_dword v100, off, s[0:3], 0 offset:208
	s_and_saveexec_b64 s[4:5], vcc
	s_cbranch_execz .LBB112_251
; %bb.250:
	buffer_load_dword v100, off, s[0:3], 0 offset:200
	buffer_load_dword v101, off, s[0:3], 0 offset:204
	v_mov_b32_e32 v102, 0
	buffer_store_dword v102, off, s[0:3], 0 offset:200
	buffer_store_dword v102, off, s[0:3], 0 offset:204
	s_waitcnt vmcnt(2)
	ds_write_b64 v99, v[100:101]
.LBB112_251:
	s_or_b64 exec, exec, s[4:5]
	s_waitcnt lgkmcnt(0)
	; wave barrier
	buffer_load_dword v109, off, s[0:3], 0 offset:208
	buffer_load_dword v110, off, s[0:3], 0 offset:212
	;; [unrolled: 1-line block ×21, first 2 shown]
	v_mov_b32_e32 v100, 0
	ds_read_b128 v[101:104], v100 offset:608
	ds_read_b128 v[105:108], v100 offset:624
	buffer_load_dword v126, off, s[0:3], 0 offset:292
	v_cmp_lt_u32_e32 vcc, 24, v0
	s_waitcnt vmcnt(20) lgkmcnt(1)
	v_fma_f64 v[101:102], v[109:110], v[101:102], 0
	s_waitcnt vmcnt(18)
	v_fma_f64 v[101:102], v[111:112], v[103:104], v[101:102]
	buffer_load_dword v110, off, s[0:3], 0 offset:300
	buffer_load_dword v111, off, s[0:3], 0 offset:320
	;; [unrolled: 1-line block ×7, first 2 shown]
	s_waitcnt vmcnt(23) lgkmcnt(0)
	v_fma_f64 v[101:102], v[113:114], v[105:106], v[101:102]
	s_waitcnt vmcnt(21)
	v_fma_f64 v[112:113], v[115:116], v[107:108], v[101:102]
	ds_read_b128 v[101:104], v100 offset:640
	ds_read_b128 v[105:108], v100 offset:656
	s_waitcnt vmcnt(19) lgkmcnt(1)
	v_fma_f64 v[101:102], v[117:118], v[101:102], v[112:113]
	buffer_load_dword v112, off, s[0:3], 0 offset:324
	s_waitcnt vmcnt(18)
	v_fma_f64 v[101:102], v[119:120], v[103:104], v[101:102]
	buffer_load_dword v114, off, s[0:3], 0 offset:332
	buffer_load_dword v115, off, s[0:3], 0 offset:352
	;; [unrolled: 1-line block ×8, first 2 shown]
	s_waitcnt vmcnt(24) lgkmcnt(0)
	v_fma_f64 v[101:102], v[121:122], v[105:106], v[101:102]
	s_waitcnt vmcnt(19)
	v_fma_f64 v[121:122], v[123:124], v[107:108], v[101:102]
	ds_read_b128 v[101:104], v100 offset:672
	ds_read_b128 v[105:108], v100 offset:688
	s_waitcnt vmcnt(18) lgkmcnt(1)
	v_fma_f64 v[101:102], v[129:130], v[101:102], v[121:122]
	s_waitcnt vmcnt(17)
	v_fma_f64 v[101:102], v[127:128], v[103:104], v[101:102]
	buffer_load_dword v122, off, s[0:3], 0 offset:364
	buffer_load_dword v123, off, s[0:3], 0 offset:384
	;; [unrolled: 1-line block ×8, first 2 shown]
	s_waitcnt vmcnt(24) lgkmcnt(0)
	v_fma_f64 v[101:102], v[125:126], v[105:106], v[101:102]
	s_waitcnt vmcnt(19)
	v_fma_f64 v[109:110], v[109:110], v[107:108], v[101:102]
	ds_read_b128 v[101:104], v100 offset:704
	ds_read_b128 v[105:108], v100 offset:720
	s_waitcnt vmcnt(18) lgkmcnt(1)
	v_fma_f64 v[101:102], v[133:134], v[101:102], v[109:110]
	buffer_load_dword v109, off, s[0:3], 0 offset:200
	buffer_load_dword v110, off, s[0:3], 0 offset:204
	s_waitcnt vmcnt(19)
	v_fma_f64 v[101:102], v[131:132], v[103:104], v[101:102]
	s_waitcnt vmcnt(18) lgkmcnt(0)
	v_fma_f64 v[101:102], v[111:112], v[105:106], v[101:102]
	s_waitcnt vmcnt(13)
	v_fma_f64 v[111:112], v[113:114], v[107:108], v[101:102]
	ds_read_b128 v[101:104], v100 offset:736
	ds_read_b128 v[105:108], v100 offset:752
	s_waitcnt vmcnt(12) lgkmcnt(1)
	v_fma_f64 v[101:102], v[119:120], v[101:102], v[111:112]
	s_waitcnt vmcnt(11)
	v_fma_f64 v[101:102], v[117:118], v[103:104], v[101:102]
	s_waitcnt vmcnt(10) lgkmcnt(0)
	v_fma_f64 v[101:102], v[115:116], v[105:106], v[101:102]
	s_waitcnt vmcnt(5)
	v_fma_f64 v[105:106], v[121:122], v[107:108], v[101:102]
	ds_read_b128 v[101:104], v100 offset:768
	ds_read_b64 v[107:108], v100 offset:784
	s_waitcnt vmcnt(4) lgkmcnt(1)
	v_fma_f64 v[101:102], v[129:130], v[101:102], v[105:106]
	s_waitcnt vmcnt(3)
	v_fma_f64 v[101:102], v[127:128], v[103:104], v[101:102]
	s_waitcnt vmcnt(2) lgkmcnt(0)
	v_fma_f64 v[101:102], v[123:124], v[107:108], v[101:102]
	s_waitcnt vmcnt(0)
	v_add_f64 v[101:102], v[109:110], -v[101:102]
	buffer_store_dword v102, off, s[0:3], 0 offset:204
	buffer_store_dword v101, off, s[0:3], 0 offset:200
	s_and_saveexec_b64 s[4:5], vcc
	s_cbranch_execz .LBB112_253
; %bb.252:
	buffer_load_dword v101, off, s[0:3], 0 offset:192
	buffer_load_dword v102, off, s[0:3], 0 offset:196
	s_waitcnt vmcnt(0)
	ds_write_b64 v99, v[101:102]
	buffer_store_dword v100, off, s[0:3], 0 offset:192
	buffer_store_dword v100, off, s[0:3], 0 offset:196
.LBB112_253:
	s_or_b64 exec, exec, s[4:5]
	s_waitcnt lgkmcnt(0)
	; wave barrier
	buffer_load_dword v109, off, s[0:3], 0 offset:200
	buffer_load_dword v110, off, s[0:3], 0 offset:204
	;; [unrolled: 1-line block ×21, first 2 shown]
	ds_read2_b64 v[101:104], v100 offset0:75 offset1:76
	ds_read2_b64 v[105:108], v100 offset0:77 offset1:78
	buffer_load_dword v126, off, s[0:3], 0 offset:284
	v_cmp_lt_u32_e32 vcc, 23, v0
	s_waitcnt vmcnt(20) lgkmcnt(1)
	v_fma_f64 v[101:102], v[109:110], v[101:102], 0
	s_waitcnt vmcnt(18)
	v_fma_f64 v[101:102], v[111:112], v[103:104], v[101:102]
	buffer_load_dword v110, off, s[0:3], 0 offset:292
	buffer_load_dword v111, off, s[0:3], 0 offset:312
	;; [unrolled: 1-line block ×7, first 2 shown]
	s_waitcnt vmcnt(23) lgkmcnt(0)
	v_fma_f64 v[101:102], v[113:114], v[105:106], v[101:102]
	s_waitcnt vmcnt(21)
	v_fma_f64 v[112:113], v[115:116], v[107:108], v[101:102]
	ds_read2_b64 v[101:104], v100 offset0:79 offset1:80
	ds_read2_b64 v[105:108], v100 offset0:81 offset1:82
	s_waitcnt vmcnt(19) lgkmcnt(1)
	v_fma_f64 v[101:102], v[117:118], v[101:102], v[112:113]
	buffer_load_dword v112, off, s[0:3], 0 offset:316
	s_waitcnt vmcnt(18)
	v_fma_f64 v[101:102], v[119:120], v[103:104], v[101:102]
	buffer_load_dword v114, off, s[0:3], 0 offset:324
	buffer_load_dword v115, off, s[0:3], 0 offset:344
	;; [unrolled: 1-line block ×8, first 2 shown]
	s_waitcnt vmcnt(24) lgkmcnt(0)
	v_fma_f64 v[101:102], v[121:122], v[105:106], v[101:102]
	s_waitcnt vmcnt(19)
	v_fma_f64 v[121:122], v[123:124], v[107:108], v[101:102]
	ds_read2_b64 v[101:104], v100 offset0:83 offset1:84
	ds_read2_b64 v[105:108], v100 offset0:85 offset1:86
	s_waitcnt vmcnt(18) lgkmcnt(1)
	v_fma_f64 v[101:102], v[129:130], v[101:102], v[121:122]
	s_waitcnt vmcnt(17)
	v_fma_f64 v[101:102], v[127:128], v[103:104], v[101:102]
	buffer_load_dword v122, off, s[0:3], 0 offset:356
	buffer_load_dword v123, off, s[0:3], 0 offset:376
	;; [unrolled: 1-line block ×8, first 2 shown]
	s_waitcnt vmcnt(24) lgkmcnt(0)
	v_fma_f64 v[101:102], v[125:126], v[105:106], v[101:102]
	s_waitcnt vmcnt(19)
	v_fma_f64 v[109:110], v[109:110], v[107:108], v[101:102]
	ds_read2_b64 v[101:104], v100 offset0:87 offset1:88
	ds_read2_b64 v[105:108], v100 offset0:89 offset1:90
	s_waitcnt vmcnt(18) lgkmcnt(1)
	v_fma_f64 v[101:102], v[133:134], v[101:102], v[109:110]
	buffer_load_dword v110, off, s[0:3], 0 offset:388
	buffer_load_dword v109, off, s[0:3], 0 offset:384
	;; [unrolled: 1-line block ×4, first 2 shown]
	s_waitcnt vmcnt(21)
	v_fma_f64 v[101:102], v[131:132], v[103:104], v[101:102]
	s_waitcnt vmcnt(20) lgkmcnt(0)
	v_fma_f64 v[101:102], v[111:112], v[105:106], v[101:102]
	s_waitcnt vmcnt(15)
	v_fma_f64 v[111:112], v[113:114], v[107:108], v[101:102]
	ds_read2_b64 v[101:104], v100 offset0:91 offset1:92
	ds_read2_b64 v[105:108], v100 offset0:93 offset1:94
	s_waitcnt vmcnt(14) lgkmcnt(1)
	v_fma_f64 v[101:102], v[119:120], v[101:102], v[111:112]
	s_waitcnt vmcnt(13)
	v_fma_f64 v[101:102], v[117:118], v[103:104], v[101:102]
	s_waitcnt vmcnt(12) lgkmcnt(0)
	v_fma_f64 v[101:102], v[115:116], v[105:106], v[101:102]
	s_waitcnt vmcnt(7)
	v_fma_f64 v[111:112], v[121:122], v[107:108], v[101:102]
	ds_read2_b64 v[101:104], v100 offset0:95 offset1:96
	ds_read2_b64 v[105:108], v100 offset0:97 offset1:98
	s_waitcnt vmcnt(6) lgkmcnt(1)
	v_fma_f64 v[100:101], v[129:130], v[101:102], v[111:112]
	s_waitcnt vmcnt(5)
	v_fma_f64 v[100:101], v[127:128], v[103:104], v[100:101]
	s_waitcnt vmcnt(4) lgkmcnt(0)
	v_fma_f64 v[100:101], v[123:124], v[105:106], v[100:101]
	s_waitcnt vmcnt(2)
	v_fma_f64 v[100:101], v[109:110], v[107:108], v[100:101]
	s_waitcnt vmcnt(0)
	v_add_f64 v[100:101], v[125:126], -v[100:101]
	buffer_store_dword v101, off, s[0:3], 0 offset:196
	buffer_store_dword v100, off, s[0:3], 0 offset:192
	s_and_saveexec_b64 s[4:5], vcc
	s_cbranch_execz .LBB112_255
; %bb.254:
	buffer_load_dword v100, off, s[0:3], 0 offset:184
	buffer_load_dword v101, off, s[0:3], 0 offset:188
	v_mov_b32_e32 v102, 0
	buffer_store_dword v102, off, s[0:3], 0 offset:184
	buffer_store_dword v102, off, s[0:3], 0 offset:188
	s_waitcnt vmcnt(2)
	ds_write_b64 v99, v[100:101]
.LBB112_255:
	s_or_b64 exec, exec, s[4:5]
	s_waitcnt lgkmcnt(0)
	; wave barrier
	buffer_load_dword v109, off, s[0:3], 0 offset:192
	buffer_load_dword v110, off, s[0:3], 0 offset:196
	;; [unrolled: 1-line block ×21, first 2 shown]
	v_mov_b32_e32 v100, 0
	ds_read_b128 v[101:104], v100 offset:592
	ds_read_b128 v[105:108], v100 offset:608
	buffer_load_dword v126, off, s[0:3], 0 offset:276
	v_cmp_lt_u32_e32 vcc, 22, v0
	s_waitcnt vmcnt(20) lgkmcnt(1)
	v_fma_f64 v[101:102], v[109:110], v[101:102], 0
	s_waitcnt vmcnt(18)
	v_fma_f64 v[101:102], v[111:112], v[103:104], v[101:102]
	buffer_load_dword v110, off, s[0:3], 0 offset:284
	buffer_load_dword v111, off, s[0:3], 0 offset:304
	;; [unrolled: 1-line block ×7, first 2 shown]
	s_waitcnt vmcnt(23) lgkmcnt(0)
	v_fma_f64 v[101:102], v[113:114], v[105:106], v[101:102]
	s_waitcnt vmcnt(21)
	v_fma_f64 v[112:113], v[115:116], v[107:108], v[101:102]
	ds_read_b128 v[101:104], v100 offset:624
	ds_read_b128 v[105:108], v100 offset:640
	s_waitcnt vmcnt(19) lgkmcnt(1)
	v_fma_f64 v[101:102], v[117:118], v[101:102], v[112:113]
	buffer_load_dword v112, off, s[0:3], 0 offset:308
	s_waitcnt vmcnt(18)
	v_fma_f64 v[101:102], v[119:120], v[103:104], v[101:102]
	buffer_load_dword v114, off, s[0:3], 0 offset:316
	buffer_load_dword v115, off, s[0:3], 0 offset:336
	;; [unrolled: 1-line block ×8, first 2 shown]
	s_waitcnt vmcnt(24) lgkmcnt(0)
	v_fma_f64 v[101:102], v[121:122], v[105:106], v[101:102]
	s_waitcnt vmcnt(19)
	v_fma_f64 v[121:122], v[123:124], v[107:108], v[101:102]
	ds_read_b128 v[101:104], v100 offset:656
	ds_read_b128 v[105:108], v100 offset:672
	s_waitcnt vmcnt(18) lgkmcnt(1)
	v_fma_f64 v[101:102], v[129:130], v[101:102], v[121:122]
	s_waitcnt vmcnt(17)
	v_fma_f64 v[101:102], v[127:128], v[103:104], v[101:102]
	buffer_load_dword v122, off, s[0:3], 0 offset:348
	buffer_load_dword v123, off, s[0:3], 0 offset:368
	;; [unrolled: 1-line block ×7, first 2 shown]
	s_waitcnt vmcnt(23) lgkmcnt(0)
	v_fma_f64 v[101:102], v[125:126], v[105:106], v[101:102]
	s_waitcnt vmcnt(18)
	v_fma_f64 v[109:110], v[109:110], v[107:108], v[101:102]
	ds_read_b128 v[101:104], v100 offset:688
	ds_read_b128 v[105:108], v100 offset:704
	buffer_load_dword v124, off, s[0:3], 0 offset:372
	s_waitcnt vmcnt(18) lgkmcnt(1)
	v_fma_f64 v[101:102], v[133:134], v[101:102], v[109:110]
	buffer_load_dword v110, off, s[0:3], 0 offset:380
	buffer_load_dword v125, off, s[0:3], 0 offset:384
	;; [unrolled: 1-line block ×4, first 2 shown]
	s_waitcnt vmcnt(21)
	v_fma_f64 v[101:102], v[131:132], v[103:104], v[101:102]
	s_waitcnt vmcnt(20) lgkmcnt(0)
	v_fma_f64 v[101:102], v[111:112], v[105:106], v[101:102]
	buffer_load_dword v111, off, s[0:3], 0 offset:184
	buffer_load_dword v112, off, s[0:3], 0 offset:188
	s_waitcnt vmcnt(17)
	v_fma_f64 v[113:114], v[113:114], v[107:108], v[101:102]
	ds_read_b128 v[101:104], v100 offset:720
	ds_read_b128 v[105:108], v100 offset:736
	s_waitcnt vmcnt(16) lgkmcnt(1)
	v_fma_f64 v[101:102], v[119:120], v[101:102], v[113:114]
	s_waitcnt vmcnt(15)
	v_fma_f64 v[101:102], v[117:118], v[103:104], v[101:102]
	s_waitcnt vmcnt(14) lgkmcnt(0)
	v_fma_f64 v[101:102], v[115:116], v[105:106], v[101:102]
	s_waitcnt vmcnt(9)
	v_fma_f64 v[113:114], v[121:122], v[107:108], v[101:102]
	ds_read_b128 v[101:104], v100 offset:752
	ds_read_b128 v[105:108], v100 offset:768
	s_waitcnt vmcnt(8) lgkmcnt(1)
	v_fma_f64 v[101:102], v[129:130], v[101:102], v[113:114]
	s_waitcnt vmcnt(7)
	v_fma_f64 v[101:102], v[127:128], v[103:104], v[101:102]
	ds_read_b64 v[103:104], v100 offset:784
	s_waitcnt vmcnt(6) lgkmcnt(1)
	v_fma_f64 v[101:102], v[123:124], v[105:106], v[101:102]
	s_waitcnt vmcnt(3)
	v_fma_f64 v[101:102], v[109:110], v[107:108], v[101:102]
	s_waitcnt vmcnt(2) lgkmcnt(0)
	v_fma_f64 v[101:102], v[125:126], v[103:104], v[101:102]
	s_waitcnt vmcnt(0)
	v_add_f64 v[101:102], v[111:112], -v[101:102]
	buffer_store_dword v102, off, s[0:3], 0 offset:188
	buffer_store_dword v101, off, s[0:3], 0 offset:184
	s_and_saveexec_b64 s[4:5], vcc
	s_cbranch_execz .LBB112_257
; %bb.256:
	buffer_load_dword v101, off, s[0:3], 0 offset:176
	buffer_load_dword v102, off, s[0:3], 0 offset:180
	s_waitcnt vmcnt(0)
	ds_write_b64 v99, v[101:102]
	buffer_store_dword v100, off, s[0:3], 0 offset:176
	buffer_store_dword v100, off, s[0:3], 0 offset:180
.LBB112_257:
	s_or_b64 exec, exec, s[4:5]
	s_waitcnt lgkmcnt(0)
	; wave barrier
	buffer_load_dword v109, off, s[0:3], 0 offset:184
	buffer_load_dword v110, off, s[0:3], 0 offset:188
	;; [unrolled: 1-line block ×22, first 2 shown]
	ds_read2_b64 v[101:104], v100 offset0:73 offset1:74
	ds_read2_b64 v[105:108], v100 offset0:75 offset1:76
	v_cmp_lt_u32_e32 vcc, 21, v0
	s_waitcnt vmcnt(20) lgkmcnt(1)
	v_fma_f64 v[101:102], v[109:110], v[101:102], 0
	s_waitcnt vmcnt(18)
	v_fma_f64 v[101:102], v[111:112], v[103:104], v[101:102]
	buffer_load_dword v110, off, s[0:3], 0 offset:276
	buffer_load_dword v111, off, s[0:3], 0 offset:296
	;; [unrolled: 1-line block ×7, first 2 shown]
	s_waitcnt vmcnt(23) lgkmcnt(0)
	v_fma_f64 v[101:102], v[113:114], v[105:106], v[101:102]
	s_waitcnt vmcnt(21)
	v_fma_f64 v[112:113], v[115:116], v[107:108], v[101:102]
	ds_read2_b64 v[101:104], v100 offset0:77 offset1:78
	ds_read2_b64 v[105:108], v100 offset0:79 offset1:80
	s_waitcnt vmcnt(19) lgkmcnt(1)
	v_fma_f64 v[101:102], v[117:118], v[101:102], v[112:113]
	buffer_load_dword v112, off, s[0:3], 0 offset:300
	s_waitcnt vmcnt(18)
	v_fma_f64 v[101:102], v[119:120], v[103:104], v[101:102]
	buffer_load_dword v114, off, s[0:3], 0 offset:308
	buffer_load_dword v115, off, s[0:3], 0 offset:328
	;; [unrolled: 1-line block ×8, first 2 shown]
	s_waitcnt vmcnt(24) lgkmcnt(0)
	v_fma_f64 v[101:102], v[121:122], v[105:106], v[101:102]
	s_waitcnt vmcnt(19)
	v_fma_f64 v[121:122], v[123:124], v[107:108], v[101:102]
	ds_read2_b64 v[101:104], v100 offset0:81 offset1:82
	ds_read2_b64 v[105:108], v100 offset0:83 offset1:84
	s_waitcnt vmcnt(18) lgkmcnt(1)
	v_fma_f64 v[101:102], v[129:130], v[101:102], v[121:122]
	s_waitcnt vmcnt(17)
	v_fma_f64 v[101:102], v[127:128], v[103:104], v[101:102]
	buffer_load_dword v122, off, s[0:3], 0 offset:340
	buffer_load_dword v123, off, s[0:3], 0 offset:360
	;; [unrolled: 1-line block ×8, first 2 shown]
	s_waitcnt vmcnt(24) lgkmcnt(0)
	v_fma_f64 v[101:102], v[125:126], v[105:106], v[101:102]
	s_waitcnt vmcnt(19)
	v_fma_f64 v[109:110], v[109:110], v[107:108], v[101:102]
	ds_read2_b64 v[101:104], v100 offset0:85 offset1:86
	ds_read2_b64 v[105:108], v100 offset0:87 offset1:88
	s_waitcnt vmcnt(18) lgkmcnt(1)
	v_fma_f64 v[101:102], v[133:134], v[101:102], v[109:110]
	s_waitcnt vmcnt(17)
	v_fma_f64 v[101:102], v[131:132], v[103:104], v[101:102]
	buffer_load_dword v110, off, s[0:3], 0 offset:372
	buffer_load_dword v125, off, s[0:3], 0 offset:384
	;; [unrolled: 1-line block ×6, first 2 shown]
	s_waitcnt vmcnt(22) lgkmcnt(0)
	v_fma_f64 v[101:102], v[111:112], v[105:106], v[101:102]
	s_waitcnt vmcnt(17)
	v_fma_f64 v[111:112], v[113:114], v[107:108], v[101:102]
	ds_read2_b64 v[101:104], v100 offset0:89 offset1:90
	buffer_load_dword v113, off, s[0:3], 0 offset:176
	buffer_load_dword v114, off, s[0:3], 0 offset:180
	ds_read2_b64 v[105:108], v100 offset0:91 offset1:92
	s_waitcnt vmcnt(18) lgkmcnt(1)
	v_fma_f64 v[101:102], v[119:120], v[101:102], v[111:112]
	s_waitcnt vmcnt(17)
	v_fma_f64 v[101:102], v[117:118], v[103:104], v[101:102]
	s_waitcnt vmcnt(16) lgkmcnt(0)
	v_fma_f64 v[101:102], v[115:116], v[105:106], v[101:102]
	s_waitcnt vmcnt(11)
	v_fma_f64 v[111:112], v[121:122], v[107:108], v[101:102]
	ds_read2_b64 v[101:104], v100 offset0:93 offset1:94
	ds_read2_b64 v[105:108], v100 offset0:95 offset1:96
	s_waitcnt vmcnt(10) lgkmcnt(1)
	v_fma_f64 v[101:102], v[129:130], v[101:102], v[111:112]
	s_waitcnt vmcnt(9)
	v_fma_f64 v[101:102], v[127:128], v[103:104], v[101:102]
	s_waitcnt vmcnt(8) lgkmcnt(0)
	v_fma_f64 v[101:102], v[123:124], v[105:106], v[101:102]
	s_waitcnt vmcnt(4)
	v_fma_f64 v[104:105], v[109:110], v[107:108], v[101:102]
	ds_read2_b64 v[100:103], v100 offset0:97 offset1:98
	s_waitcnt vmcnt(3) lgkmcnt(0)
	v_fma_f64 v[100:101], v[131:132], v[100:101], v[104:105]
	s_waitcnt vmcnt(2)
	v_fma_f64 v[100:101], v[125:126], v[102:103], v[100:101]
	s_waitcnt vmcnt(0)
	v_add_f64 v[100:101], v[113:114], -v[100:101]
	buffer_store_dword v101, off, s[0:3], 0 offset:180
	buffer_store_dword v100, off, s[0:3], 0 offset:176
	s_and_saveexec_b64 s[4:5], vcc
	s_cbranch_execz .LBB112_259
; %bb.258:
	buffer_load_dword v100, off, s[0:3], 0 offset:168
	buffer_load_dword v101, off, s[0:3], 0 offset:172
	v_mov_b32_e32 v102, 0
	buffer_store_dword v102, off, s[0:3], 0 offset:168
	buffer_store_dword v102, off, s[0:3], 0 offset:172
	s_waitcnt vmcnt(2)
	ds_write_b64 v99, v[100:101]
.LBB112_259:
	s_or_b64 exec, exec, s[4:5]
	s_waitcnt lgkmcnt(0)
	; wave barrier
	buffer_load_dword v109, off, s[0:3], 0 offset:176
	buffer_load_dword v110, off, s[0:3], 0 offset:180
	;; [unrolled: 1-line block ×22, first 2 shown]
	v_mov_b32_e32 v100, 0
	ds_read_b128 v[101:104], v100 offset:576
	ds_read_b128 v[105:108], v100 offset:592
	v_cmp_lt_u32_e32 vcc, 20, v0
	s_waitcnt vmcnt(20) lgkmcnt(1)
	v_fma_f64 v[101:102], v[109:110], v[101:102], 0
	s_waitcnt vmcnt(18)
	v_fma_f64 v[101:102], v[111:112], v[103:104], v[101:102]
	buffer_load_dword v110, off, s[0:3], 0 offset:268
	buffer_load_dword v111, off, s[0:3], 0 offset:288
	;; [unrolled: 1-line block ×7, first 2 shown]
	s_waitcnt vmcnt(23) lgkmcnt(0)
	v_fma_f64 v[101:102], v[113:114], v[105:106], v[101:102]
	s_waitcnt vmcnt(21)
	v_fma_f64 v[112:113], v[115:116], v[107:108], v[101:102]
	ds_read_b128 v[101:104], v100 offset:608
	ds_read_b128 v[105:108], v100 offset:624
	s_waitcnt vmcnt(19) lgkmcnt(1)
	v_fma_f64 v[101:102], v[117:118], v[101:102], v[112:113]
	buffer_load_dword v112, off, s[0:3], 0 offset:292
	s_waitcnt vmcnt(18)
	v_fma_f64 v[101:102], v[119:120], v[103:104], v[101:102]
	buffer_load_dword v114, off, s[0:3], 0 offset:300
	buffer_load_dword v115, off, s[0:3], 0 offset:320
	buffer_load_dword v117, off, s[0:3], 0 offset:312
	buffer_load_dword v119, off, s[0:3], 0 offset:304
	buffer_load_dword v113, off, s[0:3], 0 offset:296
	buffer_load_dword v120, off, s[0:3], 0 offset:308
	buffer_load_dword v118, off, s[0:3], 0 offset:316
	buffer_load_dword v116, off, s[0:3], 0 offset:324
	s_waitcnt vmcnt(24) lgkmcnt(0)
	v_fma_f64 v[101:102], v[121:122], v[105:106], v[101:102]
	s_waitcnt vmcnt(19)
	v_fma_f64 v[121:122], v[123:124], v[107:108], v[101:102]
	ds_read_b128 v[101:104], v100 offset:640
	ds_read_b128 v[105:108], v100 offset:656
	s_waitcnt vmcnt(18) lgkmcnt(1)
	v_fma_f64 v[101:102], v[129:130], v[101:102], v[121:122]
	s_waitcnt vmcnt(17)
	v_fma_f64 v[101:102], v[127:128], v[103:104], v[101:102]
	buffer_load_dword v122, off, s[0:3], 0 offset:332
	buffer_load_dword v123, off, s[0:3], 0 offset:352
	buffer_load_dword v127, off, s[0:3], 0 offset:344
	buffer_load_dword v129, off, s[0:3], 0 offset:336
	buffer_load_dword v121, off, s[0:3], 0 offset:328
	buffer_load_dword v130, off, s[0:3], 0 offset:340
	buffer_load_dword v128, off, s[0:3], 0 offset:348
	buffer_load_dword v124, off, s[0:3], 0 offset:356
	s_waitcnt vmcnt(24) lgkmcnt(0)
	v_fma_f64 v[101:102], v[125:126], v[105:106], v[101:102]
	s_waitcnt vmcnt(19)
	v_fma_f64 v[109:110], v[109:110], v[107:108], v[101:102]
	ds_read_b128 v[101:104], v100 offset:672
	ds_read_b128 v[105:108], v100 offset:688
	s_waitcnt vmcnt(18) lgkmcnt(1)
	v_fma_f64 v[101:102], v[133:134], v[101:102], v[109:110]
	;; [unrolled: 18-line block ×3, first 2 shown]
	buffer_load_dword v111, off, s[0:3], 0 offset:168
	buffer_load_dword v112, off, s[0:3], 0 offset:172
	s_waitcnt vmcnt(19)
	v_fma_f64 v[101:102], v[117:118], v[103:104], v[101:102]
	s_waitcnt vmcnt(18) lgkmcnt(0)
	v_fma_f64 v[101:102], v[115:116], v[105:106], v[101:102]
	s_waitcnt vmcnt(13)
	v_fma_f64 v[113:114], v[121:122], v[107:108], v[101:102]
	ds_read_b128 v[101:104], v100 offset:736
	ds_read_b128 v[105:108], v100 offset:752
	s_waitcnt vmcnt(12) lgkmcnt(1)
	v_fma_f64 v[101:102], v[129:130], v[101:102], v[113:114]
	s_waitcnt vmcnt(11)
	v_fma_f64 v[101:102], v[127:128], v[103:104], v[101:102]
	s_waitcnt vmcnt(10) lgkmcnt(0)
	v_fma_f64 v[101:102], v[123:124], v[105:106], v[101:102]
	s_waitcnt vmcnt(5)
	v_fma_f64 v[105:106], v[109:110], v[107:108], v[101:102]
	ds_read_b128 v[101:104], v100 offset:768
	ds_read_b64 v[107:108], v100 offset:784
	s_waitcnt vmcnt(4) lgkmcnt(1)
	v_fma_f64 v[101:102], v[133:134], v[101:102], v[105:106]
	s_waitcnt vmcnt(3)
	v_fma_f64 v[101:102], v[131:132], v[103:104], v[101:102]
	s_waitcnt vmcnt(2) lgkmcnt(0)
	v_fma_f64 v[101:102], v[125:126], v[107:108], v[101:102]
	s_waitcnt vmcnt(0)
	v_add_f64 v[101:102], v[111:112], -v[101:102]
	buffer_store_dword v102, off, s[0:3], 0 offset:172
	buffer_store_dword v101, off, s[0:3], 0 offset:168
	s_and_saveexec_b64 s[4:5], vcc
	s_cbranch_execz .LBB112_261
; %bb.260:
	buffer_load_dword v101, off, s[0:3], 0 offset:160
	buffer_load_dword v102, off, s[0:3], 0 offset:164
	s_waitcnt vmcnt(0)
	ds_write_b64 v99, v[101:102]
	buffer_store_dword v100, off, s[0:3], 0 offset:160
	buffer_store_dword v100, off, s[0:3], 0 offset:164
.LBB112_261:
	s_or_b64 exec, exec, s[4:5]
	s_waitcnt lgkmcnt(0)
	; wave barrier
	buffer_load_dword v109, off, s[0:3], 0 offset:168
	buffer_load_dword v110, off, s[0:3], 0 offset:172
	;; [unrolled: 1-line block ×22, first 2 shown]
	ds_read2_b64 v[101:104], v100 offset0:71 offset1:72
	ds_read2_b64 v[105:108], v100 offset0:73 offset1:74
	v_cmp_lt_u32_e32 vcc, 19, v0
	s_waitcnt vmcnt(20) lgkmcnt(1)
	v_fma_f64 v[101:102], v[109:110], v[101:102], 0
	s_waitcnt vmcnt(18)
	v_fma_f64 v[101:102], v[111:112], v[103:104], v[101:102]
	buffer_load_dword v110, off, s[0:3], 0 offset:260
	buffer_load_dword v111, off, s[0:3], 0 offset:280
	;; [unrolled: 1-line block ×7, first 2 shown]
	s_waitcnt vmcnt(23) lgkmcnt(0)
	v_fma_f64 v[101:102], v[113:114], v[105:106], v[101:102]
	s_waitcnt vmcnt(21)
	v_fma_f64 v[112:113], v[115:116], v[107:108], v[101:102]
	ds_read2_b64 v[101:104], v100 offset0:75 offset1:76
	ds_read2_b64 v[105:108], v100 offset0:77 offset1:78
	s_waitcnt vmcnt(19) lgkmcnt(1)
	v_fma_f64 v[101:102], v[117:118], v[101:102], v[112:113]
	buffer_load_dword v112, off, s[0:3], 0 offset:284
	s_waitcnt vmcnt(18)
	v_fma_f64 v[101:102], v[119:120], v[103:104], v[101:102]
	buffer_load_dword v114, off, s[0:3], 0 offset:292
	buffer_load_dword v115, off, s[0:3], 0 offset:312
	buffer_load_dword v117, off, s[0:3], 0 offset:304
	buffer_load_dword v119, off, s[0:3], 0 offset:296
	buffer_load_dword v113, off, s[0:3], 0 offset:288
	buffer_load_dword v120, off, s[0:3], 0 offset:300
	buffer_load_dword v118, off, s[0:3], 0 offset:308
	buffer_load_dword v116, off, s[0:3], 0 offset:316
	s_waitcnt vmcnt(24) lgkmcnt(0)
	v_fma_f64 v[101:102], v[121:122], v[105:106], v[101:102]
	s_waitcnt vmcnt(19)
	v_fma_f64 v[121:122], v[123:124], v[107:108], v[101:102]
	ds_read2_b64 v[101:104], v100 offset0:79 offset1:80
	ds_read2_b64 v[105:108], v100 offset0:81 offset1:82
	s_waitcnt vmcnt(18) lgkmcnt(1)
	v_fma_f64 v[101:102], v[129:130], v[101:102], v[121:122]
	s_waitcnt vmcnt(17)
	v_fma_f64 v[101:102], v[127:128], v[103:104], v[101:102]
	buffer_load_dword v122, off, s[0:3], 0 offset:324
	buffer_load_dword v123, off, s[0:3], 0 offset:344
	buffer_load_dword v127, off, s[0:3], 0 offset:336
	buffer_load_dword v129, off, s[0:3], 0 offset:328
	buffer_load_dword v121, off, s[0:3], 0 offset:320
	buffer_load_dword v130, off, s[0:3], 0 offset:332
	buffer_load_dword v128, off, s[0:3], 0 offset:340
	buffer_load_dword v124, off, s[0:3], 0 offset:348
	s_waitcnt vmcnt(24) lgkmcnt(0)
	v_fma_f64 v[101:102], v[125:126], v[105:106], v[101:102]
	s_waitcnt vmcnt(19)
	v_fma_f64 v[109:110], v[109:110], v[107:108], v[101:102]
	ds_read2_b64 v[101:104], v100 offset0:83 offset1:84
	ds_read2_b64 v[105:108], v100 offset0:85 offset1:86
	s_waitcnt vmcnt(18) lgkmcnt(1)
	v_fma_f64 v[101:102], v[133:134], v[101:102], v[109:110]
	;; [unrolled: 18-line block ×3, first 2 shown]
	buffer_load_dword v112, off, s[0:3], 0 offset:388
	buffer_load_dword v111, off, s[0:3], 0 offset:384
	;; [unrolled: 1-line block ×4, first 2 shown]
	s_waitcnt vmcnt(21)
	v_fma_f64 v[101:102], v[117:118], v[103:104], v[101:102]
	s_waitcnt vmcnt(20) lgkmcnt(0)
	v_fma_f64 v[101:102], v[115:116], v[105:106], v[101:102]
	s_waitcnt vmcnt(15)
	v_fma_f64 v[115:116], v[121:122], v[107:108], v[101:102]
	ds_read2_b64 v[101:104], v100 offset0:91 offset1:92
	ds_read2_b64 v[105:108], v100 offset0:93 offset1:94
	s_waitcnt vmcnt(14) lgkmcnt(1)
	v_fma_f64 v[101:102], v[129:130], v[101:102], v[115:116]
	s_waitcnt vmcnt(13)
	v_fma_f64 v[101:102], v[127:128], v[103:104], v[101:102]
	s_waitcnt vmcnt(12) lgkmcnt(0)
	v_fma_f64 v[101:102], v[123:124], v[105:106], v[101:102]
	s_waitcnt vmcnt(7)
	v_fma_f64 v[109:110], v[109:110], v[107:108], v[101:102]
	ds_read2_b64 v[101:104], v100 offset0:95 offset1:96
	ds_read2_b64 v[105:108], v100 offset0:97 offset1:98
	s_waitcnt vmcnt(6) lgkmcnt(1)
	v_fma_f64 v[100:101], v[133:134], v[101:102], v[109:110]
	s_waitcnt vmcnt(5)
	v_fma_f64 v[100:101], v[131:132], v[103:104], v[100:101]
	s_waitcnt vmcnt(4) lgkmcnt(0)
	v_fma_f64 v[100:101], v[125:126], v[105:106], v[100:101]
	s_waitcnt vmcnt(2)
	v_fma_f64 v[100:101], v[111:112], v[107:108], v[100:101]
	s_waitcnt vmcnt(0)
	v_add_f64 v[100:101], v[113:114], -v[100:101]
	buffer_store_dword v101, off, s[0:3], 0 offset:164
	buffer_store_dword v100, off, s[0:3], 0 offset:160
	s_and_saveexec_b64 s[4:5], vcc
	s_cbranch_execz .LBB112_263
; %bb.262:
	buffer_load_dword v100, off, s[0:3], 0 offset:152
	buffer_load_dword v101, off, s[0:3], 0 offset:156
	v_mov_b32_e32 v102, 0
	buffer_store_dword v102, off, s[0:3], 0 offset:152
	buffer_store_dword v102, off, s[0:3], 0 offset:156
	s_waitcnt vmcnt(2)
	ds_write_b64 v99, v[100:101]
.LBB112_263:
	s_or_b64 exec, exec, s[4:5]
	s_waitcnt lgkmcnt(0)
	; wave barrier
	buffer_load_dword v109, off, s[0:3], 0 offset:160
	buffer_load_dword v110, off, s[0:3], 0 offset:164
	;; [unrolled: 1-line block ×22, first 2 shown]
	v_mov_b32_e32 v100, 0
	ds_read_b128 v[101:104], v100 offset:560
	ds_read_b128 v[105:108], v100 offset:576
	v_cmp_lt_u32_e32 vcc, 18, v0
	s_waitcnt vmcnt(20) lgkmcnt(1)
	v_fma_f64 v[101:102], v[109:110], v[101:102], 0
	s_waitcnt vmcnt(18)
	v_fma_f64 v[101:102], v[111:112], v[103:104], v[101:102]
	buffer_load_dword v110, off, s[0:3], 0 offset:252
	buffer_load_dword v111, off, s[0:3], 0 offset:272
	;; [unrolled: 1-line block ×7, first 2 shown]
	s_waitcnt vmcnt(23) lgkmcnt(0)
	v_fma_f64 v[101:102], v[113:114], v[105:106], v[101:102]
	s_waitcnt vmcnt(21)
	v_fma_f64 v[112:113], v[115:116], v[107:108], v[101:102]
	ds_read_b128 v[101:104], v100 offset:592
	ds_read_b128 v[105:108], v100 offset:608
	s_waitcnt vmcnt(19) lgkmcnt(1)
	v_fma_f64 v[101:102], v[117:118], v[101:102], v[112:113]
	buffer_load_dword v112, off, s[0:3], 0 offset:276
	s_waitcnt vmcnt(18)
	v_fma_f64 v[101:102], v[119:120], v[103:104], v[101:102]
	buffer_load_dword v114, off, s[0:3], 0 offset:284
	buffer_load_dword v115, off, s[0:3], 0 offset:304
	buffer_load_dword v117, off, s[0:3], 0 offset:296
	buffer_load_dword v119, off, s[0:3], 0 offset:288
	buffer_load_dword v113, off, s[0:3], 0 offset:280
	buffer_load_dword v120, off, s[0:3], 0 offset:292
	buffer_load_dword v118, off, s[0:3], 0 offset:300
	s_waitcnt vmcnt(23) lgkmcnt(0)
	v_fma_f64 v[101:102], v[121:122], v[105:106], v[101:102]
	s_waitcnt vmcnt(18)
	v_fma_f64 v[121:122], v[123:124], v[107:108], v[101:102]
	ds_read_b128 v[101:104], v100 offset:624
	ds_read_b128 v[105:108], v100 offset:640
	buffer_load_dword v116, off, s[0:3], 0 offset:308
	s_waitcnt vmcnt(18) lgkmcnt(1)
	v_fma_f64 v[101:102], v[129:130], v[101:102], v[121:122]
	s_waitcnt vmcnt(17)
	v_fma_f64 v[101:102], v[127:128], v[103:104], v[101:102]
	buffer_load_dword v122, off, s[0:3], 0 offset:316
	buffer_load_dword v123, off, s[0:3], 0 offset:336
	;; [unrolled: 1-line block ×8, first 2 shown]
	s_waitcnt vmcnt(24) lgkmcnt(0)
	v_fma_f64 v[101:102], v[125:126], v[105:106], v[101:102]
	s_waitcnt vmcnt(19)
	v_fma_f64 v[109:110], v[109:110], v[107:108], v[101:102]
	ds_read_b128 v[101:104], v100 offset:656
	ds_read_b128 v[105:108], v100 offset:672
	s_waitcnt vmcnt(18) lgkmcnt(1)
	v_fma_f64 v[101:102], v[133:134], v[101:102], v[109:110]
	s_waitcnt vmcnt(17)
	v_fma_f64 v[101:102], v[131:132], v[103:104], v[101:102]
	buffer_load_dword v110, off, s[0:3], 0 offset:348
	buffer_load_dword v125, off, s[0:3], 0 offset:368
	;; [unrolled: 1-line block ×7, first 2 shown]
	s_waitcnt vmcnt(23) lgkmcnt(0)
	v_fma_f64 v[101:102], v[111:112], v[105:106], v[101:102]
	s_waitcnt vmcnt(18)
	v_fma_f64 v[111:112], v[113:114], v[107:108], v[101:102]
	ds_read_b128 v[101:104], v100 offset:688
	ds_read_b128 v[105:108], v100 offset:704
	buffer_load_dword v126, off, s[0:3], 0 offset:372
	s_waitcnt vmcnt(18) lgkmcnt(1)
	v_fma_f64 v[101:102], v[119:120], v[101:102], v[111:112]
	buffer_load_dword v112, off, s[0:3], 0 offset:380
	buffer_load_dword v113, off, s[0:3], 0 offset:384
	;; [unrolled: 1-line block ×4, first 2 shown]
	s_waitcnt vmcnt(21)
	v_fma_f64 v[101:102], v[117:118], v[103:104], v[101:102]
	s_waitcnt vmcnt(20) lgkmcnt(0)
	v_fma_f64 v[101:102], v[115:116], v[105:106], v[101:102]
	buffer_load_dword v115, off, s[0:3], 0 offset:152
	buffer_load_dword v116, off, s[0:3], 0 offset:156
	s_waitcnt vmcnt(17)
	v_fma_f64 v[117:118], v[121:122], v[107:108], v[101:102]
	ds_read_b128 v[101:104], v100 offset:720
	ds_read_b128 v[105:108], v100 offset:736
	s_waitcnt vmcnt(16) lgkmcnt(1)
	v_fma_f64 v[101:102], v[129:130], v[101:102], v[117:118]
	s_waitcnt vmcnt(15)
	v_fma_f64 v[101:102], v[127:128], v[103:104], v[101:102]
	s_waitcnt vmcnt(14) lgkmcnt(0)
	v_fma_f64 v[101:102], v[123:124], v[105:106], v[101:102]
	s_waitcnt vmcnt(9)
	v_fma_f64 v[109:110], v[109:110], v[107:108], v[101:102]
	ds_read_b128 v[101:104], v100 offset:752
	ds_read_b128 v[105:108], v100 offset:768
	s_waitcnt vmcnt(8) lgkmcnt(1)
	v_fma_f64 v[101:102], v[133:134], v[101:102], v[109:110]
	s_waitcnt vmcnt(7)
	v_fma_f64 v[101:102], v[131:132], v[103:104], v[101:102]
	ds_read_b64 v[103:104], v100 offset:784
	s_waitcnt vmcnt(6) lgkmcnt(1)
	v_fma_f64 v[101:102], v[125:126], v[105:106], v[101:102]
	s_waitcnt vmcnt(3)
	v_fma_f64 v[101:102], v[111:112], v[107:108], v[101:102]
	s_waitcnt vmcnt(2) lgkmcnt(0)
	v_fma_f64 v[101:102], v[113:114], v[103:104], v[101:102]
	s_waitcnt vmcnt(0)
	v_add_f64 v[101:102], v[115:116], -v[101:102]
	buffer_store_dword v102, off, s[0:3], 0 offset:156
	buffer_store_dword v101, off, s[0:3], 0 offset:152
	s_and_saveexec_b64 s[4:5], vcc
	s_cbranch_execz .LBB112_265
; %bb.264:
	buffer_load_dword v101, off, s[0:3], 0 offset:144
	buffer_load_dword v102, off, s[0:3], 0 offset:148
	s_waitcnt vmcnt(0)
	ds_write_b64 v99, v[101:102]
	buffer_store_dword v100, off, s[0:3], 0 offset:144
	buffer_store_dword v100, off, s[0:3], 0 offset:148
.LBB112_265:
	s_or_b64 exec, exec, s[4:5]
	s_waitcnt lgkmcnt(0)
	; wave barrier
	buffer_load_dword v109, off, s[0:3], 0 offset:152
	buffer_load_dword v110, off, s[0:3], 0 offset:156
	;; [unrolled: 1-line block ×22, first 2 shown]
	ds_read2_b64 v[101:104], v100 offset0:69 offset1:70
	ds_read2_b64 v[105:108], v100 offset0:71 offset1:72
	v_cmp_lt_u32_e32 vcc, 17, v0
	s_waitcnt vmcnt(20) lgkmcnt(1)
	v_fma_f64 v[101:102], v[109:110], v[101:102], 0
	s_waitcnt vmcnt(18)
	v_fma_f64 v[101:102], v[111:112], v[103:104], v[101:102]
	buffer_load_dword v110, off, s[0:3], 0 offset:244
	buffer_load_dword v111, off, s[0:3], 0 offset:264
	;; [unrolled: 1-line block ×7, first 2 shown]
	s_waitcnt vmcnt(23) lgkmcnt(0)
	v_fma_f64 v[101:102], v[113:114], v[105:106], v[101:102]
	s_waitcnt vmcnt(21)
	v_fma_f64 v[112:113], v[115:116], v[107:108], v[101:102]
	ds_read2_b64 v[101:104], v100 offset0:73 offset1:74
	ds_read2_b64 v[105:108], v100 offset0:75 offset1:76
	s_waitcnt vmcnt(19) lgkmcnt(1)
	v_fma_f64 v[101:102], v[117:118], v[101:102], v[112:113]
	buffer_load_dword v112, off, s[0:3], 0 offset:268
	s_waitcnt vmcnt(18)
	v_fma_f64 v[101:102], v[119:120], v[103:104], v[101:102]
	buffer_load_dword v114, off, s[0:3], 0 offset:276
	buffer_load_dword v115, off, s[0:3], 0 offset:296
	;; [unrolled: 1-line block ×7, first 2 shown]
	s_waitcnt vmcnt(23) lgkmcnt(0)
	v_fma_f64 v[101:102], v[121:122], v[105:106], v[101:102]
	s_waitcnt vmcnt(18)
	v_fma_f64 v[121:122], v[123:124], v[107:108], v[101:102]
	ds_read2_b64 v[101:104], v100 offset0:77 offset1:78
	ds_read2_b64 v[105:108], v100 offset0:79 offset1:80
	buffer_load_dword v116, off, s[0:3], 0 offset:300
	s_waitcnt vmcnt(18) lgkmcnt(1)
	v_fma_f64 v[101:102], v[129:130], v[101:102], v[121:122]
	s_waitcnt vmcnt(17)
	v_fma_f64 v[101:102], v[127:128], v[103:104], v[101:102]
	buffer_load_dword v122, off, s[0:3], 0 offset:308
	buffer_load_dword v123, off, s[0:3], 0 offset:328
	;; [unrolled: 1-line block ×8, first 2 shown]
	s_waitcnt vmcnt(24) lgkmcnt(0)
	v_fma_f64 v[101:102], v[125:126], v[105:106], v[101:102]
	s_waitcnt vmcnt(19)
	v_fma_f64 v[109:110], v[109:110], v[107:108], v[101:102]
	ds_read2_b64 v[101:104], v100 offset0:81 offset1:82
	ds_read2_b64 v[105:108], v100 offset0:83 offset1:84
	s_waitcnt vmcnt(18) lgkmcnt(1)
	v_fma_f64 v[101:102], v[133:134], v[101:102], v[109:110]
	s_waitcnt vmcnt(17)
	v_fma_f64 v[101:102], v[131:132], v[103:104], v[101:102]
	buffer_load_dword v110, off, s[0:3], 0 offset:340
	buffer_load_dword v125, off, s[0:3], 0 offset:360
	;; [unrolled: 1-line block ×8, first 2 shown]
	s_waitcnt vmcnt(24) lgkmcnt(0)
	v_fma_f64 v[101:102], v[111:112], v[105:106], v[101:102]
	s_waitcnt vmcnt(19)
	v_fma_f64 v[111:112], v[113:114], v[107:108], v[101:102]
	ds_read2_b64 v[101:104], v100 offset0:85 offset1:86
	ds_read2_b64 v[105:108], v100 offset0:87 offset1:88
	s_waitcnt vmcnt(18) lgkmcnt(1)
	v_fma_f64 v[101:102], v[119:120], v[101:102], v[111:112]
	s_waitcnt vmcnt(17)
	v_fma_f64 v[101:102], v[117:118], v[103:104], v[101:102]
	buffer_load_dword v112, off, s[0:3], 0 offset:372
	buffer_load_dword v113, off, s[0:3], 0 offset:384
	;; [unrolled: 1-line block ×6, first 2 shown]
	s_waitcnt vmcnt(22) lgkmcnt(0)
	v_fma_f64 v[101:102], v[115:116], v[105:106], v[101:102]
	s_waitcnt vmcnt(17)
	v_fma_f64 v[115:116], v[121:122], v[107:108], v[101:102]
	ds_read2_b64 v[101:104], v100 offset0:89 offset1:90
	buffer_load_dword v119, off, s[0:3], 0 offset:144
	buffer_load_dword v120, off, s[0:3], 0 offset:148
	ds_read2_b64 v[105:108], v100 offset0:91 offset1:92
	s_waitcnt vmcnt(18) lgkmcnt(1)
	v_fma_f64 v[101:102], v[129:130], v[101:102], v[115:116]
	s_waitcnt vmcnt(17)
	v_fma_f64 v[101:102], v[127:128], v[103:104], v[101:102]
	s_waitcnt vmcnt(16) lgkmcnt(0)
	v_fma_f64 v[101:102], v[123:124], v[105:106], v[101:102]
	s_waitcnt vmcnt(11)
	v_fma_f64 v[109:110], v[109:110], v[107:108], v[101:102]
	ds_read2_b64 v[101:104], v100 offset0:93 offset1:94
	ds_read2_b64 v[105:108], v100 offset0:95 offset1:96
	s_waitcnt vmcnt(10) lgkmcnt(1)
	v_fma_f64 v[101:102], v[133:134], v[101:102], v[109:110]
	s_waitcnt vmcnt(9)
	v_fma_f64 v[101:102], v[131:132], v[103:104], v[101:102]
	s_waitcnt vmcnt(8) lgkmcnt(0)
	v_fma_f64 v[101:102], v[125:126], v[105:106], v[101:102]
	s_waitcnt vmcnt(4)
	v_fma_f64 v[104:105], v[111:112], v[107:108], v[101:102]
	ds_read2_b64 v[100:103], v100 offset0:97 offset1:98
	s_waitcnt vmcnt(3) lgkmcnt(0)
	v_fma_f64 v[100:101], v[117:118], v[100:101], v[104:105]
	s_waitcnt vmcnt(2)
	v_fma_f64 v[100:101], v[113:114], v[102:103], v[100:101]
	s_waitcnt vmcnt(0)
	v_add_f64 v[100:101], v[119:120], -v[100:101]
	buffer_store_dword v101, off, s[0:3], 0 offset:148
	buffer_store_dword v100, off, s[0:3], 0 offset:144
	s_and_saveexec_b64 s[4:5], vcc
	s_cbranch_execz .LBB112_267
; %bb.266:
	buffer_load_dword v100, off, s[0:3], 0 offset:136
	buffer_load_dword v101, off, s[0:3], 0 offset:140
	v_mov_b32_e32 v102, 0
	buffer_store_dword v102, off, s[0:3], 0 offset:136
	buffer_store_dword v102, off, s[0:3], 0 offset:140
	s_waitcnt vmcnt(2)
	ds_write_b64 v99, v[100:101]
.LBB112_267:
	s_or_b64 exec, exec, s[4:5]
	s_waitcnt lgkmcnt(0)
	; wave barrier
	buffer_load_dword v109, off, s[0:3], 0 offset:144
	buffer_load_dword v110, off, s[0:3], 0 offset:148
	;; [unrolled: 1-line block ×22, first 2 shown]
	v_mov_b32_e32 v100, 0
	ds_read_b128 v[101:104], v100 offset:544
	ds_read_b128 v[105:108], v100 offset:560
	v_cmp_lt_u32_e32 vcc, 16, v0
	s_waitcnt vmcnt(20) lgkmcnt(1)
	v_fma_f64 v[101:102], v[109:110], v[101:102], 0
	s_waitcnt vmcnt(18)
	v_fma_f64 v[101:102], v[111:112], v[103:104], v[101:102]
	buffer_load_dword v110, off, s[0:3], 0 offset:236
	buffer_load_dword v111, off, s[0:3], 0 offset:256
	;; [unrolled: 1-line block ×7, first 2 shown]
	s_waitcnt vmcnt(23) lgkmcnt(0)
	v_fma_f64 v[101:102], v[113:114], v[105:106], v[101:102]
	s_waitcnt vmcnt(21)
	v_fma_f64 v[112:113], v[115:116], v[107:108], v[101:102]
	ds_read_b128 v[101:104], v100 offset:576
	ds_read_b128 v[105:108], v100 offset:592
	s_waitcnt vmcnt(19) lgkmcnt(1)
	v_fma_f64 v[101:102], v[117:118], v[101:102], v[112:113]
	buffer_load_dword v112, off, s[0:3], 0 offset:260
	s_waitcnt vmcnt(18)
	v_fma_f64 v[101:102], v[119:120], v[103:104], v[101:102]
	buffer_load_dword v114, off, s[0:3], 0 offset:268
	buffer_load_dword v115, off, s[0:3], 0 offset:288
	;; [unrolled: 1-line block ×7, first 2 shown]
	s_waitcnt vmcnt(23) lgkmcnt(0)
	v_fma_f64 v[101:102], v[121:122], v[105:106], v[101:102]
	s_waitcnt vmcnt(18)
	v_fma_f64 v[121:122], v[123:124], v[107:108], v[101:102]
	ds_read_b128 v[101:104], v100 offset:608
	ds_read_b128 v[105:108], v100 offset:624
	buffer_load_dword v116, off, s[0:3], 0 offset:292
	s_waitcnt vmcnt(18) lgkmcnt(1)
	v_fma_f64 v[101:102], v[129:130], v[101:102], v[121:122]
	s_waitcnt vmcnt(17)
	v_fma_f64 v[101:102], v[127:128], v[103:104], v[101:102]
	buffer_load_dword v122, off, s[0:3], 0 offset:300
	buffer_load_dword v123, off, s[0:3], 0 offset:320
	buffer_load_dword v127, off, s[0:3], 0 offset:312
	buffer_load_dword v129, off, s[0:3], 0 offset:304
	buffer_load_dword v121, off, s[0:3], 0 offset:296
	buffer_load_dword v130, off, s[0:3], 0 offset:308
	buffer_load_dword v128, off, s[0:3], 0 offset:316
	buffer_load_dword v124, off, s[0:3], 0 offset:324
	s_waitcnt vmcnt(24) lgkmcnt(0)
	v_fma_f64 v[101:102], v[125:126], v[105:106], v[101:102]
	s_waitcnt vmcnt(19)
	v_fma_f64 v[109:110], v[109:110], v[107:108], v[101:102]
	ds_read_b128 v[101:104], v100 offset:640
	ds_read_b128 v[105:108], v100 offset:656
	s_waitcnt vmcnt(18) lgkmcnt(1)
	v_fma_f64 v[101:102], v[133:134], v[101:102], v[109:110]
	s_waitcnt vmcnt(17)
	v_fma_f64 v[101:102], v[131:132], v[103:104], v[101:102]
	buffer_load_dword v110, off, s[0:3], 0 offset:332
	buffer_load_dword v125, off, s[0:3], 0 offset:352
	buffer_load_dword v131, off, s[0:3], 0 offset:344
	buffer_load_dword v133, off, s[0:3], 0 offset:336
	buffer_load_dword v109, off, s[0:3], 0 offset:328
	buffer_load_dword v134, off, s[0:3], 0 offset:340
	buffer_load_dword v132, off, s[0:3], 0 offset:348
	buffer_load_dword v126, off, s[0:3], 0 offset:356
	s_waitcnt vmcnt(24) lgkmcnt(0)
	v_fma_f64 v[101:102], v[111:112], v[105:106], v[101:102]
	s_waitcnt vmcnt(19)
	v_fma_f64 v[111:112], v[113:114], v[107:108], v[101:102]
	ds_read_b128 v[101:104], v100 offset:672
	ds_read_b128 v[105:108], v100 offset:688
	;; [unrolled: 18-line block ×3, first 2 shown]
	s_waitcnt vmcnt(18) lgkmcnt(1)
	v_fma_f64 v[101:102], v[129:130], v[101:102], v[115:116]
	buffer_load_dword v115, off, s[0:3], 0 offset:136
	buffer_load_dword v116, off, s[0:3], 0 offset:140
	s_waitcnt vmcnt(19)
	v_fma_f64 v[101:102], v[127:128], v[103:104], v[101:102]
	s_waitcnt vmcnt(18) lgkmcnt(0)
	v_fma_f64 v[101:102], v[123:124], v[105:106], v[101:102]
	s_waitcnt vmcnt(13)
	v_fma_f64 v[109:110], v[109:110], v[107:108], v[101:102]
	ds_read_b128 v[101:104], v100 offset:736
	ds_read_b128 v[105:108], v100 offset:752
	s_waitcnt vmcnt(12) lgkmcnt(1)
	v_fma_f64 v[101:102], v[133:134], v[101:102], v[109:110]
	s_waitcnt vmcnt(11)
	v_fma_f64 v[101:102], v[131:132], v[103:104], v[101:102]
	s_waitcnt vmcnt(10) lgkmcnt(0)
	v_fma_f64 v[101:102], v[125:126], v[105:106], v[101:102]
	s_waitcnt vmcnt(5)
	v_fma_f64 v[105:106], v[111:112], v[107:108], v[101:102]
	ds_read_b128 v[101:104], v100 offset:768
	ds_read_b64 v[107:108], v100 offset:784
	s_waitcnt vmcnt(4) lgkmcnt(1)
	v_fma_f64 v[101:102], v[119:120], v[101:102], v[105:106]
	s_waitcnt vmcnt(3)
	v_fma_f64 v[101:102], v[117:118], v[103:104], v[101:102]
	s_waitcnt vmcnt(2) lgkmcnt(0)
	v_fma_f64 v[101:102], v[113:114], v[107:108], v[101:102]
	s_waitcnt vmcnt(0)
	v_add_f64 v[101:102], v[115:116], -v[101:102]
	buffer_store_dword v102, off, s[0:3], 0 offset:140
	buffer_store_dword v101, off, s[0:3], 0 offset:136
	s_and_saveexec_b64 s[4:5], vcc
	s_cbranch_execz .LBB112_269
; %bb.268:
	buffer_load_dword v101, off, s[0:3], 0 offset:128
	buffer_load_dword v102, off, s[0:3], 0 offset:132
	s_waitcnt vmcnt(0)
	ds_write_b64 v99, v[101:102]
	buffer_store_dword v100, off, s[0:3], 0 offset:128
	buffer_store_dword v100, off, s[0:3], 0 offset:132
.LBB112_269:
	s_or_b64 exec, exec, s[4:5]
	s_waitcnt lgkmcnt(0)
	; wave barrier
	buffer_load_dword v109, off, s[0:3], 0 offset:136
	buffer_load_dword v110, off, s[0:3], 0 offset:140
	;; [unrolled: 1-line block ×22, first 2 shown]
	ds_read2_b64 v[101:104], v100 offset0:67 offset1:68
	ds_read2_b64 v[105:108], v100 offset0:69 offset1:70
	v_cmp_lt_u32_e32 vcc, 15, v0
	s_waitcnt vmcnt(20) lgkmcnt(1)
	v_fma_f64 v[101:102], v[109:110], v[101:102], 0
	s_waitcnt vmcnt(18)
	v_fma_f64 v[101:102], v[111:112], v[103:104], v[101:102]
	buffer_load_dword v110, off, s[0:3], 0 offset:228
	buffer_load_dword v111, off, s[0:3], 0 offset:248
	;; [unrolled: 1-line block ×7, first 2 shown]
	s_waitcnt vmcnt(23) lgkmcnt(0)
	v_fma_f64 v[101:102], v[113:114], v[105:106], v[101:102]
	s_waitcnt vmcnt(21)
	v_fma_f64 v[112:113], v[115:116], v[107:108], v[101:102]
	ds_read2_b64 v[101:104], v100 offset0:71 offset1:72
	ds_read2_b64 v[105:108], v100 offset0:73 offset1:74
	s_waitcnt vmcnt(19) lgkmcnt(1)
	v_fma_f64 v[101:102], v[117:118], v[101:102], v[112:113]
	buffer_load_dword v112, off, s[0:3], 0 offset:252
	s_waitcnt vmcnt(18)
	v_fma_f64 v[101:102], v[119:120], v[103:104], v[101:102]
	buffer_load_dword v114, off, s[0:3], 0 offset:260
	buffer_load_dword v115, off, s[0:3], 0 offset:280
	;; [unrolled: 1-line block ×7, first 2 shown]
	s_waitcnt vmcnt(23) lgkmcnt(0)
	v_fma_f64 v[101:102], v[121:122], v[105:106], v[101:102]
	s_waitcnt vmcnt(18)
	v_fma_f64 v[121:122], v[123:124], v[107:108], v[101:102]
	ds_read2_b64 v[101:104], v100 offset0:75 offset1:76
	ds_read2_b64 v[105:108], v100 offset0:77 offset1:78
	buffer_load_dword v116, off, s[0:3], 0 offset:284
	s_waitcnt vmcnt(18) lgkmcnt(1)
	v_fma_f64 v[101:102], v[129:130], v[101:102], v[121:122]
	s_waitcnt vmcnt(17)
	v_fma_f64 v[101:102], v[127:128], v[103:104], v[101:102]
	buffer_load_dword v122, off, s[0:3], 0 offset:292
	buffer_load_dword v123, off, s[0:3], 0 offset:312
	buffer_load_dword v127, off, s[0:3], 0 offset:304
	buffer_load_dword v129, off, s[0:3], 0 offset:296
	buffer_load_dword v121, off, s[0:3], 0 offset:288
	buffer_load_dword v130, off, s[0:3], 0 offset:300
	buffer_load_dword v128, off, s[0:3], 0 offset:308
	buffer_load_dword v124, off, s[0:3], 0 offset:316
	s_waitcnt vmcnt(24) lgkmcnt(0)
	v_fma_f64 v[101:102], v[125:126], v[105:106], v[101:102]
	s_waitcnt vmcnt(19)
	v_fma_f64 v[109:110], v[109:110], v[107:108], v[101:102]
	ds_read2_b64 v[101:104], v100 offset0:79 offset1:80
	ds_read2_b64 v[105:108], v100 offset0:81 offset1:82
	s_waitcnt vmcnt(18) lgkmcnt(1)
	v_fma_f64 v[101:102], v[133:134], v[101:102], v[109:110]
	s_waitcnt vmcnt(17)
	v_fma_f64 v[101:102], v[131:132], v[103:104], v[101:102]
	buffer_load_dword v110, off, s[0:3], 0 offset:324
	buffer_load_dword v125, off, s[0:3], 0 offset:344
	buffer_load_dword v131, off, s[0:3], 0 offset:336
	buffer_load_dword v133, off, s[0:3], 0 offset:328
	buffer_load_dword v109, off, s[0:3], 0 offset:320
	buffer_load_dword v134, off, s[0:3], 0 offset:332
	buffer_load_dword v132, off, s[0:3], 0 offset:340
	buffer_load_dword v126, off, s[0:3], 0 offset:348
	s_waitcnt vmcnt(24) lgkmcnt(0)
	v_fma_f64 v[101:102], v[111:112], v[105:106], v[101:102]
	s_waitcnt vmcnt(19)
	v_fma_f64 v[111:112], v[113:114], v[107:108], v[101:102]
	ds_read2_b64 v[101:104], v100 offset0:83 offset1:84
	ds_read2_b64 v[105:108], v100 offset0:85 offset1:86
	;; [unrolled: 18-line block ×3, first 2 shown]
	s_waitcnt vmcnt(18) lgkmcnt(1)
	v_fma_f64 v[101:102], v[129:130], v[101:102], v[115:116]
	buffer_load_dword v116, off, s[0:3], 0 offset:388
	buffer_load_dword v115, off, s[0:3], 0 offset:384
	;; [unrolled: 1-line block ×4, first 2 shown]
	s_waitcnt vmcnt(21)
	v_fma_f64 v[101:102], v[127:128], v[103:104], v[101:102]
	s_waitcnt vmcnt(20) lgkmcnt(0)
	v_fma_f64 v[101:102], v[123:124], v[105:106], v[101:102]
	s_waitcnt vmcnt(15)
	v_fma_f64 v[109:110], v[109:110], v[107:108], v[101:102]
	ds_read2_b64 v[101:104], v100 offset0:91 offset1:92
	ds_read2_b64 v[105:108], v100 offset0:93 offset1:94
	s_waitcnt vmcnt(14) lgkmcnt(1)
	v_fma_f64 v[101:102], v[133:134], v[101:102], v[109:110]
	s_waitcnt vmcnt(13)
	v_fma_f64 v[101:102], v[131:132], v[103:104], v[101:102]
	s_waitcnt vmcnt(12) lgkmcnt(0)
	v_fma_f64 v[101:102], v[125:126], v[105:106], v[101:102]
	s_waitcnt vmcnt(7)
	v_fma_f64 v[109:110], v[111:112], v[107:108], v[101:102]
	ds_read2_b64 v[101:104], v100 offset0:95 offset1:96
	ds_read2_b64 v[105:108], v100 offset0:97 offset1:98
	s_waitcnt vmcnt(6) lgkmcnt(1)
	v_fma_f64 v[100:101], v[119:120], v[101:102], v[109:110]
	s_waitcnt vmcnt(5)
	v_fma_f64 v[100:101], v[117:118], v[103:104], v[100:101]
	s_waitcnt vmcnt(4) lgkmcnt(0)
	v_fma_f64 v[100:101], v[113:114], v[105:106], v[100:101]
	s_waitcnt vmcnt(2)
	v_fma_f64 v[100:101], v[115:116], v[107:108], v[100:101]
	s_waitcnt vmcnt(0)
	v_add_f64 v[100:101], v[121:122], -v[100:101]
	buffer_store_dword v101, off, s[0:3], 0 offset:132
	buffer_store_dword v100, off, s[0:3], 0 offset:128
	s_and_saveexec_b64 s[4:5], vcc
	s_cbranch_execz .LBB112_271
; %bb.270:
	buffer_load_dword v100, off, s[0:3], 0 offset:120
	buffer_load_dword v101, off, s[0:3], 0 offset:124
	v_mov_b32_e32 v102, 0
	buffer_store_dword v102, off, s[0:3], 0 offset:120
	buffer_store_dword v102, off, s[0:3], 0 offset:124
	s_waitcnt vmcnt(2)
	ds_write_b64 v99, v[100:101]
.LBB112_271:
	s_or_b64 exec, exec, s[4:5]
	s_waitcnt lgkmcnt(0)
	; wave barrier
	buffer_load_dword v109, off, s[0:3], 0 offset:128
	buffer_load_dword v110, off, s[0:3], 0 offset:132
	;; [unrolled: 1-line block ×21, first 2 shown]
	v_mov_b32_e32 v100, 0
	ds_read_b128 v[101:104], v100 offset:528
	ds_read_b128 v[105:108], v100 offset:544
	buffer_load_dword v126, off, s[0:3], 0 offset:212
	v_cmp_lt_u32_e32 vcc, 14, v0
	s_waitcnt vmcnt(20) lgkmcnt(1)
	v_fma_f64 v[101:102], v[109:110], v[101:102], 0
	s_waitcnt vmcnt(18)
	v_fma_f64 v[101:102], v[111:112], v[103:104], v[101:102]
	buffer_load_dword v110, off, s[0:3], 0 offset:220
	buffer_load_dword v111, off, s[0:3], 0 offset:240
	;; [unrolled: 1-line block ×7, first 2 shown]
	s_waitcnt vmcnt(23) lgkmcnt(0)
	v_fma_f64 v[101:102], v[113:114], v[105:106], v[101:102]
	s_waitcnt vmcnt(21)
	v_fma_f64 v[112:113], v[115:116], v[107:108], v[101:102]
	ds_read_b128 v[101:104], v100 offset:560
	ds_read_b128 v[105:108], v100 offset:576
	s_waitcnt vmcnt(19) lgkmcnt(1)
	v_fma_f64 v[101:102], v[117:118], v[101:102], v[112:113]
	buffer_load_dword v112, off, s[0:3], 0 offset:244
	s_waitcnt vmcnt(18)
	v_fma_f64 v[101:102], v[119:120], v[103:104], v[101:102]
	buffer_load_dword v114, off, s[0:3], 0 offset:252
	buffer_load_dword v115, off, s[0:3], 0 offset:272
	buffer_load_dword v117, off, s[0:3], 0 offset:264
	buffer_load_dword v119, off, s[0:3], 0 offset:256
	buffer_load_dword v113, off, s[0:3], 0 offset:248
	buffer_load_dword v120, off, s[0:3], 0 offset:260
	buffer_load_dword v118, off, s[0:3], 0 offset:268
	s_waitcnt vmcnt(23) lgkmcnt(0)
	v_fma_f64 v[101:102], v[121:122], v[105:106], v[101:102]
	s_waitcnt vmcnt(18)
	v_fma_f64 v[121:122], v[123:124], v[107:108], v[101:102]
	ds_read_b128 v[101:104], v100 offset:592
	ds_read_b128 v[105:108], v100 offset:608
	buffer_load_dword v116, off, s[0:3], 0 offset:276
	s_waitcnt vmcnt(18) lgkmcnt(1)
	v_fma_f64 v[101:102], v[129:130], v[101:102], v[121:122]
	s_waitcnt vmcnt(17)
	v_fma_f64 v[101:102], v[127:128], v[103:104], v[101:102]
	buffer_load_dword v122, off, s[0:3], 0 offset:284
	buffer_load_dword v123, off, s[0:3], 0 offset:304
	;; [unrolled: 1-line block ×7, first 2 shown]
	s_waitcnt vmcnt(23) lgkmcnt(0)
	v_fma_f64 v[101:102], v[125:126], v[105:106], v[101:102]
	s_waitcnt vmcnt(18)
	v_fma_f64 v[109:110], v[109:110], v[107:108], v[101:102]
	ds_read_b128 v[101:104], v100 offset:624
	ds_read_b128 v[105:108], v100 offset:640
	buffer_load_dword v124, off, s[0:3], 0 offset:308
	s_waitcnt vmcnt(18) lgkmcnt(1)
	v_fma_f64 v[101:102], v[133:134], v[101:102], v[109:110]
	s_waitcnt vmcnt(17)
	v_fma_f64 v[101:102], v[131:132], v[103:104], v[101:102]
	buffer_load_dword v110, off, s[0:3], 0 offset:316
	buffer_load_dword v125, off, s[0:3], 0 offset:336
	;; [unrolled: 1-line block ×8, first 2 shown]
	s_waitcnt vmcnt(24) lgkmcnt(0)
	v_fma_f64 v[101:102], v[111:112], v[105:106], v[101:102]
	s_waitcnt vmcnt(19)
	v_fma_f64 v[111:112], v[113:114], v[107:108], v[101:102]
	ds_read_b128 v[101:104], v100 offset:656
	ds_read_b128 v[105:108], v100 offset:672
	s_waitcnt vmcnt(18) lgkmcnt(1)
	v_fma_f64 v[101:102], v[119:120], v[101:102], v[111:112]
	s_waitcnt vmcnt(17)
	v_fma_f64 v[101:102], v[117:118], v[103:104], v[101:102]
	buffer_load_dword v112, off, s[0:3], 0 offset:348
	buffer_load_dword v113, off, s[0:3], 0 offset:368
	;; [unrolled: 1-line block ×7, first 2 shown]
	s_waitcnt vmcnt(23) lgkmcnt(0)
	v_fma_f64 v[101:102], v[115:116], v[105:106], v[101:102]
	s_waitcnt vmcnt(18)
	v_fma_f64 v[114:115], v[121:122], v[107:108], v[101:102]
	ds_read_b128 v[101:104], v100 offset:688
	ds_read_b128 v[105:108], v100 offset:704
	s_waitcnt vmcnt(17) lgkmcnt(1)
	v_fma_f64 v[101:102], v[129:130], v[101:102], v[114:115]
	buffer_load_dword v114, off, s[0:3], 0 offset:372
	buffer_load_dword v116, off, s[0:3], 0 offset:380
	;; [unrolled: 1-line block ×5, first 2 shown]
	s_waitcnt vmcnt(21)
	v_fma_f64 v[101:102], v[127:128], v[103:104], v[101:102]
	s_waitcnt vmcnt(20) lgkmcnt(0)
	v_fma_f64 v[101:102], v[123:124], v[105:106], v[101:102]
	buffer_load_dword v123, off, s[0:3], 0 offset:120
	buffer_load_dword v124, off, s[0:3], 0 offset:124
	s_waitcnt vmcnt(17)
	v_fma_f64 v[109:110], v[109:110], v[107:108], v[101:102]
	ds_read_b128 v[101:104], v100 offset:720
	ds_read_b128 v[105:108], v100 offset:736
	s_waitcnt vmcnt(16) lgkmcnt(1)
	v_fma_f64 v[101:102], v[133:134], v[101:102], v[109:110]
	s_waitcnt vmcnt(15)
	v_fma_f64 v[101:102], v[131:132], v[103:104], v[101:102]
	s_waitcnt vmcnt(14) lgkmcnt(0)
	v_fma_f64 v[101:102], v[125:126], v[105:106], v[101:102]
	s_waitcnt vmcnt(9)
	v_fma_f64 v[109:110], v[111:112], v[107:108], v[101:102]
	ds_read_b128 v[101:104], v100 offset:752
	ds_read_b128 v[105:108], v100 offset:768
	s_waitcnt vmcnt(8) lgkmcnt(1)
	v_fma_f64 v[101:102], v[119:120], v[101:102], v[109:110]
	s_waitcnt vmcnt(7)
	v_fma_f64 v[101:102], v[117:118], v[103:104], v[101:102]
	ds_read_b64 v[103:104], v100 offset:784
	s_waitcnt vmcnt(6) lgkmcnt(1)
	v_fma_f64 v[101:102], v[113:114], v[105:106], v[101:102]
	s_waitcnt vmcnt(3)
	v_fma_f64 v[101:102], v[115:116], v[107:108], v[101:102]
	s_waitcnt vmcnt(2) lgkmcnt(0)
	v_fma_f64 v[101:102], v[121:122], v[103:104], v[101:102]
	s_waitcnt vmcnt(0)
	v_add_f64 v[101:102], v[123:124], -v[101:102]
	buffer_store_dword v102, off, s[0:3], 0 offset:124
	buffer_store_dword v101, off, s[0:3], 0 offset:120
	s_and_saveexec_b64 s[4:5], vcc
	s_cbranch_execz .LBB112_273
; %bb.272:
	buffer_load_dword v101, off, s[0:3], 0 offset:112
	buffer_load_dword v102, off, s[0:3], 0 offset:116
	s_waitcnt vmcnt(0)
	ds_write_b64 v99, v[101:102]
	buffer_store_dword v100, off, s[0:3], 0 offset:112
	buffer_store_dword v100, off, s[0:3], 0 offset:116
.LBB112_273:
	s_or_b64 exec, exec, s[4:5]
	s_waitcnt lgkmcnt(0)
	; wave barrier
	buffer_load_dword v109, off, s[0:3], 0 offset:120
	buffer_load_dword v110, off, s[0:3], 0 offset:124
	;; [unrolled: 1-line block ×21, first 2 shown]
	ds_read2_b64 v[101:104], v100 offset0:65 offset1:66
	ds_read2_b64 v[105:108], v100 offset0:67 offset1:68
	buffer_load_dword v126, off, s[0:3], 0 offset:204
	v_cmp_lt_u32_e32 vcc, 13, v0
	s_waitcnt vmcnt(20) lgkmcnt(1)
	v_fma_f64 v[101:102], v[109:110], v[101:102], 0
	s_waitcnt vmcnt(18)
	v_fma_f64 v[101:102], v[111:112], v[103:104], v[101:102]
	buffer_load_dword v110, off, s[0:3], 0 offset:212
	buffer_load_dword v111, off, s[0:3], 0 offset:232
	;; [unrolled: 1-line block ×7, first 2 shown]
	s_waitcnt vmcnt(23) lgkmcnt(0)
	v_fma_f64 v[101:102], v[113:114], v[105:106], v[101:102]
	s_waitcnt vmcnt(21)
	v_fma_f64 v[112:113], v[115:116], v[107:108], v[101:102]
	ds_read2_b64 v[101:104], v100 offset0:69 offset1:70
	ds_read2_b64 v[105:108], v100 offset0:71 offset1:72
	s_waitcnt vmcnt(19) lgkmcnt(1)
	v_fma_f64 v[101:102], v[117:118], v[101:102], v[112:113]
	buffer_load_dword v112, off, s[0:3], 0 offset:236
	s_waitcnt vmcnt(18)
	v_fma_f64 v[101:102], v[119:120], v[103:104], v[101:102]
	buffer_load_dword v114, off, s[0:3], 0 offset:244
	buffer_load_dword v115, off, s[0:3], 0 offset:264
	;; [unrolled: 1-line block ×8, first 2 shown]
	s_waitcnt vmcnt(24) lgkmcnt(0)
	v_fma_f64 v[101:102], v[121:122], v[105:106], v[101:102]
	s_waitcnt vmcnt(19)
	v_fma_f64 v[121:122], v[123:124], v[107:108], v[101:102]
	ds_read2_b64 v[101:104], v100 offset0:73 offset1:74
	ds_read2_b64 v[105:108], v100 offset0:75 offset1:76
	s_waitcnt vmcnt(18) lgkmcnt(1)
	v_fma_f64 v[101:102], v[129:130], v[101:102], v[121:122]
	s_waitcnt vmcnt(17)
	v_fma_f64 v[101:102], v[127:128], v[103:104], v[101:102]
	buffer_load_dword v122, off, s[0:3], 0 offset:276
	buffer_load_dword v123, off, s[0:3], 0 offset:296
	;; [unrolled: 1-line block ×7, first 2 shown]
	s_waitcnt vmcnt(23) lgkmcnt(0)
	v_fma_f64 v[101:102], v[125:126], v[105:106], v[101:102]
	s_waitcnt vmcnt(18)
	v_fma_f64 v[109:110], v[109:110], v[107:108], v[101:102]
	ds_read2_b64 v[101:104], v100 offset0:77 offset1:78
	ds_read2_b64 v[105:108], v100 offset0:79 offset1:80
	buffer_load_dword v124, off, s[0:3], 0 offset:300
	s_waitcnt vmcnt(18) lgkmcnt(1)
	v_fma_f64 v[101:102], v[133:134], v[101:102], v[109:110]
	s_waitcnt vmcnt(17)
	v_fma_f64 v[101:102], v[131:132], v[103:104], v[101:102]
	buffer_load_dword v110, off, s[0:3], 0 offset:308
	buffer_load_dword v125, off, s[0:3], 0 offset:328
	;; [unrolled: 1-line block ×8, first 2 shown]
	s_waitcnt vmcnt(24) lgkmcnt(0)
	v_fma_f64 v[101:102], v[111:112], v[105:106], v[101:102]
	s_waitcnt vmcnt(19)
	v_fma_f64 v[111:112], v[113:114], v[107:108], v[101:102]
	ds_read2_b64 v[101:104], v100 offset0:81 offset1:82
	ds_read2_b64 v[105:108], v100 offset0:83 offset1:84
	s_waitcnt vmcnt(18) lgkmcnt(1)
	v_fma_f64 v[101:102], v[119:120], v[101:102], v[111:112]
	s_waitcnt vmcnt(17)
	v_fma_f64 v[101:102], v[117:118], v[103:104], v[101:102]
	buffer_load_dword v112, off, s[0:3], 0 offset:340
	buffer_load_dword v113, off, s[0:3], 0 offset:360
	;; [unrolled: 1-line block ×7, first 2 shown]
	s_waitcnt vmcnt(23) lgkmcnt(0)
	v_fma_f64 v[101:102], v[115:116], v[105:106], v[101:102]
	s_waitcnt vmcnt(18)
	v_fma_f64 v[114:115], v[121:122], v[107:108], v[101:102]
	ds_read2_b64 v[101:104], v100 offset0:85 offset1:86
	ds_read2_b64 v[105:108], v100 offset0:87 offset1:88
	s_waitcnt vmcnt(17) lgkmcnt(1)
	v_fma_f64 v[101:102], v[129:130], v[101:102], v[114:115]
	buffer_load_dword v114, off, s[0:3], 0 offset:364
	s_waitcnt vmcnt(17)
	v_fma_f64 v[101:102], v[127:128], v[103:104], v[101:102]
	buffer_load_dword v116, off, s[0:3], 0 offset:372
	buffer_load_dword v121, off, s[0:3], 0 offset:384
	;; [unrolled: 1-line block ×6, first 2 shown]
	s_waitcnt vmcnt(22) lgkmcnt(0)
	v_fma_f64 v[101:102], v[123:124], v[105:106], v[101:102]
	s_waitcnt vmcnt(17)
	v_fma_f64 v[109:110], v[109:110], v[107:108], v[101:102]
	ds_read2_b64 v[101:104], v100 offset0:89 offset1:90
	buffer_load_dword v123, off, s[0:3], 0 offset:112
	buffer_load_dword v124, off, s[0:3], 0 offset:116
	ds_read2_b64 v[105:108], v100 offset0:91 offset1:92
	s_waitcnt vmcnt(18) lgkmcnt(1)
	v_fma_f64 v[101:102], v[133:134], v[101:102], v[109:110]
	s_waitcnt vmcnt(17)
	v_fma_f64 v[101:102], v[131:132], v[103:104], v[101:102]
	s_waitcnt vmcnt(16) lgkmcnt(0)
	v_fma_f64 v[101:102], v[125:126], v[105:106], v[101:102]
	s_waitcnt vmcnt(11)
	v_fma_f64 v[109:110], v[111:112], v[107:108], v[101:102]
	ds_read2_b64 v[101:104], v100 offset0:93 offset1:94
	ds_read2_b64 v[105:108], v100 offset0:95 offset1:96
	s_waitcnt vmcnt(10) lgkmcnt(1)
	v_fma_f64 v[101:102], v[119:120], v[101:102], v[109:110]
	s_waitcnt vmcnt(9)
	v_fma_f64 v[101:102], v[117:118], v[103:104], v[101:102]
	s_waitcnt vmcnt(8) lgkmcnt(0)
	v_fma_f64 v[101:102], v[113:114], v[105:106], v[101:102]
	s_waitcnt vmcnt(4)
	v_fma_f64 v[104:105], v[115:116], v[107:108], v[101:102]
	ds_read2_b64 v[100:103], v100 offset0:97 offset1:98
	s_waitcnt vmcnt(3) lgkmcnt(0)
	v_fma_f64 v[100:101], v[127:128], v[100:101], v[104:105]
	s_waitcnt vmcnt(2)
	v_fma_f64 v[100:101], v[121:122], v[102:103], v[100:101]
	s_waitcnt vmcnt(0)
	v_add_f64 v[100:101], v[123:124], -v[100:101]
	buffer_store_dword v101, off, s[0:3], 0 offset:116
	buffer_store_dword v100, off, s[0:3], 0 offset:112
	s_and_saveexec_b64 s[4:5], vcc
	s_cbranch_execz .LBB112_275
; %bb.274:
	buffer_load_dword v100, off, s[0:3], 0 offset:104
	buffer_load_dword v101, off, s[0:3], 0 offset:108
	v_mov_b32_e32 v102, 0
	buffer_store_dword v102, off, s[0:3], 0 offset:104
	buffer_store_dword v102, off, s[0:3], 0 offset:108
	s_waitcnt vmcnt(2)
	ds_write_b64 v99, v[100:101]
.LBB112_275:
	s_or_b64 exec, exec, s[4:5]
	s_waitcnt lgkmcnt(0)
	; wave barrier
	buffer_load_dword v109, off, s[0:3], 0 offset:112
	buffer_load_dword v110, off, s[0:3], 0 offset:116
	;; [unrolled: 1-line block ×21, first 2 shown]
	v_mov_b32_e32 v100, 0
	ds_read_b128 v[101:104], v100 offset:512
	ds_read_b128 v[105:108], v100 offset:528
	buffer_load_dword v126, off, s[0:3], 0 offset:196
	v_cmp_lt_u32_e32 vcc, 12, v0
	s_waitcnt vmcnt(20) lgkmcnt(1)
	v_fma_f64 v[101:102], v[109:110], v[101:102], 0
	s_waitcnt vmcnt(18)
	v_fma_f64 v[101:102], v[111:112], v[103:104], v[101:102]
	buffer_load_dword v110, off, s[0:3], 0 offset:204
	buffer_load_dword v111, off, s[0:3], 0 offset:224
	;; [unrolled: 1-line block ×7, first 2 shown]
	s_waitcnt vmcnt(23) lgkmcnt(0)
	v_fma_f64 v[101:102], v[113:114], v[105:106], v[101:102]
	s_waitcnt vmcnt(21)
	v_fma_f64 v[112:113], v[115:116], v[107:108], v[101:102]
	ds_read_b128 v[101:104], v100 offset:544
	ds_read_b128 v[105:108], v100 offset:560
	s_waitcnt vmcnt(19) lgkmcnt(1)
	v_fma_f64 v[101:102], v[117:118], v[101:102], v[112:113]
	buffer_load_dword v112, off, s[0:3], 0 offset:228
	s_waitcnt vmcnt(18)
	v_fma_f64 v[101:102], v[119:120], v[103:104], v[101:102]
	buffer_load_dword v114, off, s[0:3], 0 offset:236
	buffer_load_dword v115, off, s[0:3], 0 offset:256
	;; [unrolled: 1-line block ×8, first 2 shown]
	s_waitcnt vmcnt(24) lgkmcnt(0)
	v_fma_f64 v[101:102], v[121:122], v[105:106], v[101:102]
	s_waitcnt vmcnt(19)
	v_fma_f64 v[121:122], v[123:124], v[107:108], v[101:102]
	ds_read_b128 v[101:104], v100 offset:576
	ds_read_b128 v[105:108], v100 offset:592
	s_waitcnt vmcnt(18) lgkmcnt(1)
	v_fma_f64 v[101:102], v[129:130], v[101:102], v[121:122]
	s_waitcnt vmcnt(17)
	v_fma_f64 v[101:102], v[127:128], v[103:104], v[101:102]
	buffer_load_dword v122, off, s[0:3], 0 offset:268
	buffer_load_dword v123, off, s[0:3], 0 offset:288
	;; [unrolled: 1-line block ×7, first 2 shown]
	s_waitcnt vmcnt(23) lgkmcnt(0)
	v_fma_f64 v[101:102], v[125:126], v[105:106], v[101:102]
	s_waitcnt vmcnt(18)
	v_fma_f64 v[109:110], v[109:110], v[107:108], v[101:102]
	ds_read_b128 v[101:104], v100 offset:608
	ds_read_b128 v[105:108], v100 offset:624
	buffer_load_dword v124, off, s[0:3], 0 offset:292
	s_waitcnt vmcnt(18) lgkmcnt(1)
	v_fma_f64 v[101:102], v[133:134], v[101:102], v[109:110]
	s_waitcnt vmcnt(17)
	v_fma_f64 v[101:102], v[131:132], v[103:104], v[101:102]
	buffer_load_dword v110, off, s[0:3], 0 offset:300
	buffer_load_dword v125, off, s[0:3], 0 offset:320
	buffer_load_dword v131, off, s[0:3], 0 offset:312
	buffer_load_dword v133, off, s[0:3], 0 offset:304
	buffer_load_dword v109, off, s[0:3], 0 offset:296
	buffer_load_dword v134, off, s[0:3], 0 offset:308
	buffer_load_dword v132, off, s[0:3], 0 offset:316
	buffer_load_dword v126, off, s[0:3], 0 offset:324
	s_waitcnt vmcnt(24) lgkmcnt(0)
	v_fma_f64 v[101:102], v[111:112], v[105:106], v[101:102]
	s_waitcnt vmcnt(19)
	v_fma_f64 v[111:112], v[113:114], v[107:108], v[101:102]
	ds_read_b128 v[101:104], v100 offset:640
	ds_read_b128 v[105:108], v100 offset:656
	s_waitcnt vmcnt(18) lgkmcnt(1)
	v_fma_f64 v[101:102], v[119:120], v[101:102], v[111:112]
	s_waitcnt vmcnt(17)
	v_fma_f64 v[101:102], v[117:118], v[103:104], v[101:102]
	buffer_load_dword v112, off, s[0:3], 0 offset:332
	buffer_load_dword v113, off, s[0:3], 0 offset:352
	;; [unrolled: 1-line block ×7, first 2 shown]
	s_waitcnt vmcnt(23) lgkmcnt(0)
	v_fma_f64 v[101:102], v[115:116], v[105:106], v[101:102]
	s_waitcnt vmcnt(18)
	v_fma_f64 v[114:115], v[121:122], v[107:108], v[101:102]
	ds_read_b128 v[101:104], v100 offset:672
	ds_read_b128 v[105:108], v100 offset:688
	s_waitcnt vmcnt(17) lgkmcnt(1)
	v_fma_f64 v[101:102], v[129:130], v[101:102], v[114:115]
	buffer_load_dword v114, off, s[0:3], 0 offset:356
	s_waitcnt vmcnt(17)
	v_fma_f64 v[101:102], v[127:128], v[103:104], v[101:102]
	buffer_load_dword v116, off, s[0:3], 0 offset:364
	buffer_load_dword v121, off, s[0:3], 0 offset:384
	;; [unrolled: 1-line block ×8, first 2 shown]
	s_waitcnt vmcnt(24) lgkmcnt(0)
	v_fma_f64 v[101:102], v[123:124], v[105:106], v[101:102]
	s_waitcnt vmcnt(19)
	v_fma_f64 v[109:110], v[109:110], v[107:108], v[101:102]
	ds_read_b128 v[101:104], v100 offset:704
	ds_read_b128 v[105:108], v100 offset:720
	s_waitcnt vmcnt(18) lgkmcnt(1)
	v_fma_f64 v[101:102], v[133:134], v[101:102], v[109:110]
	buffer_load_dword v109, off, s[0:3], 0 offset:104
	buffer_load_dword v110, off, s[0:3], 0 offset:108
	s_waitcnt vmcnt(19)
	v_fma_f64 v[101:102], v[131:132], v[103:104], v[101:102]
	s_waitcnt vmcnt(18) lgkmcnt(0)
	v_fma_f64 v[101:102], v[125:126], v[105:106], v[101:102]
	s_waitcnt vmcnt(13)
	v_fma_f64 v[111:112], v[111:112], v[107:108], v[101:102]
	ds_read_b128 v[101:104], v100 offset:736
	ds_read_b128 v[105:108], v100 offset:752
	s_waitcnt vmcnt(12) lgkmcnt(1)
	v_fma_f64 v[101:102], v[119:120], v[101:102], v[111:112]
	s_waitcnt vmcnt(11)
	v_fma_f64 v[101:102], v[117:118], v[103:104], v[101:102]
	s_waitcnt vmcnt(10) lgkmcnt(0)
	v_fma_f64 v[101:102], v[113:114], v[105:106], v[101:102]
	s_waitcnt vmcnt(5)
	v_fma_f64 v[105:106], v[115:116], v[107:108], v[101:102]
	ds_read_b128 v[101:104], v100 offset:768
	ds_read_b64 v[107:108], v100 offset:784
	s_waitcnt vmcnt(4) lgkmcnt(1)
	v_fma_f64 v[101:102], v[129:130], v[101:102], v[105:106]
	s_waitcnt vmcnt(3)
	v_fma_f64 v[101:102], v[127:128], v[103:104], v[101:102]
	s_waitcnt vmcnt(2) lgkmcnt(0)
	v_fma_f64 v[101:102], v[121:122], v[107:108], v[101:102]
	s_waitcnt vmcnt(0)
	v_add_f64 v[101:102], v[109:110], -v[101:102]
	buffer_store_dword v102, off, s[0:3], 0 offset:108
	buffer_store_dword v101, off, s[0:3], 0 offset:104
	s_and_saveexec_b64 s[4:5], vcc
	s_cbranch_execz .LBB112_277
; %bb.276:
	buffer_load_dword v101, off, s[0:3], 0 offset:96
	buffer_load_dword v102, off, s[0:3], 0 offset:100
	s_waitcnt vmcnt(0)
	ds_write_b64 v99, v[101:102]
	buffer_store_dword v100, off, s[0:3], 0 offset:96
	buffer_store_dword v100, off, s[0:3], 0 offset:100
.LBB112_277:
	s_or_b64 exec, exec, s[4:5]
	s_waitcnt lgkmcnt(0)
	; wave barrier
	buffer_load_dword v109, off, s[0:3], 0 offset:104
	buffer_load_dword v110, off, s[0:3], 0 offset:108
	;; [unrolled: 1-line block ×21, first 2 shown]
	ds_read2_b64 v[101:104], v100 offset0:63 offset1:64
	ds_read2_b64 v[105:108], v100 offset0:65 offset1:66
	buffer_load_dword v126, off, s[0:3], 0 offset:188
	v_cmp_lt_u32_e32 vcc, 11, v0
	s_waitcnt vmcnt(20) lgkmcnt(1)
	v_fma_f64 v[101:102], v[109:110], v[101:102], 0
	s_waitcnt vmcnt(18)
	v_fma_f64 v[101:102], v[111:112], v[103:104], v[101:102]
	buffer_load_dword v110, off, s[0:3], 0 offset:196
	buffer_load_dword v111, off, s[0:3], 0 offset:216
	;; [unrolled: 1-line block ×7, first 2 shown]
	s_waitcnt vmcnt(23) lgkmcnt(0)
	v_fma_f64 v[101:102], v[113:114], v[105:106], v[101:102]
	s_waitcnt vmcnt(21)
	v_fma_f64 v[112:113], v[115:116], v[107:108], v[101:102]
	ds_read2_b64 v[101:104], v100 offset0:67 offset1:68
	ds_read2_b64 v[105:108], v100 offset0:69 offset1:70
	s_waitcnt vmcnt(19) lgkmcnt(1)
	v_fma_f64 v[101:102], v[117:118], v[101:102], v[112:113]
	buffer_load_dword v112, off, s[0:3], 0 offset:220
	s_waitcnt vmcnt(18)
	v_fma_f64 v[101:102], v[119:120], v[103:104], v[101:102]
	buffer_load_dword v114, off, s[0:3], 0 offset:228
	buffer_load_dword v115, off, s[0:3], 0 offset:248
	;; [unrolled: 1-line block ×8, first 2 shown]
	s_waitcnt vmcnt(24) lgkmcnt(0)
	v_fma_f64 v[101:102], v[121:122], v[105:106], v[101:102]
	s_waitcnt vmcnt(19)
	v_fma_f64 v[121:122], v[123:124], v[107:108], v[101:102]
	ds_read2_b64 v[101:104], v100 offset0:71 offset1:72
	ds_read2_b64 v[105:108], v100 offset0:73 offset1:74
	s_waitcnt vmcnt(18) lgkmcnt(1)
	v_fma_f64 v[101:102], v[129:130], v[101:102], v[121:122]
	s_waitcnt vmcnt(17)
	v_fma_f64 v[101:102], v[127:128], v[103:104], v[101:102]
	buffer_load_dword v122, off, s[0:3], 0 offset:260
	buffer_load_dword v123, off, s[0:3], 0 offset:280
	buffer_load_dword v127, off, s[0:3], 0 offset:272
	buffer_load_dword v129, off, s[0:3], 0 offset:264
	buffer_load_dword v121, off, s[0:3], 0 offset:256
	buffer_load_dword v130, off, s[0:3], 0 offset:268
	buffer_load_dword v128, off, s[0:3], 0 offset:276
	s_waitcnt vmcnt(23) lgkmcnt(0)
	v_fma_f64 v[101:102], v[125:126], v[105:106], v[101:102]
	s_waitcnt vmcnt(18)
	v_fma_f64 v[109:110], v[109:110], v[107:108], v[101:102]
	ds_read2_b64 v[101:104], v100 offset0:75 offset1:76
	ds_read2_b64 v[105:108], v100 offset0:77 offset1:78
	buffer_load_dword v124, off, s[0:3], 0 offset:284
	s_waitcnt vmcnt(18) lgkmcnt(1)
	v_fma_f64 v[101:102], v[133:134], v[101:102], v[109:110]
	s_waitcnt vmcnt(17)
	v_fma_f64 v[101:102], v[131:132], v[103:104], v[101:102]
	buffer_load_dword v110, off, s[0:3], 0 offset:292
	buffer_load_dword v125, off, s[0:3], 0 offset:312
	;; [unrolled: 1-line block ×8, first 2 shown]
	s_waitcnt vmcnt(24) lgkmcnt(0)
	v_fma_f64 v[101:102], v[111:112], v[105:106], v[101:102]
	s_waitcnt vmcnt(19)
	v_fma_f64 v[111:112], v[113:114], v[107:108], v[101:102]
	ds_read2_b64 v[101:104], v100 offset0:79 offset1:80
	ds_read2_b64 v[105:108], v100 offset0:81 offset1:82
	s_waitcnt vmcnt(18) lgkmcnt(1)
	v_fma_f64 v[101:102], v[119:120], v[101:102], v[111:112]
	s_waitcnt vmcnt(17)
	v_fma_f64 v[101:102], v[117:118], v[103:104], v[101:102]
	buffer_load_dword v112, off, s[0:3], 0 offset:324
	buffer_load_dword v113, off, s[0:3], 0 offset:344
	;; [unrolled: 1-line block ×7, first 2 shown]
	s_waitcnt vmcnt(23) lgkmcnt(0)
	v_fma_f64 v[101:102], v[115:116], v[105:106], v[101:102]
	s_waitcnt vmcnt(18)
	v_fma_f64 v[114:115], v[121:122], v[107:108], v[101:102]
	ds_read2_b64 v[101:104], v100 offset0:83 offset1:84
	ds_read2_b64 v[105:108], v100 offset0:85 offset1:86
	s_waitcnt vmcnt(17) lgkmcnt(1)
	v_fma_f64 v[101:102], v[129:130], v[101:102], v[114:115]
	buffer_load_dword v114, off, s[0:3], 0 offset:348
	s_waitcnt vmcnt(17)
	v_fma_f64 v[101:102], v[127:128], v[103:104], v[101:102]
	buffer_load_dword v116, off, s[0:3], 0 offset:356
	buffer_load_dword v121, off, s[0:3], 0 offset:376
	;; [unrolled: 1-line block ×8, first 2 shown]
	s_waitcnt vmcnt(24) lgkmcnt(0)
	v_fma_f64 v[101:102], v[123:124], v[105:106], v[101:102]
	s_waitcnt vmcnt(19)
	v_fma_f64 v[109:110], v[109:110], v[107:108], v[101:102]
	ds_read2_b64 v[101:104], v100 offset0:87 offset1:88
	ds_read2_b64 v[105:108], v100 offset0:89 offset1:90
	s_waitcnt vmcnt(18) lgkmcnt(1)
	v_fma_f64 v[101:102], v[133:134], v[101:102], v[109:110]
	buffer_load_dword v110, off, s[0:3], 0 offset:388
	buffer_load_dword v109, off, s[0:3], 0 offset:384
	buffer_load_dword v123, off, s[0:3], 0 offset:96
	buffer_load_dword v124, off, s[0:3], 0 offset:100
	s_waitcnt vmcnt(21)
	v_fma_f64 v[101:102], v[131:132], v[103:104], v[101:102]
	s_waitcnt vmcnt(20) lgkmcnt(0)
	v_fma_f64 v[101:102], v[125:126], v[105:106], v[101:102]
	s_waitcnt vmcnt(15)
	v_fma_f64 v[111:112], v[111:112], v[107:108], v[101:102]
	ds_read2_b64 v[101:104], v100 offset0:91 offset1:92
	ds_read2_b64 v[105:108], v100 offset0:93 offset1:94
	s_waitcnt vmcnt(14) lgkmcnt(1)
	v_fma_f64 v[101:102], v[119:120], v[101:102], v[111:112]
	s_waitcnt vmcnt(13)
	v_fma_f64 v[101:102], v[117:118], v[103:104], v[101:102]
	s_waitcnt vmcnt(12) lgkmcnt(0)
	v_fma_f64 v[101:102], v[113:114], v[105:106], v[101:102]
	s_waitcnt vmcnt(7)
	v_fma_f64 v[111:112], v[115:116], v[107:108], v[101:102]
	ds_read2_b64 v[101:104], v100 offset0:95 offset1:96
	ds_read2_b64 v[105:108], v100 offset0:97 offset1:98
	s_waitcnt vmcnt(6) lgkmcnt(1)
	v_fma_f64 v[100:101], v[129:130], v[101:102], v[111:112]
	s_waitcnt vmcnt(5)
	v_fma_f64 v[100:101], v[127:128], v[103:104], v[100:101]
	s_waitcnt vmcnt(4) lgkmcnt(0)
	v_fma_f64 v[100:101], v[121:122], v[105:106], v[100:101]
	s_waitcnt vmcnt(2)
	v_fma_f64 v[100:101], v[109:110], v[107:108], v[100:101]
	s_waitcnt vmcnt(0)
	v_add_f64 v[100:101], v[123:124], -v[100:101]
	buffer_store_dword v101, off, s[0:3], 0 offset:100
	buffer_store_dword v100, off, s[0:3], 0 offset:96
	s_and_saveexec_b64 s[4:5], vcc
	s_cbranch_execz .LBB112_279
; %bb.278:
	buffer_load_dword v100, off, s[0:3], 0 offset:88
	buffer_load_dword v101, off, s[0:3], 0 offset:92
	v_mov_b32_e32 v102, 0
	buffer_store_dword v102, off, s[0:3], 0 offset:88
	buffer_store_dword v102, off, s[0:3], 0 offset:92
	s_waitcnt vmcnt(2)
	ds_write_b64 v99, v[100:101]
.LBB112_279:
	s_or_b64 exec, exec, s[4:5]
	s_waitcnt lgkmcnt(0)
	; wave barrier
	buffer_load_dword v109, off, s[0:3], 0 offset:96
	buffer_load_dword v110, off, s[0:3], 0 offset:100
	buffer_load_dword v111, off, s[0:3], 0 offset:104
	buffer_load_dword v112, off, s[0:3], 0 offset:108
	buffer_load_dword v113, off, s[0:3], 0 offset:112
	buffer_load_dword v114, off, s[0:3], 0 offset:116
	buffer_load_dword v115, off, s[0:3], 0 offset:120
	buffer_load_dword v116, off, s[0:3], 0 offset:124
	buffer_load_dword v117, off, s[0:3], 0 offset:128
	buffer_load_dword v118, off, s[0:3], 0 offset:132
	buffer_load_dword v119, off, s[0:3], 0 offset:136
	buffer_load_dword v120, off, s[0:3], 0 offset:140
	buffer_load_dword v121, off, s[0:3], 0 offset:144
	buffer_load_dword v122, off, s[0:3], 0 offset:148
	buffer_load_dword v124, off, s[0:3], 0 offset:156
	buffer_load_dword v125, off, s[0:3], 0 offset:176
	buffer_load_dword v127, off, s[0:3], 0 offset:168
	buffer_load_dword v129, off, s[0:3], 0 offset:160
	buffer_load_dword v123, off, s[0:3], 0 offset:152
	buffer_load_dword v130, off, s[0:3], 0 offset:164
	buffer_load_dword v128, off, s[0:3], 0 offset:172
	v_mov_b32_e32 v100, 0
	ds_read_b128 v[101:104], v100 offset:496
	ds_read_b128 v[105:108], v100 offset:512
	buffer_load_dword v126, off, s[0:3], 0 offset:180
	v_cmp_lt_u32_e32 vcc, 10, v0
	s_waitcnt vmcnt(20) lgkmcnt(1)
	v_fma_f64 v[101:102], v[109:110], v[101:102], 0
	s_waitcnt vmcnt(18)
	v_fma_f64 v[101:102], v[111:112], v[103:104], v[101:102]
	buffer_load_dword v110, off, s[0:3], 0 offset:188
	buffer_load_dword v111, off, s[0:3], 0 offset:208
	buffer_load_dword v131, off, s[0:3], 0 offset:200
	buffer_load_dword v133, off, s[0:3], 0 offset:192
	buffer_load_dword v109, off, s[0:3], 0 offset:184
	buffer_load_dword v134, off, s[0:3], 0 offset:196
	buffer_load_dword v132, off, s[0:3], 0 offset:204
	s_waitcnt vmcnt(23) lgkmcnt(0)
	v_fma_f64 v[101:102], v[113:114], v[105:106], v[101:102]
	s_waitcnt vmcnt(21)
	v_fma_f64 v[112:113], v[115:116], v[107:108], v[101:102]
	ds_read_b128 v[101:104], v100 offset:528
	ds_read_b128 v[105:108], v100 offset:544
	s_waitcnt vmcnt(19) lgkmcnt(1)
	v_fma_f64 v[101:102], v[117:118], v[101:102], v[112:113]
	buffer_load_dword v112, off, s[0:3], 0 offset:212
	s_waitcnt vmcnt(18)
	v_fma_f64 v[101:102], v[119:120], v[103:104], v[101:102]
	buffer_load_dword v114, off, s[0:3], 0 offset:220
	buffer_load_dword v115, off, s[0:3], 0 offset:240
	;; [unrolled: 1-line block ×8, first 2 shown]
	s_waitcnt vmcnt(24) lgkmcnt(0)
	v_fma_f64 v[101:102], v[121:122], v[105:106], v[101:102]
	s_waitcnt vmcnt(19)
	v_fma_f64 v[121:122], v[123:124], v[107:108], v[101:102]
	ds_read_b128 v[101:104], v100 offset:560
	ds_read_b128 v[105:108], v100 offset:576
	s_waitcnt vmcnt(18) lgkmcnt(1)
	v_fma_f64 v[101:102], v[129:130], v[101:102], v[121:122]
	s_waitcnt vmcnt(17)
	v_fma_f64 v[101:102], v[127:128], v[103:104], v[101:102]
	buffer_load_dword v122, off, s[0:3], 0 offset:252
	buffer_load_dword v123, off, s[0:3], 0 offset:272
	;; [unrolled: 1-line block ×7, first 2 shown]
	s_waitcnt vmcnt(23) lgkmcnt(0)
	v_fma_f64 v[101:102], v[125:126], v[105:106], v[101:102]
	s_waitcnt vmcnt(18)
	v_fma_f64 v[109:110], v[109:110], v[107:108], v[101:102]
	ds_read_b128 v[101:104], v100 offset:592
	ds_read_b128 v[105:108], v100 offset:608
	buffer_load_dword v124, off, s[0:3], 0 offset:276
	s_waitcnt vmcnt(18) lgkmcnt(1)
	v_fma_f64 v[101:102], v[133:134], v[101:102], v[109:110]
	s_waitcnt vmcnt(17)
	v_fma_f64 v[101:102], v[131:132], v[103:104], v[101:102]
	buffer_load_dword v110, off, s[0:3], 0 offset:284
	buffer_load_dword v125, off, s[0:3], 0 offset:304
	;; [unrolled: 1-line block ×7, first 2 shown]
	s_waitcnt vmcnt(23) lgkmcnt(0)
	v_fma_f64 v[101:102], v[111:112], v[105:106], v[101:102]
	s_waitcnt vmcnt(18)
	v_fma_f64 v[111:112], v[113:114], v[107:108], v[101:102]
	ds_read_b128 v[101:104], v100 offset:624
	ds_read_b128 v[105:108], v100 offset:640
	buffer_load_dword v126, off, s[0:3], 0 offset:308
	s_waitcnt vmcnt(18) lgkmcnt(1)
	v_fma_f64 v[101:102], v[119:120], v[101:102], v[111:112]
	s_waitcnt vmcnt(17)
	v_fma_f64 v[101:102], v[117:118], v[103:104], v[101:102]
	buffer_load_dword v112, off, s[0:3], 0 offset:316
	buffer_load_dword v113, off, s[0:3], 0 offset:336
	;; [unrolled: 1-line block ×7, first 2 shown]
	s_waitcnt vmcnt(23) lgkmcnt(0)
	v_fma_f64 v[101:102], v[115:116], v[105:106], v[101:102]
	s_waitcnt vmcnt(18)
	v_fma_f64 v[114:115], v[121:122], v[107:108], v[101:102]
	ds_read_b128 v[101:104], v100 offset:656
	ds_read_b128 v[105:108], v100 offset:672
	s_waitcnt vmcnt(17) lgkmcnt(1)
	v_fma_f64 v[101:102], v[129:130], v[101:102], v[114:115]
	buffer_load_dword v114, off, s[0:3], 0 offset:340
	s_waitcnt vmcnt(17)
	v_fma_f64 v[101:102], v[127:128], v[103:104], v[101:102]
	buffer_load_dword v116, off, s[0:3], 0 offset:348
	buffer_load_dword v121, off, s[0:3], 0 offset:368
	;; [unrolled: 1-line block ×7, first 2 shown]
	s_waitcnt vmcnt(23) lgkmcnt(0)
	v_fma_f64 v[101:102], v[123:124], v[105:106], v[101:102]
	s_waitcnt vmcnt(18)
	v_fma_f64 v[109:110], v[109:110], v[107:108], v[101:102]
	ds_read_b128 v[101:104], v100 offset:688
	ds_read_b128 v[105:108], v100 offset:704
	buffer_load_dword v122, off, s[0:3], 0 offset:372
	s_waitcnt vmcnt(18) lgkmcnt(1)
	v_fma_f64 v[101:102], v[133:134], v[101:102], v[109:110]
	buffer_load_dword v110, off, s[0:3], 0 offset:380
	buffer_load_dword v123, off, s[0:3], 0 offset:384
	;; [unrolled: 1-line block ×4, first 2 shown]
	s_waitcnt vmcnt(21)
	v_fma_f64 v[101:102], v[131:132], v[103:104], v[101:102]
	s_waitcnt vmcnt(20) lgkmcnt(0)
	v_fma_f64 v[101:102], v[125:126], v[105:106], v[101:102]
	buffer_load_dword v125, off, s[0:3], 0 offset:88
	buffer_load_dword v126, off, s[0:3], 0 offset:92
	s_waitcnt vmcnt(17)
	v_fma_f64 v[111:112], v[111:112], v[107:108], v[101:102]
	ds_read_b128 v[101:104], v100 offset:720
	ds_read_b128 v[105:108], v100 offset:736
	s_waitcnt vmcnt(16) lgkmcnt(1)
	v_fma_f64 v[101:102], v[119:120], v[101:102], v[111:112]
	s_waitcnt vmcnt(15)
	v_fma_f64 v[101:102], v[117:118], v[103:104], v[101:102]
	s_waitcnt vmcnt(14) lgkmcnt(0)
	v_fma_f64 v[101:102], v[113:114], v[105:106], v[101:102]
	s_waitcnt vmcnt(9)
	v_fma_f64 v[111:112], v[115:116], v[107:108], v[101:102]
	ds_read_b128 v[101:104], v100 offset:752
	ds_read_b128 v[105:108], v100 offset:768
	s_waitcnt vmcnt(8) lgkmcnt(1)
	v_fma_f64 v[101:102], v[129:130], v[101:102], v[111:112]
	s_waitcnt vmcnt(7)
	v_fma_f64 v[101:102], v[127:128], v[103:104], v[101:102]
	ds_read_b64 v[103:104], v100 offset:784
	s_waitcnt vmcnt(6) lgkmcnt(1)
	v_fma_f64 v[101:102], v[121:122], v[105:106], v[101:102]
	s_waitcnt vmcnt(3)
	v_fma_f64 v[101:102], v[109:110], v[107:108], v[101:102]
	s_waitcnt vmcnt(2) lgkmcnt(0)
	v_fma_f64 v[101:102], v[123:124], v[103:104], v[101:102]
	s_waitcnt vmcnt(0)
	v_add_f64 v[101:102], v[125:126], -v[101:102]
	buffer_store_dword v102, off, s[0:3], 0 offset:92
	buffer_store_dword v101, off, s[0:3], 0 offset:88
	s_and_saveexec_b64 s[4:5], vcc
	s_cbranch_execz .LBB112_281
; %bb.280:
	buffer_load_dword v101, off, s[0:3], 0 offset:80
	buffer_load_dword v102, off, s[0:3], 0 offset:84
	s_waitcnt vmcnt(0)
	ds_write_b64 v99, v[101:102]
	buffer_store_dword v100, off, s[0:3], 0 offset:80
	buffer_store_dword v100, off, s[0:3], 0 offset:84
.LBB112_281:
	s_or_b64 exec, exec, s[4:5]
	s_waitcnt lgkmcnt(0)
	; wave barrier
	buffer_load_dword v109, off, s[0:3], 0 offset:88
	buffer_load_dword v110, off, s[0:3], 0 offset:92
	;; [unrolled: 1-line block ×22, first 2 shown]
	ds_read2_b64 v[101:104], v100 offset0:61 offset1:62
	ds_read2_b64 v[105:108], v100 offset0:63 offset1:64
	v_cmp_lt_u32_e32 vcc, 9, v0
	s_waitcnt vmcnt(20) lgkmcnt(1)
	v_fma_f64 v[101:102], v[109:110], v[101:102], 0
	s_waitcnt vmcnt(18)
	v_fma_f64 v[101:102], v[111:112], v[103:104], v[101:102]
	buffer_load_dword v110, off, s[0:3], 0 offset:180
	buffer_load_dword v111, off, s[0:3], 0 offset:200
	;; [unrolled: 1-line block ×7, first 2 shown]
	s_waitcnt vmcnt(23) lgkmcnt(0)
	v_fma_f64 v[101:102], v[113:114], v[105:106], v[101:102]
	s_waitcnt vmcnt(21)
	v_fma_f64 v[112:113], v[115:116], v[107:108], v[101:102]
	ds_read2_b64 v[101:104], v100 offset0:65 offset1:66
	ds_read2_b64 v[105:108], v100 offset0:67 offset1:68
	s_waitcnt vmcnt(19) lgkmcnt(1)
	v_fma_f64 v[101:102], v[117:118], v[101:102], v[112:113]
	buffer_load_dword v112, off, s[0:3], 0 offset:204
	s_waitcnt vmcnt(18)
	v_fma_f64 v[101:102], v[119:120], v[103:104], v[101:102]
	buffer_load_dword v114, off, s[0:3], 0 offset:212
	buffer_load_dword v115, off, s[0:3], 0 offset:232
	;; [unrolled: 1-line block ×8, first 2 shown]
	s_waitcnt vmcnt(24) lgkmcnt(0)
	v_fma_f64 v[101:102], v[121:122], v[105:106], v[101:102]
	s_waitcnt vmcnt(19)
	v_fma_f64 v[121:122], v[123:124], v[107:108], v[101:102]
	ds_read2_b64 v[101:104], v100 offset0:69 offset1:70
	ds_read2_b64 v[105:108], v100 offset0:71 offset1:72
	s_waitcnt vmcnt(18) lgkmcnt(1)
	v_fma_f64 v[101:102], v[129:130], v[101:102], v[121:122]
	s_waitcnt vmcnt(17)
	v_fma_f64 v[101:102], v[127:128], v[103:104], v[101:102]
	buffer_load_dword v122, off, s[0:3], 0 offset:244
	buffer_load_dword v123, off, s[0:3], 0 offset:264
	;; [unrolled: 1-line block ×8, first 2 shown]
	s_waitcnt vmcnt(24) lgkmcnt(0)
	v_fma_f64 v[101:102], v[125:126], v[105:106], v[101:102]
	s_waitcnt vmcnt(19)
	v_fma_f64 v[109:110], v[109:110], v[107:108], v[101:102]
	ds_read2_b64 v[101:104], v100 offset0:73 offset1:74
	ds_read2_b64 v[105:108], v100 offset0:75 offset1:76
	s_waitcnt vmcnt(18) lgkmcnt(1)
	v_fma_f64 v[101:102], v[133:134], v[101:102], v[109:110]
	s_waitcnt vmcnt(17)
	v_fma_f64 v[101:102], v[131:132], v[103:104], v[101:102]
	buffer_load_dword v110, off, s[0:3], 0 offset:276
	buffer_load_dword v125, off, s[0:3], 0 offset:296
	;; [unrolled: 1-line block ×7, first 2 shown]
	s_waitcnt vmcnt(23) lgkmcnt(0)
	v_fma_f64 v[101:102], v[111:112], v[105:106], v[101:102]
	s_waitcnt vmcnt(18)
	v_fma_f64 v[111:112], v[113:114], v[107:108], v[101:102]
	ds_read2_b64 v[101:104], v100 offset0:77 offset1:78
	ds_read2_b64 v[105:108], v100 offset0:79 offset1:80
	buffer_load_dword v126, off, s[0:3], 0 offset:300
	s_waitcnt vmcnt(18) lgkmcnt(1)
	v_fma_f64 v[101:102], v[119:120], v[101:102], v[111:112]
	s_waitcnt vmcnt(17)
	v_fma_f64 v[101:102], v[117:118], v[103:104], v[101:102]
	buffer_load_dword v112, off, s[0:3], 0 offset:308
	buffer_load_dword v113, off, s[0:3], 0 offset:328
	;; [unrolled: 1-line block ×7, first 2 shown]
	s_waitcnt vmcnt(23) lgkmcnt(0)
	v_fma_f64 v[101:102], v[115:116], v[105:106], v[101:102]
	s_waitcnt vmcnt(18)
	v_fma_f64 v[114:115], v[121:122], v[107:108], v[101:102]
	ds_read2_b64 v[101:104], v100 offset0:81 offset1:82
	ds_read2_b64 v[105:108], v100 offset0:83 offset1:84
	s_waitcnt vmcnt(17) lgkmcnt(1)
	v_fma_f64 v[101:102], v[129:130], v[101:102], v[114:115]
	buffer_load_dword v114, off, s[0:3], 0 offset:332
	s_waitcnt vmcnt(17)
	v_fma_f64 v[101:102], v[127:128], v[103:104], v[101:102]
	buffer_load_dword v116, off, s[0:3], 0 offset:340
	buffer_load_dword v121, off, s[0:3], 0 offset:360
	;; [unrolled: 1-line block ×8, first 2 shown]
	s_waitcnt vmcnt(24) lgkmcnt(0)
	v_fma_f64 v[101:102], v[123:124], v[105:106], v[101:102]
	s_waitcnt vmcnt(19)
	v_fma_f64 v[109:110], v[109:110], v[107:108], v[101:102]
	ds_read2_b64 v[101:104], v100 offset0:85 offset1:86
	ds_read2_b64 v[105:108], v100 offset0:87 offset1:88
	s_waitcnt vmcnt(18) lgkmcnt(1)
	v_fma_f64 v[101:102], v[133:134], v[101:102], v[109:110]
	s_waitcnt vmcnt(17)
	v_fma_f64 v[101:102], v[131:132], v[103:104], v[101:102]
	buffer_load_dword v110, off, s[0:3], 0 offset:372
	buffer_load_dword v123, off, s[0:3], 0 offset:384
	;; [unrolled: 1-line block ×6, first 2 shown]
	s_waitcnt vmcnt(22) lgkmcnt(0)
	v_fma_f64 v[101:102], v[125:126], v[105:106], v[101:102]
	s_waitcnt vmcnt(17)
	v_fma_f64 v[111:112], v[111:112], v[107:108], v[101:102]
	ds_read2_b64 v[101:104], v100 offset0:89 offset1:90
	buffer_load_dword v125, off, s[0:3], 0 offset:80
	buffer_load_dword v126, off, s[0:3], 0 offset:84
	ds_read2_b64 v[105:108], v100 offset0:91 offset1:92
	s_waitcnt vmcnt(18) lgkmcnt(1)
	v_fma_f64 v[101:102], v[119:120], v[101:102], v[111:112]
	s_waitcnt vmcnt(17)
	v_fma_f64 v[101:102], v[117:118], v[103:104], v[101:102]
	s_waitcnt vmcnt(16) lgkmcnt(0)
	v_fma_f64 v[101:102], v[113:114], v[105:106], v[101:102]
	s_waitcnt vmcnt(11)
	v_fma_f64 v[111:112], v[115:116], v[107:108], v[101:102]
	ds_read2_b64 v[101:104], v100 offset0:93 offset1:94
	ds_read2_b64 v[105:108], v100 offset0:95 offset1:96
	s_waitcnt vmcnt(10) lgkmcnt(1)
	v_fma_f64 v[101:102], v[129:130], v[101:102], v[111:112]
	s_waitcnt vmcnt(9)
	v_fma_f64 v[101:102], v[127:128], v[103:104], v[101:102]
	s_waitcnt vmcnt(8) lgkmcnt(0)
	v_fma_f64 v[101:102], v[121:122], v[105:106], v[101:102]
	s_waitcnt vmcnt(4)
	v_fma_f64 v[104:105], v[109:110], v[107:108], v[101:102]
	ds_read2_b64 v[100:103], v100 offset0:97 offset1:98
	s_waitcnt vmcnt(3) lgkmcnt(0)
	v_fma_f64 v[100:101], v[131:132], v[100:101], v[104:105]
	s_waitcnt vmcnt(2)
	v_fma_f64 v[100:101], v[123:124], v[102:103], v[100:101]
	s_waitcnt vmcnt(0)
	v_add_f64 v[100:101], v[125:126], -v[100:101]
	buffer_store_dword v101, off, s[0:3], 0 offset:84
	buffer_store_dword v100, off, s[0:3], 0 offset:80
	s_and_saveexec_b64 s[4:5], vcc
	s_cbranch_execz .LBB112_283
; %bb.282:
	buffer_load_dword v100, off, s[0:3], 0 offset:72
	buffer_load_dword v101, off, s[0:3], 0 offset:76
	v_mov_b32_e32 v102, 0
	buffer_store_dword v102, off, s[0:3], 0 offset:72
	buffer_store_dword v102, off, s[0:3], 0 offset:76
	s_waitcnt vmcnt(2)
	ds_write_b64 v99, v[100:101]
.LBB112_283:
	s_or_b64 exec, exec, s[4:5]
	s_waitcnt lgkmcnt(0)
	; wave barrier
	buffer_load_dword v109, off, s[0:3], 0 offset:80
	buffer_load_dword v110, off, s[0:3], 0 offset:84
	buffer_load_dword v111, off, s[0:3], 0 offset:88
	buffer_load_dword v112, off, s[0:3], 0 offset:92
	buffer_load_dword v113, off, s[0:3], 0 offset:96
	buffer_load_dword v114, off, s[0:3], 0 offset:100
	buffer_load_dword v115, off, s[0:3], 0 offset:104
	buffer_load_dword v116, off, s[0:3], 0 offset:108
	buffer_load_dword v117, off, s[0:3], 0 offset:112
	buffer_load_dword v118, off, s[0:3], 0 offset:116
	buffer_load_dword v119, off, s[0:3], 0 offset:120
	buffer_load_dword v120, off, s[0:3], 0 offset:124
	buffer_load_dword v121, off, s[0:3], 0 offset:128
	buffer_load_dword v122, off, s[0:3], 0 offset:132
	buffer_load_dword v124, off, s[0:3], 0 offset:140
	buffer_load_dword v125, off, s[0:3], 0 offset:160
	buffer_load_dword v127, off, s[0:3], 0 offset:152
	buffer_load_dword v129, off, s[0:3], 0 offset:144
	buffer_load_dword v123, off, s[0:3], 0 offset:136
	buffer_load_dword v130, off, s[0:3], 0 offset:148
	buffer_load_dword v128, off, s[0:3], 0 offset:156
	buffer_load_dword v126, off, s[0:3], 0 offset:164
	v_mov_b32_e32 v100, 0
	ds_read_b128 v[101:104], v100 offset:480
	ds_read_b128 v[105:108], v100 offset:496
	v_cmp_lt_u32_e32 vcc, 8, v0
	s_waitcnt vmcnt(20) lgkmcnt(1)
	v_fma_f64 v[101:102], v[109:110], v[101:102], 0
	s_waitcnt vmcnt(18)
	v_fma_f64 v[101:102], v[111:112], v[103:104], v[101:102]
	buffer_load_dword v110, off, s[0:3], 0 offset:172
	buffer_load_dword v111, off, s[0:3], 0 offset:192
	;; [unrolled: 1-line block ×7, first 2 shown]
	s_waitcnt vmcnt(23) lgkmcnt(0)
	v_fma_f64 v[101:102], v[113:114], v[105:106], v[101:102]
	s_waitcnt vmcnt(21)
	v_fma_f64 v[112:113], v[115:116], v[107:108], v[101:102]
	ds_read_b128 v[101:104], v100 offset:512
	ds_read_b128 v[105:108], v100 offset:528
	s_waitcnt vmcnt(19) lgkmcnt(1)
	v_fma_f64 v[101:102], v[117:118], v[101:102], v[112:113]
	buffer_load_dword v112, off, s[0:3], 0 offset:196
	s_waitcnt vmcnt(18)
	v_fma_f64 v[101:102], v[119:120], v[103:104], v[101:102]
	buffer_load_dword v114, off, s[0:3], 0 offset:204
	buffer_load_dword v115, off, s[0:3], 0 offset:224
	;; [unrolled: 1-line block ×8, first 2 shown]
	s_waitcnt vmcnt(24) lgkmcnt(0)
	v_fma_f64 v[101:102], v[121:122], v[105:106], v[101:102]
	s_waitcnt vmcnt(19)
	v_fma_f64 v[121:122], v[123:124], v[107:108], v[101:102]
	ds_read_b128 v[101:104], v100 offset:544
	ds_read_b128 v[105:108], v100 offset:560
	s_waitcnt vmcnt(18) lgkmcnt(1)
	v_fma_f64 v[101:102], v[129:130], v[101:102], v[121:122]
	s_waitcnt vmcnt(17)
	v_fma_f64 v[101:102], v[127:128], v[103:104], v[101:102]
	buffer_load_dword v122, off, s[0:3], 0 offset:236
	buffer_load_dword v123, off, s[0:3], 0 offset:256
	;; [unrolled: 1-line block ×8, first 2 shown]
	s_waitcnt vmcnt(24) lgkmcnt(0)
	v_fma_f64 v[101:102], v[125:126], v[105:106], v[101:102]
	s_waitcnt vmcnt(19)
	v_fma_f64 v[109:110], v[109:110], v[107:108], v[101:102]
	ds_read_b128 v[101:104], v100 offset:576
	ds_read_b128 v[105:108], v100 offset:592
	s_waitcnt vmcnt(18) lgkmcnt(1)
	v_fma_f64 v[101:102], v[133:134], v[101:102], v[109:110]
	s_waitcnt vmcnt(17)
	v_fma_f64 v[101:102], v[131:132], v[103:104], v[101:102]
	buffer_load_dword v110, off, s[0:3], 0 offset:268
	buffer_load_dword v125, off, s[0:3], 0 offset:288
	;; [unrolled: 1-line block ×7, first 2 shown]
	s_waitcnt vmcnt(23) lgkmcnt(0)
	v_fma_f64 v[101:102], v[111:112], v[105:106], v[101:102]
	s_waitcnt vmcnt(18)
	v_fma_f64 v[111:112], v[113:114], v[107:108], v[101:102]
	ds_read_b128 v[101:104], v100 offset:608
	ds_read_b128 v[105:108], v100 offset:624
	buffer_load_dword v126, off, s[0:3], 0 offset:292
	s_waitcnt vmcnt(18) lgkmcnt(1)
	v_fma_f64 v[101:102], v[119:120], v[101:102], v[111:112]
	s_waitcnt vmcnt(17)
	v_fma_f64 v[101:102], v[117:118], v[103:104], v[101:102]
	buffer_load_dword v112, off, s[0:3], 0 offset:300
	buffer_load_dword v113, off, s[0:3], 0 offset:320
	;; [unrolled: 1-line block ×7, first 2 shown]
	s_waitcnt vmcnt(23) lgkmcnt(0)
	v_fma_f64 v[101:102], v[115:116], v[105:106], v[101:102]
	s_waitcnt vmcnt(18)
	v_fma_f64 v[114:115], v[121:122], v[107:108], v[101:102]
	ds_read_b128 v[101:104], v100 offset:640
	ds_read_b128 v[105:108], v100 offset:656
	s_waitcnt vmcnt(17) lgkmcnt(1)
	v_fma_f64 v[101:102], v[129:130], v[101:102], v[114:115]
	buffer_load_dword v114, off, s[0:3], 0 offset:324
	s_waitcnt vmcnt(17)
	v_fma_f64 v[101:102], v[127:128], v[103:104], v[101:102]
	buffer_load_dword v116, off, s[0:3], 0 offset:332
	buffer_load_dword v121, off, s[0:3], 0 offset:352
	;; [unrolled: 1-line block ×8, first 2 shown]
	s_waitcnt vmcnt(24) lgkmcnt(0)
	v_fma_f64 v[101:102], v[123:124], v[105:106], v[101:102]
	s_waitcnt vmcnt(19)
	v_fma_f64 v[109:110], v[109:110], v[107:108], v[101:102]
	ds_read_b128 v[101:104], v100 offset:672
	ds_read_b128 v[105:108], v100 offset:688
	s_waitcnt vmcnt(18) lgkmcnt(1)
	v_fma_f64 v[101:102], v[133:134], v[101:102], v[109:110]
	s_waitcnt vmcnt(17)
	v_fma_f64 v[101:102], v[131:132], v[103:104], v[101:102]
	buffer_load_dword v110, off, s[0:3], 0 offset:364
	buffer_load_dword v123, off, s[0:3], 0 offset:384
	;; [unrolled: 1-line block ×8, first 2 shown]
	s_waitcnt vmcnt(24) lgkmcnt(0)
	v_fma_f64 v[101:102], v[125:126], v[105:106], v[101:102]
	s_waitcnt vmcnt(19)
	v_fma_f64 v[111:112], v[111:112], v[107:108], v[101:102]
	ds_read_b128 v[101:104], v100 offset:704
	ds_read_b128 v[105:108], v100 offset:720
	s_waitcnt vmcnt(18) lgkmcnt(1)
	v_fma_f64 v[101:102], v[119:120], v[101:102], v[111:112]
	buffer_load_dword v111, off, s[0:3], 0 offset:72
	buffer_load_dword v112, off, s[0:3], 0 offset:76
	s_waitcnt vmcnt(19)
	v_fma_f64 v[101:102], v[117:118], v[103:104], v[101:102]
	s_waitcnt vmcnt(18) lgkmcnt(0)
	v_fma_f64 v[101:102], v[113:114], v[105:106], v[101:102]
	s_waitcnt vmcnt(13)
	v_fma_f64 v[113:114], v[115:116], v[107:108], v[101:102]
	ds_read_b128 v[101:104], v100 offset:736
	ds_read_b128 v[105:108], v100 offset:752
	s_waitcnt vmcnt(12) lgkmcnt(1)
	v_fma_f64 v[101:102], v[129:130], v[101:102], v[113:114]
	s_waitcnt vmcnt(11)
	v_fma_f64 v[101:102], v[127:128], v[103:104], v[101:102]
	s_waitcnt vmcnt(10) lgkmcnt(0)
	v_fma_f64 v[101:102], v[121:122], v[105:106], v[101:102]
	s_waitcnt vmcnt(5)
	v_fma_f64 v[105:106], v[109:110], v[107:108], v[101:102]
	ds_read_b128 v[101:104], v100 offset:768
	ds_read_b64 v[107:108], v100 offset:784
	s_waitcnt vmcnt(4) lgkmcnt(1)
	v_fma_f64 v[101:102], v[133:134], v[101:102], v[105:106]
	s_waitcnt vmcnt(3)
	v_fma_f64 v[101:102], v[131:132], v[103:104], v[101:102]
	s_waitcnt vmcnt(2) lgkmcnt(0)
	v_fma_f64 v[101:102], v[123:124], v[107:108], v[101:102]
	s_waitcnt vmcnt(0)
	v_add_f64 v[101:102], v[111:112], -v[101:102]
	buffer_store_dword v102, off, s[0:3], 0 offset:76
	buffer_store_dword v101, off, s[0:3], 0 offset:72
	s_and_saveexec_b64 s[4:5], vcc
	s_cbranch_execz .LBB112_285
; %bb.284:
	buffer_load_dword v101, off, s[0:3], 0 offset:64
	buffer_load_dword v102, off, s[0:3], 0 offset:68
	s_waitcnt vmcnt(0)
	ds_write_b64 v99, v[101:102]
	buffer_store_dword v100, off, s[0:3], 0 offset:64
	buffer_store_dword v100, off, s[0:3], 0 offset:68
.LBB112_285:
	s_or_b64 exec, exec, s[4:5]
	s_waitcnt lgkmcnt(0)
	; wave barrier
	buffer_load_dword v109, off, s[0:3], 0 offset:72
	buffer_load_dword v110, off, s[0:3], 0 offset:76
	;; [unrolled: 1-line block ×22, first 2 shown]
	ds_read2_b64 v[101:104], v100 offset0:59 offset1:60
	ds_read2_b64 v[105:108], v100 offset0:61 offset1:62
	v_cmp_lt_u32_e32 vcc, 7, v0
	s_waitcnt vmcnt(20) lgkmcnt(1)
	v_fma_f64 v[101:102], v[109:110], v[101:102], 0
	s_waitcnt vmcnt(18)
	v_fma_f64 v[101:102], v[111:112], v[103:104], v[101:102]
	buffer_load_dword v110, off, s[0:3], 0 offset:164
	buffer_load_dword v111, off, s[0:3], 0 offset:184
	;; [unrolled: 1-line block ×7, first 2 shown]
	s_waitcnt vmcnt(23) lgkmcnt(0)
	v_fma_f64 v[101:102], v[113:114], v[105:106], v[101:102]
	s_waitcnt vmcnt(21)
	v_fma_f64 v[112:113], v[115:116], v[107:108], v[101:102]
	ds_read2_b64 v[101:104], v100 offset0:63 offset1:64
	ds_read2_b64 v[105:108], v100 offset0:65 offset1:66
	s_waitcnt vmcnt(19) lgkmcnt(1)
	v_fma_f64 v[101:102], v[117:118], v[101:102], v[112:113]
	buffer_load_dword v112, off, s[0:3], 0 offset:188
	s_waitcnt vmcnt(18)
	v_fma_f64 v[101:102], v[119:120], v[103:104], v[101:102]
	buffer_load_dword v114, off, s[0:3], 0 offset:196
	buffer_load_dword v115, off, s[0:3], 0 offset:216
	;; [unrolled: 1-line block ×8, first 2 shown]
	s_waitcnt vmcnt(24) lgkmcnt(0)
	v_fma_f64 v[101:102], v[121:122], v[105:106], v[101:102]
	s_waitcnt vmcnt(19)
	v_fma_f64 v[121:122], v[123:124], v[107:108], v[101:102]
	ds_read2_b64 v[101:104], v100 offset0:67 offset1:68
	ds_read2_b64 v[105:108], v100 offset0:69 offset1:70
	s_waitcnt vmcnt(18) lgkmcnt(1)
	v_fma_f64 v[101:102], v[129:130], v[101:102], v[121:122]
	s_waitcnt vmcnt(17)
	v_fma_f64 v[101:102], v[127:128], v[103:104], v[101:102]
	buffer_load_dword v122, off, s[0:3], 0 offset:228
	buffer_load_dword v123, off, s[0:3], 0 offset:248
	;; [unrolled: 1-line block ×8, first 2 shown]
	s_waitcnt vmcnt(24) lgkmcnt(0)
	v_fma_f64 v[101:102], v[125:126], v[105:106], v[101:102]
	s_waitcnt vmcnt(19)
	v_fma_f64 v[109:110], v[109:110], v[107:108], v[101:102]
	ds_read2_b64 v[101:104], v100 offset0:71 offset1:72
	ds_read2_b64 v[105:108], v100 offset0:73 offset1:74
	s_waitcnt vmcnt(18) lgkmcnt(1)
	v_fma_f64 v[101:102], v[133:134], v[101:102], v[109:110]
	s_waitcnt vmcnt(17)
	v_fma_f64 v[101:102], v[131:132], v[103:104], v[101:102]
	buffer_load_dword v110, off, s[0:3], 0 offset:260
	buffer_load_dword v125, off, s[0:3], 0 offset:280
	;; [unrolled: 1-line block ×7, first 2 shown]
	s_waitcnt vmcnt(23) lgkmcnt(0)
	v_fma_f64 v[101:102], v[111:112], v[105:106], v[101:102]
	s_waitcnt vmcnt(18)
	v_fma_f64 v[111:112], v[113:114], v[107:108], v[101:102]
	ds_read2_b64 v[101:104], v100 offset0:75 offset1:76
	ds_read2_b64 v[105:108], v100 offset0:77 offset1:78
	buffer_load_dword v126, off, s[0:3], 0 offset:284
	s_waitcnt vmcnt(18) lgkmcnt(1)
	v_fma_f64 v[101:102], v[119:120], v[101:102], v[111:112]
	s_waitcnt vmcnt(17)
	v_fma_f64 v[101:102], v[117:118], v[103:104], v[101:102]
	buffer_load_dword v112, off, s[0:3], 0 offset:292
	buffer_load_dword v113, off, s[0:3], 0 offset:312
	;; [unrolled: 1-line block ×7, first 2 shown]
	s_waitcnt vmcnt(23) lgkmcnt(0)
	v_fma_f64 v[101:102], v[115:116], v[105:106], v[101:102]
	s_waitcnt vmcnt(18)
	v_fma_f64 v[114:115], v[121:122], v[107:108], v[101:102]
	ds_read2_b64 v[101:104], v100 offset0:79 offset1:80
	ds_read2_b64 v[105:108], v100 offset0:81 offset1:82
	s_waitcnt vmcnt(17) lgkmcnt(1)
	v_fma_f64 v[101:102], v[129:130], v[101:102], v[114:115]
	buffer_load_dword v114, off, s[0:3], 0 offset:316
	s_waitcnt vmcnt(17)
	v_fma_f64 v[101:102], v[127:128], v[103:104], v[101:102]
	buffer_load_dword v116, off, s[0:3], 0 offset:324
	buffer_load_dword v121, off, s[0:3], 0 offset:344
	;; [unrolled: 1-line block ×8, first 2 shown]
	s_waitcnt vmcnt(24) lgkmcnt(0)
	v_fma_f64 v[101:102], v[123:124], v[105:106], v[101:102]
	s_waitcnt vmcnt(19)
	v_fma_f64 v[109:110], v[109:110], v[107:108], v[101:102]
	ds_read2_b64 v[101:104], v100 offset0:83 offset1:84
	ds_read2_b64 v[105:108], v100 offset0:85 offset1:86
	s_waitcnt vmcnt(18) lgkmcnt(1)
	v_fma_f64 v[101:102], v[133:134], v[101:102], v[109:110]
	s_waitcnt vmcnt(17)
	v_fma_f64 v[101:102], v[131:132], v[103:104], v[101:102]
	buffer_load_dword v110, off, s[0:3], 0 offset:356
	buffer_load_dword v123, off, s[0:3], 0 offset:376
	;; [unrolled: 1-line block ×8, first 2 shown]
	s_waitcnt vmcnt(24) lgkmcnt(0)
	v_fma_f64 v[101:102], v[125:126], v[105:106], v[101:102]
	s_waitcnt vmcnt(19)
	v_fma_f64 v[111:112], v[111:112], v[107:108], v[101:102]
	ds_read2_b64 v[101:104], v100 offset0:87 offset1:88
	ds_read2_b64 v[105:108], v100 offset0:89 offset1:90
	s_waitcnt vmcnt(18) lgkmcnt(1)
	v_fma_f64 v[101:102], v[119:120], v[101:102], v[111:112]
	buffer_load_dword v112, off, s[0:3], 0 offset:388
	buffer_load_dword v111, off, s[0:3], 0 offset:384
	s_waitcnt vmcnt(19)
	v_fma_f64 v[101:102], v[117:118], v[103:104], v[101:102]
	buffer_load_dword v117, off, s[0:3], 0 offset:64
	buffer_load_dword v118, off, s[0:3], 0 offset:68
	s_waitcnt vmcnt(20) lgkmcnt(0)
	v_fma_f64 v[101:102], v[113:114], v[105:106], v[101:102]
	s_waitcnt vmcnt(15)
	v_fma_f64 v[113:114], v[115:116], v[107:108], v[101:102]
	ds_read2_b64 v[101:104], v100 offset0:91 offset1:92
	ds_read2_b64 v[105:108], v100 offset0:93 offset1:94
	s_waitcnt vmcnt(14) lgkmcnt(1)
	v_fma_f64 v[101:102], v[129:130], v[101:102], v[113:114]
	s_waitcnt vmcnt(13)
	v_fma_f64 v[101:102], v[127:128], v[103:104], v[101:102]
	s_waitcnt vmcnt(12) lgkmcnt(0)
	v_fma_f64 v[101:102], v[121:122], v[105:106], v[101:102]
	s_waitcnt vmcnt(7)
	v_fma_f64 v[109:110], v[109:110], v[107:108], v[101:102]
	ds_read2_b64 v[101:104], v100 offset0:95 offset1:96
	ds_read2_b64 v[105:108], v100 offset0:97 offset1:98
	s_waitcnt vmcnt(6) lgkmcnt(1)
	v_fma_f64 v[100:101], v[133:134], v[101:102], v[109:110]
	s_waitcnt vmcnt(5)
	v_fma_f64 v[100:101], v[131:132], v[103:104], v[100:101]
	s_waitcnt vmcnt(4) lgkmcnt(0)
	v_fma_f64 v[100:101], v[123:124], v[105:106], v[100:101]
	s_waitcnt vmcnt(2)
	v_fma_f64 v[100:101], v[111:112], v[107:108], v[100:101]
	s_waitcnt vmcnt(0)
	v_add_f64 v[100:101], v[117:118], -v[100:101]
	buffer_store_dword v101, off, s[0:3], 0 offset:68
	buffer_store_dword v100, off, s[0:3], 0 offset:64
	s_and_saveexec_b64 s[4:5], vcc
	s_cbranch_execz .LBB112_287
; %bb.286:
	buffer_load_dword v100, off, s[0:3], 0 offset:56
	buffer_load_dword v101, off, s[0:3], 0 offset:60
	v_mov_b32_e32 v102, 0
	buffer_store_dword v102, off, s[0:3], 0 offset:56
	buffer_store_dword v102, off, s[0:3], 0 offset:60
	s_waitcnt vmcnt(2)
	ds_write_b64 v99, v[100:101]
.LBB112_287:
	s_or_b64 exec, exec, s[4:5]
	s_waitcnt lgkmcnt(0)
	; wave barrier
	buffer_load_dword v109, off, s[0:3], 0 offset:64
	buffer_load_dword v110, off, s[0:3], 0 offset:68
	;; [unrolled: 1-line block ×22, first 2 shown]
	v_mov_b32_e32 v100, 0
	ds_read_b128 v[101:104], v100 offset:464
	ds_read_b128 v[105:108], v100 offset:480
	v_cmp_lt_u32_e32 vcc, 6, v0
	s_waitcnt vmcnt(20) lgkmcnt(1)
	v_fma_f64 v[101:102], v[109:110], v[101:102], 0
	s_waitcnt vmcnt(18)
	v_fma_f64 v[101:102], v[111:112], v[103:104], v[101:102]
	buffer_load_dword v110, off, s[0:3], 0 offset:156
	buffer_load_dword v111, off, s[0:3], 0 offset:176
	buffer_load_dword v131, off, s[0:3], 0 offset:168
	buffer_load_dword v133, off, s[0:3], 0 offset:160
	buffer_load_dword v109, off, s[0:3], 0 offset:152
	buffer_load_dword v134, off, s[0:3], 0 offset:164
	buffer_load_dword v132, off, s[0:3], 0 offset:172
	s_waitcnt vmcnt(23) lgkmcnt(0)
	v_fma_f64 v[101:102], v[113:114], v[105:106], v[101:102]
	s_waitcnt vmcnt(21)
	v_fma_f64 v[112:113], v[115:116], v[107:108], v[101:102]
	ds_read_b128 v[101:104], v100 offset:496
	ds_read_b128 v[105:108], v100 offset:512
	s_waitcnt vmcnt(19) lgkmcnt(1)
	v_fma_f64 v[101:102], v[117:118], v[101:102], v[112:113]
	buffer_load_dword v112, off, s[0:3], 0 offset:180
	s_waitcnt vmcnt(18)
	v_fma_f64 v[101:102], v[119:120], v[103:104], v[101:102]
	buffer_load_dword v114, off, s[0:3], 0 offset:188
	buffer_load_dword v115, off, s[0:3], 0 offset:208
	;; [unrolled: 1-line block ×7, first 2 shown]
	s_waitcnt vmcnt(23) lgkmcnt(0)
	v_fma_f64 v[101:102], v[121:122], v[105:106], v[101:102]
	s_waitcnt vmcnt(18)
	v_fma_f64 v[121:122], v[123:124], v[107:108], v[101:102]
	ds_read_b128 v[101:104], v100 offset:528
	ds_read_b128 v[105:108], v100 offset:544
	buffer_load_dword v116, off, s[0:3], 0 offset:212
	s_waitcnt vmcnt(18) lgkmcnt(1)
	v_fma_f64 v[101:102], v[129:130], v[101:102], v[121:122]
	s_waitcnt vmcnt(17)
	v_fma_f64 v[101:102], v[127:128], v[103:104], v[101:102]
	buffer_load_dword v122, off, s[0:3], 0 offset:220
	buffer_load_dword v123, off, s[0:3], 0 offset:240
	;; [unrolled: 1-line block ×8, first 2 shown]
	s_waitcnt vmcnt(24) lgkmcnt(0)
	v_fma_f64 v[101:102], v[125:126], v[105:106], v[101:102]
	s_waitcnt vmcnt(19)
	v_fma_f64 v[109:110], v[109:110], v[107:108], v[101:102]
	ds_read_b128 v[101:104], v100 offset:560
	ds_read_b128 v[105:108], v100 offset:576
	s_waitcnt vmcnt(18) lgkmcnt(1)
	v_fma_f64 v[101:102], v[133:134], v[101:102], v[109:110]
	s_waitcnt vmcnt(17)
	v_fma_f64 v[101:102], v[131:132], v[103:104], v[101:102]
	buffer_load_dword v110, off, s[0:3], 0 offset:252
	buffer_load_dword v125, off, s[0:3], 0 offset:272
	;; [unrolled: 1-line block ×7, first 2 shown]
	s_waitcnt vmcnt(23) lgkmcnt(0)
	v_fma_f64 v[101:102], v[111:112], v[105:106], v[101:102]
	s_waitcnt vmcnt(18)
	v_fma_f64 v[111:112], v[113:114], v[107:108], v[101:102]
	ds_read_b128 v[101:104], v100 offset:592
	ds_read_b128 v[105:108], v100 offset:608
	buffer_load_dword v126, off, s[0:3], 0 offset:276
	s_waitcnt vmcnt(18) lgkmcnt(1)
	v_fma_f64 v[101:102], v[119:120], v[101:102], v[111:112]
	s_waitcnt vmcnt(17)
	v_fma_f64 v[101:102], v[117:118], v[103:104], v[101:102]
	buffer_load_dword v112, off, s[0:3], 0 offset:284
	buffer_load_dword v113, off, s[0:3], 0 offset:304
	;; [unrolled: 1-line block ×7, first 2 shown]
	s_waitcnt vmcnt(23) lgkmcnt(0)
	v_fma_f64 v[101:102], v[115:116], v[105:106], v[101:102]
	s_waitcnt vmcnt(18)
	v_fma_f64 v[114:115], v[121:122], v[107:108], v[101:102]
	ds_read_b128 v[101:104], v100 offset:624
	ds_read_b128 v[105:108], v100 offset:640
	s_waitcnt vmcnt(17) lgkmcnt(1)
	v_fma_f64 v[101:102], v[129:130], v[101:102], v[114:115]
	buffer_load_dword v114, off, s[0:3], 0 offset:308
	s_waitcnt vmcnt(17)
	v_fma_f64 v[101:102], v[127:128], v[103:104], v[101:102]
	buffer_load_dword v116, off, s[0:3], 0 offset:316
	buffer_load_dword v121, off, s[0:3], 0 offset:336
	;; [unrolled: 1-line block ×8, first 2 shown]
	s_waitcnt vmcnt(24) lgkmcnt(0)
	v_fma_f64 v[101:102], v[123:124], v[105:106], v[101:102]
	s_waitcnt vmcnt(19)
	v_fma_f64 v[109:110], v[109:110], v[107:108], v[101:102]
	ds_read_b128 v[101:104], v100 offset:656
	ds_read_b128 v[105:108], v100 offset:672
	s_waitcnt vmcnt(18) lgkmcnt(1)
	v_fma_f64 v[101:102], v[133:134], v[101:102], v[109:110]
	s_waitcnt vmcnt(17)
	v_fma_f64 v[101:102], v[131:132], v[103:104], v[101:102]
	buffer_load_dword v110, off, s[0:3], 0 offset:348
	buffer_load_dword v123, off, s[0:3], 0 offset:368
	;; [unrolled: 1-line block ×7, first 2 shown]
	s_waitcnt vmcnt(23) lgkmcnt(0)
	v_fma_f64 v[101:102], v[125:126], v[105:106], v[101:102]
	s_waitcnt vmcnt(18)
	v_fma_f64 v[111:112], v[111:112], v[107:108], v[101:102]
	ds_read_b128 v[101:104], v100 offset:688
	ds_read_b128 v[105:108], v100 offset:704
	buffer_load_dword v124, off, s[0:3], 0 offset:372
	s_waitcnt vmcnt(18) lgkmcnt(1)
	v_fma_f64 v[101:102], v[119:120], v[101:102], v[111:112]
	s_waitcnt vmcnt(17)
	v_fma_f64 v[101:102], v[117:118], v[103:104], v[101:102]
	buffer_load_dword v112, off, s[0:3], 0 offset:380
	buffer_load_dword v117, off, s[0:3], 0 offset:384
	;; [unrolled: 1-line block ×4, first 2 shown]
	s_waitcnt vmcnt(20) lgkmcnt(0)
	v_fma_f64 v[101:102], v[113:114], v[105:106], v[101:102]
	buffer_load_dword v113, off, s[0:3], 0 offset:56
	buffer_load_dword v114, off, s[0:3], 0 offset:60
	s_waitcnt vmcnt(17)
	v_fma_f64 v[115:116], v[115:116], v[107:108], v[101:102]
	ds_read_b128 v[101:104], v100 offset:720
	ds_read_b128 v[105:108], v100 offset:736
	s_waitcnt vmcnt(16) lgkmcnt(1)
	v_fma_f64 v[101:102], v[129:130], v[101:102], v[115:116]
	s_waitcnt vmcnt(15)
	v_fma_f64 v[101:102], v[127:128], v[103:104], v[101:102]
	s_waitcnt vmcnt(14) lgkmcnt(0)
	v_fma_f64 v[101:102], v[121:122], v[105:106], v[101:102]
	s_waitcnt vmcnt(9)
	v_fma_f64 v[109:110], v[109:110], v[107:108], v[101:102]
	ds_read_b128 v[101:104], v100 offset:752
	ds_read_b128 v[105:108], v100 offset:768
	s_waitcnt vmcnt(8) lgkmcnt(1)
	v_fma_f64 v[101:102], v[133:134], v[101:102], v[109:110]
	s_waitcnt vmcnt(7)
	v_fma_f64 v[101:102], v[131:132], v[103:104], v[101:102]
	ds_read_b64 v[103:104], v100 offset:784
	s_waitcnt vmcnt(6) lgkmcnt(1)
	v_fma_f64 v[101:102], v[123:124], v[105:106], v[101:102]
	s_waitcnt vmcnt(3)
	v_fma_f64 v[101:102], v[111:112], v[107:108], v[101:102]
	s_waitcnt vmcnt(2) lgkmcnt(0)
	v_fma_f64 v[101:102], v[117:118], v[103:104], v[101:102]
	s_waitcnt vmcnt(0)
	v_add_f64 v[101:102], v[113:114], -v[101:102]
	buffer_store_dword v102, off, s[0:3], 0 offset:60
	buffer_store_dword v101, off, s[0:3], 0 offset:56
	s_and_saveexec_b64 s[4:5], vcc
	s_cbranch_execz .LBB112_289
; %bb.288:
	buffer_load_dword v101, off, s[0:3], 0 offset:48
	buffer_load_dword v102, off, s[0:3], 0 offset:52
	s_waitcnt vmcnt(0)
	ds_write_b64 v99, v[101:102]
	buffer_store_dword v100, off, s[0:3], 0 offset:48
	buffer_store_dword v100, off, s[0:3], 0 offset:52
.LBB112_289:
	s_or_b64 exec, exec, s[4:5]
	s_waitcnt lgkmcnt(0)
	; wave barrier
	buffer_load_dword v109, off, s[0:3], 0 offset:56
	buffer_load_dword v110, off, s[0:3], 0 offset:60
	;; [unrolled: 1-line block ×22, first 2 shown]
	ds_read2_b64 v[101:104], v100 offset0:57 offset1:58
	ds_read2_b64 v[105:108], v100 offset0:59 offset1:60
	v_cmp_lt_u32_e32 vcc, 5, v0
	s_waitcnt vmcnt(20) lgkmcnt(1)
	v_fma_f64 v[101:102], v[109:110], v[101:102], 0
	s_waitcnt vmcnt(18)
	v_fma_f64 v[101:102], v[111:112], v[103:104], v[101:102]
	buffer_load_dword v110, off, s[0:3], 0 offset:148
	buffer_load_dword v111, off, s[0:3], 0 offset:168
	;; [unrolled: 1-line block ×7, first 2 shown]
	s_waitcnt vmcnt(23) lgkmcnt(0)
	v_fma_f64 v[101:102], v[113:114], v[105:106], v[101:102]
	s_waitcnt vmcnt(21)
	v_fma_f64 v[112:113], v[115:116], v[107:108], v[101:102]
	ds_read2_b64 v[101:104], v100 offset0:61 offset1:62
	ds_read2_b64 v[105:108], v100 offset0:63 offset1:64
	s_waitcnt vmcnt(19) lgkmcnt(1)
	v_fma_f64 v[101:102], v[117:118], v[101:102], v[112:113]
	buffer_load_dword v112, off, s[0:3], 0 offset:172
	s_waitcnt vmcnt(18)
	v_fma_f64 v[101:102], v[119:120], v[103:104], v[101:102]
	buffer_load_dword v114, off, s[0:3], 0 offset:180
	buffer_load_dword v115, off, s[0:3], 0 offset:200
	buffer_load_dword v117, off, s[0:3], 0 offset:192
	buffer_load_dword v119, off, s[0:3], 0 offset:184
	buffer_load_dword v113, off, s[0:3], 0 offset:176
	buffer_load_dword v120, off, s[0:3], 0 offset:188
	buffer_load_dword v118, off, s[0:3], 0 offset:196
	s_waitcnt vmcnt(23) lgkmcnt(0)
	v_fma_f64 v[101:102], v[121:122], v[105:106], v[101:102]
	s_waitcnt vmcnt(18)
	v_fma_f64 v[121:122], v[123:124], v[107:108], v[101:102]
	ds_read2_b64 v[101:104], v100 offset0:65 offset1:66
	ds_read2_b64 v[105:108], v100 offset0:67 offset1:68
	buffer_load_dword v116, off, s[0:3], 0 offset:204
	s_waitcnt vmcnt(18) lgkmcnt(1)
	v_fma_f64 v[101:102], v[129:130], v[101:102], v[121:122]
	s_waitcnt vmcnt(17)
	v_fma_f64 v[101:102], v[127:128], v[103:104], v[101:102]
	buffer_load_dword v122, off, s[0:3], 0 offset:212
	buffer_load_dword v123, off, s[0:3], 0 offset:232
	;; [unrolled: 1-line block ×8, first 2 shown]
	s_waitcnt vmcnt(24) lgkmcnt(0)
	v_fma_f64 v[101:102], v[125:126], v[105:106], v[101:102]
	s_waitcnt vmcnt(19)
	v_fma_f64 v[109:110], v[109:110], v[107:108], v[101:102]
	ds_read2_b64 v[101:104], v100 offset0:69 offset1:70
	ds_read2_b64 v[105:108], v100 offset0:71 offset1:72
	s_waitcnt vmcnt(18) lgkmcnt(1)
	v_fma_f64 v[101:102], v[133:134], v[101:102], v[109:110]
	s_waitcnt vmcnt(17)
	v_fma_f64 v[101:102], v[131:132], v[103:104], v[101:102]
	buffer_load_dword v110, off, s[0:3], 0 offset:244
	buffer_load_dword v125, off, s[0:3], 0 offset:264
	;; [unrolled: 1-line block ×8, first 2 shown]
	s_waitcnt vmcnt(24) lgkmcnt(0)
	v_fma_f64 v[101:102], v[111:112], v[105:106], v[101:102]
	s_waitcnt vmcnt(19)
	v_fma_f64 v[111:112], v[113:114], v[107:108], v[101:102]
	ds_read2_b64 v[101:104], v100 offset0:73 offset1:74
	ds_read2_b64 v[105:108], v100 offset0:75 offset1:76
	s_waitcnt vmcnt(18) lgkmcnt(1)
	v_fma_f64 v[101:102], v[119:120], v[101:102], v[111:112]
	s_waitcnt vmcnt(17)
	v_fma_f64 v[101:102], v[117:118], v[103:104], v[101:102]
	buffer_load_dword v112, off, s[0:3], 0 offset:276
	buffer_load_dword v113, off, s[0:3], 0 offset:296
	;; [unrolled: 1-line block ×7, first 2 shown]
	s_waitcnt vmcnt(23) lgkmcnt(0)
	v_fma_f64 v[101:102], v[115:116], v[105:106], v[101:102]
	s_waitcnt vmcnt(18)
	v_fma_f64 v[114:115], v[121:122], v[107:108], v[101:102]
	ds_read2_b64 v[101:104], v100 offset0:77 offset1:78
	ds_read2_b64 v[105:108], v100 offset0:79 offset1:80
	s_waitcnt vmcnt(17) lgkmcnt(1)
	v_fma_f64 v[101:102], v[129:130], v[101:102], v[114:115]
	buffer_load_dword v114, off, s[0:3], 0 offset:300
	s_waitcnt vmcnt(17)
	v_fma_f64 v[101:102], v[127:128], v[103:104], v[101:102]
	buffer_load_dword v116, off, s[0:3], 0 offset:308
	buffer_load_dword v121, off, s[0:3], 0 offset:328
	;; [unrolled: 1-line block ×8, first 2 shown]
	s_waitcnt vmcnt(24) lgkmcnt(0)
	v_fma_f64 v[101:102], v[123:124], v[105:106], v[101:102]
	s_waitcnt vmcnt(19)
	v_fma_f64 v[109:110], v[109:110], v[107:108], v[101:102]
	ds_read2_b64 v[101:104], v100 offset0:81 offset1:82
	ds_read2_b64 v[105:108], v100 offset0:83 offset1:84
	s_waitcnt vmcnt(18) lgkmcnt(1)
	v_fma_f64 v[101:102], v[133:134], v[101:102], v[109:110]
	s_waitcnt vmcnt(17)
	v_fma_f64 v[101:102], v[131:132], v[103:104], v[101:102]
	buffer_load_dword v110, off, s[0:3], 0 offset:340
	buffer_load_dword v123, off, s[0:3], 0 offset:360
	;; [unrolled: 1-line block ×8, first 2 shown]
	s_waitcnt vmcnt(24) lgkmcnt(0)
	v_fma_f64 v[101:102], v[125:126], v[105:106], v[101:102]
	s_waitcnt vmcnt(19)
	v_fma_f64 v[111:112], v[111:112], v[107:108], v[101:102]
	ds_read2_b64 v[101:104], v100 offset0:85 offset1:86
	ds_read2_b64 v[105:108], v100 offset0:87 offset1:88
	s_waitcnt vmcnt(18) lgkmcnt(1)
	v_fma_f64 v[101:102], v[119:120], v[101:102], v[111:112]
	s_waitcnt vmcnt(17)
	v_fma_f64 v[101:102], v[117:118], v[103:104], v[101:102]
	buffer_load_dword v112, off, s[0:3], 0 offset:372
	buffer_load_dword v117, off, s[0:3], 0 offset:384
	;; [unrolled: 1-line block ×6, first 2 shown]
	s_waitcnt vmcnt(22) lgkmcnt(0)
	v_fma_f64 v[101:102], v[113:114], v[105:106], v[101:102]
	s_waitcnt vmcnt(17)
	v_fma_f64 v[113:114], v[115:116], v[107:108], v[101:102]
	ds_read2_b64 v[101:104], v100 offset0:89 offset1:90
	buffer_load_dword v115, off, s[0:3], 0 offset:48
	buffer_load_dword v116, off, s[0:3], 0 offset:52
	ds_read2_b64 v[105:108], v100 offset0:91 offset1:92
	s_waitcnt vmcnt(18) lgkmcnt(1)
	v_fma_f64 v[101:102], v[129:130], v[101:102], v[113:114]
	s_waitcnt vmcnt(17)
	v_fma_f64 v[101:102], v[127:128], v[103:104], v[101:102]
	s_waitcnt vmcnt(16) lgkmcnt(0)
	v_fma_f64 v[101:102], v[121:122], v[105:106], v[101:102]
	s_waitcnt vmcnt(11)
	v_fma_f64 v[109:110], v[109:110], v[107:108], v[101:102]
	ds_read2_b64 v[101:104], v100 offset0:93 offset1:94
	ds_read2_b64 v[105:108], v100 offset0:95 offset1:96
	s_waitcnt vmcnt(10) lgkmcnt(1)
	v_fma_f64 v[101:102], v[133:134], v[101:102], v[109:110]
	s_waitcnt vmcnt(9)
	v_fma_f64 v[101:102], v[131:132], v[103:104], v[101:102]
	s_waitcnt vmcnt(8) lgkmcnt(0)
	v_fma_f64 v[101:102], v[123:124], v[105:106], v[101:102]
	s_waitcnt vmcnt(4)
	v_fma_f64 v[104:105], v[111:112], v[107:108], v[101:102]
	ds_read2_b64 v[100:103], v100 offset0:97 offset1:98
	s_waitcnt vmcnt(3) lgkmcnt(0)
	v_fma_f64 v[100:101], v[119:120], v[100:101], v[104:105]
	s_waitcnt vmcnt(2)
	v_fma_f64 v[100:101], v[117:118], v[102:103], v[100:101]
	s_waitcnt vmcnt(0)
	v_add_f64 v[100:101], v[115:116], -v[100:101]
	buffer_store_dword v101, off, s[0:3], 0 offset:52
	buffer_store_dword v100, off, s[0:3], 0 offset:48
	s_and_saveexec_b64 s[4:5], vcc
	s_cbranch_execz .LBB112_291
; %bb.290:
	buffer_load_dword v100, off, s[0:3], 0 offset:40
	buffer_load_dword v101, off, s[0:3], 0 offset:44
	v_mov_b32_e32 v102, 0
	buffer_store_dword v102, off, s[0:3], 0 offset:40
	buffer_store_dword v102, off, s[0:3], 0 offset:44
	s_waitcnt vmcnt(2)
	ds_write_b64 v99, v[100:101]
.LBB112_291:
	s_or_b64 exec, exec, s[4:5]
	s_waitcnt lgkmcnt(0)
	; wave barrier
	buffer_load_dword v109, off, s[0:3], 0 offset:48
	buffer_load_dword v110, off, s[0:3], 0 offset:52
	;; [unrolled: 1-line block ×22, first 2 shown]
	v_mov_b32_e32 v100, 0
	ds_read_b128 v[101:104], v100 offset:448
	ds_read_b128 v[105:108], v100 offset:464
	v_cmp_lt_u32_e32 vcc, 4, v0
	s_waitcnt vmcnt(20) lgkmcnt(1)
	v_fma_f64 v[101:102], v[109:110], v[101:102], 0
	s_waitcnt vmcnt(18)
	v_fma_f64 v[101:102], v[111:112], v[103:104], v[101:102]
	buffer_load_dword v110, off, s[0:3], 0 offset:140
	buffer_load_dword v111, off, s[0:3], 0 offset:160
	;; [unrolled: 1-line block ×7, first 2 shown]
	s_waitcnt vmcnt(23) lgkmcnt(0)
	v_fma_f64 v[101:102], v[113:114], v[105:106], v[101:102]
	s_waitcnt vmcnt(21)
	v_fma_f64 v[112:113], v[115:116], v[107:108], v[101:102]
	ds_read_b128 v[101:104], v100 offset:480
	ds_read_b128 v[105:108], v100 offset:496
	s_waitcnt vmcnt(19) lgkmcnt(1)
	v_fma_f64 v[101:102], v[117:118], v[101:102], v[112:113]
	buffer_load_dword v112, off, s[0:3], 0 offset:164
	s_waitcnt vmcnt(18)
	v_fma_f64 v[101:102], v[119:120], v[103:104], v[101:102]
	buffer_load_dword v114, off, s[0:3], 0 offset:172
	buffer_load_dword v115, off, s[0:3], 0 offset:192
	;; [unrolled: 1-line block ×7, first 2 shown]
	s_waitcnt vmcnt(23) lgkmcnt(0)
	v_fma_f64 v[101:102], v[121:122], v[105:106], v[101:102]
	s_waitcnt vmcnt(18)
	v_fma_f64 v[121:122], v[123:124], v[107:108], v[101:102]
	ds_read_b128 v[101:104], v100 offset:512
	ds_read_b128 v[105:108], v100 offset:528
	buffer_load_dword v116, off, s[0:3], 0 offset:196
	s_waitcnt vmcnt(18) lgkmcnt(1)
	v_fma_f64 v[101:102], v[129:130], v[101:102], v[121:122]
	s_waitcnt vmcnt(17)
	v_fma_f64 v[101:102], v[127:128], v[103:104], v[101:102]
	buffer_load_dword v122, off, s[0:3], 0 offset:204
	buffer_load_dword v123, off, s[0:3], 0 offset:224
	;; [unrolled: 1-line block ×8, first 2 shown]
	s_waitcnt vmcnt(24) lgkmcnt(0)
	v_fma_f64 v[101:102], v[125:126], v[105:106], v[101:102]
	s_waitcnt vmcnt(19)
	v_fma_f64 v[109:110], v[109:110], v[107:108], v[101:102]
	ds_read_b128 v[101:104], v100 offset:544
	ds_read_b128 v[105:108], v100 offset:560
	s_waitcnt vmcnt(18) lgkmcnt(1)
	v_fma_f64 v[101:102], v[133:134], v[101:102], v[109:110]
	s_waitcnt vmcnt(17)
	v_fma_f64 v[101:102], v[131:132], v[103:104], v[101:102]
	buffer_load_dword v110, off, s[0:3], 0 offset:236
	buffer_load_dword v125, off, s[0:3], 0 offset:256
	;; [unrolled: 1-line block ×8, first 2 shown]
	s_waitcnt vmcnt(24) lgkmcnt(0)
	v_fma_f64 v[101:102], v[111:112], v[105:106], v[101:102]
	s_waitcnt vmcnt(19)
	v_fma_f64 v[111:112], v[113:114], v[107:108], v[101:102]
	ds_read_b128 v[101:104], v100 offset:576
	ds_read_b128 v[105:108], v100 offset:592
	s_waitcnt vmcnt(18) lgkmcnt(1)
	v_fma_f64 v[101:102], v[119:120], v[101:102], v[111:112]
	s_waitcnt vmcnt(17)
	v_fma_f64 v[101:102], v[117:118], v[103:104], v[101:102]
	buffer_load_dword v112, off, s[0:3], 0 offset:268
	buffer_load_dword v113, off, s[0:3], 0 offset:288
	;; [unrolled: 1-line block ×7, first 2 shown]
	s_waitcnt vmcnt(23) lgkmcnt(0)
	v_fma_f64 v[101:102], v[115:116], v[105:106], v[101:102]
	s_waitcnt vmcnt(18)
	v_fma_f64 v[114:115], v[121:122], v[107:108], v[101:102]
	ds_read_b128 v[101:104], v100 offset:608
	ds_read_b128 v[105:108], v100 offset:624
	s_waitcnt vmcnt(17) lgkmcnt(1)
	v_fma_f64 v[101:102], v[129:130], v[101:102], v[114:115]
	buffer_load_dword v114, off, s[0:3], 0 offset:292
	s_waitcnt vmcnt(17)
	v_fma_f64 v[101:102], v[127:128], v[103:104], v[101:102]
	buffer_load_dword v116, off, s[0:3], 0 offset:300
	buffer_load_dword v121, off, s[0:3], 0 offset:320
	buffer_load_dword v127, off, s[0:3], 0 offset:312
	buffer_load_dword v129, off, s[0:3], 0 offset:304
	buffer_load_dword v115, off, s[0:3], 0 offset:296
	buffer_load_dword v130, off, s[0:3], 0 offset:308
	buffer_load_dword v128, off, s[0:3], 0 offset:316
	buffer_load_dword v122, off, s[0:3], 0 offset:324
	s_waitcnt vmcnt(24) lgkmcnt(0)
	v_fma_f64 v[101:102], v[123:124], v[105:106], v[101:102]
	s_waitcnt vmcnt(19)
	v_fma_f64 v[109:110], v[109:110], v[107:108], v[101:102]
	ds_read_b128 v[101:104], v100 offset:640
	ds_read_b128 v[105:108], v100 offset:656
	s_waitcnt vmcnt(18) lgkmcnt(1)
	v_fma_f64 v[101:102], v[133:134], v[101:102], v[109:110]
	s_waitcnt vmcnt(17)
	v_fma_f64 v[101:102], v[131:132], v[103:104], v[101:102]
	buffer_load_dword v110, off, s[0:3], 0 offset:332
	buffer_load_dword v123, off, s[0:3], 0 offset:352
	buffer_load_dword v131, off, s[0:3], 0 offset:344
	buffer_load_dword v133, off, s[0:3], 0 offset:336
	buffer_load_dword v109, off, s[0:3], 0 offset:328
	buffer_load_dword v134, off, s[0:3], 0 offset:340
	buffer_load_dword v132, off, s[0:3], 0 offset:348
	buffer_load_dword v124, off, s[0:3], 0 offset:356
	s_waitcnt vmcnt(24) lgkmcnt(0)
	v_fma_f64 v[101:102], v[125:126], v[105:106], v[101:102]
	s_waitcnt vmcnt(19)
	v_fma_f64 v[111:112], v[111:112], v[107:108], v[101:102]
	ds_read_b128 v[101:104], v100 offset:672
	ds_read_b128 v[105:108], v100 offset:688
	s_waitcnt vmcnt(18) lgkmcnt(1)
	v_fma_f64 v[101:102], v[119:120], v[101:102], v[111:112]
	s_waitcnt vmcnt(17)
	v_fma_f64 v[101:102], v[117:118], v[103:104], v[101:102]
	buffer_load_dword v112, off, s[0:3], 0 offset:364
	buffer_load_dword v117, off, s[0:3], 0 offset:384
	buffer_load_dword v119, off, s[0:3], 0 offset:376
	buffer_load_dword v125, off, s[0:3], 0 offset:368
	buffer_load_dword v111, off, s[0:3], 0 offset:360
	buffer_load_dword v126, off, s[0:3], 0 offset:372
	buffer_load_dword v120, off, s[0:3], 0 offset:380
	buffer_load_dword v118, off, s[0:3], 0 offset:388
	s_waitcnt vmcnt(24) lgkmcnt(0)
	v_fma_f64 v[101:102], v[113:114], v[105:106], v[101:102]
	s_waitcnt vmcnt(19)
	v_fma_f64 v[113:114], v[115:116], v[107:108], v[101:102]
	ds_read_b128 v[101:104], v100 offset:704
	ds_read_b128 v[105:108], v100 offset:720
	s_waitcnt vmcnt(18) lgkmcnt(1)
	v_fma_f64 v[101:102], v[129:130], v[101:102], v[113:114]
	buffer_load_dword v113, off, s[0:3], 0 offset:40
	buffer_load_dword v114, off, s[0:3], 0 offset:44
	s_waitcnt vmcnt(19)
	v_fma_f64 v[101:102], v[127:128], v[103:104], v[101:102]
	s_waitcnt vmcnt(18) lgkmcnt(0)
	v_fma_f64 v[101:102], v[121:122], v[105:106], v[101:102]
	s_waitcnt vmcnt(13)
	v_fma_f64 v[109:110], v[109:110], v[107:108], v[101:102]
	ds_read_b128 v[101:104], v100 offset:736
	ds_read_b128 v[105:108], v100 offset:752
	s_waitcnt vmcnt(12) lgkmcnt(1)
	v_fma_f64 v[101:102], v[133:134], v[101:102], v[109:110]
	s_waitcnt vmcnt(11)
	v_fma_f64 v[101:102], v[131:132], v[103:104], v[101:102]
	s_waitcnt vmcnt(10) lgkmcnt(0)
	v_fma_f64 v[101:102], v[123:124], v[105:106], v[101:102]
	s_waitcnt vmcnt(5)
	v_fma_f64 v[105:106], v[111:112], v[107:108], v[101:102]
	ds_read_b128 v[101:104], v100 offset:768
	ds_read_b64 v[107:108], v100 offset:784
	s_waitcnt vmcnt(4) lgkmcnt(1)
	v_fma_f64 v[101:102], v[125:126], v[101:102], v[105:106]
	s_waitcnt vmcnt(3)
	v_fma_f64 v[101:102], v[119:120], v[103:104], v[101:102]
	s_waitcnt vmcnt(2) lgkmcnt(0)
	v_fma_f64 v[101:102], v[117:118], v[107:108], v[101:102]
	s_waitcnt vmcnt(0)
	v_add_f64 v[101:102], v[113:114], -v[101:102]
	buffer_store_dword v102, off, s[0:3], 0 offset:44
	buffer_store_dword v101, off, s[0:3], 0 offset:40
	s_and_saveexec_b64 s[4:5], vcc
	s_cbranch_execz .LBB112_293
; %bb.292:
	buffer_load_dword v101, off, s[0:3], 0 offset:32
	buffer_load_dword v102, off, s[0:3], 0 offset:36
	s_waitcnt vmcnt(0)
	ds_write_b64 v99, v[101:102]
	buffer_store_dword v100, off, s[0:3], 0 offset:32
	buffer_store_dword v100, off, s[0:3], 0 offset:36
.LBB112_293:
	s_or_b64 exec, exec, s[4:5]
	s_waitcnt lgkmcnt(0)
	; wave barrier
	buffer_load_dword v109, off, s[0:3], 0 offset:40
	buffer_load_dword v110, off, s[0:3], 0 offset:44
	;; [unrolled: 1-line block ×22, first 2 shown]
	ds_read2_b64 v[101:104], v100 offset0:55 offset1:56
	ds_read2_b64 v[105:108], v100 offset0:57 offset1:58
	v_cmp_lt_u32_e32 vcc, 3, v0
	s_waitcnt vmcnt(20) lgkmcnt(1)
	v_fma_f64 v[101:102], v[109:110], v[101:102], 0
	s_waitcnt vmcnt(18)
	v_fma_f64 v[101:102], v[111:112], v[103:104], v[101:102]
	buffer_load_dword v110, off, s[0:3], 0 offset:132
	buffer_load_dword v111, off, s[0:3], 0 offset:152
	;; [unrolled: 1-line block ×7, first 2 shown]
	s_waitcnt vmcnt(23) lgkmcnt(0)
	v_fma_f64 v[101:102], v[113:114], v[105:106], v[101:102]
	s_waitcnt vmcnt(21)
	v_fma_f64 v[112:113], v[115:116], v[107:108], v[101:102]
	ds_read2_b64 v[101:104], v100 offset0:59 offset1:60
	ds_read2_b64 v[105:108], v100 offset0:61 offset1:62
	s_waitcnt vmcnt(19) lgkmcnt(1)
	v_fma_f64 v[101:102], v[117:118], v[101:102], v[112:113]
	buffer_load_dword v112, off, s[0:3], 0 offset:156
	s_waitcnt vmcnt(18)
	v_fma_f64 v[101:102], v[119:120], v[103:104], v[101:102]
	buffer_load_dword v114, off, s[0:3], 0 offset:164
	buffer_load_dword v115, off, s[0:3], 0 offset:184
	;; [unrolled: 1-line block ×7, first 2 shown]
	s_waitcnt vmcnt(23) lgkmcnt(0)
	v_fma_f64 v[101:102], v[121:122], v[105:106], v[101:102]
	s_waitcnt vmcnt(18)
	v_fma_f64 v[121:122], v[123:124], v[107:108], v[101:102]
	ds_read2_b64 v[101:104], v100 offset0:63 offset1:64
	ds_read2_b64 v[105:108], v100 offset0:65 offset1:66
	buffer_load_dword v116, off, s[0:3], 0 offset:188
	s_waitcnt vmcnt(18) lgkmcnt(1)
	v_fma_f64 v[101:102], v[129:130], v[101:102], v[121:122]
	s_waitcnt vmcnt(17)
	v_fma_f64 v[101:102], v[127:128], v[103:104], v[101:102]
	buffer_load_dword v122, off, s[0:3], 0 offset:196
	buffer_load_dword v123, off, s[0:3], 0 offset:216
	;; [unrolled: 1-line block ×8, first 2 shown]
	s_waitcnt vmcnt(24) lgkmcnt(0)
	v_fma_f64 v[101:102], v[125:126], v[105:106], v[101:102]
	s_waitcnt vmcnt(19)
	v_fma_f64 v[109:110], v[109:110], v[107:108], v[101:102]
	ds_read2_b64 v[101:104], v100 offset0:67 offset1:68
	ds_read2_b64 v[105:108], v100 offset0:69 offset1:70
	s_waitcnt vmcnt(18) lgkmcnt(1)
	v_fma_f64 v[101:102], v[133:134], v[101:102], v[109:110]
	s_waitcnt vmcnt(17)
	v_fma_f64 v[101:102], v[131:132], v[103:104], v[101:102]
	buffer_load_dword v110, off, s[0:3], 0 offset:228
	buffer_load_dword v125, off, s[0:3], 0 offset:248
	;; [unrolled: 1-line block ×8, first 2 shown]
	s_waitcnt vmcnt(24) lgkmcnt(0)
	v_fma_f64 v[101:102], v[111:112], v[105:106], v[101:102]
	s_waitcnt vmcnt(19)
	v_fma_f64 v[111:112], v[113:114], v[107:108], v[101:102]
	ds_read2_b64 v[101:104], v100 offset0:71 offset1:72
	ds_read2_b64 v[105:108], v100 offset0:73 offset1:74
	s_waitcnt vmcnt(18) lgkmcnt(1)
	v_fma_f64 v[101:102], v[119:120], v[101:102], v[111:112]
	s_waitcnt vmcnt(17)
	v_fma_f64 v[101:102], v[117:118], v[103:104], v[101:102]
	buffer_load_dword v112, off, s[0:3], 0 offset:260
	buffer_load_dword v113, off, s[0:3], 0 offset:280
	;; [unrolled: 1-line block ×7, first 2 shown]
	s_waitcnt vmcnt(23) lgkmcnt(0)
	v_fma_f64 v[101:102], v[115:116], v[105:106], v[101:102]
	s_waitcnt vmcnt(18)
	v_fma_f64 v[114:115], v[121:122], v[107:108], v[101:102]
	ds_read2_b64 v[101:104], v100 offset0:75 offset1:76
	ds_read2_b64 v[105:108], v100 offset0:77 offset1:78
	s_waitcnt vmcnt(17) lgkmcnt(1)
	v_fma_f64 v[101:102], v[129:130], v[101:102], v[114:115]
	buffer_load_dword v114, off, s[0:3], 0 offset:284
	s_waitcnt vmcnt(17)
	v_fma_f64 v[101:102], v[127:128], v[103:104], v[101:102]
	buffer_load_dword v116, off, s[0:3], 0 offset:292
	buffer_load_dword v121, off, s[0:3], 0 offset:312
	buffer_load_dword v127, off, s[0:3], 0 offset:304
	buffer_load_dword v129, off, s[0:3], 0 offset:296
	buffer_load_dword v115, off, s[0:3], 0 offset:288
	buffer_load_dword v130, off, s[0:3], 0 offset:300
	buffer_load_dword v128, off, s[0:3], 0 offset:308
	buffer_load_dword v122, off, s[0:3], 0 offset:316
	s_waitcnt vmcnt(24) lgkmcnt(0)
	v_fma_f64 v[101:102], v[123:124], v[105:106], v[101:102]
	s_waitcnt vmcnt(19)
	v_fma_f64 v[109:110], v[109:110], v[107:108], v[101:102]
	ds_read2_b64 v[101:104], v100 offset0:79 offset1:80
	ds_read2_b64 v[105:108], v100 offset0:81 offset1:82
	s_waitcnt vmcnt(18) lgkmcnt(1)
	v_fma_f64 v[101:102], v[133:134], v[101:102], v[109:110]
	s_waitcnt vmcnt(17)
	v_fma_f64 v[101:102], v[131:132], v[103:104], v[101:102]
	buffer_load_dword v110, off, s[0:3], 0 offset:324
	buffer_load_dword v123, off, s[0:3], 0 offset:344
	buffer_load_dword v131, off, s[0:3], 0 offset:336
	buffer_load_dword v133, off, s[0:3], 0 offset:328
	buffer_load_dword v109, off, s[0:3], 0 offset:320
	buffer_load_dword v134, off, s[0:3], 0 offset:332
	buffer_load_dword v132, off, s[0:3], 0 offset:340
	buffer_load_dword v124, off, s[0:3], 0 offset:348
	s_waitcnt vmcnt(24) lgkmcnt(0)
	v_fma_f64 v[101:102], v[125:126], v[105:106], v[101:102]
	s_waitcnt vmcnt(19)
	v_fma_f64 v[111:112], v[111:112], v[107:108], v[101:102]
	ds_read2_b64 v[101:104], v100 offset0:83 offset1:84
	ds_read2_b64 v[105:108], v100 offset0:85 offset1:86
	s_waitcnt vmcnt(18) lgkmcnt(1)
	v_fma_f64 v[101:102], v[119:120], v[101:102], v[111:112]
	s_waitcnt vmcnt(17)
	v_fma_f64 v[101:102], v[117:118], v[103:104], v[101:102]
	buffer_load_dword v112, off, s[0:3], 0 offset:356
	buffer_load_dword v117, off, s[0:3], 0 offset:376
	buffer_load_dword v119, off, s[0:3], 0 offset:368
	buffer_load_dword v125, off, s[0:3], 0 offset:360
	buffer_load_dword v111, off, s[0:3], 0 offset:352
	buffer_load_dword v126, off, s[0:3], 0 offset:364
	buffer_load_dword v120, off, s[0:3], 0 offset:372
	buffer_load_dword v118, off, s[0:3], 0 offset:380
	s_waitcnt vmcnt(24) lgkmcnt(0)
	v_fma_f64 v[101:102], v[113:114], v[105:106], v[101:102]
	s_waitcnt vmcnt(19)
	v_fma_f64 v[113:114], v[115:116], v[107:108], v[101:102]
	ds_read2_b64 v[101:104], v100 offset0:87 offset1:88
	ds_read2_b64 v[105:108], v100 offset0:89 offset1:90
	s_waitcnt vmcnt(18) lgkmcnt(1)
	v_fma_f64 v[101:102], v[129:130], v[101:102], v[113:114]
	buffer_load_dword v114, off, s[0:3], 0 offset:388
	buffer_load_dword v113, off, s[0:3], 0 offset:384
	;; [unrolled: 1-line block ×4, first 2 shown]
	s_waitcnt vmcnt(21)
	v_fma_f64 v[101:102], v[127:128], v[103:104], v[101:102]
	s_waitcnt vmcnt(20) lgkmcnt(0)
	v_fma_f64 v[101:102], v[121:122], v[105:106], v[101:102]
	s_waitcnt vmcnt(15)
	v_fma_f64 v[109:110], v[109:110], v[107:108], v[101:102]
	ds_read2_b64 v[101:104], v100 offset0:91 offset1:92
	ds_read2_b64 v[105:108], v100 offset0:93 offset1:94
	s_waitcnt vmcnt(14) lgkmcnt(1)
	v_fma_f64 v[101:102], v[133:134], v[101:102], v[109:110]
	s_waitcnt vmcnt(13)
	v_fma_f64 v[101:102], v[131:132], v[103:104], v[101:102]
	s_waitcnt vmcnt(12) lgkmcnt(0)
	v_fma_f64 v[101:102], v[123:124], v[105:106], v[101:102]
	s_waitcnt vmcnt(7)
	v_fma_f64 v[109:110], v[111:112], v[107:108], v[101:102]
	ds_read2_b64 v[101:104], v100 offset0:95 offset1:96
	ds_read2_b64 v[105:108], v100 offset0:97 offset1:98
	s_waitcnt vmcnt(6) lgkmcnt(1)
	v_fma_f64 v[100:101], v[125:126], v[101:102], v[109:110]
	s_waitcnt vmcnt(5)
	v_fma_f64 v[100:101], v[119:120], v[103:104], v[100:101]
	s_waitcnt vmcnt(4) lgkmcnt(0)
	v_fma_f64 v[100:101], v[117:118], v[105:106], v[100:101]
	s_waitcnt vmcnt(2)
	v_fma_f64 v[100:101], v[113:114], v[107:108], v[100:101]
	s_waitcnt vmcnt(0)
	v_add_f64 v[100:101], v[115:116], -v[100:101]
	buffer_store_dword v101, off, s[0:3], 0 offset:36
	buffer_store_dword v100, off, s[0:3], 0 offset:32
	s_and_saveexec_b64 s[4:5], vcc
	s_cbranch_execz .LBB112_295
; %bb.294:
	buffer_load_dword v100, off, s[0:3], 0 offset:24
	buffer_load_dword v101, off, s[0:3], 0 offset:28
	v_mov_b32_e32 v102, 0
	buffer_store_dword v102, off, s[0:3], 0 offset:24
	buffer_store_dword v102, off, s[0:3], 0 offset:28
	s_waitcnt vmcnt(2)
	ds_write_b64 v99, v[100:101]
.LBB112_295:
	s_or_b64 exec, exec, s[4:5]
	s_waitcnt lgkmcnt(0)
	; wave barrier
	buffer_load_dword v109, off, s[0:3], 0 offset:32
	buffer_load_dword v110, off, s[0:3], 0 offset:36
	;; [unrolled: 1-line block ×21, first 2 shown]
	v_mov_b32_e32 v100, 0
	ds_read_b128 v[101:104], v100 offset:432
	ds_read_b128 v[105:108], v100 offset:448
	buffer_load_dword v126, off, s[0:3], 0 offset:116
	v_cmp_lt_u32_e32 vcc, 2, v0
	s_waitcnt vmcnt(20) lgkmcnt(1)
	v_fma_f64 v[101:102], v[109:110], v[101:102], 0
	s_waitcnt vmcnt(18)
	v_fma_f64 v[101:102], v[111:112], v[103:104], v[101:102]
	buffer_load_dword v110, off, s[0:3], 0 offset:124
	buffer_load_dword v111, off, s[0:3], 0 offset:144
	;; [unrolled: 1-line block ×7, first 2 shown]
	s_waitcnt vmcnt(23) lgkmcnt(0)
	v_fma_f64 v[101:102], v[113:114], v[105:106], v[101:102]
	s_waitcnt vmcnt(21)
	v_fma_f64 v[112:113], v[115:116], v[107:108], v[101:102]
	ds_read_b128 v[101:104], v100 offset:464
	ds_read_b128 v[105:108], v100 offset:480
	s_waitcnt vmcnt(19) lgkmcnt(1)
	v_fma_f64 v[101:102], v[117:118], v[101:102], v[112:113]
	buffer_load_dword v112, off, s[0:3], 0 offset:148
	s_waitcnt vmcnt(18)
	v_fma_f64 v[101:102], v[119:120], v[103:104], v[101:102]
	buffer_load_dword v114, off, s[0:3], 0 offset:156
	buffer_load_dword v115, off, s[0:3], 0 offset:176
	;; [unrolled: 1-line block ×7, first 2 shown]
	s_waitcnt vmcnt(23) lgkmcnt(0)
	v_fma_f64 v[101:102], v[121:122], v[105:106], v[101:102]
	s_waitcnt vmcnt(18)
	v_fma_f64 v[121:122], v[123:124], v[107:108], v[101:102]
	ds_read_b128 v[101:104], v100 offset:496
	ds_read_b128 v[105:108], v100 offset:512
	buffer_load_dword v116, off, s[0:3], 0 offset:180
	s_waitcnt vmcnt(18) lgkmcnt(1)
	v_fma_f64 v[101:102], v[129:130], v[101:102], v[121:122]
	s_waitcnt vmcnt(17)
	v_fma_f64 v[101:102], v[127:128], v[103:104], v[101:102]
	buffer_load_dword v122, off, s[0:3], 0 offset:188
	buffer_load_dword v123, off, s[0:3], 0 offset:208
	;; [unrolled: 1-line block ×7, first 2 shown]
	s_waitcnt vmcnt(23) lgkmcnt(0)
	v_fma_f64 v[101:102], v[125:126], v[105:106], v[101:102]
	s_waitcnt vmcnt(18)
	v_fma_f64 v[109:110], v[109:110], v[107:108], v[101:102]
	ds_read_b128 v[101:104], v100 offset:528
	ds_read_b128 v[105:108], v100 offset:544
	buffer_load_dword v124, off, s[0:3], 0 offset:212
	s_waitcnt vmcnt(18) lgkmcnt(1)
	v_fma_f64 v[101:102], v[133:134], v[101:102], v[109:110]
	s_waitcnt vmcnt(17)
	v_fma_f64 v[101:102], v[131:132], v[103:104], v[101:102]
	buffer_load_dword v110, off, s[0:3], 0 offset:220
	buffer_load_dword v125, off, s[0:3], 0 offset:240
	;; [unrolled: 1-line block ×8, first 2 shown]
	s_waitcnt vmcnt(24) lgkmcnt(0)
	v_fma_f64 v[101:102], v[111:112], v[105:106], v[101:102]
	s_waitcnt vmcnt(19)
	v_fma_f64 v[111:112], v[113:114], v[107:108], v[101:102]
	ds_read_b128 v[101:104], v100 offset:560
	ds_read_b128 v[105:108], v100 offset:576
	s_waitcnt vmcnt(18) lgkmcnt(1)
	v_fma_f64 v[101:102], v[119:120], v[101:102], v[111:112]
	s_waitcnt vmcnt(17)
	v_fma_f64 v[101:102], v[117:118], v[103:104], v[101:102]
	buffer_load_dword v112, off, s[0:3], 0 offset:252
	buffer_load_dword v113, off, s[0:3], 0 offset:272
	;; [unrolled: 1-line block ×7, first 2 shown]
	s_waitcnt vmcnt(23) lgkmcnt(0)
	v_fma_f64 v[101:102], v[115:116], v[105:106], v[101:102]
	s_waitcnt vmcnt(18)
	v_fma_f64 v[114:115], v[121:122], v[107:108], v[101:102]
	ds_read_b128 v[101:104], v100 offset:592
	ds_read_b128 v[105:108], v100 offset:608
	s_waitcnt vmcnt(17) lgkmcnt(1)
	v_fma_f64 v[101:102], v[129:130], v[101:102], v[114:115]
	buffer_load_dword v114, off, s[0:3], 0 offset:276
	s_waitcnt vmcnt(17)
	v_fma_f64 v[101:102], v[127:128], v[103:104], v[101:102]
	buffer_load_dword v116, off, s[0:3], 0 offset:284
	buffer_load_dword v121, off, s[0:3], 0 offset:304
	;; [unrolled: 1-line block ×7, first 2 shown]
	s_waitcnt vmcnt(23) lgkmcnt(0)
	v_fma_f64 v[101:102], v[123:124], v[105:106], v[101:102]
	s_waitcnt vmcnt(18)
	v_fma_f64 v[109:110], v[109:110], v[107:108], v[101:102]
	ds_read_b128 v[101:104], v100 offset:624
	ds_read_b128 v[105:108], v100 offset:640
	buffer_load_dword v122, off, s[0:3], 0 offset:308
	s_waitcnt vmcnt(18) lgkmcnt(1)
	v_fma_f64 v[101:102], v[133:134], v[101:102], v[109:110]
	s_waitcnt vmcnt(17)
	v_fma_f64 v[101:102], v[131:132], v[103:104], v[101:102]
	buffer_load_dword v110, off, s[0:3], 0 offset:316
	buffer_load_dword v123, off, s[0:3], 0 offset:336
	;; [unrolled: 1-line block ×8, first 2 shown]
	s_waitcnt vmcnt(24) lgkmcnt(0)
	v_fma_f64 v[101:102], v[125:126], v[105:106], v[101:102]
	s_waitcnt vmcnt(19)
	v_fma_f64 v[111:112], v[111:112], v[107:108], v[101:102]
	ds_read_b128 v[101:104], v100 offset:656
	ds_read_b128 v[105:108], v100 offset:672
	s_waitcnt vmcnt(18) lgkmcnt(1)
	v_fma_f64 v[101:102], v[119:120], v[101:102], v[111:112]
	s_waitcnt vmcnt(17)
	v_fma_f64 v[101:102], v[117:118], v[103:104], v[101:102]
	buffer_load_dword v112, off, s[0:3], 0 offset:348
	buffer_load_dword v117, off, s[0:3], 0 offset:368
	;; [unrolled: 1-line block ×7, first 2 shown]
	s_waitcnt vmcnt(23) lgkmcnt(0)
	v_fma_f64 v[101:102], v[113:114], v[105:106], v[101:102]
	s_waitcnt vmcnt(18)
	v_fma_f64 v[113:114], v[115:116], v[107:108], v[101:102]
	ds_read_b128 v[101:104], v100 offset:688
	ds_read_b128 v[105:108], v100 offset:704
	buffer_load_dword v118, off, s[0:3], 0 offset:372
	s_waitcnt vmcnt(18) lgkmcnt(1)
	v_fma_f64 v[101:102], v[129:130], v[101:102], v[113:114]
	buffer_load_dword v114, off, s[0:3], 0 offset:380
	buffer_load_dword v115, off, s[0:3], 0 offset:384
	;; [unrolled: 1-line block ×4, first 2 shown]
	s_waitcnt vmcnt(21)
	v_fma_f64 v[101:102], v[127:128], v[103:104], v[101:102]
	s_waitcnt vmcnt(20) lgkmcnt(0)
	v_fma_f64 v[101:102], v[121:122], v[105:106], v[101:102]
	buffer_load_dword v121, off, s[0:3], 0 offset:24
	buffer_load_dword v122, off, s[0:3], 0 offset:28
	s_waitcnt vmcnt(17)
	v_fma_f64 v[109:110], v[109:110], v[107:108], v[101:102]
	ds_read_b128 v[101:104], v100 offset:720
	ds_read_b128 v[105:108], v100 offset:736
	s_waitcnt vmcnt(16) lgkmcnt(1)
	v_fma_f64 v[101:102], v[133:134], v[101:102], v[109:110]
	s_waitcnt vmcnt(15)
	v_fma_f64 v[101:102], v[131:132], v[103:104], v[101:102]
	s_waitcnt vmcnt(14) lgkmcnt(0)
	v_fma_f64 v[101:102], v[123:124], v[105:106], v[101:102]
	s_waitcnt vmcnt(9)
	v_fma_f64 v[109:110], v[111:112], v[107:108], v[101:102]
	ds_read_b128 v[101:104], v100 offset:752
	ds_read_b128 v[105:108], v100 offset:768
	s_waitcnt vmcnt(8) lgkmcnt(1)
	v_fma_f64 v[101:102], v[125:126], v[101:102], v[109:110]
	s_waitcnt vmcnt(7)
	v_fma_f64 v[101:102], v[119:120], v[103:104], v[101:102]
	ds_read_b64 v[103:104], v100 offset:784
	s_waitcnt vmcnt(6) lgkmcnt(1)
	v_fma_f64 v[101:102], v[117:118], v[105:106], v[101:102]
	s_waitcnt vmcnt(3)
	v_fma_f64 v[101:102], v[113:114], v[107:108], v[101:102]
	s_waitcnt vmcnt(2) lgkmcnt(0)
	v_fma_f64 v[101:102], v[115:116], v[103:104], v[101:102]
	s_waitcnt vmcnt(0)
	v_add_f64 v[101:102], v[121:122], -v[101:102]
	buffer_store_dword v102, off, s[0:3], 0 offset:28
	buffer_store_dword v101, off, s[0:3], 0 offset:24
	s_and_saveexec_b64 s[4:5], vcc
	s_cbranch_execz .LBB112_297
; %bb.296:
	buffer_load_dword v101, off, s[0:3], 0 offset:16
	buffer_load_dword v102, off, s[0:3], 0 offset:20
	s_waitcnt vmcnt(0)
	ds_write_b64 v99, v[101:102]
	buffer_store_dword v100, off, s[0:3], 0 offset:16
	buffer_store_dword v100, off, s[0:3], 0 offset:20
.LBB112_297:
	s_or_b64 exec, exec, s[4:5]
	s_waitcnt lgkmcnt(0)
	; wave barrier
	buffer_load_dword v109, off, s[0:3], 0 offset:24
	buffer_load_dword v110, off, s[0:3], 0 offset:28
	buffer_load_dword v111, off, s[0:3], 0 offset:32
	buffer_load_dword v112, off, s[0:3], 0 offset:36
	buffer_load_dword v113, off, s[0:3], 0 offset:40
	buffer_load_dword v114, off, s[0:3], 0 offset:44
	buffer_load_dword v115, off, s[0:3], 0 offset:48
	buffer_load_dword v116, off, s[0:3], 0 offset:52
	buffer_load_dword v117, off, s[0:3], 0 offset:56
	buffer_load_dword v118, off, s[0:3], 0 offset:60
	buffer_load_dword v119, off, s[0:3], 0 offset:64
	buffer_load_dword v120, off, s[0:3], 0 offset:68
	buffer_load_dword v121, off, s[0:3], 0 offset:72
	buffer_load_dword v122, off, s[0:3], 0 offset:76
	buffer_load_dword v124, off, s[0:3], 0 offset:84
	buffer_load_dword v125, off, s[0:3], 0 offset:104
	buffer_load_dword v127, off, s[0:3], 0 offset:96
	buffer_load_dword v129, off, s[0:3], 0 offset:88
	buffer_load_dword v123, off, s[0:3], 0 offset:80
	buffer_load_dword v130, off, s[0:3], 0 offset:92
	buffer_load_dword v128, off, s[0:3], 0 offset:100
	ds_read2_b64 v[101:104], v100 offset0:53 offset1:54
	ds_read2_b64 v[105:108], v100 offset0:55 offset1:56
	buffer_load_dword v126, off, s[0:3], 0 offset:108
	v_cmp_lt_u32_e32 vcc, 1, v0
	s_waitcnt vmcnt(20) lgkmcnt(1)
	v_fma_f64 v[101:102], v[109:110], v[101:102], 0
	s_waitcnt vmcnt(18)
	v_fma_f64 v[101:102], v[111:112], v[103:104], v[101:102]
	buffer_load_dword v110, off, s[0:3], 0 offset:116
	buffer_load_dword v111, off, s[0:3], 0 offset:136
	;; [unrolled: 1-line block ×7, first 2 shown]
	s_waitcnt vmcnt(23) lgkmcnt(0)
	v_fma_f64 v[101:102], v[113:114], v[105:106], v[101:102]
	s_waitcnt vmcnt(21)
	v_fma_f64 v[112:113], v[115:116], v[107:108], v[101:102]
	ds_read2_b64 v[101:104], v100 offset0:57 offset1:58
	ds_read2_b64 v[105:108], v100 offset0:59 offset1:60
	s_waitcnt vmcnt(19) lgkmcnt(1)
	v_fma_f64 v[101:102], v[117:118], v[101:102], v[112:113]
	buffer_load_dword v112, off, s[0:3], 0 offset:140
	s_waitcnt vmcnt(18)
	v_fma_f64 v[101:102], v[119:120], v[103:104], v[101:102]
	buffer_load_dword v114, off, s[0:3], 0 offset:148
	buffer_load_dword v115, off, s[0:3], 0 offset:168
	;; [unrolled: 1-line block ×8, first 2 shown]
	s_waitcnt vmcnt(24) lgkmcnt(0)
	v_fma_f64 v[101:102], v[121:122], v[105:106], v[101:102]
	s_waitcnt vmcnt(19)
	v_fma_f64 v[121:122], v[123:124], v[107:108], v[101:102]
	ds_read2_b64 v[101:104], v100 offset0:61 offset1:62
	ds_read2_b64 v[105:108], v100 offset0:63 offset1:64
	s_waitcnt vmcnt(18) lgkmcnt(1)
	v_fma_f64 v[101:102], v[129:130], v[101:102], v[121:122]
	s_waitcnt vmcnt(17)
	v_fma_f64 v[101:102], v[127:128], v[103:104], v[101:102]
	buffer_load_dword v122, off, s[0:3], 0 offset:180
	buffer_load_dword v123, off, s[0:3], 0 offset:200
	;; [unrolled: 1-line block ×7, first 2 shown]
	s_waitcnt vmcnt(23) lgkmcnt(0)
	v_fma_f64 v[101:102], v[125:126], v[105:106], v[101:102]
	s_waitcnt vmcnt(18)
	v_fma_f64 v[109:110], v[109:110], v[107:108], v[101:102]
	ds_read2_b64 v[101:104], v100 offset0:65 offset1:66
	ds_read2_b64 v[105:108], v100 offset0:67 offset1:68
	buffer_load_dword v124, off, s[0:3], 0 offset:204
	s_waitcnt vmcnt(18) lgkmcnt(1)
	v_fma_f64 v[101:102], v[133:134], v[101:102], v[109:110]
	s_waitcnt vmcnt(17)
	v_fma_f64 v[101:102], v[131:132], v[103:104], v[101:102]
	buffer_load_dword v110, off, s[0:3], 0 offset:212
	buffer_load_dword v125, off, s[0:3], 0 offset:232
	;; [unrolled: 1-line block ×8, first 2 shown]
	s_waitcnt vmcnt(24) lgkmcnt(0)
	v_fma_f64 v[101:102], v[111:112], v[105:106], v[101:102]
	s_waitcnt vmcnt(19)
	v_fma_f64 v[111:112], v[113:114], v[107:108], v[101:102]
	ds_read2_b64 v[101:104], v100 offset0:69 offset1:70
	ds_read2_b64 v[105:108], v100 offset0:71 offset1:72
	s_waitcnt vmcnt(18) lgkmcnt(1)
	v_fma_f64 v[101:102], v[119:120], v[101:102], v[111:112]
	s_waitcnt vmcnt(17)
	v_fma_f64 v[101:102], v[117:118], v[103:104], v[101:102]
	buffer_load_dword v112, off, s[0:3], 0 offset:244
	buffer_load_dword v113, off, s[0:3], 0 offset:264
	;; [unrolled: 1-line block ×7, first 2 shown]
	s_waitcnt vmcnt(23) lgkmcnt(0)
	v_fma_f64 v[101:102], v[115:116], v[105:106], v[101:102]
	s_waitcnt vmcnt(18)
	v_fma_f64 v[114:115], v[121:122], v[107:108], v[101:102]
	ds_read2_b64 v[101:104], v100 offset0:73 offset1:74
	ds_read2_b64 v[105:108], v100 offset0:75 offset1:76
	s_waitcnt vmcnt(17) lgkmcnt(1)
	v_fma_f64 v[101:102], v[129:130], v[101:102], v[114:115]
	buffer_load_dword v114, off, s[0:3], 0 offset:268
	s_waitcnt vmcnt(17)
	v_fma_f64 v[101:102], v[127:128], v[103:104], v[101:102]
	buffer_load_dword v116, off, s[0:3], 0 offset:276
	buffer_load_dword v121, off, s[0:3], 0 offset:296
	;; [unrolled: 1-line block ×7, first 2 shown]
	s_waitcnt vmcnt(23) lgkmcnt(0)
	v_fma_f64 v[101:102], v[123:124], v[105:106], v[101:102]
	s_waitcnt vmcnt(18)
	v_fma_f64 v[109:110], v[109:110], v[107:108], v[101:102]
	ds_read2_b64 v[101:104], v100 offset0:77 offset1:78
	ds_read2_b64 v[105:108], v100 offset0:79 offset1:80
	buffer_load_dword v122, off, s[0:3], 0 offset:300
	s_waitcnt vmcnt(18) lgkmcnt(1)
	v_fma_f64 v[101:102], v[133:134], v[101:102], v[109:110]
	s_waitcnt vmcnt(17)
	v_fma_f64 v[101:102], v[131:132], v[103:104], v[101:102]
	buffer_load_dword v110, off, s[0:3], 0 offset:308
	buffer_load_dword v123, off, s[0:3], 0 offset:328
	;; [unrolled: 1-line block ×8, first 2 shown]
	s_waitcnt vmcnt(24) lgkmcnt(0)
	v_fma_f64 v[101:102], v[125:126], v[105:106], v[101:102]
	s_waitcnt vmcnt(19)
	v_fma_f64 v[111:112], v[111:112], v[107:108], v[101:102]
	ds_read2_b64 v[101:104], v100 offset0:81 offset1:82
	ds_read2_b64 v[105:108], v100 offset0:83 offset1:84
	s_waitcnt vmcnt(18) lgkmcnt(1)
	v_fma_f64 v[101:102], v[119:120], v[101:102], v[111:112]
	s_waitcnt vmcnt(17)
	v_fma_f64 v[101:102], v[117:118], v[103:104], v[101:102]
	buffer_load_dword v112, off, s[0:3], 0 offset:340
	buffer_load_dword v117, off, s[0:3], 0 offset:360
	;; [unrolled: 1-line block ×8, first 2 shown]
	s_waitcnt vmcnt(24) lgkmcnt(0)
	v_fma_f64 v[101:102], v[113:114], v[105:106], v[101:102]
	s_waitcnt vmcnt(19)
	v_fma_f64 v[113:114], v[115:116], v[107:108], v[101:102]
	ds_read2_b64 v[101:104], v100 offset0:85 offset1:86
	ds_read2_b64 v[105:108], v100 offset0:87 offset1:88
	s_waitcnt vmcnt(18) lgkmcnt(1)
	v_fma_f64 v[101:102], v[129:130], v[101:102], v[113:114]
	s_waitcnt vmcnt(17)
	v_fma_f64 v[101:102], v[127:128], v[103:104], v[101:102]
	buffer_load_dword v114, off, s[0:3], 0 offset:372
	buffer_load_dword v115, off, s[0:3], 0 offset:384
	;; [unrolled: 1-line block ×6, first 2 shown]
	s_waitcnt vmcnt(22) lgkmcnt(0)
	v_fma_f64 v[101:102], v[121:122], v[105:106], v[101:102]
	s_waitcnt vmcnt(17)
	v_fma_f64 v[109:110], v[109:110], v[107:108], v[101:102]
	ds_read2_b64 v[101:104], v100 offset0:89 offset1:90
	buffer_load_dword v121, off, s[0:3], 0 offset:16
	buffer_load_dword v122, off, s[0:3], 0 offset:20
	ds_read2_b64 v[105:108], v100 offset0:91 offset1:92
	s_waitcnt vmcnt(18) lgkmcnt(1)
	v_fma_f64 v[101:102], v[133:134], v[101:102], v[109:110]
	s_waitcnt vmcnt(17)
	v_fma_f64 v[101:102], v[131:132], v[103:104], v[101:102]
	s_waitcnt vmcnt(16) lgkmcnt(0)
	v_fma_f64 v[101:102], v[123:124], v[105:106], v[101:102]
	s_waitcnt vmcnt(11)
	v_fma_f64 v[109:110], v[111:112], v[107:108], v[101:102]
	ds_read2_b64 v[101:104], v100 offset0:93 offset1:94
	ds_read2_b64 v[105:108], v100 offset0:95 offset1:96
	s_waitcnt vmcnt(10) lgkmcnt(1)
	v_fma_f64 v[101:102], v[125:126], v[101:102], v[109:110]
	s_waitcnt vmcnt(9)
	v_fma_f64 v[101:102], v[119:120], v[103:104], v[101:102]
	s_waitcnt vmcnt(8) lgkmcnt(0)
	v_fma_f64 v[101:102], v[117:118], v[105:106], v[101:102]
	s_waitcnt vmcnt(4)
	v_fma_f64 v[104:105], v[113:114], v[107:108], v[101:102]
	ds_read2_b64 v[100:103], v100 offset0:97 offset1:98
	s_waitcnt vmcnt(3) lgkmcnt(0)
	v_fma_f64 v[100:101], v[127:128], v[100:101], v[104:105]
	s_waitcnt vmcnt(2)
	v_fma_f64 v[100:101], v[115:116], v[102:103], v[100:101]
	s_waitcnt vmcnt(0)
	v_add_f64 v[100:101], v[121:122], -v[100:101]
	buffer_store_dword v101, off, s[0:3], 0 offset:20
	buffer_store_dword v100, off, s[0:3], 0 offset:16
	s_and_saveexec_b64 s[4:5], vcc
	s_cbranch_execz .LBB112_299
; %bb.298:
	buffer_load_dword v100, off, s[0:3], 0 offset:8
	buffer_load_dword v101, off, s[0:3], 0 offset:12
	v_mov_b32_e32 v102, 0
	buffer_store_dword v102, off, s[0:3], 0 offset:8
	buffer_store_dword v102, off, s[0:3], 0 offset:12
	s_waitcnt vmcnt(2)
	ds_write_b64 v99, v[100:101]
.LBB112_299:
	s_or_b64 exec, exec, s[4:5]
	s_waitcnt lgkmcnt(0)
	; wave barrier
	buffer_load_dword v110, off, s[0:3], 0 offset:16
	buffer_load_dword v111, off, s[0:3], 0 offset:20
	;; [unrolled: 1-line block ×21, first 2 shown]
	v_mov_b32_e32 v101, 0
	ds_read_b128 v[102:105], v101 offset:416
	ds_read_b128 v[106:109], v101 offset:432
	buffer_load_dword v127, off, s[0:3], 0 offset:100
	v_cmp_ne_u32_e32 vcc, 0, v0
	s_waitcnt vmcnt(20) lgkmcnt(1)
	v_fma_f64 v[102:103], v[110:111], v[102:103], 0
	s_waitcnt vmcnt(18)
	v_fma_f64 v[102:103], v[112:113], v[104:105], v[102:103]
	buffer_load_dword v111, off, s[0:3], 0 offset:108
	buffer_load_dword v112, off, s[0:3], 0 offset:128
	;; [unrolled: 1-line block ×7, first 2 shown]
	s_waitcnt vmcnt(23) lgkmcnt(0)
	v_fma_f64 v[102:103], v[114:115], v[106:107], v[102:103]
	s_waitcnt vmcnt(21)
	v_fma_f64 v[113:114], v[116:117], v[108:109], v[102:103]
	ds_read_b128 v[102:105], v101 offset:448
	ds_read_b128 v[106:109], v101 offset:464
	s_waitcnt vmcnt(19) lgkmcnt(1)
	v_fma_f64 v[102:103], v[118:119], v[102:103], v[113:114]
	buffer_load_dword v113, off, s[0:3], 0 offset:132
	s_waitcnt vmcnt(18)
	v_fma_f64 v[102:103], v[120:121], v[104:105], v[102:103]
	buffer_load_dword v115, off, s[0:3], 0 offset:140
	buffer_load_dword v116, off, s[0:3], 0 offset:160
	;; [unrolled: 1-line block ×8, first 2 shown]
	s_waitcnt vmcnt(24) lgkmcnt(0)
	v_fma_f64 v[102:103], v[122:123], v[106:107], v[102:103]
	s_waitcnt vmcnt(19)
	v_fma_f64 v[122:123], v[124:125], v[108:109], v[102:103]
	ds_read_b128 v[102:105], v101 offset:480
	ds_read_b128 v[106:109], v101 offset:496
	s_waitcnt vmcnt(18) lgkmcnt(1)
	v_fma_f64 v[102:103], v[130:131], v[102:103], v[122:123]
	s_waitcnt vmcnt(17)
	v_fma_f64 v[102:103], v[128:129], v[104:105], v[102:103]
	buffer_load_dword v123, off, s[0:3], 0 offset:172
	buffer_load_dword v124, off, s[0:3], 0 offset:192
	;; [unrolled: 1-line block ×7, first 2 shown]
	s_waitcnt vmcnt(23) lgkmcnt(0)
	v_fma_f64 v[102:103], v[126:127], v[106:107], v[102:103]
	s_waitcnt vmcnt(18)
	v_fma_f64 v[110:111], v[110:111], v[108:109], v[102:103]
	ds_read_b128 v[102:105], v101 offset:512
	ds_read_b128 v[106:109], v101 offset:528
	buffer_load_dword v125, off, s[0:3], 0 offset:196
	s_waitcnt vmcnt(18) lgkmcnt(1)
	v_fma_f64 v[102:103], v[134:135], v[102:103], v[110:111]
	s_waitcnt vmcnt(17)
	v_fma_f64 v[102:103], v[132:133], v[104:105], v[102:103]
	buffer_load_dword v111, off, s[0:3], 0 offset:204
	buffer_load_dword v126, off, s[0:3], 0 offset:224
	;; [unrolled: 1-line block ×8, first 2 shown]
	s_waitcnt vmcnt(24) lgkmcnt(0)
	v_fma_f64 v[102:103], v[112:113], v[106:107], v[102:103]
	s_waitcnt vmcnt(19)
	v_fma_f64 v[112:113], v[114:115], v[108:109], v[102:103]
	ds_read_b128 v[102:105], v101 offset:544
	ds_read_b128 v[106:109], v101 offset:560
	s_waitcnt vmcnt(18) lgkmcnt(1)
	v_fma_f64 v[102:103], v[120:121], v[102:103], v[112:113]
	s_waitcnt vmcnt(17)
	v_fma_f64 v[102:103], v[118:119], v[104:105], v[102:103]
	buffer_load_dword v113, off, s[0:3], 0 offset:236
	buffer_load_dword v114, off, s[0:3], 0 offset:256
	;; [unrolled: 1-line block ×7, first 2 shown]
	s_waitcnt vmcnt(23) lgkmcnt(0)
	v_fma_f64 v[102:103], v[116:117], v[106:107], v[102:103]
	s_waitcnt vmcnt(18)
	v_fma_f64 v[115:116], v[122:123], v[108:109], v[102:103]
	ds_read_b128 v[102:105], v101 offset:576
	ds_read_b128 v[106:109], v101 offset:592
	s_waitcnt vmcnt(17) lgkmcnt(1)
	v_fma_f64 v[102:103], v[130:131], v[102:103], v[115:116]
	buffer_load_dword v115, off, s[0:3], 0 offset:260
	s_waitcnt vmcnt(17)
	v_fma_f64 v[102:103], v[128:129], v[104:105], v[102:103]
	buffer_load_dword v117, off, s[0:3], 0 offset:268
	buffer_load_dword v122, off, s[0:3], 0 offset:288
	;; [unrolled: 1-line block ×7, first 2 shown]
	s_waitcnt vmcnt(23) lgkmcnt(0)
	v_fma_f64 v[102:103], v[124:125], v[106:107], v[102:103]
	s_waitcnt vmcnt(18)
	v_fma_f64 v[110:111], v[110:111], v[108:109], v[102:103]
	ds_read_b128 v[102:105], v101 offset:608
	ds_read_b128 v[106:109], v101 offset:624
	buffer_load_dword v123, off, s[0:3], 0 offset:292
	s_waitcnt vmcnt(18) lgkmcnt(1)
	v_fma_f64 v[102:103], v[134:135], v[102:103], v[110:111]
	s_waitcnt vmcnt(17)
	v_fma_f64 v[102:103], v[132:133], v[104:105], v[102:103]
	buffer_load_dword v111, off, s[0:3], 0 offset:300
	buffer_load_dword v124, off, s[0:3], 0 offset:320
	buffer_load_dword v132, off, s[0:3], 0 offset:312
	buffer_load_dword v134, off, s[0:3], 0 offset:304
	buffer_load_dword v110, off, s[0:3], 0 offset:296
	buffer_load_dword v135, off, s[0:3], 0 offset:308
	buffer_load_dword v133, off, s[0:3], 0 offset:316
	buffer_load_dword v125, off, s[0:3], 0 offset:324
	s_waitcnt vmcnt(24) lgkmcnt(0)
	v_fma_f64 v[102:103], v[126:127], v[106:107], v[102:103]
	s_waitcnt vmcnt(19)
	v_fma_f64 v[112:113], v[112:113], v[108:109], v[102:103]
	ds_read_b128 v[102:105], v101 offset:640
	ds_read_b128 v[106:109], v101 offset:656
	s_waitcnt vmcnt(18) lgkmcnt(1)
	v_fma_f64 v[102:103], v[120:121], v[102:103], v[112:113]
	s_waitcnt vmcnt(17)
	v_fma_f64 v[102:103], v[118:119], v[104:105], v[102:103]
	buffer_load_dword v113, off, s[0:3], 0 offset:332
	buffer_load_dword v118, off, s[0:3], 0 offset:352
	buffer_load_dword v120, off, s[0:3], 0 offset:344
	buffer_load_dword v126, off, s[0:3], 0 offset:336
	buffer_load_dword v112, off, s[0:3], 0 offset:328
	buffer_load_dword v127, off, s[0:3], 0 offset:340
	buffer_load_dword v121, off, s[0:3], 0 offset:348
	buffer_load_dword v119, off, s[0:3], 0 offset:356
	s_waitcnt vmcnt(24) lgkmcnt(0)
	v_fma_f64 v[102:103], v[114:115], v[106:107], v[102:103]
	s_waitcnt vmcnt(19)
	v_fma_f64 v[114:115], v[116:117], v[108:109], v[102:103]
	ds_read_b128 v[102:105], v101 offset:672
	ds_read_b128 v[106:109], v101 offset:688
	;; [unrolled: 18-line block ×3, first 2 shown]
	s_waitcnt vmcnt(18) lgkmcnt(1)
	v_fma_f64 v[102:103], v[134:135], v[102:103], v[110:111]
	buffer_load_dword v110, off, s[0:3], 0 offset:8
	buffer_load_dword v111, off, s[0:3], 0 offset:12
	s_waitcnt vmcnt(19)
	v_fma_f64 v[102:103], v[132:133], v[104:105], v[102:103]
	s_waitcnt vmcnt(18) lgkmcnt(0)
	v_fma_f64 v[102:103], v[124:125], v[106:107], v[102:103]
	s_waitcnt vmcnt(13)
	v_fma_f64 v[112:113], v[112:113], v[108:109], v[102:103]
	ds_read_b128 v[102:105], v101 offset:736
	ds_read_b128 v[106:109], v101 offset:752
	s_waitcnt vmcnt(12) lgkmcnt(1)
	v_fma_f64 v[102:103], v[126:127], v[102:103], v[112:113]
	s_waitcnt vmcnt(11)
	v_fma_f64 v[102:103], v[120:121], v[104:105], v[102:103]
	s_waitcnt vmcnt(10) lgkmcnt(0)
	v_fma_f64 v[102:103], v[118:119], v[106:107], v[102:103]
	s_waitcnt vmcnt(5)
	v_fma_f64 v[106:107], v[114:115], v[108:109], v[102:103]
	ds_read_b128 v[102:105], v101 offset:768
	ds_read_b64 v[108:109], v101 offset:784
	s_waitcnt vmcnt(4) lgkmcnt(1)
	v_fma_f64 v[102:103], v[130:131], v[102:103], v[106:107]
	s_waitcnt vmcnt(3)
	v_fma_f64 v[102:103], v[128:129], v[104:105], v[102:103]
	s_waitcnt vmcnt(2) lgkmcnt(0)
	v_fma_f64 v[102:103], v[116:117], v[108:109], v[102:103]
	s_waitcnt vmcnt(0)
	v_add_f64 v[102:103], v[110:111], -v[102:103]
	buffer_store_dword v103, off, s[0:3], 0 offset:12
	buffer_store_dword v102, off, s[0:3], 0 offset:8
	s_and_saveexec_b64 s[4:5], vcc
	s_cbranch_execz .LBB112_301
; %bb.300:
	buffer_load_dword v102, off, s[0:3], 0
	buffer_load_dword v103, off, s[0:3], 0 offset:4
	s_waitcnt vmcnt(0)
	ds_write_b64 v99, v[102:103]
	buffer_store_dword v101, off, s[0:3], 0
	buffer_store_dword v101, off, s[0:3], 0 offset:4
.LBB112_301:
	s_or_b64 exec, exec, s[4:5]
	s_waitcnt lgkmcnt(0)
	; wave barrier
	buffer_load_dword v99, off, s[0:3], 0 offset:8
	buffer_load_dword v100, off, s[0:3], 0 offset:12
	;; [unrolled: 1-line block ×21, first 2 shown]
	ds_read2_b64 v[102:105], v101 offset0:51 offset1:52
	ds_read2_b64 v[106:109], v101 offset0:53 offset1:54
	buffer_load_dword v125, off, s[0:3], 0 offset:92
	s_and_b64 vcc, exec, s[14:15]
	s_waitcnt vmcnt(20) lgkmcnt(1)
	v_fma_f64 v[99:100], v[99:100], v[102:103], 0
	s_waitcnt vmcnt(18)
	v_fma_f64 v[99:100], v[110:111], v[104:105], v[99:100]
	buffer_load_dword v111, off, s[0:3], 0 offset:100
	buffer_load_dword v130, off, s[0:3], 0 offset:120
	buffer_load_dword v132, off, s[0:3], 0 offset:112
	buffer_load_dword v134, off, s[0:3], 0 offset:104
	buffer_load_dword v110, off, s[0:3], 0 offset:96
	buffer_load_dword v135, off, s[0:3], 0 offset:108
	buffer_load_dword v133, off, s[0:3], 0 offset:116
	buffer_load_dword v131, off, s[0:3], 0 offset:124
	ds_read2_b64 v[102:105], v101 offset0:55 offset1:56
	s_waitcnt vmcnt(24) lgkmcnt(1)
	v_fma_f64 v[99:100], v[112:113], v[106:107], v[99:100]
	s_waitcnt vmcnt(22)
	v_fma_f64 v[99:100], v[114:115], v[108:109], v[99:100]
	ds_read2_b64 v[106:109], v101 offset0:57 offset1:58
	s_waitcnt vmcnt(20) lgkmcnt(1)
	v_fma_f64 v[99:100], v[116:117], v[102:103], v[99:100]
	s_waitcnt vmcnt(18)
	v_fma_f64 v[99:100], v[118:119], v[104:105], v[99:100]
	buffer_load_dword v113, off, s[0:3], 0 offset:132
	buffer_load_dword v114, off, s[0:3], 0 offset:152
	;; [unrolled: 1-line block ×8, first 2 shown]
	ds_read2_b64 v[102:105], v101 offset0:59 offset1:60
	s_waitcnt vmcnt(24) lgkmcnt(1)
	v_fma_f64 v[99:100], v[120:121], v[106:107], v[99:100]
	s_waitcnt vmcnt(19)
	v_fma_f64 v[99:100], v[122:123], v[108:109], v[99:100]
	ds_read2_b64 v[106:109], v101 offset0:61 offset1:62
	s_waitcnt vmcnt(18) lgkmcnt(1)
	v_fma_f64 v[99:100], v[128:129], v[102:103], v[99:100]
	s_waitcnt vmcnt(17)
	v_fma_f64 v[99:100], v[126:127], v[104:105], v[99:100]
	buffer_load_dword v121, off, s[0:3], 0 offset:164
	buffer_load_dword v122, off, s[0:3], 0 offset:184
	;; [unrolled: 1-line block ×7, first 2 shown]
	s_waitcnt vmcnt(23) lgkmcnt(0)
	v_fma_f64 v[99:100], v[124:125], v[106:107], v[99:100]
	s_waitcnt vmcnt(18)
	v_fma_f64 v[99:100], v[110:111], v[108:109], v[99:100]
	ds_read2_b64 v[102:105], v101 offset0:63 offset1:64
	ds_read2_b64 v[106:109], v101 offset0:65 offset1:66
	buffer_load_dword v123, off, s[0:3], 0 offset:188
	s_waitcnt vmcnt(18) lgkmcnt(1)
	v_fma_f64 v[99:100], v[134:135], v[102:103], v[99:100]
	s_waitcnt vmcnt(17)
	v_fma_f64 v[99:100], v[132:133], v[104:105], v[99:100]
	buffer_load_dword v111, off, s[0:3], 0 offset:196
	buffer_load_dword v124, off, s[0:3], 0 offset:216
	;; [unrolled: 1-line block ×8, first 2 shown]
	ds_read2_b64 v[102:105], v101 offset0:67 offset1:68
	s_waitcnt vmcnt(24) lgkmcnt(1)
	v_fma_f64 v[99:100], v[130:131], v[106:107], v[99:100]
	s_waitcnt vmcnt(19)
	v_fma_f64 v[99:100], v[112:113], v[108:109], v[99:100]
	ds_read2_b64 v[106:109], v101 offset0:69 offset1:70
	s_waitcnt vmcnt(18) lgkmcnt(1)
	v_fma_f64 v[99:100], v[118:119], v[102:103], v[99:100]
	s_waitcnt vmcnt(17)
	v_fma_f64 v[99:100], v[116:117], v[104:105], v[99:100]
	buffer_load_dword v113, off, s[0:3], 0 offset:228
	buffer_load_dword v116, off, s[0:3], 0 offset:248
	;; [unrolled: 1-line block ×8, first 2 shown]
	ds_read2_b64 v[102:105], v101 offset0:71 offset1:72
	s_waitcnt vmcnt(24) lgkmcnt(1)
	v_fma_f64 v[99:100], v[114:115], v[106:107], v[99:100]
	s_waitcnt vmcnt(19)
	v_fma_f64 v[99:100], v[120:121], v[108:109], v[99:100]
	ds_read2_b64 v[106:109], v101 offset0:73 offset1:74
	s_waitcnt vmcnt(18) lgkmcnt(1)
	v_fma_f64 v[99:100], v[128:129], v[102:103], v[99:100]
	s_waitcnt vmcnt(17)
	v_fma_f64 v[99:100], v[126:127], v[104:105], v[99:100]
	buffer_load_dword v115, off, s[0:3], 0 offset:260
	buffer_load_dword v120, off, s[0:3], 0 offset:280
	;; [unrolled: 1-line block ×7, first 2 shown]
	s_waitcnt vmcnt(23) lgkmcnt(0)
	v_fma_f64 v[99:100], v[122:123], v[106:107], v[99:100]
	s_waitcnt vmcnt(18)
	v_fma_f64 v[99:100], v[110:111], v[108:109], v[99:100]
	ds_read2_b64 v[102:105], v101 offset0:75 offset1:76
	ds_read2_b64 v[106:109], v101 offset0:77 offset1:78
	buffer_load_dword v121, off, s[0:3], 0 offset:284
	s_waitcnt vmcnt(18) lgkmcnt(1)
	v_fma_f64 v[99:100], v[134:135], v[102:103], v[99:100]
	s_waitcnt vmcnt(17)
	v_fma_f64 v[99:100], v[132:133], v[104:105], v[99:100]
	buffer_load_dword v111, off, s[0:3], 0 offset:292
	buffer_load_dword v122, off, s[0:3], 0 offset:312
	;; [unrolled: 1-line block ×8, first 2 shown]
	ds_read2_b64 v[102:105], v101 offset0:79 offset1:80
	s_waitcnt vmcnt(24) lgkmcnt(1)
	v_fma_f64 v[99:100], v[124:125], v[106:107], v[99:100]
	s_waitcnt vmcnt(19)
	v_fma_f64 v[99:100], v[112:113], v[108:109], v[99:100]
	ds_read2_b64 v[106:109], v101 offset0:81 offset1:82
	s_waitcnt vmcnt(18) lgkmcnt(1)
	v_fma_f64 v[99:100], v[130:131], v[102:103], v[99:100]
	s_waitcnt vmcnt(17)
	v_fma_f64 v[99:100], v[118:119], v[104:105], v[99:100]
	buffer_load_dword v113, off, s[0:3], 0 offset:324
	buffer_load_dword v118, off, s[0:3], 0 offset:344
	;; [unrolled: 1-line block ×8, first 2 shown]
	ds_read2_b64 v[102:105], v101 offset0:83 offset1:84
	s_waitcnt vmcnt(24) lgkmcnt(1)
	v_fma_f64 v[99:100], v[116:117], v[106:107], v[99:100]
	s_waitcnt vmcnt(19)
	v_fma_f64 v[99:100], v[114:115], v[108:109], v[99:100]
	ds_read2_b64 v[106:109], v101 offset0:85 offset1:86
	s_waitcnt vmcnt(18) lgkmcnt(1)
	v_fma_f64 v[99:100], v[128:129], v[102:103], v[99:100]
	s_waitcnt vmcnt(17)
	v_fma_f64 v[102:103], v[126:127], v[104:105], v[99:100]
	buffer_load_dword v115, off, s[0:3], 0 offset:356
	buffer_load_dword v99, off, s[0:3], 0 offset:376
	;; [unrolled: 1-line block ×8, first 2 shown]
	s_waitcnt vmcnt(24) lgkmcnt(0)
	v_fma_f64 v[102:103], v[120:121], v[106:107], v[102:103]
	s_waitcnt vmcnt(19)
	v_fma_f64 v[110:111], v[110:111], v[108:109], v[102:103]
	ds_read2_b64 v[102:105], v101 offset0:87 offset1:88
	ds_read2_b64 v[106:109], v101 offset0:89 offset1:90
	s_waitcnt vmcnt(18) lgkmcnt(1)
	v_fma_f64 v[102:103], v[134:135], v[102:103], v[110:111]
	buffer_load_dword v111, off, s[0:3], 0 offset:388
	buffer_load_dword v110, off, s[0:3], 0 offset:384
	buffer_load_dword v120, off, s[0:3], 0
	buffer_load_dword v121, off, s[0:3], 0 offset:4
	s_waitcnt vmcnt(21)
	v_fma_f64 v[102:103], v[132:133], v[104:105], v[102:103]
	s_waitcnt vmcnt(20) lgkmcnt(0)
	v_fma_f64 v[102:103], v[122:123], v[106:107], v[102:103]
	s_waitcnt vmcnt(15)
	v_fma_f64 v[112:113], v[112:113], v[108:109], v[102:103]
	ds_read2_b64 v[102:105], v101 offset0:91 offset1:92
	ds_read2_b64 v[106:109], v101 offset0:93 offset1:94
	s_waitcnt vmcnt(14) lgkmcnt(1)
	v_fma_f64 v[102:103], v[130:131], v[102:103], v[112:113]
	s_waitcnt vmcnt(13)
	v_fma_f64 v[102:103], v[124:125], v[104:105], v[102:103]
	s_waitcnt vmcnt(12) lgkmcnt(0)
	v_fma_f64 v[102:103], v[118:119], v[106:107], v[102:103]
	s_waitcnt vmcnt(7)
	v_fma_f64 v[112:113], v[114:115], v[108:109], v[102:103]
	ds_read2_b64 v[102:105], v101 offset0:95 offset1:96
	ds_read2_b64 v[106:109], v101 offset0:97 offset1:98
	s_waitcnt vmcnt(6) lgkmcnt(1)
	v_fma_f64 v[101:102], v[126:127], v[102:103], v[112:113]
	s_waitcnt vmcnt(5)
	v_fma_f64 v[101:102], v[116:117], v[104:105], v[101:102]
	s_waitcnt vmcnt(4) lgkmcnt(0)
	v_fma_f64 v[101:102], v[99:100], v[106:107], v[101:102]
	s_waitcnt vmcnt(2)
	v_fma_f64 v[101:102], v[110:111], v[108:109], v[101:102]
	s_waitcnt vmcnt(0)
	v_add_f64 v[101:102], v[120:121], -v[101:102]
	buffer_store_dword v102, off, s[0:3], 0 offset:4
	buffer_store_dword v101, off, s[0:3], 0
	s_cbranch_vccz .LBB112_398
; %bb.302:
	v_mov_b32_e32 v0, 0
	global_load_dword v101, v0, s[12:13] offset:188
	s_waitcnt vmcnt(0)
	v_add_u32_e32 v101, -1, v101
	v_cmp_ne_u32_e32 vcc, 47, v101
	s_cbranch_vccz .LBB112_304
; %bb.303:
	v_lshlrev_b32_e32 v101, 3, v101
	buffer_load_dword v102, v101, s[0:3], 0 offen
	buffer_load_dword v103, v101, s[0:3], 0 offen offset:4
	s_waitcnt vmcnt(1)
	buffer_store_dword v102, off, s[0:3], 0 offset:376
	s_waitcnt vmcnt(1)
	buffer_store_dword v103, off, s[0:3], 0 offset:380
	buffer_store_dword v99, v101, s[0:3], 0 offen
	buffer_store_dword v100, v101, s[0:3], 0 offen offset:4
.LBB112_304:
	global_load_dword v0, v0, s[12:13] offset:184
	s_waitcnt vmcnt(0)
	v_add_u32_e32 v0, -1, v0
	v_cmp_eq_u32_e32 vcc, 46, v0
	s_cbranch_vccnz .LBB112_306
; %bb.305:
	v_lshlrev_b32_e32 v0, 3, v0
	buffer_load_dword v99, v0, s[0:3], 0 offen
	buffer_load_dword v100, v0, s[0:3], 0 offen offset:4
	buffer_load_dword v101, off, s[0:3], 0 offset:372
	buffer_load_dword v102, off, s[0:3], 0 offset:368
	s_waitcnt vmcnt(3)
	buffer_store_dword v99, off, s[0:3], 0 offset:368
	s_waitcnt vmcnt(3)
	buffer_store_dword v100, off, s[0:3], 0 offset:372
	s_waitcnt vmcnt(3)
	buffer_store_dword v101, v0, s[0:3], 0 offen offset:4
	s_waitcnt vmcnt(3)
	buffer_store_dword v102, v0, s[0:3], 0 offen
.LBB112_306:
	v_mov_b32_e32 v0, 0
	global_load_dword v99, v0, s[12:13] offset:180
	s_waitcnt vmcnt(0)
	v_add_u32_e32 v99, -1, v99
	v_cmp_eq_u32_e32 vcc, 45, v99
	s_cbranch_vccnz .LBB112_308
; %bb.307:
	v_lshlrev_b32_e32 v99, 3, v99
	buffer_load_dword v100, v99, s[0:3], 0 offen
	buffer_load_dword v101, v99, s[0:3], 0 offen offset:4
	buffer_load_dword v102, off, s[0:3], 0 offset:360
	buffer_load_dword v103, off, s[0:3], 0 offset:364
	s_waitcnt vmcnt(3)
	buffer_store_dword v100, off, s[0:3], 0 offset:360
	s_waitcnt vmcnt(3)
	buffer_store_dword v101, off, s[0:3], 0 offset:364
	s_waitcnt vmcnt(3)
	buffer_store_dword v102, v99, s[0:3], 0 offen
	s_waitcnt vmcnt(3)
	buffer_store_dword v103, v99, s[0:3], 0 offen offset:4
.LBB112_308:
	global_load_dword v0, v0, s[12:13] offset:176
	s_waitcnt vmcnt(0)
	v_add_u32_e32 v0, -1, v0
	v_cmp_eq_u32_e32 vcc, 44, v0
	s_cbranch_vccnz .LBB112_310
; %bb.309:
	v_lshlrev_b32_e32 v0, 3, v0
	buffer_load_dword v99, v0, s[0:3], 0 offen
	buffer_load_dword v100, v0, s[0:3], 0 offen offset:4
	buffer_load_dword v101, off, s[0:3], 0 offset:356
	buffer_load_dword v102, off, s[0:3], 0 offset:352
	s_waitcnt vmcnt(3)
	buffer_store_dword v99, off, s[0:3], 0 offset:352
	s_waitcnt vmcnt(3)
	buffer_store_dword v100, off, s[0:3], 0 offset:356
	s_waitcnt vmcnt(3)
	buffer_store_dword v101, v0, s[0:3], 0 offen offset:4
	s_waitcnt vmcnt(3)
	buffer_store_dword v102, v0, s[0:3], 0 offen
.LBB112_310:
	v_mov_b32_e32 v0, 0
	global_load_dword v99, v0, s[12:13] offset:172
	s_waitcnt vmcnt(0)
	v_add_u32_e32 v99, -1, v99
	v_cmp_eq_u32_e32 vcc, 43, v99
	s_cbranch_vccnz .LBB112_312
; %bb.311:
	v_lshlrev_b32_e32 v99, 3, v99
	buffer_load_dword v100, v99, s[0:3], 0 offen
	buffer_load_dword v101, v99, s[0:3], 0 offen offset:4
	buffer_load_dword v102, off, s[0:3], 0 offset:344
	buffer_load_dword v103, off, s[0:3], 0 offset:348
	s_waitcnt vmcnt(3)
	buffer_store_dword v100, off, s[0:3], 0 offset:344
	s_waitcnt vmcnt(3)
	buffer_store_dword v101, off, s[0:3], 0 offset:348
	s_waitcnt vmcnt(3)
	buffer_store_dword v102, v99, s[0:3], 0 offen
	s_waitcnt vmcnt(3)
	buffer_store_dword v103, v99, s[0:3], 0 offen offset:4
.LBB112_312:
	;; [unrolled: 41-line block ×23, first 2 shown]
	global_load_dword v0, v0, s[12:13]
	s_nop 0
	buffer_load_dword v101, off, s[0:3], 0
	buffer_load_dword v102, off, s[0:3], 0 offset:4
	s_waitcnt vmcnt(2)
	v_add_u32_e32 v0, -1, v0
	v_cmp_eq_u32_e32 vcc, 0, v0
	s_cbranch_vccnz .LBB112_398
; %bb.397:
	v_lshlrev_b32_e32 v0, 3, v0
	buffer_load_dword v99, v0, s[0:3], 0 offen offset:4
	buffer_load_dword v100, v0, s[0:3], 0 offen
	s_waitcnt vmcnt(1)
	buffer_store_dword v99, off, s[0:3], 0 offset:4
	s_waitcnt vmcnt(1)
	buffer_store_dword v100, off, s[0:3], 0
	buffer_store_dword v102, v0, s[0:3], 0 offen offset:4
	buffer_store_dword v101, v0, s[0:3], 0 offen
	buffer_load_dword v101, off, s[0:3], 0
	s_nop 0
	buffer_load_dword v102, off, s[0:3], 0 offset:4
.LBB112_398:
	s_waitcnt vmcnt(0)
	flat_store_dwordx2 v[1:2], v[101:102]
	buffer_load_dword v0, off, s[0:3], 0 offset:8
	s_nop 0
	buffer_load_dword v1, off, s[0:3], 0 offset:12
	s_waitcnt vmcnt(0)
	flat_store_dwordx2 v[3:4], v[0:1]
	buffer_load_dword v0, off, s[0:3], 0 offset:16
	s_nop 0
	buffer_load_dword v1, off, s[0:3], 0 offset:20
	;; [unrolled: 5-line block ×48, first 2 shown]
	s_waitcnt vmcnt(0)
	flat_store_dwordx2 v[97:98], v[0:1]
	s_endpgm
	.section	.rodata,"a",@progbits
	.p2align	6, 0x0
	.amdhsa_kernel _ZN9rocsolver6v33100L18getri_kernel_smallILi49EdPKPdEEvT1_iilPiilS6_bb
		.amdhsa_group_segment_fixed_size 792
		.amdhsa_private_segment_fixed_size 400
		.amdhsa_kernarg_size 60
		.amdhsa_user_sgpr_count 6
		.amdhsa_user_sgpr_private_segment_buffer 1
		.amdhsa_user_sgpr_dispatch_ptr 0
		.amdhsa_user_sgpr_queue_ptr 0
		.amdhsa_user_sgpr_kernarg_segment_ptr 1
		.amdhsa_user_sgpr_dispatch_id 0
		.amdhsa_user_sgpr_flat_scratch_init 0
		.amdhsa_user_sgpr_private_segment_size 0
		.amdhsa_uses_dynamic_stack 0
		.amdhsa_system_sgpr_private_segment_wavefront_offset 1
		.amdhsa_system_sgpr_workgroup_id_x 1
		.amdhsa_system_sgpr_workgroup_id_y 0
		.amdhsa_system_sgpr_workgroup_id_z 0
		.amdhsa_system_sgpr_workgroup_info 0
		.amdhsa_system_vgpr_workitem_id 0
		.amdhsa_next_free_vgpr 136
		.amdhsa_next_free_sgpr 21
		.amdhsa_reserve_vcc 1
		.amdhsa_reserve_flat_scratch 0
		.amdhsa_float_round_mode_32 0
		.amdhsa_float_round_mode_16_64 0
		.amdhsa_float_denorm_mode_32 3
		.amdhsa_float_denorm_mode_16_64 3
		.amdhsa_dx10_clamp 1
		.amdhsa_ieee_mode 1
		.amdhsa_fp16_overflow 0
		.amdhsa_exception_fp_ieee_invalid_op 0
		.amdhsa_exception_fp_denorm_src 0
		.amdhsa_exception_fp_ieee_div_zero 0
		.amdhsa_exception_fp_ieee_overflow 0
		.amdhsa_exception_fp_ieee_underflow 0
		.amdhsa_exception_fp_ieee_inexact 0
		.amdhsa_exception_int_div_zero 0
	.end_amdhsa_kernel
	.section	.text._ZN9rocsolver6v33100L18getri_kernel_smallILi49EdPKPdEEvT1_iilPiilS6_bb,"axG",@progbits,_ZN9rocsolver6v33100L18getri_kernel_smallILi49EdPKPdEEvT1_iilPiilS6_bb,comdat
.Lfunc_end112:
	.size	_ZN9rocsolver6v33100L18getri_kernel_smallILi49EdPKPdEEvT1_iilPiilS6_bb, .Lfunc_end112-_ZN9rocsolver6v33100L18getri_kernel_smallILi49EdPKPdEEvT1_iilPiilS6_bb
                                        ; -- End function
	.set _ZN9rocsolver6v33100L18getri_kernel_smallILi49EdPKPdEEvT1_iilPiilS6_bb.num_vgpr, 136
	.set _ZN9rocsolver6v33100L18getri_kernel_smallILi49EdPKPdEEvT1_iilPiilS6_bb.num_agpr, 0
	.set _ZN9rocsolver6v33100L18getri_kernel_smallILi49EdPKPdEEvT1_iilPiilS6_bb.numbered_sgpr, 21
	.set _ZN9rocsolver6v33100L18getri_kernel_smallILi49EdPKPdEEvT1_iilPiilS6_bb.num_named_barrier, 0
	.set _ZN9rocsolver6v33100L18getri_kernel_smallILi49EdPKPdEEvT1_iilPiilS6_bb.private_seg_size, 400
	.set _ZN9rocsolver6v33100L18getri_kernel_smallILi49EdPKPdEEvT1_iilPiilS6_bb.uses_vcc, 1
	.set _ZN9rocsolver6v33100L18getri_kernel_smallILi49EdPKPdEEvT1_iilPiilS6_bb.uses_flat_scratch, 0
	.set _ZN9rocsolver6v33100L18getri_kernel_smallILi49EdPKPdEEvT1_iilPiilS6_bb.has_dyn_sized_stack, 0
	.set _ZN9rocsolver6v33100L18getri_kernel_smallILi49EdPKPdEEvT1_iilPiilS6_bb.has_recursion, 0
	.set _ZN9rocsolver6v33100L18getri_kernel_smallILi49EdPKPdEEvT1_iilPiilS6_bb.has_indirect_call, 0
	.section	.AMDGPU.csdata,"",@progbits
; Kernel info:
; codeLenInByte = 62080
; TotalNumSgprs: 25
; NumVgprs: 136
; ScratchSize: 400
; MemoryBound: 1
; FloatMode: 240
; IeeeMode: 1
; LDSByteSize: 792 bytes/workgroup (compile time only)
; SGPRBlocks: 3
; VGPRBlocks: 33
; NumSGPRsForWavesPerEU: 25
; NumVGPRsForWavesPerEU: 136
; Occupancy: 1
; WaveLimiterHint : 1
; COMPUTE_PGM_RSRC2:SCRATCH_EN: 1
; COMPUTE_PGM_RSRC2:USER_SGPR: 6
; COMPUTE_PGM_RSRC2:TRAP_HANDLER: 0
; COMPUTE_PGM_RSRC2:TGID_X_EN: 1
; COMPUTE_PGM_RSRC2:TGID_Y_EN: 0
; COMPUTE_PGM_RSRC2:TGID_Z_EN: 0
; COMPUTE_PGM_RSRC2:TIDIG_COMP_CNT: 0
	.section	.text._ZN9rocsolver6v33100L18getri_kernel_smallILi50EdPKPdEEvT1_iilPiilS6_bb,"axG",@progbits,_ZN9rocsolver6v33100L18getri_kernel_smallILi50EdPKPdEEvT1_iilPiilS6_bb,comdat
	.globl	_ZN9rocsolver6v33100L18getri_kernel_smallILi50EdPKPdEEvT1_iilPiilS6_bb ; -- Begin function _ZN9rocsolver6v33100L18getri_kernel_smallILi50EdPKPdEEvT1_iilPiilS6_bb
	.p2align	8
	.type	_ZN9rocsolver6v33100L18getri_kernel_smallILi50EdPKPdEEvT1_iilPiilS6_bb,@function
_ZN9rocsolver6v33100L18getri_kernel_smallILi50EdPKPdEEvT1_iilPiilS6_bb: ; @_ZN9rocsolver6v33100L18getri_kernel_smallILi50EdPKPdEEvT1_iilPiilS6_bb
; %bb.0:
	s_add_u32 s0, s0, s7
	s_addc_u32 s1, s1, 0
	v_cmp_gt_u32_e32 vcc, 50, v0
	s_and_saveexec_b64 s[8:9], vcc
	s_cbranch_execz .LBB113_208
; %bb.1:
	s_load_dword s18, s[4:5], 0x38
	s_load_dwordx2 s[12:13], s[4:5], 0x0
	s_load_dwordx4 s[8:11], s[4:5], 0x28
	s_waitcnt lgkmcnt(0)
	s_bitcmp1_b32 s18, 8
	s_cselect_b64 s[14:15], -1, 0
	s_ashr_i32 s7, s6, 31
	s_lshl_b64 s[16:17], s[6:7], 3
	s_add_u32 s12, s12, s16
	s_addc_u32 s13, s13, s17
	s_load_dwordx2 s[16:17], s[12:13], 0x0
	s_bfe_u32 s12, s18, 0x10008
	s_cmp_eq_u32 s12, 0
                                        ; implicit-def: $sgpr12_sgpr13
	s_cbranch_scc1 .LBB113_3
; %bb.2:
	s_load_dword s12, s[4:5], 0x20
	s_load_dwordx2 s[18:19], s[4:5], 0x18
	s_mul_i32 s13, s8, s7
	s_mul_hi_u32 s20, s8, s6
	s_add_i32 s20, s20, s13
	s_mul_i32 s9, s9, s6
	s_add_i32 s9, s20, s9
	s_mul_i32 s8, s8, s6
	s_waitcnt lgkmcnt(0)
	s_ashr_i32 s13, s12, 31
	s_lshl_b64 s[8:9], s[8:9], 2
	s_add_u32 s18, s18, s8
	s_addc_u32 s19, s19, s9
	s_lshl_b64 s[8:9], s[12:13], 2
	s_add_u32 s12, s18, s8
	s_addc_u32 s13, s19, s9
.LBB113_3:
	s_load_dwordx2 s[8:9], s[4:5], 0x8
	s_load_dword s18, s[4:5], 0x38
	v_lshlrev_b32_e32 v103, 3, v0
	s_waitcnt lgkmcnt(0)
	s_ashr_i32 s5, s8, 31
	s_mov_b32 s4, s8
	s_lshl_b64 s[4:5], s[4:5], 3
	s_add_u32 s4, s16, s4
	s_addc_u32 s5, s17, s5
	v_mov_b32_e32 v2, s5
	v_add_co_u32_e32 v1, vcc, s4, v103
	v_addc_co_u32_e32 v2, vcc, 0, v2, vcc
	flat_load_dwordx2 v[5:6], v[1:2]
	s_mov_b32 s16, s9
	s_ashr_i32 s17, s9, 31
	s_lshl_b64 s[16:17], s[16:17], 3
	v_mov_b32_e32 v4, s17
	v_add_co_u32_e32 v3, vcc, s16, v1
	v_addc_co_u32_e32 v4, vcc, v2, v4, vcc
	s_add_i32 s8, s9, s9
	v_add_u32_e32 v9, s8, v0
	v_ashrrev_i32_e32 v10, 31, v9
	v_mov_b32_e32 v11, s5
	v_add_u32_e32 v12, s9, v9
	v_ashrrev_i32_e32 v13, 31, v12
	v_mov_b32_e32 v14, s5
	v_mov_b32_e32 v15, s5
	;; [unrolled: 1-line block ×46, first 2 shown]
	s_bitcmp0_b32 s18, 0
	s_waitcnt vmcnt(0) lgkmcnt(0)
	buffer_store_dword v6, off, s[0:3], 0 offset:4
	buffer_store_dword v5, off, s[0:3], 0
	flat_load_dwordx2 v[7:8], v[3:4]
	v_lshlrev_b64 v[5:6], 3, v[9:10]
	s_waitcnt vmcnt(0) lgkmcnt(0)
	buffer_store_dword v8, off, s[0:3], 0 offset:12
	buffer_store_dword v7, off, s[0:3], 0 offset:8
	v_add_co_u32_e32 v5, vcc, s4, v5
	v_addc_co_u32_e32 v6, vcc, v11, v6, vcc
	flat_load_dwordx2 v[10:11], v[5:6]
	v_lshlrev_b64 v[7:8], 3, v[12:13]
	s_waitcnt vmcnt(0) lgkmcnt(0)
	buffer_store_dword v11, off, s[0:3], 0 offset:20
	buffer_store_dword v10, off, s[0:3], 0 offset:16
	v_add_co_u32_e32 v7, vcc, s4, v7
	v_addc_co_u32_e32 v8, vcc, v14, v8, vcc
	flat_load_dwordx2 v[13:14], v[7:8]
	v_add_u32_e32 v11, s9, v12
	v_ashrrev_i32_e32 v12, 31, v11
	v_lshlrev_b64 v[9:10], 3, v[11:12]
	s_waitcnt vmcnt(0) lgkmcnt(0)
	buffer_store_dword v14, off, s[0:3], 0 offset:28
	buffer_store_dword v13, off, s[0:3], 0 offset:24
	v_add_co_u32_e32 v9, vcc, s4, v9
	v_addc_co_u32_e32 v10, vcc, v15, v10, vcc
	flat_load_dwordx2 v[13:14], v[9:10]
	v_add_u32_e32 v15, s9, v11
	v_ashrrev_i32_e32 v16, 31, v15
	v_lshlrev_b64 v[11:12], 3, v[15:16]
	v_add_u32_e32 v18, s9, v15
	v_add_co_u32_e32 v11, vcc, s4, v11
	v_addc_co_u32_e32 v12, vcc, v17, v12, vcc
	v_ashrrev_i32_e32 v19, 31, v18
	s_waitcnt vmcnt(0) lgkmcnt(0)
	buffer_store_dword v14, off, s[0:3], 0 offset:36
	buffer_store_dword v13, off, s[0:3], 0 offset:32
	flat_load_dwordx2 v[16:17], v[11:12]
	v_lshlrev_b64 v[13:14], 3, v[18:19]
	s_waitcnt vmcnt(0) lgkmcnt(0)
	buffer_store_dword v17, off, s[0:3], 0 offset:44
	buffer_store_dword v16, off, s[0:3], 0 offset:40
	v_add_co_u32_e32 v13, vcc, s4, v13
	v_addc_co_u32_e32 v14, vcc, v20, v14, vcc
	flat_load_dwordx2 v[19:20], v[13:14]
	v_add_u32_e32 v17, s9, v18
	v_ashrrev_i32_e32 v18, 31, v17
	v_lshlrev_b64 v[15:16], 3, v[17:18]
	s_waitcnt vmcnt(0) lgkmcnt(0)
	buffer_store_dword v20, off, s[0:3], 0 offset:52
	buffer_store_dword v19, off, s[0:3], 0 offset:48
	v_add_co_u32_e32 v15, vcc, s4, v15
	v_addc_co_u32_e32 v16, vcc, v21, v16, vcc
	flat_load_dwordx2 v[19:20], v[15:16]
	v_add_u32_e32 v21, s9, v17
	v_ashrrev_i32_e32 v22, 31, v21
	v_lshlrev_b64 v[17:18], 3, v[21:22]
	v_add_u32_e32 v24, s9, v21
	v_add_co_u32_e32 v17, vcc, s4, v17
	v_addc_co_u32_e32 v18, vcc, v23, v18, vcc
	v_ashrrev_i32_e32 v25, 31, v24
	s_waitcnt vmcnt(0) lgkmcnt(0)
	buffer_store_dword v20, off, s[0:3], 0 offset:60
	buffer_store_dword v19, off, s[0:3], 0 offset:56
	;; [unrolled: 27-line block ×7, first 2 shown]
	flat_load_dwordx2 v[52:53], v[47:48]
	v_lshlrev_b64 v[49:50], 3, v[54:55]
	s_waitcnt vmcnt(0) lgkmcnt(0)
	buffer_store_dword v53, off, s[0:3], 0 offset:188
	buffer_store_dword v52, off, s[0:3], 0 offset:184
	v_add_co_u32_e32 v49, vcc, s4, v49
	v_addc_co_u32_e32 v50, vcc, v56, v50, vcc
	flat_load_dwordx2 v[55:56], v[49:50]
	v_add_u32_e32 v53, s9, v54
	v_ashrrev_i32_e32 v54, 31, v53
	v_lshlrev_b64 v[51:52], 3, v[53:54]
	s_waitcnt vmcnt(0) lgkmcnt(0)
	buffer_store_dword v56, off, s[0:3], 0 offset:196
	buffer_store_dword v55, off, s[0:3], 0 offset:192
	v_add_co_u32_e32 v51, vcc, s4, v51
	v_addc_co_u32_e32 v52, vcc, v57, v52, vcc
	flat_load_dwordx2 v[55:56], v[51:52]
	v_add_u32_e32 v57, s9, v53
	v_ashrrev_i32_e32 v58, 31, v57
	v_lshlrev_b64 v[53:54], 3, v[57:58]
	v_add_u32_e32 v60, s9, v57
	v_add_co_u32_e32 v53, vcc, s4, v53
	v_addc_co_u32_e32 v54, vcc, v59, v54, vcc
	s_waitcnt vmcnt(0) lgkmcnt(0)
	buffer_store_dword v56, off, s[0:3], 0 offset:204
	buffer_store_dword v55, off, s[0:3], 0 offset:200
	flat_load_dwordx2 v[58:59], v[53:54]
	v_ashrrev_i32_e32 v61, 31, v60
	v_lshlrev_b64 v[55:56], 3, v[60:61]
	s_waitcnt vmcnt(0) lgkmcnt(0)
	buffer_store_dword v59, off, s[0:3], 0 offset:212
	buffer_store_dword v58, off, s[0:3], 0 offset:208
	v_add_co_u32_e32 v55, vcc, s4, v55
	v_addc_co_u32_e32 v56, vcc, v62, v56, vcc
	flat_load_dwordx2 v[61:62], v[55:56]
	v_add_u32_e32 v59, s9, v60
	v_ashrrev_i32_e32 v60, 31, v59
	v_lshlrev_b64 v[57:58], 3, v[59:60]
	s_waitcnt vmcnt(0) lgkmcnt(0)
	buffer_store_dword v62, off, s[0:3], 0 offset:220
	buffer_store_dword v61, off, s[0:3], 0 offset:216
	v_add_co_u32_e32 v57, vcc, s4, v57
	v_addc_co_u32_e32 v58, vcc, v63, v58, vcc
	flat_load_dwordx2 v[61:62], v[57:58]
	v_add_u32_e32 v63, s9, v59
	;; [unrolled: 9-line block ×22, first 2 shown]
	v_ashrrev_i32_e32 v100, 31, v99
	v_lshlrev_b64 v[99:100], 3, v[99:100]
	v_mov_b32_e32 v105, s5
	v_add_co_u32_e32 v99, vcc, s4, v99
	v_addc_co_u32_e32 v100, vcc, v105, v100, vcc
	s_waitcnt vmcnt(0) lgkmcnt(0)
	buffer_store_dword v102, off, s[0:3], 0 offset:388
	buffer_store_dword v101, off, s[0:3], 0 offset:384
	flat_load_dwordx2 v[101:102], v[99:100]
	s_mov_b64 s[8:9], -1
	s_waitcnt vmcnt(0) lgkmcnt(0)
	buffer_store_dword v102, off, s[0:3], 0 offset:396
	buffer_store_dword v101, off, s[0:3], 0 offset:392
	s_cbranch_scc1 .LBB113_206
; %bb.4:
	v_cmp_eq_u32_e64 s[4:5], 0, v0
	s_and_saveexec_b64 s[8:9], s[4:5]
; %bb.5:
	v_mov_b32_e32 v101, 0
	ds_write_b32 v101, v101 offset:800
; %bb.6:
	s_or_b64 exec, exec, s[8:9]
	v_mov_b32_e32 v101, 0
	v_lshl_add_u32 v101, v0, 3, v101
	s_waitcnt lgkmcnt(0)
	; wave barrier
	buffer_load_dword v104, v101, s[0:3], 0 offen
	buffer_load_dword v105, v101, s[0:3], 0 offen offset:4
	s_waitcnt vmcnt(0)
	v_cmp_eq_f64_e32 vcc, 0, v[104:105]
	s_and_saveexec_b64 s[16:17], vcc
	s_cbranch_execz .LBB113_10
; %bb.7:
	v_mov_b32_e32 v102, 0
	ds_read_b32 v105, v102 offset:800
	v_add_u32_e32 v104, 1, v0
	s_waitcnt lgkmcnt(0)
	v_readfirstlane_b32 s8, v105
	s_cmp_eq_u32 s8, 0
	s_cselect_b64 s[18:19], -1, 0
	v_cmp_gt_i32_e32 vcc, s8, v104
	s_or_b64 s[18:19], s[18:19], vcc
	s_and_b64 exec, exec, s[18:19]
	s_cbranch_execz .LBB113_10
; %bb.8:
	s_mov_b64 s[18:19], 0
	v_mov_b32_e32 v105, s8
.LBB113_9:                              ; =>This Inner Loop Header: Depth=1
	ds_cmpst_rtn_b32 v105, v102, v105, v104 offset:800
	s_waitcnt lgkmcnt(0)
	v_cmp_ne_u32_e32 vcc, 0, v105
	v_cmp_le_i32_e64 s[8:9], v105, v104
	s_and_b64 s[8:9], vcc, s[8:9]
	s_and_b64 s[8:9], exec, s[8:9]
	s_or_b64 s[18:19], s[8:9], s[18:19]
	s_andn2_b64 exec, exec, s[18:19]
	s_cbranch_execnz .LBB113_9
.LBB113_10:
	s_or_b64 exec, exec, s[16:17]
	v_mov_b32_e32 v104, 0
	; wave barrier
	ds_read_b32 v102, v104 offset:800
	s_and_saveexec_b64 s[8:9], s[4:5]
	s_cbranch_execz .LBB113_12
; %bb.11:
	s_lshl_b64 s[16:17], s[6:7], 2
	s_add_u32 s16, s10, s16
	s_addc_u32 s17, s11, s17
	s_waitcnt lgkmcnt(0)
	global_store_dword v104, v102, s[16:17]
.LBB113_12:
	s_or_b64 exec, exec, s[8:9]
	s_waitcnt lgkmcnt(0)
	v_cmp_ne_u32_e32 vcc, 0, v102
	s_mov_b64 s[8:9], 0
	s_cbranch_vccnz .LBB113_206
; %bb.13:
	buffer_load_dword v104, v101, s[0:3], 0 offen
	buffer_load_dword v105, v101, s[0:3], 0 offen offset:4
	s_waitcnt vmcnt(0)
	v_div_scale_f64 v[106:107], s[8:9], v[104:105], v[104:105], 1.0
	v_rcp_f64_e32 v[108:109], v[106:107]
	v_fma_f64 v[110:111], -v[106:107], v[108:109], 1.0
	v_fma_f64 v[108:109], v[108:109], v[110:111], v[108:109]
	v_div_scale_f64 v[110:111], vcc, 1.0, v[104:105], 1.0
	v_fma_f64 v[112:113], -v[106:107], v[108:109], 1.0
	v_fma_f64 v[108:109], v[108:109], v[112:113], v[108:109]
	v_mul_f64 v[112:113], v[110:111], v[108:109]
	v_fma_f64 v[106:107], -v[106:107], v[112:113], v[110:111]
	v_div_fmas_f64 v[106:107], v[106:107], v[108:109], v[112:113]
	v_div_fixup_f64 v[105:106], v[106:107], v[104:105], 1.0
	v_add_u32_e32 v104, 0x190, v103
	buffer_store_dword v106, v101, s[0:3], 0 offen offset:4
	buffer_store_dword v105, v101, s[0:3], 0 offen
	buffer_load_dword v108, off, s[0:3], 0 offset:12
	buffer_load_dword v107, off, s[0:3], 0 offset:8
	v_xor_b32_e32 v106, 0x80000000, v106
	s_waitcnt vmcnt(0)
	ds_write2_b64 v103, v[105:106], v[107:108] offset1:50
	s_waitcnt lgkmcnt(0)
	; wave barrier
	s_and_saveexec_b64 s[8:9], s[4:5]
	s_cbranch_execz .LBB113_15
; %bb.14:
	buffer_load_dword v105, v101, s[0:3], 0 offen
	buffer_load_dword v106, v101, s[0:3], 0 offen offset:4
	ds_read_b64 v[107:108], v104
	v_mov_b32_e32 v102, 0
	ds_read_b64 v[109:110], v102 offset:8
	s_waitcnt vmcnt(0) lgkmcnt(1)
	v_fma_f64 v[105:106], v[105:106], v[107:108], 0
	s_waitcnt lgkmcnt(0)
	v_mul_f64 v[105:106], v[105:106], v[109:110]
	buffer_store_dword v105, off, s[0:3], 0 offset:8
	buffer_store_dword v106, off, s[0:3], 0 offset:12
.LBB113_15:
	s_or_b64 exec, exec, s[8:9]
	; wave barrier
	buffer_load_dword v105, off, s[0:3], 0 offset:16
	buffer_load_dword v106, off, s[0:3], 0 offset:20
	v_cmp_gt_u32_e32 vcc, 2, v0
	s_waitcnt vmcnt(0)
	ds_write_b64 v104, v[105:106]
	s_waitcnt lgkmcnt(0)
	; wave barrier
	s_and_saveexec_b64 s[8:9], vcc
	s_cbranch_execz .LBB113_17
; %bb.16:
	buffer_load_dword v105, v101, s[0:3], 0 offen
	buffer_load_dword v106, v101, s[0:3], 0 offen offset:4
                                        ; kill: killed $vgpr101
	s_nop 0
	buffer_load_dword v101, off, s[0:3], 0 offset:8
	buffer_load_dword v102, off, s[0:3], 0 offset:12
	ds_read_b64 v[107:108], v104
	s_waitcnt vmcnt(2) lgkmcnt(0)
	v_fma_f64 v[109:110], v[105:106], v[107:108], 0
	v_mov_b32_e32 v105, 0
	ds_read2_b64 v[105:108], v105 offset0:2 offset1:51
	s_waitcnt vmcnt(0) lgkmcnt(0)
	v_fma_f64 v[101:102], v[101:102], v[107:108], v[109:110]
	v_cndmask_b32_e64 v102, v110, v102, s[4:5]
	v_cndmask_b32_e64 v101, v109, v101, s[4:5]
	v_mul_f64 v[101:102], v[101:102], v[105:106]
	buffer_store_dword v102, off, s[0:3], 0 offset:20
	buffer_store_dword v101, off, s[0:3], 0 offset:16
.LBB113_17:
	s_or_b64 exec, exec, s[8:9]
	; wave barrier
	buffer_load_dword v101, off, s[0:3], 0 offset:24
	buffer_load_dword v102, off, s[0:3], 0 offset:28
	v_cmp_gt_u32_e32 vcc, 3, v0
	v_add_u32_e32 v105, -1, v0
	s_waitcnt vmcnt(0)
	ds_write_b64 v104, v[101:102]
	s_waitcnt lgkmcnt(0)
	; wave barrier
	s_and_saveexec_b64 s[4:5], vcc
	s_cbranch_execz .LBB113_21
; %bb.18:
	v_mov_b32_e32 v101, 0
	v_add_u32_e32 v106, -1, v0
	v_add_u32_e32 v107, 0x190, v103
	v_mov_b32_e32 v108, v103
	v_mov_b32_e32 v102, 0
	s_mov_b64 s[8:9], 0
.LBB113_19:                             ; =>This Inner Loop Header: Depth=1
	buffer_load_dword v109, v108, s[0:3], 0 offen
	buffer_load_dword v110, v108, s[0:3], 0 offen offset:4
	ds_read_b64 v[111:112], v107
	v_add_u32_e32 v106, 1, v106
	v_cmp_lt_u32_e32 vcc, 1, v106
	v_add_u32_e32 v107, 8, v107
	s_or_b64 s[8:9], vcc, s[8:9]
	v_add_u32_e32 v108, 8, v108
	s_waitcnt vmcnt(0) lgkmcnt(0)
	v_fma_f64 v[101:102], v[109:110], v[111:112], v[101:102]
	s_andn2_b64 exec, exec, s[8:9]
	s_cbranch_execnz .LBB113_19
; %bb.20:
	s_or_b64 exec, exec, s[8:9]
	v_mov_b32_e32 v106, 0
	ds_read_b64 v[106:107], v106 offset:24
	s_waitcnt lgkmcnt(0)
	v_mul_f64 v[101:102], v[101:102], v[106:107]
	buffer_store_dword v102, off, s[0:3], 0 offset:28
	buffer_store_dword v101, off, s[0:3], 0 offset:24
.LBB113_21:
	s_or_b64 exec, exec, s[4:5]
	; wave barrier
	buffer_load_dword v101, off, s[0:3], 0 offset:32
	buffer_load_dword v102, off, s[0:3], 0 offset:36
	v_cmp_gt_u32_e32 vcc, 4, v0
	s_waitcnt vmcnt(0)
	ds_write_b64 v104, v[101:102]
	s_waitcnt lgkmcnt(0)
	; wave barrier
	s_and_saveexec_b64 s[4:5], vcc
	s_cbranch_execz .LBB113_25
; %bb.22:
	v_mov_b32_e32 v101, 0
	v_add_u32_e32 v106, -1, v0
	v_add_u32_e32 v107, 0x190, v103
	v_mov_b32_e32 v108, v103
	v_mov_b32_e32 v102, 0
	s_mov_b64 s[8:9], 0
.LBB113_23:                             ; =>This Inner Loop Header: Depth=1
	buffer_load_dword v109, v108, s[0:3], 0 offen
	buffer_load_dword v110, v108, s[0:3], 0 offen offset:4
	ds_read_b64 v[111:112], v107
	v_add_u32_e32 v106, 1, v106
	v_cmp_lt_u32_e32 vcc, 2, v106
	v_add_u32_e32 v107, 8, v107
	s_or_b64 s[8:9], vcc, s[8:9]
	v_add_u32_e32 v108, 8, v108
	s_waitcnt vmcnt(0) lgkmcnt(0)
	v_fma_f64 v[101:102], v[109:110], v[111:112], v[101:102]
	s_andn2_b64 exec, exec, s[8:9]
	s_cbranch_execnz .LBB113_23
; %bb.24:
	s_or_b64 exec, exec, s[8:9]
	v_mov_b32_e32 v106, 0
	ds_read_b64 v[106:107], v106 offset:32
	s_waitcnt lgkmcnt(0)
	v_mul_f64 v[101:102], v[101:102], v[106:107]
	buffer_store_dword v102, off, s[0:3], 0 offset:36
	buffer_store_dword v101, off, s[0:3], 0 offset:32
.LBB113_25:
	s_or_b64 exec, exec, s[4:5]
	; wave barrier
	buffer_load_dword v101, off, s[0:3], 0 offset:40
	buffer_load_dword v102, off, s[0:3], 0 offset:44
	v_cmp_gt_u32_e32 vcc, 5, v0
	;; [unrolled: 40-line block ×21, first 2 shown]
	s_waitcnt vmcnt(0)
	ds_write_b64 v104, v[101:102]
	s_waitcnt lgkmcnt(0)
	; wave barrier
	s_and_saveexec_b64 s[4:5], vcc
	s_cbranch_execz .LBB113_105
; %bb.102:
	v_mov_b32_e32 v101, 0
	v_add_u32_e32 v106, -1, v0
	v_add_u32_e32 v107, 0x190, v103
	v_mov_b32_e32 v108, v103
	v_mov_b32_e32 v102, 0
	s_mov_b64 s[8:9], 0
.LBB113_103:                            ; =>This Inner Loop Header: Depth=1
	buffer_load_dword v109, v108, s[0:3], 0 offen
	buffer_load_dword v110, v108, s[0:3], 0 offen offset:4
	ds_read_b64 v[111:112], v107
	v_add_u32_e32 v106, 1, v106
	v_cmp_lt_u32_e32 vcc, 22, v106
	v_add_u32_e32 v107, 8, v107
	s_or_b64 s[8:9], vcc, s[8:9]
	v_add_u32_e32 v108, 8, v108
	s_waitcnt vmcnt(0) lgkmcnt(0)
	v_fma_f64 v[101:102], v[109:110], v[111:112], v[101:102]
	s_andn2_b64 exec, exec, s[8:9]
	s_cbranch_execnz .LBB113_103
; %bb.104:
	s_or_b64 exec, exec, s[8:9]
	v_mov_b32_e32 v106, 0
	ds_read_b64 v[106:107], v106 offset:192
	s_waitcnt lgkmcnt(0)
	v_mul_f64 v[101:102], v[101:102], v[106:107]
	buffer_store_dword v102, off, s[0:3], 0 offset:196
	buffer_store_dword v101, off, s[0:3], 0 offset:192
.LBB113_105:
	s_or_b64 exec, exec, s[4:5]
	; wave barrier
	buffer_load_dword v101, off, s[0:3], 0 offset:200
	buffer_load_dword v102, off, s[0:3], 0 offset:204
	v_cmp_gt_u32_e32 vcc, 25, v0
	s_waitcnt vmcnt(0)
	ds_write_b64 v104, v[101:102]
	s_waitcnt lgkmcnt(0)
	; wave barrier
	s_and_saveexec_b64 s[4:5], vcc
	s_cbranch_execz .LBB113_109
; %bb.106:
	v_mov_b32_e32 v101, 0
	v_add_u32_e32 v106, -1, v0
	v_add_u32_e32 v107, 0x190, v103
	v_mov_b32_e32 v108, v103
	v_mov_b32_e32 v102, 0
	s_mov_b64 s[8:9], 0
.LBB113_107:                            ; =>This Inner Loop Header: Depth=1
	buffer_load_dword v109, v108, s[0:3], 0 offen
	buffer_load_dword v110, v108, s[0:3], 0 offen offset:4
	ds_read_b64 v[111:112], v107
	v_add_u32_e32 v106, 1, v106
	v_cmp_lt_u32_e32 vcc, 23, v106
	v_add_u32_e32 v107, 8, v107
	s_or_b64 s[8:9], vcc, s[8:9]
	v_add_u32_e32 v108, 8, v108
	s_waitcnt vmcnt(0) lgkmcnt(0)
	v_fma_f64 v[101:102], v[109:110], v[111:112], v[101:102]
	s_andn2_b64 exec, exec, s[8:9]
	s_cbranch_execnz .LBB113_107
; %bb.108:
	s_or_b64 exec, exec, s[8:9]
	v_mov_b32_e32 v106, 0
	ds_read_b64 v[106:107], v106 offset:200
	s_waitcnt lgkmcnt(0)
	v_mul_f64 v[101:102], v[101:102], v[106:107]
	buffer_store_dword v102, off, s[0:3], 0 offset:204
	buffer_store_dword v101, off, s[0:3], 0 offset:200
.LBB113_109:
	s_or_b64 exec, exec, s[4:5]
	; wave barrier
	buffer_load_dword v101, off, s[0:3], 0 offset:208
	buffer_load_dword v102, off, s[0:3], 0 offset:212
	v_cmp_gt_u32_e32 vcc, 26, v0
	;; [unrolled: 40-line block ×24, first 2 shown]
	s_waitcnt vmcnt(0)
	ds_write_b64 v104, v[101:102]
	s_waitcnt lgkmcnt(0)
	; wave barrier
	s_and_saveexec_b64 s[4:5], vcc
	s_cbranch_execz .LBB113_201
; %bb.198:
	v_mov_b32_e32 v101, 0
	v_add_u32_e32 v106, -1, v0
	v_add_u32_e32 v107, 0x190, v103
	v_mov_b32_e32 v108, v103
	v_mov_b32_e32 v102, 0
	s_mov_b64 s[8:9], 0
.LBB113_199:                            ; =>This Inner Loop Header: Depth=1
	buffer_load_dword v109, v108, s[0:3], 0 offen
	buffer_load_dword v110, v108, s[0:3], 0 offen offset:4
	ds_read_b64 v[111:112], v107
	v_add_u32_e32 v106, 1, v106
	v_cmp_lt_u32_e32 vcc, 46, v106
	v_add_u32_e32 v107, 8, v107
	s_or_b64 s[8:9], vcc, s[8:9]
	v_add_u32_e32 v108, 8, v108
	s_waitcnt vmcnt(0) lgkmcnt(0)
	v_fma_f64 v[101:102], v[109:110], v[111:112], v[101:102]
	s_andn2_b64 exec, exec, s[8:9]
	s_cbranch_execnz .LBB113_199
; %bb.200:
	s_or_b64 exec, exec, s[8:9]
	v_mov_b32_e32 v106, 0
	ds_read_b64 v[106:107], v106 offset:384
	s_waitcnt lgkmcnt(0)
	v_mul_f64 v[101:102], v[101:102], v[106:107]
	buffer_store_dword v102, off, s[0:3], 0 offset:388
	buffer_store_dword v101, off, s[0:3], 0 offset:384
.LBB113_201:
	s_or_b64 exec, exec, s[4:5]
	; wave barrier
	buffer_load_dword v101, off, s[0:3], 0 offset:392
	buffer_load_dword v102, off, s[0:3], 0 offset:396
	v_cmp_ne_u32_e32 vcc, 49, v0
	s_waitcnt vmcnt(0)
	ds_write_b64 v104, v[101:102]
	s_waitcnt lgkmcnt(0)
	; wave barrier
	s_and_saveexec_b64 s[4:5], vcc
	s_cbranch_execz .LBB113_205
; %bb.202:
	v_mov_b32_e32 v101, 0
	v_add_u32_e32 v104, 0x190, v103
	v_mov_b32_e32 v102, 0
	s_mov_b64 s[8:9], 0
.LBB113_203:                            ; =>This Inner Loop Header: Depth=1
	buffer_load_dword v106, v103, s[0:3], 0 offen
	buffer_load_dword v107, v103, s[0:3], 0 offen offset:4
	ds_read_b64 v[108:109], v104
	v_add_u32_e32 v105, 1, v105
	v_cmp_lt_u32_e32 vcc, 47, v105
	v_add_u32_e32 v104, 8, v104
	s_or_b64 s[8:9], vcc, s[8:9]
	v_add_u32_e32 v103, 8, v103
	s_waitcnt vmcnt(0) lgkmcnt(0)
	v_fma_f64 v[101:102], v[106:107], v[108:109], v[101:102]
	s_andn2_b64 exec, exec, s[8:9]
	s_cbranch_execnz .LBB113_203
; %bb.204:
	s_or_b64 exec, exec, s[8:9]
	v_mov_b32_e32 v103, 0
	ds_read_b64 v[103:104], v103 offset:392
	s_waitcnt lgkmcnt(0)
	v_mul_f64 v[101:102], v[101:102], v[103:104]
	buffer_store_dword v102, off, s[0:3], 0 offset:396
	buffer_store_dword v101, off, s[0:3], 0 offset:392
.LBB113_205:
	s_or_b64 exec, exec, s[4:5]
	s_mov_b64 s[8:9], -1
	; wave barrier
.LBB113_206:
	s_and_b64 vcc, exec, s[8:9]
	s_cbranch_vccz .LBB113_208
; %bb.207:
	s_lshl_b64 s[4:5], s[6:7], 2
	s_add_u32 s4, s10, s4
	s_addc_u32 s5, s11, s5
	v_mov_b32_e32 v101, 0
	global_load_dword v101, v101, s[4:5]
	s_waitcnt vmcnt(0)
	v_cmp_ne_u32_e32 vcc, 0, v101
	s_cbranch_vccz .LBB113_209
.LBB113_208:
	s_endpgm
.LBB113_209:
	v_mov_b32_e32 v101, 0x190
	v_lshl_add_u32 v101, v0, 3, v101
	v_cmp_eq_u32_e32 vcc, 49, v0
	s_and_saveexec_b64 s[4:5], vcc
	s_cbranch_execz .LBB113_211
; %bb.210:
	buffer_load_dword v102, off, s[0:3], 0 offset:384
	buffer_load_dword v103, off, s[0:3], 0 offset:388
	v_mov_b32_e32 v104, 0
	buffer_store_dword v104, off, s[0:3], 0 offset:384
	buffer_store_dword v104, off, s[0:3], 0 offset:388
	s_waitcnt vmcnt(2)
	ds_write_b64 v101, v[102:103]
.LBB113_211:
	s_or_b64 exec, exec, s[4:5]
	s_waitcnt lgkmcnt(0)
	; wave barrier
	buffer_load_dword v103, off, s[0:3], 0 offset:392
	buffer_load_dword v104, off, s[0:3], 0 offset:396
	;; [unrolled: 1-line block ×4, first 2 shown]
	v_mov_b32_e32 v102, 0
	ds_read_b64 v[107:108], v102 offset:792
	v_cmp_lt_u32_e32 vcc, 47, v0
	s_waitcnt vmcnt(2) lgkmcnt(0)
	v_fma_f64 v[103:104], v[103:104], v[107:108], 0
	s_waitcnt vmcnt(0)
	v_add_f64 v[103:104], v[105:106], -v[103:104]
	buffer_store_dword v103, off, s[0:3], 0 offset:384
	buffer_store_dword v104, off, s[0:3], 0 offset:388
	s_and_saveexec_b64 s[4:5], vcc
	s_cbranch_execz .LBB113_213
; %bb.212:
	buffer_load_dword v103, off, s[0:3], 0 offset:376
	buffer_load_dword v104, off, s[0:3], 0 offset:380
	s_waitcnt vmcnt(0)
	ds_write_b64 v101, v[103:104]
	buffer_store_dword v102, off, s[0:3], 0 offset:376
	buffer_store_dword v102, off, s[0:3], 0 offset:380
.LBB113_213:
	s_or_b64 exec, exec, s[4:5]
	s_waitcnt lgkmcnt(0)
	; wave barrier
	buffer_load_dword v106, off, s[0:3], 0 offset:384
	buffer_load_dword v107, off, s[0:3], 0 offset:388
	;; [unrolled: 1-line block ×6, first 2 shown]
	ds_read_b128 v[102:105], v102 offset:784
	v_cmp_lt_u32_e32 vcc, 46, v0
	s_waitcnt vmcnt(4) lgkmcnt(0)
	v_fma_f64 v[102:103], v[106:107], v[102:103], 0
	s_waitcnt vmcnt(2)
	v_fma_f64 v[102:103], v[108:109], v[104:105], v[102:103]
	s_waitcnt vmcnt(0)
	v_add_f64 v[102:103], v[110:111], -v[102:103]
	buffer_store_dword v102, off, s[0:3], 0 offset:376
	buffer_store_dword v103, off, s[0:3], 0 offset:380
	s_and_saveexec_b64 s[4:5], vcc
	s_cbranch_execz .LBB113_215
; %bb.214:
	buffer_load_dword v102, off, s[0:3], 0 offset:368
	buffer_load_dword v103, off, s[0:3], 0 offset:372
	v_mov_b32_e32 v104, 0
	buffer_store_dword v104, off, s[0:3], 0 offset:368
	buffer_store_dword v104, off, s[0:3], 0 offset:372
	s_waitcnt vmcnt(2)
	ds_write_b64 v101, v[102:103]
.LBB113_215:
	s_or_b64 exec, exec, s[4:5]
	s_waitcnt lgkmcnt(0)
	; wave barrier
	buffer_load_dword v107, off, s[0:3], 0 offset:376
	buffer_load_dword v108, off, s[0:3], 0 offset:380
	;; [unrolled: 1-line block ×8, first 2 shown]
	v_mov_b32_e32 v102, 0
	ds_read2_b64 v[103:106], v102 offset0:97 offset1:98
	ds_read_b64 v[115:116], v102 offset:792
	v_cmp_lt_u32_e32 vcc, 45, v0
	s_waitcnt vmcnt(6) lgkmcnt(1)
	v_fma_f64 v[103:104], v[107:108], v[103:104], 0
	s_waitcnt vmcnt(4)
	v_fma_f64 v[103:104], v[109:110], v[105:106], v[103:104]
	s_waitcnt vmcnt(2) lgkmcnt(0)
	v_fma_f64 v[103:104], v[111:112], v[115:116], v[103:104]
	s_waitcnt vmcnt(0)
	v_add_f64 v[103:104], v[113:114], -v[103:104]
	buffer_store_dword v103, off, s[0:3], 0 offset:368
	buffer_store_dword v104, off, s[0:3], 0 offset:372
	s_and_saveexec_b64 s[4:5], vcc
	s_cbranch_execz .LBB113_217
; %bb.216:
	buffer_load_dword v103, off, s[0:3], 0 offset:360
	buffer_load_dword v104, off, s[0:3], 0 offset:364
	s_waitcnt vmcnt(0)
	ds_write_b64 v101, v[103:104]
	buffer_store_dword v102, off, s[0:3], 0 offset:360
	buffer_store_dword v102, off, s[0:3], 0 offset:364
.LBB113_217:
	s_or_b64 exec, exec, s[4:5]
	s_waitcnt lgkmcnt(0)
	; wave barrier
	buffer_load_dword v111, off, s[0:3], 0 offset:368
	buffer_load_dword v112, off, s[0:3], 0 offset:372
	buffer_load_dword v113, off, s[0:3], 0 offset:376
	buffer_load_dword v114, off, s[0:3], 0 offset:380
	buffer_load_dword v115, off, s[0:3], 0 offset:384
	buffer_load_dword v116, off, s[0:3], 0 offset:388
	buffer_load_dword v117, off, s[0:3], 0 offset:392
	buffer_load_dword v118, off, s[0:3], 0 offset:396
	buffer_load_dword v119, off, s[0:3], 0 offset:360
	buffer_load_dword v120, off, s[0:3], 0 offset:364
	ds_read_b128 v[103:106], v102 offset:768
	ds_read_b128 v[107:110], v102 offset:784
	v_cmp_lt_u32_e32 vcc, 44, v0
	s_waitcnt vmcnt(8) lgkmcnt(1)
	v_fma_f64 v[102:103], v[111:112], v[103:104], 0
	s_waitcnt vmcnt(6)
	v_fma_f64 v[102:103], v[113:114], v[105:106], v[102:103]
	s_waitcnt vmcnt(4) lgkmcnt(0)
	v_fma_f64 v[102:103], v[115:116], v[107:108], v[102:103]
	s_waitcnt vmcnt(2)
	v_fma_f64 v[102:103], v[117:118], v[109:110], v[102:103]
	s_waitcnt vmcnt(0)
	v_add_f64 v[102:103], v[119:120], -v[102:103]
	buffer_store_dword v102, off, s[0:3], 0 offset:360
	buffer_store_dword v103, off, s[0:3], 0 offset:364
	s_and_saveexec_b64 s[4:5], vcc
	s_cbranch_execz .LBB113_219
; %bb.218:
	buffer_load_dword v102, off, s[0:3], 0 offset:352
	buffer_load_dword v103, off, s[0:3], 0 offset:356
	v_mov_b32_e32 v104, 0
	buffer_store_dword v104, off, s[0:3], 0 offset:352
	buffer_store_dword v104, off, s[0:3], 0 offset:356
	s_waitcnt vmcnt(2)
	ds_write_b64 v101, v[102:103]
.LBB113_219:
	s_or_b64 exec, exec, s[4:5]
	s_waitcnt lgkmcnt(0)
	; wave barrier
	buffer_load_dword v111, off, s[0:3], 0 offset:360
	buffer_load_dword v112, off, s[0:3], 0 offset:364
	buffer_load_dword v113, off, s[0:3], 0 offset:368
	buffer_load_dword v114, off, s[0:3], 0 offset:372
	buffer_load_dword v115, off, s[0:3], 0 offset:376
	buffer_load_dword v116, off, s[0:3], 0 offset:380
	buffer_load_dword v117, off, s[0:3], 0 offset:384
	buffer_load_dword v118, off, s[0:3], 0 offset:388
	buffer_load_dword v119, off, s[0:3], 0 offset:392
	buffer_load_dword v120, off, s[0:3], 0 offset:396
	buffer_load_dword v121, off, s[0:3], 0 offset:352
	buffer_load_dword v122, off, s[0:3], 0 offset:356
	v_mov_b32_e32 v102, 0
	ds_read2_b64 v[103:106], v102 offset0:95 offset1:96
	ds_read2_b64 v[107:110], v102 offset0:97 offset1:98
	v_cmp_lt_u32_e32 vcc, 43, v0
	s_waitcnt vmcnt(10) lgkmcnt(1)
	v_fma_f64 v[103:104], v[111:112], v[103:104], 0
	s_waitcnt vmcnt(8)
	v_fma_f64 v[103:104], v[113:114], v[105:106], v[103:104]
	ds_read_b64 v[105:106], v102 offset:792
	s_waitcnt vmcnt(6) lgkmcnt(1)
	v_fma_f64 v[103:104], v[115:116], v[107:108], v[103:104]
	s_waitcnt vmcnt(4)
	v_fma_f64 v[103:104], v[117:118], v[109:110], v[103:104]
	s_waitcnt vmcnt(2) lgkmcnt(0)
	v_fma_f64 v[103:104], v[119:120], v[105:106], v[103:104]
	s_waitcnt vmcnt(0)
	v_add_f64 v[103:104], v[121:122], -v[103:104]
	buffer_store_dword v103, off, s[0:3], 0 offset:352
	buffer_store_dword v104, off, s[0:3], 0 offset:356
	s_and_saveexec_b64 s[4:5], vcc
	s_cbranch_execz .LBB113_221
; %bb.220:
	buffer_load_dword v103, off, s[0:3], 0 offset:344
	buffer_load_dword v104, off, s[0:3], 0 offset:348
	s_waitcnt vmcnt(0)
	ds_write_b64 v101, v[103:104]
	buffer_store_dword v102, off, s[0:3], 0 offset:344
	buffer_store_dword v102, off, s[0:3], 0 offset:348
.LBB113_221:
	s_or_b64 exec, exec, s[4:5]
	s_waitcnt lgkmcnt(0)
	; wave barrier
	buffer_load_dword v111, off, s[0:3], 0 offset:352
	buffer_load_dword v112, off, s[0:3], 0 offset:356
	;; [unrolled: 1-line block ×14, first 2 shown]
	ds_read_b128 v[103:106], v102 offset:752
	ds_read_b128 v[107:110], v102 offset:768
	v_cmp_lt_u32_e32 vcc, 42, v0
	s_waitcnt vmcnt(12) lgkmcnt(1)
	v_fma_f64 v[103:104], v[111:112], v[103:104], 0
	s_waitcnt vmcnt(10)
	v_fma_f64 v[103:104], v[113:114], v[105:106], v[103:104]
	s_waitcnt vmcnt(8) lgkmcnt(0)
	v_fma_f64 v[103:104], v[115:116], v[107:108], v[103:104]
	s_waitcnt vmcnt(6)
	v_fma_f64 v[106:107], v[117:118], v[109:110], v[103:104]
	ds_read_b128 v[102:105], v102 offset:784
	s_waitcnt vmcnt(4) lgkmcnt(0)
	v_fma_f64 v[102:103], v[119:120], v[102:103], v[106:107]
	s_waitcnt vmcnt(2)
	v_fma_f64 v[102:103], v[121:122], v[104:105], v[102:103]
	s_waitcnt vmcnt(0)
	v_add_f64 v[102:103], v[123:124], -v[102:103]
	buffer_store_dword v102, off, s[0:3], 0 offset:344
	buffer_store_dword v103, off, s[0:3], 0 offset:348
	s_and_saveexec_b64 s[4:5], vcc
	s_cbranch_execz .LBB113_223
; %bb.222:
	buffer_load_dword v102, off, s[0:3], 0 offset:336
	buffer_load_dword v103, off, s[0:3], 0 offset:340
	v_mov_b32_e32 v104, 0
	buffer_store_dword v104, off, s[0:3], 0 offset:336
	buffer_store_dword v104, off, s[0:3], 0 offset:340
	s_waitcnt vmcnt(2)
	ds_write_b64 v101, v[102:103]
.LBB113_223:
	s_or_b64 exec, exec, s[4:5]
	s_waitcnt lgkmcnt(0)
	; wave barrier
	buffer_load_dword v107, off, s[0:3], 0 offset:336
	buffer_load_dword v108, off, s[0:3], 0 offset:340
	;; [unrolled: 1-line block ×16, first 2 shown]
	v_mov_b32_e32 v102, 0
	ds_read2_b64 v[103:106], v102 offset0:93 offset1:94
	v_cmp_lt_u32_e32 vcc, 41, v0
	s_waitcnt vmcnt(12) lgkmcnt(0)
	v_fma_f64 v[103:104], v[109:110], v[103:104], 0
	s_waitcnt vmcnt(10)
	v_fma_f64 v[109:110], v[111:112], v[105:106], v[103:104]
	ds_read2_b64 v[103:106], v102 offset0:95 offset1:96
	s_waitcnt vmcnt(8) lgkmcnt(0)
	v_fma_f64 v[103:104], v[113:114], v[103:104], v[109:110]
	s_waitcnt vmcnt(6)
	v_fma_f64 v[109:110], v[115:116], v[105:106], v[103:104]
	ds_read2_b64 v[103:106], v102 offset0:97 offset1:98
	s_waitcnt vmcnt(4) lgkmcnt(0)
	v_fma_f64 v[103:104], v[117:118], v[103:104], v[109:110]
	s_waitcnt vmcnt(2)
	v_fma_f64 v[103:104], v[119:120], v[105:106], v[103:104]
	ds_read_b64 v[105:106], v102 offset:792
	s_waitcnt vmcnt(0) lgkmcnt(0)
	v_fma_f64 v[103:104], v[121:122], v[105:106], v[103:104]
	v_add_f64 v[103:104], v[107:108], -v[103:104]
	buffer_store_dword v103, off, s[0:3], 0 offset:336
	buffer_store_dword v104, off, s[0:3], 0 offset:340
	s_and_saveexec_b64 s[4:5], vcc
	s_cbranch_execz .LBB113_225
; %bb.224:
	buffer_load_dword v103, off, s[0:3], 0 offset:328
	buffer_load_dword v104, off, s[0:3], 0 offset:332
	s_waitcnt vmcnt(0)
	ds_write_b64 v101, v[103:104]
	buffer_store_dword v102, off, s[0:3], 0 offset:328
	buffer_store_dword v102, off, s[0:3], 0 offset:332
.LBB113_225:
	s_or_b64 exec, exec, s[4:5]
	s_waitcnt lgkmcnt(0)
	; wave barrier
	buffer_load_dword v107, off, s[0:3], 0 offset:336
	buffer_load_dword v108, off, s[0:3], 0 offset:340
	buffer_load_dword v109, off, s[0:3], 0 offset:344
	buffer_load_dword v110, off, s[0:3], 0 offset:348
	buffer_load_dword v111, off, s[0:3], 0 offset:352
	buffer_load_dword v112, off, s[0:3], 0 offset:356
	buffer_load_dword v113, off, s[0:3], 0 offset:360
	buffer_load_dword v114, off, s[0:3], 0 offset:364
	buffer_load_dword v115, off, s[0:3], 0 offset:368
	buffer_load_dword v116, off, s[0:3], 0 offset:372
	buffer_load_dword v117, off, s[0:3], 0 offset:376
	buffer_load_dword v118, off, s[0:3], 0 offset:380
	buffer_load_dword v119, off, s[0:3], 0 offset:384
	buffer_load_dword v120, off, s[0:3], 0 offset:388
	buffer_load_dword v122, off, s[0:3], 0 offset:396
	buffer_load_dword v121, off, s[0:3], 0 offset:392
	buffer_load_dword v123, off, s[0:3], 0 offset:328
	buffer_load_dword v124, off, s[0:3], 0 offset:332
	ds_read_b128 v[103:106], v102 offset:736
	v_cmp_lt_u32_e32 vcc, 40, v0
	s_waitcnt vmcnt(16) lgkmcnt(0)
	v_fma_f64 v[103:104], v[107:108], v[103:104], 0
	s_waitcnt vmcnt(14)
	v_fma_f64 v[107:108], v[109:110], v[105:106], v[103:104]
	ds_read_b128 v[103:106], v102 offset:752
	s_waitcnt vmcnt(12) lgkmcnt(0)
	v_fma_f64 v[103:104], v[111:112], v[103:104], v[107:108]
	s_waitcnt vmcnt(10)
	v_fma_f64 v[107:108], v[113:114], v[105:106], v[103:104]
	ds_read_b128 v[103:106], v102 offset:768
	;; [unrolled: 5-line block ×3, first 2 shown]
	s_waitcnt vmcnt(4) lgkmcnt(0)
	v_fma_f64 v[102:103], v[119:120], v[102:103], v[106:107]
	s_waitcnt vmcnt(2)
	v_fma_f64 v[102:103], v[121:122], v[104:105], v[102:103]
	s_waitcnt vmcnt(0)
	v_add_f64 v[102:103], v[123:124], -v[102:103]
	buffer_store_dword v102, off, s[0:3], 0 offset:328
	buffer_store_dword v103, off, s[0:3], 0 offset:332
	s_and_saveexec_b64 s[4:5], vcc
	s_cbranch_execz .LBB113_227
; %bb.226:
	buffer_load_dword v102, off, s[0:3], 0 offset:320
	buffer_load_dword v103, off, s[0:3], 0 offset:324
	v_mov_b32_e32 v104, 0
	buffer_store_dword v104, off, s[0:3], 0 offset:320
	buffer_store_dword v104, off, s[0:3], 0 offset:324
	s_waitcnt vmcnt(2)
	ds_write_b64 v101, v[102:103]
.LBB113_227:
	s_or_b64 exec, exec, s[4:5]
	s_waitcnt lgkmcnt(0)
	; wave barrier
	buffer_load_dword v107, off, s[0:3], 0 offset:328
	buffer_load_dword v108, off, s[0:3], 0 offset:332
	;; [unrolled: 1-line block ×20, first 2 shown]
	v_mov_b32_e32 v102, 0
	ds_read2_b64 v[103:106], v102 offset0:91 offset1:92
	v_cmp_lt_u32_e32 vcc, 39, v0
	s_waitcnt vmcnt(18) lgkmcnt(0)
	v_fma_f64 v[103:104], v[107:108], v[103:104], 0
	s_waitcnt vmcnt(16)
	v_fma_f64 v[107:108], v[109:110], v[105:106], v[103:104]
	ds_read2_b64 v[103:106], v102 offset0:93 offset1:94
	s_waitcnt vmcnt(14) lgkmcnt(0)
	v_fma_f64 v[103:104], v[111:112], v[103:104], v[107:108]
	s_waitcnt vmcnt(12)
	v_fma_f64 v[107:108], v[113:114], v[105:106], v[103:104]
	ds_read2_b64 v[103:106], v102 offset0:95 offset1:96
	;; [unrolled: 5-line block ×3, first 2 shown]
	s_waitcnt vmcnt(6) lgkmcnt(0)
	v_fma_f64 v[103:104], v[119:120], v[103:104], v[107:108]
	s_waitcnt vmcnt(4)
	v_fma_f64 v[103:104], v[121:122], v[105:106], v[103:104]
	ds_read_b64 v[105:106], v102 offset:792
	s_waitcnt vmcnt(2) lgkmcnt(0)
	v_fma_f64 v[103:104], v[123:124], v[105:106], v[103:104]
	s_waitcnt vmcnt(0)
	v_add_f64 v[103:104], v[125:126], -v[103:104]
	buffer_store_dword v103, off, s[0:3], 0 offset:320
	buffer_store_dword v104, off, s[0:3], 0 offset:324
	s_and_saveexec_b64 s[4:5], vcc
	s_cbranch_execz .LBB113_229
; %bb.228:
	buffer_load_dword v103, off, s[0:3], 0 offset:312
	buffer_load_dword v104, off, s[0:3], 0 offset:316
	s_waitcnt vmcnt(0)
	ds_write_b64 v101, v[103:104]
	buffer_store_dword v102, off, s[0:3], 0 offset:312
	buffer_store_dword v102, off, s[0:3], 0 offset:316
.LBB113_229:
	s_or_b64 exec, exec, s[4:5]
	s_waitcnt lgkmcnt(0)
	; wave barrier
	buffer_load_dword v111, off, s[0:3], 0 offset:320
	buffer_load_dword v112, off, s[0:3], 0 offset:324
	;; [unrolled: 1-line block ×20, first 2 shown]
	ds_read_b128 v[103:106], v102 offset:720
	buffer_load_dword v131, off, s[0:3], 0 offset:312
	buffer_load_dword v132, off, s[0:3], 0 offset:316
	ds_read_b128 v[107:110], v102 offset:736
	v_cmp_lt_u32_e32 vcc, 38, v0
	s_waitcnt vmcnt(20) lgkmcnt(1)
	v_fma_f64 v[103:104], v[111:112], v[103:104], 0
	s_waitcnt vmcnt(18)
	v_fma_f64 v[103:104], v[113:114], v[105:106], v[103:104]
	s_waitcnt vmcnt(16) lgkmcnt(0)
	v_fma_f64 v[103:104], v[115:116], v[107:108], v[103:104]
	s_waitcnt vmcnt(14)
	v_fma_f64 v[111:112], v[117:118], v[109:110], v[103:104]
	ds_read_b128 v[103:106], v102 offset:752
	ds_read_b128 v[107:110], v102 offset:768
	s_waitcnt vmcnt(12) lgkmcnt(1)
	v_fma_f64 v[103:104], v[119:120], v[103:104], v[111:112]
	s_waitcnt vmcnt(10)
	v_fma_f64 v[103:104], v[121:122], v[105:106], v[103:104]
	s_waitcnt vmcnt(8) lgkmcnt(0)
	v_fma_f64 v[103:104], v[123:124], v[107:108], v[103:104]
	s_waitcnt vmcnt(4)
	v_fma_f64 v[106:107], v[125:126], v[109:110], v[103:104]
	ds_read_b128 v[102:105], v102 offset:784
	s_waitcnt vmcnt(3) lgkmcnt(0)
	v_fma_f64 v[102:103], v[129:130], v[102:103], v[106:107]
	s_waitcnt vmcnt(2)
	v_fma_f64 v[102:103], v[127:128], v[104:105], v[102:103]
	s_waitcnt vmcnt(0)
	v_add_f64 v[102:103], v[131:132], -v[102:103]
	buffer_store_dword v102, off, s[0:3], 0 offset:312
	buffer_store_dword v103, off, s[0:3], 0 offset:316
	s_and_saveexec_b64 s[4:5], vcc
	s_cbranch_execz .LBB113_231
; %bb.230:
	buffer_load_dword v102, off, s[0:3], 0 offset:304
	buffer_load_dword v103, off, s[0:3], 0 offset:308
	v_mov_b32_e32 v104, 0
	buffer_store_dword v104, off, s[0:3], 0 offset:304
	buffer_store_dword v104, off, s[0:3], 0 offset:308
	s_waitcnt vmcnt(2)
	ds_write_b64 v101, v[102:103]
.LBB113_231:
	s_or_b64 exec, exec, s[4:5]
	s_waitcnt lgkmcnt(0)
	; wave barrier
	buffer_load_dword v111, off, s[0:3], 0 offset:312
	buffer_load_dword v112, off, s[0:3], 0 offset:316
	;; [unrolled: 1-line block ×21, first 2 shown]
	v_mov_b32_e32 v102, 0
	ds_read2_b64 v[103:106], v102 offset0:89 offset1:90
	ds_read2_b64 v[107:110], v102 offset0:91 offset1:92
	buffer_load_dword v128, off, s[0:3], 0 offset:396
	v_cmp_lt_u32_e32 vcc, 37, v0
	s_waitcnt vmcnt(20) lgkmcnt(1)
	v_fma_f64 v[103:104], v[111:112], v[103:104], 0
	buffer_load_dword v111, off, s[0:3], 0 offset:304
	buffer_load_dword v112, off, s[0:3], 0 offset:308
	s_waitcnt vmcnt(20)
	v_fma_f64 v[103:104], v[113:114], v[105:106], v[103:104]
	s_waitcnt vmcnt(18) lgkmcnt(0)
	v_fma_f64 v[103:104], v[115:116], v[107:108], v[103:104]
	s_waitcnt vmcnt(16)
	v_fma_f64 v[113:114], v[117:118], v[109:110], v[103:104]
	ds_read2_b64 v[103:106], v102 offset0:93 offset1:94
	ds_read2_b64 v[107:110], v102 offset0:95 offset1:96
	s_waitcnt vmcnt(14) lgkmcnt(1)
	v_fma_f64 v[103:104], v[119:120], v[103:104], v[113:114]
	s_waitcnt vmcnt(12)
	v_fma_f64 v[103:104], v[121:122], v[105:106], v[103:104]
	s_waitcnt vmcnt(10) lgkmcnt(0)
	v_fma_f64 v[103:104], v[123:124], v[107:108], v[103:104]
	s_waitcnt vmcnt(5)
	v_fma_f64 v[107:108], v[125:126], v[109:110], v[103:104]
	ds_read2_b64 v[103:106], v102 offset0:97 offset1:98
	ds_read_b64 v[109:110], v102 offset:792
	s_waitcnt vmcnt(4) lgkmcnt(1)
	v_fma_f64 v[103:104], v[131:132], v[103:104], v[107:108]
	s_waitcnt vmcnt(3)
	v_fma_f64 v[103:104], v[129:130], v[105:106], v[103:104]
	s_waitcnt vmcnt(2) lgkmcnt(0)
	v_fma_f64 v[103:104], v[127:128], v[109:110], v[103:104]
	s_waitcnt vmcnt(0)
	v_add_f64 v[103:104], v[111:112], -v[103:104]
	buffer_store_dword v104, off, s[0:3], 0 offset:308
	buffer_store_dword v103, off, s[0:3], 0 offset:304
	s_and_saveexec_b64 s[4:5], vcc
	s_cbranch_execz .LBB113_233
; %bb.232:
	buffer_load_dword v103, off, s[0:3], 0 offset:296
	buffer_load_dword v104, off, s[0:3], 0 offset:300
	s_waitcnt vmcnt(0)
	ds_write_b64 v101, v[103:104]
	buffer_store_dword v102, off, s[0:3], 0 offset:296
	buffer_store_dword v102, off, s[0:3], 0 offset:300
.LBB113_233:
	s_or_b64 exec, exec, s[4:5]
	s_waitcnt lgkmcnt(0)
	; wave barrier
	buffer_load_dword v111, off, s[0:3], 0 offset:304
	buffer_load_dword v112, off, s[0:3], 0 offset:308
	;; [unrolled: 1-line block ×21, first 2 shown]
	ds_read_b128 v[103:106], v102 offset:704
	ds_read_b128 v[107:110], v102 offset:720
	buffer_load_dword v128, off, s[0:3], 0 offset:388
	v_cmp_lt_u32_e32 vcc, 36, v0
	s_waitcnt vmcnt(20) lgkmcnt(1)
	v_fma_f64 v[103:104], v[111:112], v[103:104], 0
	buffer_load_dword v112, off, s[0:3], 0 offset:396
	buffer_load_dword v111, off, s[0:3], 0 offset:392
	s_waitcnt vmcnt(20)
	v_fma_f64 v[103:104], v[113:114], v[105:106], v[103:104]
	buffer_load_dword v113, off, s[0:3], 0 offset:296
	buffer_load_dword v114, off, s[0:3], 0 offset:300
	s_waitcnt vmcnt(20) lgkmcnt(0)
	v_fma_f64 v[103:104], v[115:116], v[107:108], v[103:104]
	s_waitcnt vmcnt(18)
	v_fma_f64 v[115:116], v[117:118], v[109:110], v[103:104]
	ds_read_b128 v[103:106], v102 offset:736
	ds_read_b128 v[107:110], v102 offset:752
	s_waitcnt vmcnt(16) lgkmcnt(1)
	v_fma_f64 v[103:104], v[119:120], v[103:104], v[115:116]
	s_waitcnt vmcnt(14)
	v_fma_f64 v[103:104], v[121:122], v[105:106], v[103:104]
	s_waitcnt vmcnt(12) lgkmcnt(0)
	v_fma_f64 v[103:104], v[123:124], v[107:108], v[103:104]
	s_waitcnt vmcnt(7)
	v_fma_f64 v[115:116], v[125:126], v[109:110], v[103:104]
	ds_read_b128 v[103:106], v102 offset:768
	ds_read_b128 v[107:110], v102 offset:784
	s_waitcnt vmcnt(6) lgkmcnt(1)
	v_fma_f64 v[102:103], v[131:132], v[103:104], v[115:116]
	s_waitcnt vmcnt(5)
	v_fma_f64 v[102:103], v[129:130], v[105:106], v[102:103]
	s_waitcnt vmcnt(4) lgkmcnt(0)
	v_fma_f64 v[102:103], v[127:128], v[107:108], v[102:103]
	s_waitcnt vmcnt(2)
	v_fma_f64 v[102:103], v[111:112], v[109:110], v[102:103]
	s_waitcnt vmcnt(0)
	v_add_f64 v[102:103], v[113:114], -v[102:103]
	buffer_store_dword v103, off, s[0:3], 0 offset:300
	buffer_store_dword v102, off, s[0:3], 0 offset:296
	s_and_saveexec_b64 s[4:5], vcc
	s_cbranch_execz .LBB113_235
; %bb.234:
	buffer_load_dword v102, off, s[0:3], 0 offset:288
	buffer_load_dword v103, off, s[0:3], 0 offset:292
	v_mov_b32_e32 v104, 0
	buffer_store_dword v104, off, s[0:3], 0 offset:288
	buffer_store_dword v104, off, s[0:3], 0 offset:292
	s_waitcnt vmcnt(2)
	ds_write_b64 v101, v[102:103]
.LBB113_235:
	s_or_b64 exec, exec, s[4:5]
	s_waitcnt lgkmcnt(0)
	; wave barrier
	buffer_load_dword v111, off, s[0:3], 0 offset:296
	buffer_load_dword v112, off, s[0:3], 0 offset:300
	;; [unrolled: 1-line block ×21, first 2 shown]
	v_mov_b32_e32 v102, 0
	ds_read2_b64 v[103:106], v102 offset0:87 offset1:88
	ds_read2_b64 v[107:110], v102 offset0:89 offset1:90
	buffer_load_dword v128, off, s[0:3], 0 offset:380
	v_cmp_lt_u32_e32 vcc, 35, v0
	s_waitcnt vmcnt(20) lgkmcnt(1)
	v_fma_f64 v[103:104], v[111:112], v[103:104], 0
	s_waitcnt vmcnt(18)
	v_fma_f64 v[103:104], v[113:114], v[105:106], v[103:104]
	buffer_load_dword v112, off, s[0:3], 0 offset:388
	buffer_load_dword v113, off, s[0:3], 0 offset:392
	;; [unrolled: 1-line block ×4, first 2 shown]
	s_waitcnt vmcnt(20) lgkmcnt(0)
	v_fma_f64 v[103:104], v[115:116], v[107:108], v[103:104]
	buffer_load_dword v115, off, s[0:3], 0 offset:288
	buffer_load_dword v116, off, s[0:3], 0 offset:292
	s_waitcnt vmcnt(20)
	v_fma_f64 v[117:118], v[117:118], v[109:110], v[103:104]
	ds_read2_b64 v[103:106], v102 offset0:91 offset1:92
	ds_read2_b64 v[107:110], v102 offset0:93 offset1:94
	s_waitcnt vmcnt(18) lgkmcnt(1)
	v_fma_f64 v[103:104], v[119:120], v[103:104], v[117:118]
	s_waitcnt vmcnt(16)
	v_fma_f64 v[103:104], v[121:122], v[105:106], v[103:104]
	s_waitcnt vmcnt(14) lgkmcnt(0)
	v_fma_f64 v[103:104], v[123:124], v[107:108], v[103:104]
	s_waitcnt vmcnt(9)
	v_fma_f64 v[117:118], v[125:126], v[109:110], v[103:104]
	ds_read2_b64 v[103:106], v102 offset0:95 offset1:96
	ds_read2_b64 v[107:110], v102 offset0:97 offset1:98
	s_waitcnt vmcnt(8) lgkmcnt(1)
	v_fma_f64 v[103:104], v[131:132], v[103:104], v[117:118]
	s_waitcnt vmcnt(7)
	v_fma_f64 v[103:104], v[129:130], v[105:106], v[103:104]
	ds_read_b64 v[105:106], v102 offset:792
	s_waitcnt vmcnt(6) lgkmcnt(1)
	v_fma_f64 v[103:104], v[127:128], v[107:108], v[103:104]
	s_waitcnt vmcnt(3)
	v_fma_f64 v[103:104], v[111:112], v[109:110], v[103:104]
	s_waitcnt vmcnt(2) lgkmcnt(0)
	v_fma_f64 v[103:104], v[113:114], v[105:106], v[103:104]
	s_waitcnt vmcnt(0)
	v_add_f64 v[103:104], v[115:116], -v[103:104]
	buffer_store_dword v104, off, s[0:3], 0 offset:292
	buffer_store_dword v103, off, s[0:3], 0 offset:288
	s_and_saveexec_b64 s[4:5], vcc
	s_cbranch_execz .LBB113_237
; %bb.236:
	buffer_load_dword v103, off, s[0:3], 0 offset:280
	buffer_load_dword v104, off, s[0:3], 0 offset:284
	s_waitcnt vmcnt(0)
	ds_write_b64 v101, v[103:104]
	buffer_store_dword v102, off, s[0:3], 0 offset:280
	buffer_store_dword v102, off, s[0:3], 0 offset:284
.LBB113_237:
	s_or_b64 exec, exec, s[4:5]
	s_waitcnt lgkmcnt(0)
	; wave barrier
	buffer_load_dword v111, off, s[0:3], 0 offset:288
	buffer_load_dword v112, off, s[0:3], 0 offset:292
	;; [unrolled: 1-line block ×22, first 2 shown]
	ds_read_b128 v[103:106], v102 offset:688
	ds_read_b128 v[107:110], v102 offset:704
	v_cmp_lt_u32_e32 vcc, 34, v0
	s_waitcnt vmcnt(20) lgkmcnt(1)
	v_fma_f64 v[103:104], v[111:112], v[103:104], 0
	s_waitcnt vmcnt(18)
	v_fma_f64 v[103:104], v[113:114], v[105:106], v[103:104]
	buffer_load_dword v112, off, s[0:3], 0 offset:380
	buffer_load_dword v113, off, s[0:3], 0 offset:392
	;; [unrolled: 1-line block ×6, first 2 shown]
	s_waitcnt vmcnt(22) lgkmcnt(0)
	v_fma_f64 v[103:104], v[115:116], v[107:108], v[103:104]
	s_waitcnt vmcnt(20)
	v_fma_f64 v[115:116], v[117:118], v[109:110], v[103:104]
	ds_read_b128 v[103:106], v102 offset:720
	buffer_load_dword v117, off, s[0:3], 0 offset:280
	buffer_load_dword v118, off, s[0:3], 0 offset:284
	ds_read_b128 v[107:110], v102 offset:736
	s_waitcnt vmcnt(20) lgkmcnt(1)
	v_fma_f64 v[103:104], v[119:120], v[103:104], v[115:116]
	s_waitcnt vmcnt(18)
	v_fma_f64 v[103:104], v[121:122], v[105:106], v[103:104]
	s_waitcnt vmcnt(16) lgkmcnt(0)
	v_fma_f64 v[103:104], v[123:124], v[107:108], v[103:104]
	s_waitcnt vmcnt(11)
	v_fma_f64 v[115:116], v[125:126], v[109:110], v[103:104]
	ds_read_b128 v[103:106], v102 offset:752
	ds_read_b128 v[107:110], v102 offset:768
	s_waitcnt vmcnt(10) lgkmcnt(1)
	v_fma_f64 v[103:104], v[131:132], v[103:104], v[115:116]
	s_waitcnt vmcnt(9)
	v_fma_f64 v[103:104], v[129:130], v[105:106], v[103:104]
	s_waitcnt vmcnt(8) lgkmcnt(0)
	v_fma_f64 v[103:104], v[127:128], v[107:108], v[103:104]
	s_waitcnt vmcnt(4)
	v_fma_f64 v[106:107], v[111:112], v[109:110], v[103:104]
	ds_read_b128 v[102:105], v102 offset:784
	s_waitcnt vmcnt(3) lgkmcnt(0)
	v_fma_f64 v[102:103], v[133:134], v[102:103], v[106:107]
	s_waitcnt vmcnt(2)
	v_fma_f64 v[102:103], v[113:114], v[104:105], v[102:103]
	s_waitcnt vmcnt(0)
	v_add_f64 v[102:103], v[117:118], -v[102:103]
	buffer_store_dword v103, off, s[0:3], 0 offset:284
	buffer_store_dword v102, off, s[0:3], 0 offset:280
	s_and_saveexec_b64 s[4:5], vcc
	s_cbranch_execz .LBB113_239
; %bb.238:
	buffer_load_dword v102, off, s[0:3], 0 offset:272
	buffer_load_dword v103, off, s[0:3], 0 offset:276
	v_mov_b32_e32 v104, 0
	buffer_store_dword v104, off, s[0:3], 0 offset:272
	buffer_store_dword v104, off, s[0:3], 0 offset:276
	s_waitcnt vmcnt(2)
	ds_write_b64 v101, v[102:103]
.LBB113_239:
	s_or_b64 exec, exec, s[4:5]
	s_waitcnt lgkmcnt(0)
	; wave barrier
	buffer_load_dword v111, off, s[0:3], 0 offset:280
	buffer_load_dword v112, off, s[0:3], 0 offset:284
	;; [unrolled: 1-line block ×22, first 2 shown]
	v_mov_b32_e32 v102, 0
	ds_read2_b64 v[103:106], v102 offset0:85 offset1:86
	ds_read2_b64 v[107:110], v102 offset0:87 offset1:88
	v_cmp_lt_u32_e32 vcc, 33, v0
	s_waitcnt vmcnt(20) lgkmcnt(1)
	v_fma_f64 v[103:104], v[111:112], v[103:104], 0
	s_waitcnt vmcnt(18)
	v_fma_f64 v[103:104], v[113:114], v[105:106], v[103:104]
	buffer_load_dword v112, off, s[0:3], 0 offset:372
	buffer_load_dword v113, off, s[0:3], 0 offset:392
	;; [unrolled: 1-line block ×8, first 2 shown]
	s_waitcnt vmcnt(24) lgkmcnt(0)
	v_fma_f64 v[103:104], v[115:116], v[107:108], v[103:104]
	s_waitcnt vmcnt(22)
	v_fma_f64 v[115:116], v[117:118], v[109:110], v[103:104]
	ds_read2_b64 v[103:106], v102 offset0:89 offset1:90
	ds_read2_b64 v[107:110], v102 offset0:91 offset1:92
	s_waitcnt vmcnt(20) lgkmcnt(1)
	v_fma_f64 v[103:104], v[119:120], v[103:104], v[115:116]
	buffer_load_dword v115, off, s[0:3], 0 offset:272
	buffer_load_dword v116, off, s[0:3], 0 offset:276
	s_waitcnt vmcnt(20)
	v_fma_f64 v[103:104], v[121:122], v[105:106], v[103:104]
	s_waitcnt vmcnt(18) lgkmcnt(0)
	v_fma_f64 v[103:104], v[123:124], v[107:108], v[103:104]
	s_waitcnt vmcnt(13)
	v_fma_f64 v[117:118], v[125:126], v[109:110], v[103:104]
	ds_read2_b64 v[103:106], v102 offset0:93 offset1:94
	ds_read2_b64 v[107:110], v102 offset0:95 offset1:96
	s_waitcnt vmcnt(12) lgkmcnt(1)
	v_fma_f64 v[103:104], v[131:132], v[103:104], v[117:118]
	s_waitcnt vmcnt(11)
	v_fma_f64 v[103:104], v[129:130], v[105:106], v[103:104]
	s_waitcnt vmcnt(10) lgkmcnt(0)
	v_fma_f64 v[103:104], v[127:128], v[107:108], v[103:104]
	s_waitcnt vmcnt(5)
	v_fma_f64 v[107:108], v[111:112], v[109:110], v[103:104]
	ds_read2_b64 v[103:106], v102 offset0:97 offset1:98
	ds_read_b64 v[109:110], v102 offset:792
	s_waitcnt vmcnt(4) lgkmcnt(1)
	v_fma_f64 v[103:104], v[135:136], v[103:104], v[107:108]
	s_waitcnt vmcnt(3)
	v_fma_f64 v[103:104], v[133:134], v[105:106], v[103:104]
	s_waitcnt vmcnt(2) lgkmcnt(0)
	v_fma_f64 v[103:104], v[113:114], v[109:110], v[103:104]
	s_waitcnt vmcnt(0)
	v_add_f64 v[103:104], v[115:116], -v[103:104]
	buffer_store_dword v104, off, s[0:3], 0 offset:276
	buffer_store_dword v103, off, s[0:3], 0 offset:272
	s_and_saveexec_b64 s[4:5], vcc
	s_cbranch_execz .LBB113_241
; %bb.240:
	buffer_load_dword v103, off, s[0:3], 0 offset:264
	buffer_load_dword v104, off, s[0:3], 0 offset:268
	s_waitcnt vmcnt(0)
	ds_write_b64 v101, v[103:104]
	buffer_store_dword v102, off, s[0:3], 0 offset:264
	buffer_store_dword v102, off, s[0:3], 0 offset:268
.LBB113_241:
	s_or_b64 exec, exec, s[4:5]
	s_waitcnt lgkmcnt(0)
	; wave barrier
	buffer_load_dword v111, off, s[0:3], 0 offset:272
	buffer_load_dword v112, off, s[0:3], 0 offset:276
	;; [unrolled: 1-line block ×22, first 2 shown]
	ds_read_b128 v[103:106], v102 offset:672
	ds_read_b128 v[107:110], v102 offset:688
	v_cmp_lt_u32_e32 vcc, 32, v0
	s_waitcnt vmcnt(20) lgkmcnt(1)
	v_fma_f64 v[103:104], v[111:112], v[103:104], 0
	s_waitcnt vmcnt(18)
	v_fma_f64 v[103:104], v[113:114], v[105:106], v[103:104]
	buffer_load_dword v112, off, s[0:3], 0 offset:364
	buffer_load_dword v113, off, s[0:3], 0 offset:384
	;; [unrolled: 1-line block ×8, first 2 shown]
	s_waitcnt vmcnt(24) lgkmcnt(0)
	v_fma_f64 v[103:104], v[115:116], v[107:108], v[103:104]
	s_waitcnt vmcnt(22)
	v_fma_f64 v[115:116], v[117:118], v[109:110], v[103:104]
	ds_read_b128 v[103:106], v102 offset:704
	ds_read_b128 v[107:110], v102 offset:720
	s_waitcnt vmcnt(20) lgkmcnt(1)
	v_fma_f64 v[103:104], v[119:120], v[103:104], v[115:116]
	buffer_load_dword v116, off, s[0:3], 0 offset:396
	buffer_load_dword v115, off, s[0:3], 0 offset:392
	;; [unrolled: 1-line block ×4, first 2 shown]
	s_waitcnt vmcnt(22)
	v_fma_f64 v[103:104], v[121:122], v[105:106], v[103:104]
	s_waitcnt vmcnt(20) lgkmcnt(0)
	v_fma_f64 v[103:104], v[123:124], v[107:108], v[103:104]
	s_waitcnt vmcnt(15)
	v_fma_f64 v[119:120], v[125:126], v[109:110], v[103:104]
	ds_read_b128 v[103:106], v102 offset:736
	ds_read_b128 v[107:110], v102 offset:752
	s_waitcnt vmcnt(14) lgkmcnt(1)
	v_fma_f64 v[103:104], v[131:132], v[103:104], v[119:120]
	s_waitcnt vmcnt(13)
	v_fma_f64 v[103:104], v[129:130], v[105:106], v[103:104]
	s_waitcnt vmcnt(12) lgkmcnt(0)
	v_fma_f64 v[103:104], v[127:128], v[107:108], v[103:104]
	s_waitcnt vmcnt(7)
	v_fma_f64 v[111:112], v[111:112], v[109:110], v[103:104]
	ds_read_b128 v[103:106], v102 offset:768
	ds_read_b128 v[107:110], v102 offset:784
	s_waitcnt vmcnt(6) lgkmcnt(1)
	v_fma_f64 v[102:103], v[135:136], v[103:104], v[111:112]
	s_waitcnt vmcnt(5)
	v_fma_f64 v[102:103], v[133:134], v[105:106], v[102:103]
	s_waitcnt vmcnt(4) lgkmcnt(0)
	v_fma_f64 v[102:103], v[113:114], v[107:108], v[102:103]
	s_waitcnt vmcnt(2)
	v_fma_f64 v[102:103], v[115:116], v[109:110], v[102:103]
	s_waitcnt vmcnt(0)
	v_add_f64 v[102:103], v[117:118], -v[102:103]
	buffer_store_dword v103, off, s[0:3], 0 offset:268
	buffer_store_dword v102, off, s[0:3], 0 offset:264
	s_and_saveexec_b64 s[4:5], vcc
	s_cbranch_execz .LBB113_243
; %bb.242:
	buffer_load_dword v102, off, s[0:3], 0 offset:256
	buffer_load_dword v103, off, s[0:3], 0 offset:260
	v_mov_b32_e32 v104, 0
	buffer_store_dword v104, off, s[0:3], 0 offset:256
	buffer_store_dword v104, off, s[0:3], 0 offset:260
	s_waitcnt vmcnt(2)
	ds_write_b64 v101, v[102:103]
.LBB113_243:
	s_or_b64 exec, exec, s[4:5]
	s_waitcnt lgkmcnt(0)
	; wave barrier
	buffer_load_dword v111, off, s[0:3], 0 offset:264
	buffer_load_dword v112, off, s[0:3], 0 offset:268
	;; [unrolled: 1-line block ×22, first 2 shown]
	v_mov_b32_e32 v102, 0
	ds_read2_b64 v[103:106], v102 offset0:83 offset1:84
	ds_read2_b64 v[107:110], v102 offset0:85 offset1:86
	v_cmp_lt_u32_e32 vcc, 31, v0
	s_waitcnt vmcnt(20) lgkmcnt(1)
	v_fma_f64 v[103:104], v[111:112], v[103:104], 0
	s_waitcnt vmcnt(18)
	v_fma_f64 v[103:104], v[113:114], v[105:106], v[103:104]
	buffer_load_dword v112, off, s[0:3], 0 offset:356
	buffer_load_dword v113, off, s[0:3], 0 offset:376
	;; [unrolled: 1-line block ×7, first 2 shown]
	s_waitcnt vmcnt(23) lgkmcnt(0)
	v_fma_f64 v[103:104], v[115:116], v[107:108], v[103:104]
	s_waitcnt vmcnt(21)
	v_fma_f64 v[114:115], v[117:118], v[109:110], v[103:104]
	ds_read2_b64 v[103:106], v102 offset0:87 offset1:88
	ds_read2_b64 v[107:110], v102 offset0:89 offset1:90
	s_waitcnt vmcnt(19) lgkmcnt(1)
	v_fma_f64 v[103:104], v[119:120], v[103:104], v[114:115]
	buffer_load_dword v114, off, s[0:3], 0 offset:380
	buffer_load_dword v116, off, s[0:3], 0 offset:388
	;; [unrolled: 1-line block ×7, first 2 shown]
	s_waitcnt vmcnt(24)
	v_fma_f64 v[103:104], v[121:122], v[105:106], v[103:104]
	s_waitcnt vmcnt(22) lgkmcnt(0)
	v_fma_f64 v[103:104], v[123:124], v[107:108], v[103:104]
	s_waitcnt vmcnt(17)
	v_fma_f64 v[121:122], v[125:126], v[109:110], v[103:104]
	ds_read2_b64 v[103:106], v102 offset0:91 offset1:92
	ds_read2_b64 v[107:110], v102 offset0:93 offset1:94
	s_waitcnt vmcnt(16) lgkmcnt(1)
	v_fma_f64 v[103:104], v[131:132], v[103:104], v[121:122]
	s_waitcnt vmcnt(15)
	v_fma_f64 v[103:104], v[129:130], v[105:106], v[103:104]
	s_waitcnt vmcnt(14) lgkmcnt(0)
	v_fma_f64 v[103:104], v[127:128], v[107:108], v[103:104]
	s_waitcnt vmcnt(9)
	v_fma_f64 v[111:112], v[111:112], v[109:110], v[103:104]
	ds_read2_b64 v[103:106], v102 offset0:95 offset1:96
	ds_read2_b64 v[107:110], v102 offset0:97 offset1:98
	s_waitcnt vmcnt(8) lgkmcnt(1)
	v_fma_f64 v[103:104], v[135:136], v[103:104], v[111:112]
	s_waitcnt vmcnt(7)
	v_fma_f64 v[103:104], v[133:134], v[105:106], v[103:104]
	ds_read_b64 v[105:106], v102 offset:792
	s_waitcnt vmcnt(6) lgkmcnt(1)
	v_fma_f64 v[103:104], v[113:114], v[107:108], v[103:104]
	s_waitcnt vmcnt(3)
	v_fma_f64 v[103:104], v[115:116], v[109:110], v[103:104]
	s_waitcnt vmcnt(2) lgkmcnt(0)
	v_fma_f64 v[103:104], v[117:118], v[105:106], v[103:104]
	s_waitcnt vmcnt(0)
	v_add_f64 v[103:104], v[119:120], -v[103:104]
	buffer_store_dword v104, off, s[0:3], 0 offset:260
	buffer_store_dword v103, off, s[0:3], 0 offset:256
	s_and_saveexec_b64 s[4:5], vcc
	s_cbranch_execz .LBB113_245
; %bb.244:
	buffer_load_dword v103, off, s[0:3], 0 offset:248
	buffer_load_dword v104, off, s[0:3], 0 offset:252
	s_waitcnt vmcnt(0)
	ds_write_b64 v101, v[103:104]
	buffer_store_dword v102, off, s[0:3], 0 offset:248
	buffer_store_dword v102, off, s[0:3], 0 offset:252
.LBB113_245:
	s_or_b64 exec, exec, s[4:5]
	s_waitcnt lgkmcnt(0)
	; wave barrier
	buffer_load_dword v111, off, s[0:3], 0 offset:256
	buffer_load_dword v112, off, s[0:3], 0 offset:260
	;; [unrolled: 1-line block ×22, first 2 shown]
	ds_read_b128 v[103:106], v102 offset:656
	ds_read_b128 v[107:110], v102 offset:672
	v_cmp_lt_u32_e32 vcc, 30, v0
	s_waitcnt vmcnt(20) lgkmcnt(1)
	v_fma_f64 v[103:104], v[111:112], v[103:104], 0
	s_waitcnt vmcnt(18)
	v_fma_f64 v[103:104], v[113:114], v[105:106], v[103:104]
	buffer_load_dword v112, off, s[0:3], 0 offset:348
	buffer_load_dword v113, off, s[0:3], 0 offset:368
	;; [unrolled: 1-line block ×7, first 2 shown]
	s_waitcnt vmcnt(23) lgkmcnt(0)
	v_fma_f64 v[103:104], v[115:116], v[107:108], v[103:104]
	s_waitcnt vmcnt(21)
	v_fma_f64 v[114:115], v[117:118], v[109:110], v[103:104]
	ds_read_b128 v[103:106], v102 offset:688
	ds_read_b128 v[107:110], v102 offset:704
	s_waitcnt vmcnt(19) lgkmcnt(1)
	v_fma_f64 v[103:104], v[119:120], v[103:104], v[114:115]
	buffer_load_dword v114, off, s[0:3], 0 offset:372
	buffer_load_dword v116, off, s[0:3], 0 offset:380
	;; [unrolled: 1-line block ×7, first 2 shown]
	s_waitcnt vmcnt(24)
	v_fma_f64 v[103:104], v[121:122], v[105:106], v[103:104]
	s_waitcnt vmcnt(22) lgkmcnt(0)
	v_fma_f64 v[103:104], v[123:124], v[107:108], v[103:104]
	s_waitcnt vmcnt(17)
	v_fma_f64 v[121:122], v[125:126], v[109:110], v[103:104]
	ds_read_b128 v[103:106], v102 offset:720
	buffer_load_dword v123, off, s[0:3], 0 offset:248
	buffer_load_dword v124, off, s[0:3], 0 offset:252
	ds_read_b128 v[107:110], v102 offset:736
	s_waitcnt vmcnt(18) lgkmcnt(1)
	v_fma_f64 v[103:104], v[131:132], v[103:104], v[121:122]
	s_waitcnt vmcnt(17)
	v_fma_f64 v[103:104], v[129:130], v[105:106], v[103:104]
	s_waitcnt vmcnt(16) lgkmcnt(0)
	v_fma_f64 v[103:104], v[127:128], v[107:108], v[103:104]
	s_waitcnt vmcnt(11)
	v_fma_f64 v[111:112], v[111:112], v[109:110], v[103:104]
	ds_read_b128 v[103:106], v102 offset:752
	ds_read_b128 v[107:110], v102 offset:768
	s_waitcnt vmcnt(10) lgkmcnt(1)
	v_fma_f64 v[103:104], v[135:136], v[103:104], v[111:112]
	s_waitcnt vmcnt(9)
	v_fma_f64 v[103:104], v[133:134], v[105:106], v[103:104]
	s_waitcnt vmcnt(8) lgkmcnt(0)
	v_fma_f64 v[103:104], v[113:114], v[107:108], v[103:104]
	s_waitcnt vmcnt(4)
	v_fma_f64 v[106:107], v[115:116], v[109:110], v[103:104]
	ds_read_b128 v[102:105], v102 offset:784
	s_waitcnt vmcnt(3) lgkmcnt(0)
	v_fma_f64 v[102:103], v[119:120], v[102:103], v[106:107]
	s_waitcnt vmcnt(2)
	v_fma_f64 v[102:103], v[117:118], v[104:105], v[102:103]
	s_waitcnt vmcnt(0)
	v_add_f64 v[102:103], v[123:124], -v[102:103]
	buffer_store_dword v103, off, s[0:3], 0 offset:252
	buffer_store_dword v102, off, s[0:3], 0 offset:248
	s_and_saveexec_b64 s[4:5], vcc
	s_cbranch_execz .LBB113_247
; %bb.246:
	buffer_load_dword v102, off, s[0:3], 0 offset:240
	buffer_load_dword v103, off, s[0:3], 0 offset:244
	v_mov_b32_e32 v104, 0
	buffer_store_dword v104, off, s[0:3], 0 offset:240
	buffer_store_dword v104, off, s[0:3], 0 offset:244
	s_waitcnt vmcnt(2)
	ds_write_b64 v101, v[102:103]
.LBB113_247:
	s_or_b64 exec, exec, s[4:5]
	s_waitcnt lgkmcnt(0)
	; wave barrier
	buffer_load_dword v111, off, s[0:3], 0 offset:248
	buffer_load_dword v112, off, s[0:3], 0 offset:252
	;; [unrolled: 1-line block ×22, first 2 shown]
	v_mov_b32_e32 v102, 0
	ds_read2_b64 v[103:106], v102 offset0:81 offset1:82
	ds_read2_b64 v[107:110], v102 offset0:83 offset1:84
	v_cmp_lt_u32_e32 vcc, 29, v0
	s_waitcnt vmcnt(20) lgkmcnt(1)
	v_fma_f64 v[103:104], v[111:112], v[103:104], 0
	s_waitcnt vmcnt(18)
	v_fma_f64 v[103:104], v[113:114], v[105:106], v[103:104]
	buffer_load_dword v112, off, s[0:3], 0 offset:340
	buffer_load_dword v113, off, s[0:3], 0 offset:360
	;; [unrolled: 1-line block ×7, first 2 shown]
	s_waitcnt vmcnt(23) lgkmcnt(0)
	v_fma_f64 v[103:104], v[115:116], v[107:108], v[103:104]
	s_waitcnt vmcnt(21)
	v_fma_f64 v[114:115], v[117:118], v[109:110], v[103:104]
	ds_read2_b64 v[103:106], v102 offset0:85 offset1:86
	ds_read2_b64 v[107:110], v102 offset0:87 offset1:88
	s_waitcnt vmcnt(19) lgkmcnt(1)
	v_fma_f64 v[103:104], v[119:120], v[103:104], v[114:115]
	buffer_load_dword v114, off, s[0:3], 0 offset:364
	s_waitcnt vmcnt(18)
	v_fma_f64 v[103:104], v[121:122], v[105:106], v[103:104]
	buffer_load_dword v116, off, s[0:3], 0 offset:372
	buffer_load_dword v117, off, s[0:3], 0 offset:392
	;; [unrolled: 1-line block ×8, first 2 shown]
	s_waitcnt vmcnt(24) lgkmcnt(0)
	v_fma_f64 v[103:104], v[123:124], v[107:108], v[103:104]
	s_waitcnt vmcnt(19)
	v_fma_f64 v[123:124], v[125:126], v[109:110], v[103:104]
	ds_read2_b64 v[103:106], v102 offset0:89 offset1:90
	ds_read2_b64 v[107:110], v102 offset0:91 offset1:92
	s_waitcnt vmcnt(18) lgkmcnt(1)
	v_fma_f64 v[103:104], v[131:132], v[103:104], v[123:124]
	buffer_load_dword v123, off, s[0:3], 0 offset:240
	buffer_load_dword v124, off, s[0:3], 0 offset:244
	s_waitcnt vmcnt(19)
	v_fma_f64 v[103:104], v[129:130], v[105:106], v[103:104]
	s_waitcnt vmcnt(18) lgkmcnt(0)
	v_fma_f64 v[103:104], v[127:128], v[107:108], v[103:104]
	s_waitcnt vmcnt(13)
	v_fma_f64 v[111:112], v[111:112], v[109:110], v[103:104]
	ds_read2_b64 v[103:106], v102 offset0:93 offset1:94
	ds_read2_b64 v[107:110], v102 offset0:95 offset1:96
	s_waitcnt vmcnt(12) lgkmcnt(1)
	v_fma_f64 v[103:104], v[135:136], v[103:104], v[111:112]
	s_waitcnt vmcnt(11)
	v_fma_f64 v[103:104], v[133:134], v[105:106], v[103:104]
	s_waitcnt vmcnt(10) lgkmcnt(0)
	v_fma_f64 v[103:104], v[113:114], v[107:108], v[103:104]
	s_waitcnt vmcnt(5)
	v_fma_f64 v[107:108], v[115:116], v[109:110], v[103:104]
	ds_read2_b64 v[103:106], v102 offset0:97 offset1:98
	ds_read_b64 v[109:110], v102 offset:792
	s_waitcnt vmcnt(4) lgkmcnt(1)
	v_fma_f64 v[103:104], v[121:122], v[103:104], v[107:108]
	s_waitcnt vmcnt(3)
	v_fma_f64 v[103:104], v[119:120], v[105:106], v[103:104]
	s_waitcnt vmcnt(2) lgkmcnt(0)
	v_fma_f64 v[103:104], v[117:118], v[109:110], v[103:104]
	s_waitcnt vmcnt(0)
	v_add_f64 v[103:104], v[123:124], -v[103:104]
	buffer_store_dword v104, off, s[0:3], 0 offset:244
	buffer_store_dword v103, off, s[0:3], 0 offset:240
	s_and_saveexec_b64 s[4:5], vcc
	s_cbranch_execz .LBB113_249
; %bb.248:
	buffer_load_dword v103, off, s[0:3], 0 offset:232
	buffer_load_dword v104, off, s[0:3], 0 offset:236
	s_waitcnt vmcnt(0)
	ds_write_b64 v101, v[103:104]
	buffer_store_dword v102, off, s[0:3], 0 offset:232
	buffer_store_dword v102, off, s[0:3], 0 offset:236
.LBB113_249:
	s_or_b64 exec, exec, s[4:5]
	s_waitcnt lgkmcnt(0)
	; wave barrier
	buffer_load_dword v111, off, s[0:3], 0 offset:240
	buffer_load_dword v112, off, s[0:3], 0 offset:244
	;; [unrolled: 1-line block ×22, first 2 shown]
	ds_read_b128 v[103:106], v102 offset:640
	ds_read_b128 v[107:110], v102 offset:656
	v_cmp_lt_u32_e32 vcc, 28, v0
	s_waitcnt vmcnt(20) lgkmcnt(1)
	v_fma_f64 v[103:104], v[111:112], v[103:104], 0
	s_waitcnt vmcnt(18)
	v_fma_f64 v[103:104], v[113:114], v[105:106], v[103:104]
	buffer_load_dword v112, off, s[0:3], 0 offset:332
	buffer_load_dword v113, off, s[0:3], 0 offset:352
	;; [unrolled: 1-line block ×7, first 2 shown]
	s_waitcnt vmcnt(23) lgkmcnt(0)
	v_fma_f64 v[103:104], v[115:116], v[107:108], v[103:104]
	s_waitcnt vmcnt(21)
	v_fma_f64 v[114:115], v[117:118], v[109:110], v[103:104]
	ds_read_b128 v[103:106], v102 offset:672
	ds_read_b128 v[107:110], v102 offset:688
	s_waitcnt vmcnt(19) lgkmcnt(1)
	v_fma_f64 v[103:104], v[119:120], v[103:104], v[114:115]
	buffer_load_dword v114, off, s[0:3], 0 offset:356
	s_waitcnt vmcnt(18)
	v_fma_f64 v[103:104], v[121:122], v[105:106], v[103:104]
	buffer_load_dword v116, off, s[0:3], 0 offset:364
	buffer_load_dword v117, off, s[0:3], 0 offset:384
	;; [unrolled: 1-line block ×8, first 2 shown]
	s_waitcnt vmcnt(24) lgkmcnt(0)
	v_fma_f64 v[103:104], v[123:124], v[107:108], v[103:104]
	s_waitcnt vmcnt(19)
	v_fma_f64 v[123:124], v[125:126], v[109:110], v[103:104]
	ds_read_b128 v[103:106], v102 offset:704
	ds_read_b128 v[107:110], v102 offset:720
	s_waitcnt vmcnt(18) lgkmcnt(1)
	v_fma_f64 v[103:104], v[131:132], v[103:104], v[123:124]
	buffer_load_dword v124, off, s[0:3], 0 offset:396
	buffer_load_dword v123, off, s[0:3], 0 offset:392
	;; [unrolled: 1-line block ×4, first 2 shown]
	s_waitcnt vmcnt(21)
	v_fma_f64 v[103:104], v[129:130], v[105:106], v[103:104]
	s_waitcnt vmcnt(20) lgkmcnt(0)
	v_fma_f64 v[103:104], v[127:128], v[107:108], v[103:104]
	s_waitcnt vmcnt(15)
	v_fma_f64 v[111:112], v[111:112], v[109:110], v[103:104]
	ds_read_b128 v[103:106], v102 offset:736
	ds_read_b128 v[107:110], v102 offset:752
	s_waitcnt vmcnt(14) lgkmcnt(1)
	v_fma_f64 v[103:104], v[135:136], v[103:104], v[111:112]
	s_waitcnt vmcnt(13)
	v_fma_f64 v[103:104], v[133:134], v[105:106], v[103:104]
	s_waitcnt vmcnt(12) lgkmcnt(0)
	v_fma_f64 v[103:104], v[113:114], v[107:108], v[103:104]
	s_waitcnt vmcnt(7)
	v_fma_f64 v[111:112], v[115:116], v[109:110], v[103:104]
	ds_read_b128 v[103:106], v102 offset:768
	ds_read_b128 v[107:110], v102 offset:784
	s_waitcnt vmcnt(6) lgkmcnt(1)
	v_fma_f64 v[102:103], v[121:122], v[103:104], v[111:112]
	s_waitcnt vmcnt(5)
	v_fma_f64 v[102:103], v[119:120], v[105:106], v[102:103]
	s_waitcnt vmcnt(4) lgkmcnt(0)
	v_fma_f64 v[102:103], v[117:118], v[107:108], v[102:103]
	s_waitcnt vmcnt(2)
	v_fma_f64 v[102:103], v[123:124], v[109:110], v[102:103]
	s_waitcnt vmcnt(0)
	v_add_f64 v[102:103], v[125:126], -v[102:103]
	buffer_store_dword v103, off, s[0:3], 0 offset:236
	buffer_store_dword v102, off, s[0:3], 0 offset:232
	s_and_saveexec_b64 s[4:5], vcc
	s_cbranch_execz .LBB113_251
; %bb.250:
	buffer_load_dword v102, off, s[0:3], 0 offset:224
	buffer_load_dword v103, off, s[0:3], 0 offset:228
	v_mov_b32_e32 v104, 0
	buffer_store_dword v104, off, s[0:3], 0 offset:224
	buffer_store_dword v104, off, s[0:3], 0 offset:228
	s_waitcnt vmcnt(2)
	ds_write_b64 v101, v[102:103]
.LBB113_251:
	s_or_b64 exec, exec, s[4:5]
	s_waitcnt lgkmcnt(0)
	; wave barrier
	buffer_load_dword v111, off, s[0:3], 0 offset:232
	buffer_load_dword v112, off, s[0:3], 0 offset:236
	buffer_load_dword v113, off, s[0:3], 0 offset:240
	buffer_load_dword v114, off, s[0:3], 0 offset:244
	buffer_load_dword v115, off, s[0:3], 0 offset:248
	buffer_load_dword v116, off, s[0:3], 0 offset:252
	buffer_load_dword v117, off, s[0:3], 0 offset:256
	buffer_load_dword v118, off, s[0:3], 0 offset:260
	buffer_load_dword v119, off, s[0:3], 0 offset:264
	buffer_load_dword v120, off, s[0:3], 0 offset:268
	buffer_load_dword v121, off, s[0:3], 0 offset:272
	buffer_load_dword v122, off, s[0:3], 0 offset:276
	buffer_load_dword v123, off, s[0:3], 0 offset:280
	buffer_load_dword v124, off, s[0:3], 0 offset:284
	buffer_load_dword v126, off, s[0:3], 0 offset:292
	buffer_load_dword v127, off, s[0:3], 0 offset:312
	buffer_load_dword v129, off, s[0:3], 0 offset:304
	buffer_load_dword v131, off, s[0:3], 0 offset:296
	buffer_load_dword v125, off, s[0:3], 0 offset:288
	buffer_load_dword v132, off, s[0:3], 0 offset:300
	buffer_load_dword v130, off, s[0:3], 0 offset:308
	v_mov_b32_e32 v102, 0
	ds_read2_b64 v[103:106], v102 offset0:79 offset1:80
	ds_read2_b64 v[107:110], v102 offset0:81 offset1:82
	buffer_load_dword v128, off, s[0:3], 0 offset:316
	v_cmp_lt_u32_e32 vcc, 27, v0
	s_waitcnt vmcnt(20) lgkmcnt(1)
	v_fma_f64 v[103:104], v[111:112], v[103:104], 0
	s_waitcnt vmcnt(18)
	v_fma_f64 v[103:104], v[113:114], v[105:106], v[103:104]
	buffer_load_dword v112, off, s[0:3], 0 offset:324
	buffer_load_dword v113, off, s[0:3], 0 offset:344
	;; [unrolled: 1-line block ×7, first 2 shown]
	s_waitcnt vmcnt(23) lgkmcnt(0)
	v_fma_f64 v[103:104], v[115:116], v[107:108], v[103:104]
	s_waitcnt vmcnt(21)
	v_fma_f64 v[114:115], v[117:118], v[109:110], v[103:104]
	ds_read2_b64 v[103:106], v102 offset0:83 offset1:84
	ds_read2_b64 v[107:110], v102 offset0:85 offset1:86
	s_waitcnt vmcnt(19) lgkmcnt(1)
	v_fma_f64 v[103:104], v[119:120], v[103:104], v[114:115]
	buffer_load_dword v114, off, s[0:3], 0 offset:348
	s_waitcnt vmcnt(18)
	v_fma_f64 v[103:104], v[121:122], v[105:106], v[103:104]
	buffer_load_dword v116, off, s[0:3], 0 offset:356
	buffer_load_dword v117, off, s[0:3], 0 offset:376
	;; [unrolled: 1-line block ×7, first 2 shown]
	s_waitcnt vmcnt(23) lgkmcnt(0)
	v_fma_f64 v[103:104], v[123:124], v[107:108], v[103:104]
	s_waitcnt vmcnt(18)
	v_fma_f64 v[123:124], v[125:126], v[109:110], v[103:104]
	ds_read2_b64 v[103:106], v102 offset0:87 offset1:88
	ds_read2_b64 v[107:110], v102 offset0:89 offset1:90
	buffer_load_dword v118, off, s[0:3], 0 offset:380
	s_waitcnt vmcnt(18) lgkmcnt(1)
	v_fma_f64 v[103:104], v[131:132], v[103:104], v[123:124]
	buffer_load_dword v124, off, s[0:3], 0 offset:388
	buffer_load_dword v125, off, s[0:3], 0 offset:392
	;; [unrolled: 1-line block ×4, first 2 shown]
	s_waitcnt vmcnt(21)
	v_fma_f64 v[103:104], v[129:130], v[105:106], v[103:104]
	s_waitcnt vmcnt(20) lgkmcnt(0)
	v_fma_f64 v[103:104], v[127:128], v[107:108], v[103:104]
	buffer_load_dword v127, off, s[0:3], 0 offset:224
	buffer_load_dword v128, off, s[0:3], 0 offset:228
	s_waitcnt vmcnt(17)
	v_fma_f64 v[111:112], v[111:112], v[109:110], v[103:104]
	ds_read2_b64 v[103:106], v102 offset0:91 offset1:92
	ds_read2_b64 v[107:110], v102 offset0:93 offset1:94
	s_waitcnt vmcnt(16) lgkmcnt(1)
	v_fma_f64 v[103:104], v[135:136], v[103:104], v[111:112]
	s_waitcnt vmcnt(15)
	v_fma_f64 v[103:104], v[133:134], v[105:106], v[103:104]
	s_waitcnt vmcnt(14) lgkmcnt(0)
	v_fma_f64 v[103:104], v[113:114], v[107:108], v[103:104]
	s_waitcnt vmcnt(9)
	v_fma_f64 v[111:112], v[115:116], v[109:110], v[103:104]
	ds_read2_b64 v[103:106], v102 offset0:95 offset1:96
	ds_read2_b64 v[107:110], v102 offset0:97 offset1:98
	s_waitcnt vmcnt(8) lgkmcnt(1)
	v_fma_f64 v[103:104], v[121:122], v[103:104], v[111:112]
	s_waitcnt vmcnt(7)
	v_fma_f64 v[103:104], v[119:120], v[105:106], v[103:104]
	ds_read_b64 v[105:106], v102 offset:792
	s_waitcnt vmcnt(6) lgkmcnt(1)
	v_fma_f64 v[103:104], v[117:118], v[107:108], v[103:104]
	s_waitcnt vmcnt(3)
	v_fma_f64 v[103:104], v[123:124], v[109:110], v[103:104]
	s_waitcnt vmcnt(2) lgkmcnt(0)
	v_fma_f64 v[103:104], v[125:126], v[105:106], v[103:104]
	s_waitcnt vmcnt(0)
	v_add_f64 v[103:104], v[127:128], -v[103:104]
	buffer_store_dword v104, off, s[0:3], 0 offset:228
	buffer_store_dword v103, off, s[0:3], 0 offset:224
	s_and_saveexec_b64 s[4:5], vcc
	s_cbranch_execz .LBB113_253
; %bb.252:
	buffer_load_dword v103, off, s[0:3], 0 offset:216
	buffer_load_dword v104, off, s[0:3], 0 offset:220
	s_waitcnt vmcnt(0)
	ds_write_b64 v101, v[103:104]
	buffer_store_dword v102, off, s[0:3], 0 offset:216
	buffer_store_dword v102, off, s[0:3], 0 offset:220
.LBB113_253:
	s_or_b64 exec, exec, s[4:5]
	s_waitcnt lgkmcnt(0)
	; wave barrier
	buffer_load_dword v111, off, s[0:3], 0 offset:224
	buffer_load_dword v112, off, s[0:3], 0 offset:228
	;; [unrolled: 1-line block ×21, first 2 shown]
	ds_read_b128 v[103:106], v102 offset:624
	ds_read_b128 v[107:110], v102 offset:640
	buffer_load_dword v128, off, s[0:3], 0 offset:308
	v_cmp_lt_u32_e32 vcc, 26, v0
	s_waitcnt vmcnt(20) lgkmcnt(1)
	v_fma_f64 v[103:104], v[111:112], v[103:104], 0
	s_waitcnt vmcnt(18)
	v_fma_f64 v[103:104], v[113:114], v[105:106], v[103:104]
	buffer_load_dword v112, off, s[0:3], 0 offset:316
	buffer_load_dword v113, off, s[0:3], 0 offset:336
	;; [unrolled: 1-line block ×7, first 2 shown]
	s_waitcnt vmcnt(23) lgkmcnt(0)
	v_fma_f64 v[103:104], v[115:116], v[107:108], v[103:104]
	s_waitcnt vmcnt(21)
	v_fma_f64 v[114:115], v[117:118], v[109:110], v[103:104]
	ds_read_b128 v[103:106], v102 offset:656
	ds_read_b128 v[107:110], v102 offset:672
	s_waitcnt vmcnt(19) lgkmcnt(1)
	v_fma_f64 v[103:104], v[119:120], v[103:104], v[114:115]
	buffer_load_dword v114, off, s[0:3], 0 offset:340
	s_waitcnt vmcnt(18)
	v_fma_f64 v[103:104], v[121:122], v[105:106], v[103:104]
	buffer_load_dword v116, off, s[0:3], 0 offset:348
	buffer_load_dword v117, off, s[0:3], 0 offset:368
	buffer_load_dword v119, off, s[0:3], 0 offset:360
	buffer_load_dword v121, off, s[0:3], 0 offset:352
	buffer_load_dword v115, off, s[0:3], 0 offset:344
	buffer_load_dword v122, off, s[0:3], 0 offset:356
	buffer_load_dword v120, off, s[0:3], 0 offset:364
	buffer_load_dword v118, off, s[0:3], 0 offset:372
	s_waitcnt vmcnt(24) lgkmcnt(0)
	v_fma_f64 v[103:104], v[123:124], v[107:108], v[103:104]
	s_waitcnt vmcnt(19)
	v_fma_f64 v[123:124], v[125:126], v[109:110], v[103:104]
	ds_read_b128 v[103:106], v102 offset:688
	ds_read_b128 v[107:110], v102 offset:704
	s_waitcnt vmcnt(18) lgkmcnt(1)
	v_fma_f64 v[103:104], v[131:132], v[103:104], v[123:124]
	s_waitcnt vmcnt(17)
	v_fma_f64 v[103:104], v[129:130], v[105:106], v[103:104]
	buffer_load_dword v124, off, s[0:3], 0 offset:380
	buffer_load_dword v125, off, s[0:3], 0 offset:392
	buffer_load_dword v129, off, s[0:3], 0 offset:384
	buffer_load_dword v123, off, s[0:3], 0 offset:376
	buffer_load_dword v130, off, s[0:3], 0 offset:388
	buffer_load_dword v126, off, s[0:3], 0 offset:396
	s_waitcnt vmcnt(22) lgkmcnt(0)
	v_fma_f64 v[103:104], v[127:128], v[107:108], v[103:104]
	s_waitcnt vmcnt(17)
	v_fma_f64 v[111:112], v[111:112], v[109:110], v[103:104]
	ds_read_b128 v[103:106], v102 offset:720
	buffer_load_dword v127, off, s[0:3], 0 offset:216
	buffer_load_dword v128, off, s[0:3], 0 offset:220
	ds_read_b128 v[107:110], v102 offset:736
	s_waitcnt vmcnt(18) lgkmcnt(1)
	v_fma_f64 v[103:104], v[135:136], v[103:104], v[111:112]
	s_waitcnt vmcnt(17)
	v_fma_f64 v[103:104], v[133:134], v[105:106], v[103:104]
	s_waitcnt vmcnt(16) lgkmcnt(0)
	v_fma_f64 v[103:104], v[113:114], v[107:108], v[103:104]
	s_waitcnt vmcnt(11)
	v_fma_f64 v[111:112], v[115:116], v[109:110], v[103:104]
	ds_read_b128 v[103:106], v102 offset:752
	ds_read_b128 v[107:110], v102 offset:768
	s_waitcnt vmcnt(10) lgkmcnt(1)
	v_fma_f64 v[103:104], v[121:122], v[103:104], v[111:112]
	s_waitcnt vmcnt(9)
	v_fma_f64 v[103:104], v[119:120], v[105:106], v[103:104]
	s_waitcnt vmcnt(8) lgkmcnt(0)
	v_fma_f64 v[103:104], v[117:118], v[107:108], v[103:104]
	s_waitcnt vmcnt(4)
	v_fma_f64 v[106:107], v[123:124], v[109:110], v[103:104]
	ds_read_b128 v[102:105], v102 offset:784
	s_waitcnt vmcnt(3) lgkmcnt(0)
	v_fma_f64 v[102:103], v[129:130], v[102:103], v[106:107]
	s_waitcnt vmcnt(2)
	v_fma_f64 v[102:103], v[125:126], v[104:105], v[102:103]
	s_waitcnt vmcnt(0)
	v_add_f64 v[102:103], v[127:128], -v[102:103]
	buffer_store_dword v103, off, s[0:3], 0 offset:220
	buffer_store_dword v102, off, s[0:3], 0 offset:216
	s_and_saveexec_b64 s[4:5], vcc
	s_cbranch_execz .LBB113_255
; %bb.254:
	buffer_load_dword v102, off, s[0:3], 0 offset:208
	buffer_load_dword v103, off, s[0:3], 0 offset:212
	v_mov_b32_e32 v104, 0
	buffer_store_dword v104, off, s[0:3], 0 offset:208
	buffer_store_dword v104, off, s[0:3], 0 offset:212
	s_waitcnt vmcnt(2)
	ds_write_b64 v101, v[102:103]
.LBB113_255:
	s_or_b64 exec, exec, s[4:5]
	s_waitcnt lgkmcnt(0)
	; wave barrier
	buffer_load_dword v111, off, s[0:3], 0 offset:216
	buffer_load_dword v112, off, s[0:3], 0 offset:220
	buffer_load_dword v113, off, s[0:3], 0 offset:224
	buffer_load_dword v114, off, s[0:3], 0 offset:228
	buffer_load_dword v115, off, s[0:3], 0 offset:232
	buffer_load_dword v116, off, s[0:3], 0 offset:236
	buffer_load_dword v117, off, s[0:3], 0 offset:240
	buffer_load_dword v118, off, s[0:3], 0 offset:244
	buffer_load_dword v119, off, s[0:3], 0 offset:248
	buffer_load_dword v120, off, s[0:3], 0 offset:252
	buffer_load_dword v121, off, s[0:3], 0 offset:256
	buffer_load_dword v122, off, s[0:3], 0 offset:260
	buffer_load_dword v123, off, s[0:3], 0 offset:264
	buffer_load_dword v124, off, s[0:3], 0 offset:268
	buffer_load_dword v126, off, s[0:3], 0 offset:276
	buffer_load_dword v127, off, s[0:3], 0 offset:296
	buffer_load_dword v129, off, s[0:3], 0 offset:288
	buffer_load_dword v131, off, s[0:3], 0 offset:280
	buffer_load_dword v125, off, s[0:3], 0 offset:272
	buffer_load_dword v132, off, s[0:3], 0 offset:284
	buffer_load_dword v130, off, s[0:3], 0 offset:292
	v_mov_b32_e32 v102, 0
	ds_read2_b64 v[103:106], v102 offset0:77 offset1:78
	ds_read2_b64 v[107:110], v102 offset0:79 offset1:80
	buffer_load_dword v128, off, s[0:3], 0 offset:300
	v_cmp_lt_u32_e32 vcc, 25, v0
	s_waitcnt vmcnt(20) lgkmcnt(1)
	v_fma_f64 v[103:104], v[111:112], v[103:104], 0
	s_waitcnt vmcnt(18)
	v_fma_f64 v[103:104], v[113:114], v[105:106], v[103:104]
	buffer_load_dword v112, off, s[0:3], 0 offset:308
	buffer_load_dword v113, off, s[0:3], 0 offset:328
	buffer_load_dword v133, off, s[0:3], 0 offset:320
	buffer_load_dword v135, off, s[0:3], 0 offset:312
	buffer_load_dword v111, off, s[0:3], 0 offset:304
	buffer_load_dword v136, off, s[0:3], 0 offset:316
	buffer_load_dword v134, off, s[0:3], 0 offset:324
	s_waitcnt vmcnt(23) lgkmcnt(0)
	v_fma_f64 v[103:104], v[115:116], v[107:108], v[103:104]
	s_waitcnt vmcnt(21)
	v_fma_f64 v[114:115], v[117:118], v[109:110], v[103:104]
	ds_read2_b64 v[103:106], v102 offset0:81 offset1:82
	ds_read2_b64 v[107:110], v102 offset0:83 offset1:84
	s_waitcnt vmcnt(19) lgkmcnt(1)
	v_fma_f64 v[103:104], v[119:120], v[103:104], v[114:115]
	buffer_load_dword v114, off, s[0:3], 0 offset:332
	s_waitcnt vmcnt(18)
	v_fma_f64 v[103:104], v[121:122], v[105:106], v[103:104]
	buffer_load_dword v116, off, s[0:3], 0 offset:340
	buffer_load_dword v117, off, s[0:3], 0 offset:360
	;; [unrolled: 1-line block ×8, first 2 shown]
	s_waitcnt vmcnt(24) lgkmcnt(0)
	v_fma_f64 v[103:104], v[123:124], v[107:108], v[103:104]
	s_waitcnt vmcnt(19)
	v_fma_f64 v[123:124], v[125:126], v[109:110], v[103:104]
	ds_read2_b64 v[103:106], v102 offset0:85 offset1:86
	ds_read2_b64 v[107:110], v102 offset0:87 offset1:88
	s_waitcnt vmcnt(18) lgkmcnt(1)
	v_fma_f64 v[103:104], v[131:132], v[103:104], v[123:124]
	s_waitcnt vmcnt(17)
	v_fma_f64 v[103:104], v[129:130], v[105:106], v[103:104]
	buffer_load_dword v124, off, s[0:3], 0 offset:372
	buffer_load_dword v125, off, s[0:3], 0 offset:392
	buffer_load_dword v129, off, s[0:3], 0 offset:384
	buffer_load_dword v131, off, s[0:3], 0 offset:376
	buffer_load_dword v123, off, s[0:3], 0 offset:368
	buffer_load_dword v132, off, s[0:3], 0 offset:380
	buffer_load_dword v130, off, s[0:3], 0 offset:388
	buffer_load_dword v126, off, s[0:3], 0 offset:396
	s_waitcnt vmcnt(24) lgkmcnt(0)
	v_fma_f64 v[103:104], v[127:128], v[107:108], v[103:104]
	s_waitcnt vmcnt(19)
	v_fma_f64 v[111:112], v[111:112], v[109:110], v[103:104]
	ds_read2_b64 v[103:106], v102 offset0:89 offset1:90
	ds_read2_b64 v[107:110], v102 offset0:91 offset1:92
	s_waitcnt vmcnt(18) lgkmcnt(1)
	v_fma_f64 v[103:104], v[135:136], v[103:104], v[111:112]
	buffer_load_dword v111, off, s[0:3], 0 offset:208
	buffer_load_dword v112, off, s[0:3], 0 offset:212
	s_waitcnt vmcnt(19)
	v_fma_f64 v[103:104], v[133:134], v[105:106], v[103:104]
	s_waitcnt vmcnt(18) lgkmcnt(0)
	v_fma_f64 v[103:104], v[113:114], v[107:108], v[103:104]
	s_waitcnt vmcnt(13)
	v_fma_f64 v[113:114], v[115:116], v[109:110], v[103:104]
	ds_read2_b64 v[103:106], v102 offset0:93 offset1:94
	ds_read2_b64 v[107:110], v102 offset0:95 offset1:96
	s_waitcnt vmcnt(12) lgkmcnt(1)
	v_fma_f64 v[103:104], v[121:122], v[103:104], v[113:114]
	s_waitcnt vmcnt(11)
	v_fma_f64 v[103:104], v[119:120], v[105:106], v[103:104]
	s_waitcnt vmcnt(10) lgkmcnt(0)
	v_fma_f64 v[103:104], v[117:118], v[107:108], v[103:104]
	s_waitcnt vmcnt(5)
	v_fma_f64 v[107:108], v[123:124], v[109:110], v[103:104]
	ds_read2_b64 v[103:106], v102 offset0:97 offset1:98
	ds_read_b64 v[109:110], v102 offset:792
	s_waitcnt vmcnt(4) lgkmcnt(1)
	v_fma_f64 v[103:104], v[131:132], v[103:104], v[107:108]
	s_waitcnt vmcnt(3)
	v_fma_f64 v[103:104], v[129:130], v[105:106], v[103:104]
	s_waitcnt vmcnt(2) lgkmcnt(0)
	v_fma_f64 v[103:104], v[125:126], v[109:110], v[103:104]
	s_waitcnt vmcnt(0)
	v_add_f64 v[103:104], v[111:112], -v[103:104]
	buffer_store_dword v104, off, s[0:3], 0 offset:212
	buffer_store_dword v103, off, s[0:3], 0 offset:208
	s_and_saveexec_b64 s[4:5], vcc
	s_cbranch_execz .LBB113_257
; %bb.256:
	buffer_load_dword v103, off, s[0:3], 0 offset:200
	buffer_load_dword v104, off, s[0:3], 0 offset:204
	s_waitcnt vmcnt(0)
	ds_write_b64 v101, v[103:104]
	buffer_store_dword v102, off, s[0:3], 0 offset:200
	buffer_store_dword v102, off, s[0:3], 0 offset:204
.LBB113_257:
	s_or_b64 exec, exec, s[4:5]
	s_waitcnt lgkmcnt(0)
	; wave barrier
	buffer_load_dword v111, off, s[0:3], 0 offset:208
	buffer_load_dword v112, off, s[0:3], 0 offset:212
	;; [unrolled: 1-line block ×21, first 2 shown]
	ds_read_b128 v[103:106], v102 offset:608
	ds_read_b128 v[107:110], v102 offset:624
	buffer_load_dword v128, off, s[0:3], 0 offset:292
	v_cmp_lt_u32_e32 vcc, 24, v0
	s_waitcnt vmcnt(20) lgkmcnt(1)
	v_fma_f64 v[103:104], v[111:112], v[103:104], 0
	s_waitcnt vmcnt(18)
	v_fma_f64 v[103:104], v[113:114], v[105:106], v[103:104]
	buffer_load_dword v112, off, s[0:3], 0 offset:300
	buffer_load_dword v113, off, s[0:3], 0 offset:320
	;; [unrolled: 1-line block ×7, first 2 shown]
	s_waitcnt vmcnt(23) lgkmcnt(0)
	v_fma_f64 v[103:104], v[115:116], v[107:108], v[103:104]
	s_waitcnt vmcnt(21)
	v_fma_f64 v[114:115], v[117:118], v[109:110], v[103:104]
	ds_read_b128 v[103:106], v102 offset:640
	ds_read_b128 v[107:110], v102 offset:656
	s_waitcnt vmcnt(19) lgkmcnt(1)
	v_fma_f64 v[103:104], v[119:120], v[103:104], v[114:115]
	buffer_load_dword v114, off, s[0:3], 0 offset:324
	s_waitcnt vmcnt(18)
	v_fma_f64 v[103:104], v[121:122], v[105:106], v[103:104]
	buffer_load_dword v116, off, s[0:3], 0 offset:332
	buffer_load_dword v117, off, s[0:3], 0 offset:352
	;; [unrolled: 1-line block ×8, first 2 shown]
	s_waitcnt vmcnt(24) lgkmcnt(0)
	v_fma_f64 v[103:104], v[123:124], v[107:108], v[103:104]
	s_waitcnt vmcnt(19)
	v_fma_f64 v[123:124], v[125:126], v[109:110], v[103:104]
	ds_read_b128 v[103:106], v102 offset:672
	ds_read_b128 v[107:110], v102 offset:688
	s_waitcnt vmcnt(18) lgkmcnt(1)
	v_fma_f64 v[103:104], v[131:132], v[103:104], v[123:124]
	s_waitcnt vmcnt(17)
	v_fma_f64 v[103:104], v[129:130], v[105:106], v[103:104]
	buffer_load_dword v124, off, s[0:3], 0 offset:364
	buffer_load_dword v125, off, s[0:3], 0 offset:384
	;; [unrolled: 1-line block ×8, first 2 shown]
	s_waitcnt vmcnt(24) lgkmcnt(0)
	v_fma_f64 v[103:104], v[127:128], v[107:108], v[103:104]
	s_waitcnt vmcnt(19)
	v_fma_f64 v[111:112], v[111:112], v[109:110], v[103:104]
	ds_read_b128 v[103:106], v102 offset:704
	ds_read_b128 v[107:110], v102 offset:720
	s_waitcnt vmcnt(18) lgkmcnt(1)
	v_fma_f64 v[103:104], v[135:136], v[103:104], v[111:112]
	buffer_load_dword v112, off, s[0:3], 0 offset:396
	buffer_load_dword v111, off, s[0:3], 0 offset:392
	buffer_load_dword v127, off, s[0:3], 0 offset:200
	buffer_load_dword v128, off, s[0:3], 0 offset:204
	s_waitcnt vmcnt(21)
	v_fma_f64 v[103:104], v[133:134], v[105:106], v[103:104]
	s_waitcnt vmcnt(20) lgkmcnt(0)
	v_fma_f64 v[103:104], v[113:114], v[107:108], v[103:104]
	s_waitcnt vmcnt(15)
	v_fma_f64 v[113:114], v[115:116], v[109:110], v[103:104]
	ds_read_b128 v[103:106], v102 offset:736
	ds_read_b128 v[107:110], v102 offset:752
	s_waitcnt vmcnt(14) lgkmcnt(1)
	v_fma_f64 v[103:104], v[121:122], v[103:104], v[113:114]
	s_waitcnt vmcnt(13)
	v_fma_f64 v[103:104], v[119:120], v[105:106], v[103:104]
	s_waitcnt vmcnt(12) lgkmcnt(0)
	v_fma_f64 v[103:104], v[117:118], v[107:108], v[103:104]
	s_waitcnt vmcnt(7)
	v_fma_f64 v[113:114], v[123:124], v[109:110], v[103:104]
	ds_read_b128 v[103:106], v102 offset:768
	ds_read_b128 v[107:110], v102 offset:784
	s_waitcnt vmcnt(6) lgkmcnt(1)
	v_fma_f64 v[102:103], v[131:132], v[103:104], v[113:114]
	s_waitcnt vmcnt(5)
	v_fma_f64 v[102:103], v[129:130], v[105:106], v[102:103]
	s_waitcnt vmcnt(4) lgkmcnt(0)
	v_fma_f64 v[102:103], v[125:126], v[107:108], v[102:103]
	s_waitcnt vmcnt(2)
	v_fma_f64 v[102:103], v[111:112], v[109:110], v[102:103]
	s_waitcnt vmcnt(0)
	v_add_f64 v[102:103], v[127:128], -v[102:103]
	buffer_store_dword v103, off, s[0:3], 0 offset:204
	buffer_store_dword v102, off, s[0:3], 0 offset:200
	s_and_saveexec_b64 s[4:5], vcc
	s_cbranch_execz .LBB113_259
; %bb.258:
	buffer_load_dword v102, off, s[0:3], 0 offset:192
	buffer_load_dword v103, off, s[0:3], 0 offset:196
	v_mov_b32_e32 v104, 0
	buffer_store_dword v104, off, s[0:3], 0 offset:192
	buffer_store_dword v104, off, s[0:3], 0 offset:196
	s_waitcnt vmcnt(2)
	ds_write_b64 v101, v[102:103]
.LBB113_259:
	s_or_b64 exec, exec, s[4:5]
	s_waitcnt lgkmcnt(0)
	; wave barrier
	buffer_load_dword v111, off, s[0:3], 0 offset:200
	buffer_load_dword v112, off, s[0:3], 0 offset:204
	buffer_load_dword v113, off, s[0:3], 0 offset:208
	buffer_load_dword v114, off, s[0:3], 0 offset:212
	buffer_load_dword v115, off, s[0:3], 0 offset:216
	buffer_load_dword v116, off, s[0:3], 0 offset:220
	buffer_load_dword v117, off, s[0:3], 0 offset:224
	buffer_load_dword v118, off, s[0:3], 0 offset:228
	buffer_load_dword v119, off, s[0:3], 0 offset:232
	buffer_load_dword v120, off, s[0:3], 0 offset:236
	buffer_load_dword v121, off, s[0:3], 0 offset:240
	buffer_load_dword v122, off, s[0:3], 0 offset:244
	buffer_load_dword v123, off, s[0:3], 0 offset:248
	buffer_load_dword v124, off, s[0:3], 0 offset:252
	buffer_load_dword v126, off, s[0:3], 0 offset:260
	buffer_load_dword v127, off, s[0:3], 0 offset:280
	buffer_load_dword v129, off, s[0:3], 0 offset:272
	buffer_load_dword v131, off, s[0:3], 0 offset:264
	buffer_load_dword v125, off, s[0:3], 0 offset:256
	buffer_load_dword v132, off, s[0:3], 0 offset:268
	buffer_load_dword v130, off, s[0:3], 0 offset:276
	v_mov_b32_e32 v102, 0
	ds_read2_b64 v[103:106], v102 offset0:75 offset1:76
	ds_read2_b64 v[107:110], v102 offset0:77 offset1:78
	buffer_load_dword v128, off, s[0:3], 0 offset:284
	v_cmp_lt_u32_e32 vcc, 23, v0
	s_waitcnt vmcnt(20) lgkmcnt(1)
	v_fma_f64 v[103:104], v[111:112], v[103:104], 0
	s_waitcnt vmcnt(18)
	v_fma_f64 v[103:104], v[113:114], v[105:106], v[103:104]
	buffer_load_dword v112, off, s[0:3], 0 offset:292
	buffer_load_dword v113, off, s[0:3], 0 offset:312
	;; [unrolled: 1-line block ×7, first 2 shown]
	s_waitcnt vmcnt(23) lgkmcnt(0)
	v_fma_f64 v[103:104], v[115:116], v[107:108], v[103:104]
	s_waitcnt vmcnt(21)
	v_fma_f64 v[114:115], v[117:118], v[109:110], v[103:104]
	ds_read2_b64 v[103:106], v102 offset0:79 offset1:80
	ds_read2_b64 v[107:110], v102 offset0:81 offset1:82
	s_waitcnt vmcnt(19) lgkmcnt(1)
	v_fma_f64 v[103:104], v[119:120], v[103:104], v[114:115]
	buffer_load_dword v114, off, s[0:3], 0 offset:316
	s_waitcnt vmcnt(18)
	v_fma_f64 v[103:104], v[121:122], v[105:106], v[103:104]
	buffer_load_dword v116, off, s[0:3], 0 offset:324
	buffer_load_dword v117, off, s[0:3], 0 offset:344
	buffer_load_dword v119, off, s[0:3], 0 offset:336
	buffer_load_dword v121, off, s[0:3], 0 offset:328
	buffer_load_dword v115, off, s[0:3], 0 offset:320
	buffer_load_dword v122, off, s[0:3], 0 offset:332
	buffer_load_dword v120, off, s[0:3], 0 offset:340
	buffer_load_dword v118, off, s[0:3], 0 offset:348
	s_waitcnt vmcnt(24) lgkmcnt(0)
	v_fma_f64 v[103:104], v[123:124], v[107:108], v[103:104]
	s_waitcnt vmcnt(19)
	v_fma_f64 v[123:124], v[125:126], v[109:110], v[103:104]
	ds_read2_b64 v[103:106], v102 offset0:83 offset1:84
	ds_read2_b64 v[107:110], v102 offset0:85 offset1:86
	s_waitcnt vmcnt(18) lgkmcnt(1)
	v_fma_f64 v[103:104], v[131:132], v[103:104], v[123:124]
	s_waitcnt vmcnt(17)
	v_fma_f64 v[103:104], v[129:130], v[105:106], v[103:104]
	buffer_load_dword v124, off, s[0:3], 0 offset:356
	buffer_load_dword v125, off, s[0:3], 0 offset:376
	;; [unrolled: 1-line block ×7, first 2 shown]
	s_waitcnt vmcnt(23) lgkmcnt(0)
	v_fma_f64 v[103:104], v[127:128], v[107:108], v[103:104]
	s_waitcnt vmcnt(18)
	v_fma_f64 v[111:112], v[111:112], v[109:110], v[103:104]
	ds_read2_b64 v[103:106], v102 offset0:87 offset1:88
	ds_read2_b64 v[107:110], v102 offset0:89 offset1:90
	buffer_load_dword v126, off, s[0:3], 0 offset:380
	s_waitcnt vmcnt(18) lgkmcnt(1)
	v_fma_f64 v[103:104], v[135:136], v[103:104], v[111:112]
	buffer_load_dword v112, off, s[0:3], 0 offset:388
	buffer_load_dword v127, off, s[0:3], 0 offset:392
	;; [unrolled: 1-line block ×4, first 2 shown]
	s_waitcnt vmcnt(21)
	v_fma_f64 v[103:104], v[133:134], v[105:106], v[103:104]
	s_waitcnt vmcnt(20) lgkmcnt(0)
	v_fma_f64 v[103:104], v[113:114], v[107:108], v[103:104]
	buffer_load_dword v113, off, s[0:3], 0 offset:192
	buffer_load_dword v114, off, s[0:3], 0 offset:196
	s_waitcnt vmcnt(17)
	v_fma_f64 v[115:116], v[115:116], v[109:110], v[103:104]
	ds_read2_b64 v[103:106], v102 offset0:91 offset1:92
	ds_read2_b64 v[107:110], v102 offset0:93 offset1:94
	s_waitcnt vmcnt(16) lgkmcnt(1)
	v_fma_f64 v[103:104], v[121:122], v[103:104], v[115:116]
	s_waitcnt vmcnt(15)
	v_fma_f64 v[103:104], v[119:120], v[105:106], v[103:104]
	s_waitcnt vmcnt(14) lgkmcnt(0)
	v_fma_f64 v[103:104], v[117:118], v[107:108], v[103:104]
	s_waitcnt vmcnt(9)
	v_fma_f64 v[115:116], v[123:124], v[109:110], v[103:104]
	ds_read2_b64 v[103:106], v102 offset0:95 offset1:96
	ds_read2_b64 v[107:110], v102 offset0:97 offset1:98
	s_waitcnt vmcnt(8) lgkmcnt(1)
	v_fma_f64 v[103:104], v[131:132], v[103:104], v[115:116]
	s_waitcnt vmcnt(7)
	v_fma_f64 v[103:104], v[129:130], v[105:106], v[103:104]
	ds_read_b64 v[105:106], v102 offset:792
	s_waitcnt vmcnt(6) lgkmcnt(1)
	v_fma_f64 v[103:104], v[125:126], v[107:108], v[103:104]
	s_waitcnt vmcnt(3)
	v_fma_f64 v[103:104], v[111:112], v[109:110], v[103:104]
	s_waitcnt vmcnt(2) lgkmcnt(0)
	v_fma_f64 v[103:104], v[127:128], v[105:106], v[103:104]
	s_waitcnt vmcnt(0)
	v_add_f64 v[103:104], v[113:114], -v[103:104]
	buffer_store_dword v104, off, s[0:3], 0 offset:196
	buffer_store_dword v103, off, s[0:3], 0 offset:192
	s_and_saveexec_b64 s[4:5], vcc
	s_cbranch_execz .LBB113_261
; %bb.260:
	buffer_load_dword v103, off, s[0:3], 0 offset:184
	buffer_load_dword v104, off, s[0:3], 0 offset:188
	s_waitcnt vmcnt(0)
	ds_write_b64 v101, v[103:104]
	buffer_store_dword v102, off, s[0:3], 0 offset:184
	buffer_store_dword v102, off, s[0:3], 0 offset:188
.LBB113_261:
	s_or_b64 exec, exec, s[4:5]
	s_waitcnt lgkmcnt(0)
	; wave barrier
	buffer_load_dword v111, off, s[0:3], 0 offset:192
	buffer_load_dword v112, off, s[0:3], 0 offset:196
	;; [unrolled: 1-line block ×22, first 2 shown]
	ds_read_b128 v[103:106], v102 offset:592
	ds_read_b128 v[107:110], v102 offset:608
	v_cmp_lt_u32_e32 vcc, 22, v0
	s_waitcnt vmcnt(20) lgkmcnt(1)
	v_fma_f64 v[103:104], v[111:112], v[103:104], 0
	s_waitcnt vmcnt(18)
	v_fma_f64 v[103:104], v[113:114], v[105:106], v[103:104]
	buffer_load_dword v112, off, s[0:3], 0 offset:284
	buffer_load_dword v113, off, s[0:3], 0 offset:304
	buffer_load_dword v133, off, s[0:3], 0 offset:296
	buffer_load_dword v135, off, s[0:3], 0 offset:288
	buffer_load_dword v111, off, s[0:3], 0 offset:280
	buffer_load_dword v136, off, s[0:3], 0 offset:292
	buffer_load_dword v134, off, s[0:3], 0 offset:300
	s_waitcnt vmcnt(23) lgkmcnt(0)
	v_fma_f64 v[103:104], v[115:116], v[107:108], v[103:104]
	s_waitcnt vmcnt(21)
	v_fma_f64 v[114:115], v[117:118], v[109:110], v[103:104]
	ds_read_b128 v[103:106], v102 offset:624
	ds_read_b128 v[107:110], v102 offset:640
	s_waitcnt vmcnt(19) lgkmcnt(1)
	v_fma_f64 v[103:104], v[119:120], v[103:104], v[114:115]
	buffer_load_dword v114, off, s[0:3], 0 offset:308
	s_waitcnt vmcnt(18)
	v_fma_f64 v[103:104], v[121:122], v[105:106], v[103:104]
	buffer_load_dword v116, off, s[0:3], 0 offset:316
	buffer_load_dword v117, off, s[0:3], 0 offset:336
	;; [unrolled: 1-line block ×8, first 2 shown]
	s_waitcnt vmcnt(24) lgkmcnt(0)
	v_fma_f64 v[103:104], v[123:124], v[107:108], v[103:104]
	s_waitcnt vmcnt(19)
	v_fma_f64 v[123:124], v[125:126], v[109:110], v[103:104]
	ds_read_b128 v[103:106], v102 offset:656
	ds_read_b128 v[107:110], v102 offset:672
	s_waitcnt vmcnt(18) lgkmcnt(1)
	v_fma_f64 v[103:104], v[131:132], v[103:104], v[123:124]
	s_waitcnt vmcnt(17)
	v_fma_f64 v[103:104], v[129:130], v[105:106], v[103:104]
	buffer_load_dword v124, off, s[0:3], 0 offset:348
	buffer_load_dword v125, off, s[0:3], 0 offset:368
	;; [unrolled: 1-line block ×8, first 2 shown]
	s_waitcnt vmcnt(24) lgkmcnt(0)
	v_fma_f64 v[103:104], v[127:128], v[107:108], v[103:104]
	s_waitcnt vmcnt(19)
	v_fma_f64 v[111:112], v[111:112], v[109:110], v[103:104]
	ds_read_b128 v[103:106], v102 offset:688
	ds_read_b128 v[107:110], v102 offset:704
	s_waitcnt vmcnt(18) lgkmcnt(1)
	v_fma_f64 v[103:104], v[135:136], v[103:104], v[111:112]
	s_waitcnt vmcnt(17)
	v_fma_f64 v[103:104], v[133:134], v[105:106], v[103:104]
	buffer_load_dword v112, off, s[0:3], 0 offset:380
	buffer_load_dword v127, off, s[0:3], 0 offset:392
	;; [unrolled: 1-line block ×6, first 2 shown]
	s_waitcnt vmcnt(22) lgkmcnt(0)
	v_fma_f64 v[103:104], v[113:114], v[107:108], v[103:104]
	s_waitcnt vmcnt(17)
	v_fma_f64 v[113:114], v[115:116], v[109:110], v[103:104]
	ds_read_b128 v[103:106], v102 offset:720
	buffer_load_dword v115, off, s[0:3], 0 offset:184
	buffer_load_dword v116, off, s[0:3], 0 offset:188
	ds_read_b128 v[107:110], v102 offset:736
	s_waitcnt vmcnt(18) lgkmcnt(1)
	v_fma_f64 v[103:104], v[121:122], v[103:104], v[113:114]
	s_waitcnt vmcnt(17)
	v_fma_f64 v[103:104], v[119:120], v[105:106], v[103:104]
	s_waitcnt vmcnt(16) lgkmcnt(0)
	v_fma_f64 v[103:104], v[117:118], v[107:108], v[103:104]
	s_waitcnt vmcnt(11)
	v_fma_f64 v[113:114], v[123:124], v[109:110], v[103:104]
	ds_read_b128 v[103:106], v102 offset:752
	ds_read_b128 v[107:110], v102 offset:768
	s_waitcnt vmcnt(10) lgkmcnt(1)
	v_fma_f64 v[103:104], v[131:132], v[103:104], v[113:114]
	s_waitcnt vmcnt(9)
	v_fma_f64 v[103:104], v[129:130], v[105:106], v[103:104]
	s_waitcnt vmcnt(8) lgkmcnt(0)
	v_fma_f64 v[103:104], v[125:126], v[107:108], v[103:104]
	s_waitcnt vmcnt(4)
	v_fma_f64 v[106:107], v[111:112], v[109:110], v[103:104]
	ds_read_b128 v[102:105], v102 offset:784
	s_waitcnt vmcnt(3) lgkmcnt(0)
	v_fma_f64 v[102:103], v[133:134], v[102:103], v[106:107]
	s_waitcnt vmcnt(2)
	v_fma_f64 v[102:103], v[127:128], v[104:105], v[102:103]
	s_waitcnt vmcnt(0)
	v_add_f64 v[102:103], v[115:116], -v[102:103]
	buffer_store_dword v103, off, s[0:3], 0 offset:188
	buffer_store_dword v102, off, s[0:3], 0 offset:184
	s_and_saveexec_b64 s[4:5], vcc
	s_cbranch_execz .LBB113_263
; %bb.262:
	buffer_load_dword v102, off, s[0:3], 0 offset:176
	buffer_load_dword v103, off, s[0:3], 0 offset:180
	v_mov_b32_e32 v104, 0
	buffer_store_dword v104, off, s[0:3], 0 offset:176
	buffer_store_dword v104, off, s[0:3], 0 offset:180
	s_waitcnt vmcnt(2)
	ds_write_b64 v101, v[102:103]
.LBB113_263:
	s_or_b64 exec, exec, s[4:5]
	s_waitcnt lgkmcnt(0)
	; wave barrier
	buffer_load_dword v111, off, s[0:3], 0 offset:184
	buffer_load_dword v112, off, s[0:3], 0 offset:188
	;; [unrolled: 1-line block ×22, first 2 shown]
	v_mov_b32_e32 v102, 0
	ds_read2_b64 v[103:106], v102 offset0:73 offset1:74
	ds_read2_b64 v[107:110], v102 offset0:75 offset1:76
	v_cmp_lt_u32_e32 vcc, 21, v0
	s_waitcnt vmcnt(20) lgkmcnt(1)
	v_fma_f64 v[103:104], v[111:112], v[103:104], 0
	s_waitcnt vmcnt(18)
	v_fma_f64 v[103:104], v[113:114], v[105:106], v[103:104]
	buffer_load_dword v112, off, s[0:3], 0 offset:276
	buffer_load_dword v113, off, s[0:3], 0 offset:296
	;; [unrolled: 1-line block ×7, first 2 shown]
	s_waitcnt vmcnt(23) lgkmcnt(0)
	v_fma_f64 v[103:104], v[115:116], v[107:108], v[103:104]
	s_waitcnt vmcnt(21)
	v_fma_f64 v[114:115], v[117:118], v[109:110], v[103:104]
	ds_read2_b64 v[103:106], v102 offset0:77 offset1:78
	ds_read2_b64 v[107:110], v102 offset0:79 offset1:80
	s_waitcnt vmcnt(19) lgkmcnt(1)
	v_fma_f64 v[103:104], v[119:120], v[103:104], v[114:115]
	buffer_load_dword v114, off, s[0:3], 0 offset:300
	s_waitcnt vmcnt(18)
	v_fma_f64 v[103:104], v[121:122], v[105:106], v[103:104]
	buffer_load_dword v116, off, s[0:3], 0 offset:308
	buffer_load_dword v117, off, s[0:3], 0 offset:328
	buffer_load_dword v119, off, s[0:3], 0 offset:320
	buffer_load_dword v121, off, s[0:3], 0 offset:312
	buffer_load_dword v115, off, s[0:3], 0 offset:304
	buffer_load_dword v122, off, s[0:3], 0 offset:316
	buffer_load_dword v120, off, s[0:3], 0 offset:324
	buffer_load_dword v118, off, s[0:3], 0 offset:332
	s_waitcnt vmcnt(24) lgkmcnt(0)
	v_fma_f64 v[103:104], v[123:124], v[107:108], v[103:104]
	s_waitcnt vmcnt(19)
	v_fma_f64 v[123:124], v[125:126], v[109:110], v[103:104]
	ds_read2_b64 v[103:106], v102 offset0:81 offset1:82
	ds_read2_b64 v[107:110], v102 offset0:83 offset1:84
	s_waitcnt vmcnt(18) lgkmcnt(1)
	v_fma_f64 v[103:104], v[131:132], v[103:104], v[123:124]
	s_waitcnt vmcnt(17)
	v_fma_f64 v[103:104], v[129:130], v[105:106], v[103:104]
	buffer_load_dword v124, off, s[0:3], 0 offset:340
	buffer_load_dword v125, off, s[0:3], 0 offset:360
	buffer_load_dword v129, off, s[0:3], 0 offset:352
	buffer_load_dword v131, off, s[0:3], 0 offset:344
	buffer_load_dword v123, off, s[0:3], 0 offset:336
	buffer_load_dword v132, off, s[0:3], 0 offset:348
	buffer_load_dword v130, off, s[0:3], 0 offset:356
	buffer_load_dword v126, off, s[0:3], 0 offset:364
	s_waitcnt vmcnt(24) lgkmcnt(0)
	v_fma_f64 v[103:104], v[127:128], v[107:108], v[103:104]
	s_waitcnt vmcnt(19)
	v_fma_f64 v[111:112], v[111:112], v[109:110], v[103:104]
	ds_read2_b64 v[103:106], v102 offset0:85 offset1:86
	ds_read2_b64 v[107:110], v102 offset0:87 offset1:88
	s_waitcnt vmcnt(18) lgkmcnt(1)
	v_fma_f64 v[103:104], v[135:136], v[103:104], v[111:112]
	;; [unrolled: 18-line block ×3, first 2 shown]
	buffer_load_dword v113, off, s[0:3], 0 offset:176
	buffer_load_dword v114, off, s[0:3], 0 offset:180
	s_waitcnt vmcnt(19)
	v_fma_f64 v[103:104], v[119:120], v[105:106], v[103:104]
	s_waitcnt vmcnt(18) lgkmcnt(0)
	v_fma_f64 v[103:104], v[117:118], v[107:108], v[103:104]
	s_waitcnt vmcnt(13)
	v_fma_f64 v[115:116], v[123:124], v[109:110], v[103:104]
	ds_read2_b64 v[103:106], v102 offset0:93 offset1:94
	ds_read2_b64 v[107:110], v102 offset0:95 offset1:96
	s_waitcnt vmcnt(12) lgkmcnt(1)
	v_fma_f64 v[103:104], v[131:132], v[103:104], v[115:116]
	s_waitcnt vmcnt(11)
	v_fma_f64 v[103:104], v[129:130], v[105:106], v[103:104]
	s_waitcnt vmcnt(10) lgkmcnt(0)
	v_fma_f64 v[103:104], v[125:126], v[107:108], v[103:104]
	s_waitcnt vmcnt(5)
	v_fma_f64 v[107:108], v[111:112], v[109:110], v[103:104]
	ds_read2_b64 v[103:106], v102 offset0:97 offset1:98
	ds_read_b64 v[109:110], v102 offset:792
	s_waitcnt vmcnt(4) lgkmcnt(1)
	v_fma_f64 v[103:104], v[135:136], v[103:104], v[107:108]
	s_waitcnt vmcnt(3)
	v_fma_f64 v[103:104], v[133:134], v[105:106], v[103:104]
	s_waitcnt vmcnt(2) lgkmcnt(0)
	v_fma_f64 v[103:104], v[127:128], v[109:110], v[103:104]
	s_waitcnt vmcnt(0)
	v_add_f64 v[103:104], v[113:114], -v[103:104]
	buffer_store_dword v104, off, s[0:3], 0 offset:180
	buffer_store_dword v103, off, s[0:3], 0 offset:176
	s_and_saveexec_b64 s[4:5], vcc
	s_cbranch_execz .LBB113_265
; %bb.264:
	buffer_load_dword v103, off, s[0:3], 0 offset:168
	buffer_load_dword v104, off, s[0:3], 0 offset:172
	s_waitcnt vmcnt(0)
	ds_write_b64 v101, v[103:104]
	buffer_store_dword v102, off, s[0:3], 0 offset:168
	buffer_store_dword v102, off, s[0:3], 0 offset:172
.LBB113_265:
	s_or_b64 exec, exec, s[4:5]
	s_waitcnt lgkmcnt(0)
	; wave barrier
	buffer_load_dword v111, off, s[0:3], 0 offset:176
	buffer_load_dword v112, off, s[0:3], 0 offset:180
	;; [unrolled: 1-line block ×22, first 2 shown]
	ds_read_b128 v[103:106], v102 offset:576
	ds_read_b128 v[107:110], v102 offset:592
	v_cmp_lt_u32_e32 vcc, 20, v0
	s_waitcnt vmcnt(20) lgkmcnt(1)
	v_fma_f64 v[103:104], v[111:112], v[103:104], 0
	s_waitcnt vmcnt(18)
	v_fma_f64 v[103:104], v[113:114], v[105:106], v[103:104]
	buffer_load_dword v112, off, s[0:3], 0 offset:268
	buffer_load_dword v113, off, s[0:3], 0 offset:288
	;; [unrolled: 1-line block ×7, first 2 shown]
	s_waitcnt vmcnt(23) lgkmcnt(0)
	v_fma_f64 v[103:104], v[115:116], v[107:108], v[103:104]
	s_waitcnt vmcnt(21)
	v_fma_f64 v[114:115], v[117:118], v[109:110], v[103:104]
	ds_read_b128 v[103:106], v102 offset:608
	ds_read_b128 v[107:110], v102 offset:624
	s_waitcnt vmcnt(19) lgkmcnt(1)
	v_fma_f64 v[103:104], v[119:120], v[103:104], v[114:115]
	buffer_load_dword v114, off, s[0:3], 0 offset:292
	s_waitcnt vmcnt(18)
	v_fma_f64 v[103:104], v[121:122], v[105:106], v[103:104]
	buffer_load_dword v116, off, s[0:3], 0 offset:300
	buffer_load_dword v117, off, s[0:3], 0 offset:320
	buffer_load_dword v119, off, s[0:3], 0 offset:312
	buffer_load_dword v121, off, s[0:3], 0 offset:304
	buffer_load_dword v115, off, s[0:3], 0 offset:296
	buffer_load_dword v122, off, s[0:3], 0 offset:308
	buffer_load_dword v120, off, s[0:3], 0 offset:316
	buffer_load_dword v118, off, s[0:3], 0 offset:324
	s_waitcnt vmcnt(24) lgkmcnt(0)
	v_fma_f64 v[103:104], v[123:124], v[107:108], v[103:104]
	s_waitcnt vmcnt(19)
	v_fma_f64 v[123:124], v[125:126], v[109:110], v[103:104]
	ds_read_b128 v[103:106], v102 offset:640
	ds_read_b128 v[107:110], v102 offset:656
	s_waitcnt vmcnt(18) lgkmcnt(1)
	v_fma_f64 v[103:104], v[131:132], v[103:104], v[123:124]
	s_waitcnt vmcnt(17)
	v_fma_f64 v[103:104], v[129:130], v[105:106], v[103:104]
	buffer_load_dword v124, off, s[0:3], 0 offset:332
	buffer_load_dword v125, off, s[0:3], 0 offset:352
	buffer_load_dword v129, off, s[0:3], 0 offset:344
	buffer_load_dword v131, off, s[0:3], 0 offset:336
	buffer_load_dword v123, off, s[0:3], 0 offset:328
	buffer_load_dword v132, off, s[0:3], 0 offset:340
	buffer_load_dword v130, off, s[0:3], 0 offset:348
	buffer_load_dword v126, off, s[0:3], 0 offset:356
	s_waitcnt vmcnt(24) lgkmcnt(0)
	v_fma_f64 v[103:104], v[127:128], v[107:108], v[103:104]
	s_waitcnt vmcnt(19)
	v_fma_f64 v[111:112], v[111:112], v[109:110], v[103:104]
	ds_read_b128 v[103:106], v102 offset:672
	ds_read_b128 v[107:110], v102 offset:688
	s_waitcnt vmcnt(18) lgkmcnt(1)
	v_fma_f64 v[103:104], v[135:136], v[103:104], v[111:112]
	;; [unrolled: 18-line block ×3, first 2 shown]
	buffer_load_dword v114, off, s[0:3], 0 offset:396
	buffer_load_dword v113, off, s[0:3], 0 offset:392
	buffer_load_dword v115, off, s[0:3], 0 offset:168
	buffer_load_dword v116, off, s[0:3], 0 offset:172
	s_waitcnt vmcnt(21)
	v_fma_f64 v[103:104], v[119:120], v[105:106], v[103:104]
	s_waitcnt vmcnt(20) lgkmcnt(0)
	v_fma_f64 v[103:104], v[117:118], v[107:108], v[103:104]
	s_waitcnt vmcnt(15)
	v_fma_f64 v[117:118], v[123:124], v[109:110], v[103:104]
	ds_read_b128 v[103:106], v102 offset:736
	ds_read_b128 v[107:110], v102 offset:752
	s_waitcnt vmcnt(14) lgkmcnt(1)
	v_fma_f64 v[103:104], v[131:132], v[103:104], v[117:118]
	s_waitcnt vmcnt(13)
	v_fma_f64 v[103:104], v[129:130], v[105:106], v[103:104]
	s_waitcnt vmcnt(12) lgkmcnt(0)
	v_fma_f64 v[103:104], v[125:126], v[107:108], v[103:104]
	s_waitcnt vmcnt(7)
	v_fma_f64 v[111:112], v[111:112], v[109:110], v[103:104]
	ds_read_b128 v[103:106], v102 offset:768
	ds_read_b128 v[107:110], v102 offset:784
	s_waitcnt vmcnt(6) lgkmcnt(1)
	v_fma_f64 v[102:103], v[135:136], v[103:104], v[111:112]
	s_waitcnt vmcnt(5)
	v_fma_f64 v[102:103], v[133:134], v[105:106], v[102:103]
	s_waitcnt vmcnt(4) lgkmcnt(0)
	v_fma_f64 v[102:103], v[127:128], v[107:108], v[102:103]
	s_waitcnt vmcnt(2)
	v_fma_f64 v[102:103], v[113:114], v[109:110], v[102:103]
	s_waitcnt vmcnt(0)
	v_add_f64 v[102:103], v[115:116], -v[102:103]
	buffer_store_dword v103, off, s[0:3], 0 offset:172
	buffer_store_dword v102, off, s[0:3], 0 offset:168
	s_and_saveexec_b64 s[4:5], vcc
	s_cbranch_execz .LBB113_267
; %bb.266:
	buffer_load_dword v102, off, s[0:3], 0 offset:160
	buffer_load_dword v103, off, s[0:3], 0 offset:164
	v_mov_b32_e32 v104, 0
	buffer_store_dword v104, off, s[0:3], 0 offset:160
	buffer_store_dword v104, off, s[0:3], 0 offset:164
	s_waitcnt vmcnt(2)
	ds_write_b64 v101, v[102:103]
.LBB113_267:
	s_or_b64 exec, exec, s[4:5]
	s_waitcnt lgkmcnt(0)
	; wave barrier
	buffer_load_dword v111, off, s[0:3], 0 offset:168
	buffer_load_dword v112, off, s[0:3], 0 offset:172
	;; [unrolled: 1-line block ×22, first 2 shown]
	v_mov_b32_e32 v102, 0
	ds_read2_b64 v[103:106], v102 offset0:71 offset1:72
	ds_read2_b64 v[107:110], v102 offset0:73 offset1:74
	v_cmp_lt_u32_e32 vcc, 19, v0
	s_waitcnt vmcnt(20) lgkmcnt(1)
	v_fma_f64 v[103:104], v[111:112], v[103:104], 0
	s_waitcnt vmcnt(18)
	v_fma_f64 v[103:104], v[113:114], v[105:106], v[103:104]
	buffer_load_dword v112, off, s[0:3], 0 offset:260
	buffer_load_dword v113, off, s[0:3], 0 offset:280
	;; [unrolled: 1-line block ×7, first 2 shown]
	s_waitcnt vmcnt(23) lgkmcnt(0)
	v_fma_f64 v[103:104], v[115:116], v[107:108], v[103:104]
	s_waitcnt vmcnt(21)
	v_fma_f64 v[114:115], v[117:118], v[109:110], v[103:104]
	ds_read2_b64 v[103:106], v102 offset0:75 offset1:76
	ds_read2_b64 v[107:110], v102 offset0:77 offset1:78
	s_waitcnt vmcnt(19) lgkmcnt(1)
	v_fma_f64 v[103:104], v[119:120], v[103:104], v[114:115]
	buffer_load_dword v114, off, s[0:3], 0 offset:284
	s_waitcnt vmcnt(18)
	v_fma_f64 v[103:104], v[121:122], v[105:106], v[103:104]
	buffer_load_dword v116, off, s[0:3], 0 offset:292
	buffer_load_dword v117, off, s[0:3], 0 offset:312
	;; [unrolled: 1-line block ×7, first 2 shown]
	s_waitcnt vmcnt(23) lgkmcnt(0)
	v_fma_f64 v[103:104], v[123:124], v[107:108], v[103:104]
	s_waitcnt vmcnt(18)
	v_fma_f64 v[123:124], v[125:126], v[109:110], v[103:104]
	ds_read2_b64 v[103:106], v102 offset0:79 offset1:80
	ds_read2_b64 v[107:110], v102 offset0:81 offset1:82
	buffer_load_dword v118, off, s[0:3], 0 offset:316
	s_waitcnt vmcnt(18) lgkmcnt(1)
	v_fma_f64 v[103:104], v[131:132], v[103:104], v[123:124]
	s_waitcnt vmcnt(17)
	v_fma_f64 v[103:104], v[129:130], v[105:106], v[103:104]
	buffer_load_dword v124, off, s[0:3], 0 offset:324
	buffer_load_dword v125, off, s[0:3], 0 offset:344
	;; [unrolled: 1-line block ×8, first 2 shown]
	s_waitcnt vmcnt(24) lgkmcnt(0)
	v_fma_f64 v[103:104], v[127:128], v[107:108], v[103:104]
	s_waitcnt vmcnt(19)
	v_fma_f64 v[111:112], v[111:112], v[109:110], v[103:104]
	ds_read2_b64 v[103:106], v102 offset0:83 offset1:84
	ds_read2_b64 v[107:110], v102 offset0:85 offset1:86
	s_waitcnt vmcnt(18) lgkmcnt(1)
	v_fma_f64 v[103:104], v[135:136], v[103:104], v[111:112]
	s_waitcnt vmcnt(17)
	v_fma_f64 v[103:104], v[133:134], v[105:106], v[103:104]
	buffer_load_dword v112, off, s[0:3], 0 offset:356
	buffer_load_dword v127, off, s[0:3], 0 offset:376
	;; [unrolled: 1-line block ×7, first 2 shown]
	s_waitcnt vmcnt(23) lgkmcnt(0)
	v_fma_f64 v[103:104], v[113:114], v[107:108], v[103:104]
	s_waitcnt vmcnt(18)
	v_fma_f64 v[113:114], v[115:116], v[109:110], v[103:104]
	ds_read2_b64 v[103:106], v102 offset0:87 offset1:88
	ds_read2_b64 v[107:110], v102 offset0:89 offset1:90
	buffer_load_dword v128, off, s[0:3], 0 offset:380
	s_waitcnt vmcnt(18) lgkmcnt(1)
	v_fma_f64 v[103:104], v[121:122], v[103:104], v[113:114]
	buffer_load_dword v114, off, s[0:3], 0 offset:388
	buffer_load_dword v115, off, s[0:3], 0 offset:392
	;; [unrolled: 1-line block ×4, first 2 shown]
	s_waitcnt vmcnt(21)
	v_fma_f64 v[103:104], v[119:120], v[105:106], v[103:104]
	s_waitcnt vmcnt(20) lgkmcnt(0)
	v_fma_f64 v[103:104], v[117:118], v[107:108], v[103:104]
	buffer_load_dword v117, off, s[0:3], 0 offset:160
	buffer_load_dword v118, off, s[0:3], 0 offset:164
	s_waitcnt vmcnt(17)
	v_fma_f64 v[119:120], v[123:124], v[109:110], v[103:104]
	ds_read2_b64 v[103:106], v102 offset0:91 offset1:92
	ds_read2_b64 v[107:110], v102 offset0:93 offset1:94
	s_waitcnt vmcnt(16) lgkmcnt(1)
	v_fma_f64 v[103:104], v[131:132], v[103:104], v[119:120]
	s_waitcnt vmcnt(15)
	v_fma_f64 v[103:104], v[129:130], v[105:106], v[103:104]
	s_waitcnt vmcnt(14) lgkmcnt(0)
	v_fma_f64 v[103:104], v[125:126], v[107:108], v[103:104]
	s_waitcnt vmcnt(9)
	v_fma_f64 v[111:112], v[111:112], v[109:110], v[103:104]
	ds_read2_b64 v[103:106], v102 offset0:95 offset1:96
	ds_read2_b64 v[107:110], v102 offset0:97 offset1:98
	s_waitcnt vmcnt(8) lgkmcnt(1)
	v_fma_f64 v[103:104], v[135:136], v[103:104], v[111:112]
	s_waitcnt vmcnt(7)
	v_fma_f64 v[103:104], v[133:134], v[105:106], v[103:104]
	ds_read_b64 v[105:106], v102 offset:792
	s_waitcnt vmcnt(6) lgkmcnt(1)
	v_fma_f64 v[103:104], v[127:128], v[107:108], v[103:104]
	s_waitcnt vmcnt(3)
	v_fma_f64 v[103:104], v[113:114], v[109:110], v[103:104]
	s_waitcnt vmcnt(2) lgkmcnt(0)
	v_fma_f64 v[103:104], v[115:116], v[105:106], v[103:104]
	s_waitcnt vmcnt(0)
	v_add_f64 v[103:104], v[117:118], -v[103:104]
	buffer_store_dword v104, off, s[0:3], 0 offset:164
	buffer_store_dword v103, off, s[0:3], 0 offset:160
	s_and_saveexec_b64 s[4:5], vcc
	s_cbranch_execz .LBB113_269
; %bb.268:
	buffer_load_dword v103, off, s[0:3], 0 offset:152
	buffer_load_dword v104, off, s[0:3], 0 offset:156
	s_waitcnt vmcnt(0)
	ds_write_b64 v101, v[103:104]
	buffer_store_dword v102, off, s[0:3], 0 offset:152
	buffer_store_dword v102, off, s[0:3], 0 offset:156
.LBB113_269:
	s_or_b64 exec, exec, s[4:5]
	s_waitcnt lgkmcnt(0)
	; wave barrier
	buffer_load_dword v111, off, s[0:3], 0 offset:160
	buffer_load_dword v112, off, s[0:3], 0 offset:164
	;; [unrolled: 1-line block ×22, first 2 shown]
	ds_read_b128 v[103:106], v102 offset:560
	ds_read_b128 v[107:110], v102 offset:576
	v_cmp_lt_u32_e32 vcc, 18, v0
	s_waitcnt vmcnt(20) lgkmcnt(1)
	v_fma_f64 v[103:104], v[111:112], v[103:104], 0
	s_waitcnt vmcnt(18)
	v_fma_f64 v[103:104], v[113:114], v[105:106], v[103:104]
	buffer_load_dword v112, off, s[0:3], 0 offset:252
	buffer_load_dword v113, off, s[0:3], 0 offset:272
	;; [unrolled: 1-line block ×7, first 2 shown]
	s_waitcnt vmcnt(23) lgkmcnt(0)
	v_fma_f64 v[103:104], v[115:116], v[107:108], v[103:104]
	s_waitcnt vmcnt(21)
	v_fma_f64 v[114:115], v[117:118], v[109:110], v[103:104]
	ds_read_b128 v[103:106], v102 offset:592
	ds_read_b128 v[107:110], v102 offset:608
	s_waitcnt vmcnt(19) lgkmcnt(1)
	v_fma_f64 v[103:104], v[119:120], v[103:104], v[114:115]
	buffer_load_dword v114, off, s[0:3], 0 offset:276
	s_waitcnt vmcnt(18)
	v_fma_f64 v[103:104], v[121:122], v[105:106], v[103:104]
	buffer_load_dword v116, off, s[0:3], 0 offset:284
	buffer_load_dword v117, off, s[0:3], 0 offset:304
	;; [unrolled: 1-line block ×7, first 2 shown]
	s_waitcnt vmcnt(23) lgkmcnt(0)
	v_fma_f64 v[103:104], v[123:124], v[107:108], v[103:104]
	s_waitcnt vmcnt(18)
	v_fma_f64 v[123:124], v[125:126], v[109:110], v[103:104]
	ds_read_b128 v[103:106], v102 offset:624
	ds_read_b128 v[107:110], v102 offset:640
	buffer_load_dword v118, off, s[0:3], 0 offset:308
	s_waitcnt vmcnt(18) lgkmcnt(1)
	v_fma_f64 v[103:104], v[131:132], v[103:104], v[123:124]
	s_waitcnt vmcnt(17)
	v_fma_f64 v[103:104], v[129:130], v[105:106], v[103:104]
	buffer_load_dword v124, off, s[0:3], 0 offset:316
	buffer_load_dword v125, off, s[0:3], 0 offset:336
	;; [unrolled: 1-line block ×8, first 2 shown]
	s_waitcnt vmcnt(24) lgkmcnt(0)
	v_fma_f64 v[103:104], v[127:128], v[107:108], v[103:104]
	s_waitcnt vmcnt(19)
	v_fma_f64 v[111:112], v[111:112], v[109:110], v[103:104]
	ds_read_b128 v[103:106], v102 offset:656
	ds_read_b128 v[107:110], v102 offset:672
	s_waitcnt vmcnt(18) lgkmcnt(1)
	v_fma_f64 v[103:104], v[135:136], v[103:104], v[111:112]
	s_waitcnt vmcnt(17)
	v_fma_f64 v[103:104], v[133:134], v[105:106], v[103:104]
	buffer_load_dword v112, off, s[0:3], 0 offset:348
	buffer_load_dword v127, off, s[0:3], 0 offset:368
	;; [unrolled: 1-line block ×8, first 2 shown]
	s_waitcnt vmcnt(24) lgkmcnt(0)
	v_fma_f64 v[103:104], v[113:114], v[107:108], v[103:104]
	s_waitcnt vmcnt(19)
	v_fma_f64 v[113:114], v[115:116], v[109:110], v[103:104]
	ds_read_b128 v[103:106], v102 offset:688
	ds_read_b128 v[107:110], v102 offset:704
	s_waitcnt vmcnt(18) lgkmcnt(1)
	v_fma_f64 v[103:104], v[121:122], v[103:104], v[113:114]
	s_waitcnt vmcnt(17)
	v_fma_f64 v[103:104], v[119:120], v[105:106], v[103:104]
	buffer_load_dword v114, off, s[0:3], 0 offset:380
	buffer_load_dword v115, off, s[0:3], 0 offset:392
	;; [unrolled: 1-line block ×6, first 2 shown]
	s_waitcnt vmcnt(22) lgkmcnt(0)
	v_fma_f64 v[103:104], v[117:118], v[107:108], v[103:104]
	s_waitcnt vmcnt(17)
	v_fma_f64 v[117:118], v[123:124], v[109:110], v[103:104]
	ds_read_b128 v[103:106], v102 offset:720
	buffer_load_dword v121, off, s[0:3], 0 offset:152
	buffer_load_dword v122, off, s[0:3], 0 offset:156
	ds_read_b128 v[107:110], v102 offset:736
	s_waitcnt vmcnt(18) lgkmcnt(1)
	v_fma_f64 v[103:104], v[131:132], v[103:104], v[117:118]
	s_waitcnt vmcnt(17)
	v_fma_f64 v[103:104], v[129:130], v[105:106], v[103:104]
	s_waitcnt vmcnt(16) lgkmcnt(0)
	v_fma_f64 v[103:104], v[125:126], v[107:108], v[103:104]
	s_waitcnt vmcnt(11)
	v_fma_f64 v[111:112], v[111:112], v[109:110], v[103:104]
	ds_read_b128 v[103:106], v102 offset:752
	ds_read_b128 v[107:110], v102 offset:768
	s_waitcnt vmcnt(10) lgkmcnt(1)
	v_fma_f64 v[103:104], v[135:136], v[103:104], v[111:112]
	s_waitcnt vmcnt(9)
	v_fma_f64 v[103:104], v[133:134], v[105:106], v[103:104]
	s_waitcnt vmcnt(8) lgkmcnt(0)
	v_fma_f64 v[103:104], v[127:128], v[107:108], v[103:104]
	s_waitcnt vmcnt(4)
	v_fma_f64 v[106:107], v[113:114], v[109:110], v[103:104]
	ds_read_b128 v[102:105], v102 offset:784
	s_waitcnt vmcnt(3) lgkmcnt(0)
	v_fma_f64 v[102:103], v[119:120], v[102:103], v[106:107]
	s_waitcnt vmcnt(2)
	v_fma_f64 v[102:103], v[115:116], v[104:105], v[102:103]
	s_waitcnt vmcnt(0)
	v_add_f64 v[102:103], v[121:122], -v[102:103]
	buffer_store_dword v103, off, s[0:3], 0 offset:156
	buffer_store_dword v102, off, s[0:3], 0 offset:152
	s_and_saveexec_b64 s[4:5], vcc
	s_cbranch_execz .LBB113_271
; %bb.270:
	buffer_load_dword v102, off, s[0:3], 0 offset:144
	buffer_load_dword v103, off, s[0:3], 0 offset:148
	v_mov_b32_e32 v104, 0
	buffer_store_dword v104, off, s[0:3], 0 offset:144
	buffer_store_dword v104, off, s[0:3], 0 offset:148
	s_waitcnt vmcnt(2)
	ds_write_b64 v101, v[102:103]
.LBB113_271:
	s_or_b64 exec, exec, s[4:5]
	s_waitcnt lgkmcnt(0)
	; wave barrier
	buffer_load_dword v111, off, s[0:3], 0 offset:152
	buffer_load_dword v112, off, s[0:3], 0 offset:156
	;; [unrolled: 1-line block ×22, first 2 shown]
	v_mov_b32_e32 v102, 0
	ds_read2_b64 v[103:106], v102 offset0:69 offset1:70
	ds_read2_b64 v[107:110], v102 offset0:71 offset1:72
	v_cmp_lt_u32_e32 vcc, 17, v0
	s_waitcnt vmcnt(20) lgkmcnt(1)
	v_fma_f64 v[103:104], v[111:112], v[103:104], 0
	s_waitcnt vmcnt(18)
	v_fma_f64 v[103:104], v[113:114], v[105:106], v[103:104]
	buffer_load_dword v112, off, s[0:3], 0 offset:244
	buffer_load_dword v113, off, s[0:3], 0 offset:264
	buffer_load_dword v133, off, s[0:3], 0 offset:256
	buffer_load_dword v135, off, s[0:3], 0 offset:248
	buffer_load_dword v111, off, s[0:3], 0 offset:240
	buffer_load_dword v136, off, s[0:3], 0 offset:252
	buffer_load_dword v134, off, s[0:3], 0 offset:260
	s_waitcnt vmcnt(23) lgkmcnt(0)
	v_fma_f64 v[103:104], v[115:116], v[107:108], v[103:104]
	s_waitcnt vmcnt(21)
	v_fma_f64 v[114:115], v[117:118], v[109:110], v[103:104]
	ds_read2_b64 v[103:106], v102 offset0:73 offset1:74
	ds_read2_b64 v[107:110], v102 offset0:75 offset1:76
	s_waitcnt vmcnt(19) lgkmcnt(1)
	v_fma_f64 v[103:104], v[119:120], v[103:104], v[114:115]
	buffer_load_dword v114, off, s[0:3], 0 offset:268
	s_waitcnt vmcnt(18)
	v_fma_f64 v[103:104], v[121:122], v[105:106], v[103:104]
	buffer_load_dword v116, off, s[0:3], 0 offset:276
	buffer_load_dword v117, off, s[0:3], 0 offset:296
	;; [unrolled: 1-line block ×7, first 2 shown]
	s_waitcnt vmcnt(23) lgkmcnt(0)
	v_fma_f64 v[103:104], v[123:124], v[107:108], v[103:104]
	s_waitcnt vmcnt(18)
	v_fma_f64 v[123:124], v[125:126], v[109:110], v[103:104]
	ds_read2_b64 v[103:106], v102 offset0:77 offset1:78
	ds_read2_b64 v[107:110], v102 offset0:79 offset1:80
	buffer_load_dword v118, off, s[0:3], 0 offset:300
	s_waitcnt vmcnt(18) lgkmcnt(1)
	v_fma_f64 v[103:104], v[131:132], v[103:104], v[123:124]
	s_waitcnt vmcnt(17)
	v_fma_f64 v[103:104], v[129:130], v[105:106], v[103:104]
	buffer_load_dword v124, off, s[0:3], 0 offset:308
	buffer_load_dword v125, off, s[0:3], 0 offset:328
	buffer_load_dword v129, off, s[0:3], 0 offset:320
	buffer_load_dword v131, off, s[0:3], 0 offset:312
	buffer_load_dword v123, off, s[0:3], 0 offset:304
	buffer_load_dword v132, off, s[0:3], 0 offset:316
	buffer_load_dword v130, off, s[0:3], 0 offset:324
	buffer_load_dword v126, off, s[0:3], 0 offset:332
	s_waitcnt vmcnt(24) lgkmcnt(0)
	v_fma_f64 v[103:104], v[127:128], v[107:108], v[103:104]
	s_waitcnt vmcnt(19)
	v_fma_f64 v[111:112], v[111:112], v[109:110], v[103:104]
	ds_read2_b64 v[103:106], v102 offset0:81 offset1:82
	ds_read2_b64 v[107:110], v102 offset0:83 offset1:84
	s_waitcnt vmcnt(18) lgkmcnt(1)
	v_fma_f64 v[103:104], v[135:136], v[103:104], v[111:112]
	s_waitcnt vmcnt(17)
	v_fma_f64 v[103:104], v[133:134], v[105:106], v[103:104]
	buffer_load_dword v112, off, s[0:3], 0 offset:340
	buffer_load_dword v127, off, s[0:3], 0 offset:360
	buffer_load_dword v133, off, s[0:3], 0 offset:352
	buffer_load_dword v135, off, s[0:3], 0 offset:344
	buffer_load_dword v111, off, s[0:3], 0 offset:336
	buffer_load_dword v136, off, s[0:3], 0 offset:348
	buffer_load_dword v134, off, s[0:3], 0 offset:356
	buffer_load_dword v128, off, s[0:3], 0 offset:364
	s_waitcnt vmcnt(24) lgkmcnt(0)
	v_fma_f64 v[103:104], v[113:114], v[107:108], v[103:104]
	s_waitcnt vmcnt(19)
	v_fma_f64 v[113:114], v[115:116], v[109:110], v[103:104]
	ds_read2_b64 v[103:106], v102 offset0:85 offset1:86
	ds_read2_b64 v[107:110], v102 offset0:87 offset1:88
	;; [unrolled: 18-line block ×3, first 2 shown]
	s_waitcnt vmcnt(18) lgkmcnt(1)
	v_fma_f64 v[103:104], v[131:132], v[103:104], v[117:118]
	buffer_load_dword v117, off, s[0:3], 0 offset:144
	buffer_load_dword v118, off, s[0:3], 0 offset:148
	s_waitcnt vmcnt(19)
	v_fma_f64 v[103:104], v[129:130], v[105:106], v[103:104]
	s_waitcnt vmcnt(18) lgkmcnt(0)
	v_fma_f64 v[103:104], v[125:126], v[107:108], v[103:104]
	s_waitcnt vmcnt(13)
	v_fma_f64 v[111:112], v[111:112], v[109:110], v[103:104]
	ds_read2_b64 v[103:106], v102 offset0:93 offset1:94
	ds_read2_b64 v[107:110], v102 offset0:95 offset1:96
	s_waitcnt vmcnt(12) lgkmcnt(1)
	v_fma_f64 v[103:104], v[135:136], v[103:104], v[111:112]
	s_waitcnt vmcnt(11)
	v_fma_f64 v[103:104], v[133:134], v[105:106], v[103:104]
	s_waitcnt vmcnt(10) lgkmcnt(0)
	v_fma_f64 v[103:104], v[127:128], v[107:108], v[103:104]
	s_waitcnt vmcnt(5)
	v_fma_f64 v[107:108], v[113:114], v[109:110], v[103:104]
	ds_read2_b64 v[103:106], v102 offset0:97 offset1:98
	ds_read_b64 v[109:110], v102 offset:792
	s_waitcnt vmcnt(4) lgkmcnt(1)
	v_fma_f64 v[103:104], v[121:122], v[103:104], v[107:108]
	s_waitcnt vmcnt(3)
	v_fma_f64 v[103:104], v[119:120], v[105:106], v[103:104]
	s_waitcnt vmcnt(2) lgkmcnt(0)
	v_fma_f64 v[103:104], v[115:116], v[109:110], v[103:104]
	s_waitcnt vmcnt(0)
	v_add_f64 v[103:104], v[117:118], -v[103:104]
	buffer_store_dword v104, off, s[0:3], 0 offset:148
	buffer_store_dword v103, off, s[0:3], 0 offset:144
	s_and_saveexec_b64 s[4:5], vcc
	s_cbranch_execz .LBB113_273
; %bb.272:
	buffer_load_dword v103, off, s[0:3], 0 offset:136
	buffer_load_dword v104, off, s[0:3], 0 offset:140
	s_waitcnt vmcnt(0)
	ds_write_b64 v101, v[103:104]
	buffer_store_dword v102, off, s[0:3], 0 offset:136
	buffer_store_dword v102, off, s[0:3], 0 offset:140
.LBB113_273:
	s_or_b64 exec, exec, s[4:5]
	s_waitcnt lgkmcnt(0)
	; wave barrier
	buffer_load_dword v111, off, s[0:3], 0 offset:144
	buffer_load_dword v112, off, s[0:3], 0 offset:148
	;; [unrolled: 1-line block ×22, first 2 shown]
	ds_read_b128 v[103:106], v102 offset:544
	ds_read_b128 v[107:110], v102 offset:560
	v_cmp_lt_u32_e32 vcc, 16, v0
	s_waitcnt vmcnt(20) lgkmcnt(1)
	v_fma_f64 v[103:104], v[111:112], v[103:104], 0
	s_waitcnt vmcnt(18)
	v_fma_f64 v[103:104], v[113:114], v[105:106], v[103:104]
	buffer_load_dword v112, off, s[0:3], 0 offset:236
	buffer_load_dword v113, off, s[0:3], 0 offset:256
	;; [unrolled: 1-line block ×7, first 2 shown]
	s_waitcnt vmcnt(23) lgkmcnt(0)
	v_fma_f64 v[103:104], v[115:116], v[107:108], v[103:104]
	s_waitcnt vmcnt(21)
	v_fma_f64 v[114:115], v[117:118], v[109:110], v[103:104]
	ds_read_b128 v[103:106], v102 offset:576
	ds_read_b128 v[107:110], v102 offset:592
	s_waitcnt vmcnt(19) lgkmcnt(1)
	v_fma_f64 v[103:104], v[119:120], v[103:104], v[114:115]
	buffer_load_dword v114, off, s[0:3], 0 offset:260
	s_waitcnt vmcnt(18)
	v_fma_f64 v[103:104], v[121:122], v[105:106], v[103:104]
	buffer_load_dword v116, off, s[0:3], 0 offset:268
	buffer_load_dword v117, off, s[0:3], 0 offset:288
	buffer_load_dword v119, off, s[0:3], 0 offset:280
	buffer_load_dword v121, off, s[0:3], 0 offset:272
	buffer_load_dword v115, off, s[0:3], 0 offset:264
	buffer_load_dword v122, off, s[0:3], 0 offset:276
	buffer_load_dword v120, off, s[0:3], 0 offset:284
	s_waitcnt vmcnt(23) lgkmcnt(0)
	v_fma_f64 v[103:104], v[123:124], v[107:108], v[103:104]
	s_waitcnt vmcnt(18)
	v_fma_f64 v[123:124], v[125:126], v[109:110], v[103:104]
	ds_read_b128 v[103:106], v102 offset:608
	ds_read_b128 v[107:110], v102 offset:624
	buffer_load_dword v118, off, s[0:3], 0 offset:292
	s_waitcnt vmcnt(18) lgkmcnt(1)
	v_fma_f64 v[103:104], v[131:132], v[103:104], v[123:124]
	s_waitcnt vmcnt(17)
	v_fma_f64 v[103:104], v[129:130], v[105:106], v[103:104]
	buffer_load_dword v124, off, s[0:3], 0 offset:300
	buffer_load_dword v125, off, s[0:3], 0 offset:320
	buffer_load_dword v129, off, s[0:3], 0 offset:312
	buffer_load_dword v131, off, s[0:3], 0 offset:304
	buffer_load_dword v123, off, s[0:3], 0 offset:296
	buffer_load_dword v132, off, s[0:3], 0 offset:308
	buffer_load_dword v130, off, s[0:3], 0 offset:316
	buffer_load_dword v126, off, s[0:3], 0 offset:324
	s_waitcnt vmcnt(24) lgkmcnt(0)
	v_fma_f64 v[103:104], v[127:128], v[107:108], v[103:104]
	s_waitcnt vmcnt(19)
	v_fma_f64 v[111:112], v[111:112], v[109:110], v[103:104]
	ds_read_b128 v[103:106], v102 offset:640
	ds_read_b128 v[107:110], v102 offset:656
	s_waitcnt vmcnt(18) lgkmcnt(1)
	v_fma_f64 v[103:104], v[135:136], v[103:104], v[111:112]
	s_waitcnt vmcnt(17)
	v_fma_f64 v[103:104], v[133:134], v[105:106], v[103:104]
	buffer_load_dword v112, off, s[0:3], 0 offset:332
	buffer_load_dword v127, off, s[0:3], 0 offset:352
	buffer_load_dword v133, off, s[0:3], 0 offset:344
	buffer_load_dword v135, off, s[0:3], 0 offset:336
	buffer_load_dword v111, off, s[0:3], 0 offset:328
	buffer_load_dword v136, off, s[0:3], 0 offset:340
	buffer_load_dword v134, off, s[0:3], 0 offset:348
	buffer_load_dword v128, off, s[0:3], 0 offset:356
	s_waitcnt vmcnt(24) lgkmcnt(0)
	v_fma_f64 v[103:104], v[113:114], v[107:108], v[103:104]
	s_waitcnt vmcnt(19)
	v_fma_f64 v[113:114], v[115:116], v[109:110], v[103:104]
	ds_read_b128 v[103:106], v102 offset:672
	ds_read_b128 v[107:110], v102 offset:688
	;; [unrolled: 18-line block ×3, first 2 shown]
	s_waitcnt vmcnt(18) lgkmcnt(1)
	v_fma_f64 v[103:104], v[131:132], v[103:104], v[117:118]
	buffer_load_dword v118, off, s[0:3], 0 offset:396
	buffer_load_dword v117, off, s[0:3], 0 offset:392
	;; [unrolled: 1-line block ×4, first 2 shown]
	s_waitcnt vmcnt(21)
	v_fma_f64 v[103:104], v[129:130], v[105:106], v[103:104]
	s_waitcnt vmcnt(20) lgkmcnt(0)
	v_fma_f64 v[103:104], v[125:126], v[107:108], v[103:104]
	s_waitcnt vmcnt(15)
	v_fma_f64 v[111:112], v[111:112], v[109:110], v[103:104]
	ds_read_b128 v[103:106], v102 offset:736
	ds_read_b128 v[107:110], v102 offset:752
	s_waitcnt vmcnt(14) lgkmcnt(1)
	v_fma_f64 v[103:104], v[135:136], v[103:104], v[111:112]
	s_waitcnt vmcnt(13)
	v_fma_f64 v[103:104], v[133:134], v[105:106], v[103:104]
	s_waitcnt vmcnt(12) lgkmcnt(0)
	v_fma_f64 v[103:104], v[127:128], v[107:108], v[103:104]
	s_waitcnt vmcnt(7)
	v_fma_f64 v[111:112], v[113:114], v[109:110], v[103:104]
	ds_read_b128 v[103:106], v102 offset:768
	ds_read_b128 v[107:110], v102 offset:784
	s_waitcnt vmcnt(6) lgkmcnt(1)
	v_fma_f64 v[102:103], v[121:122], v[103:104], v[111:112]
	s_waitcnt vmcnt(5)
	v_fma_f64 v[102:103], v[119:120], v[105:106], v[102:103]
	s_waitcnt vmcnt(4) lgkmcnt(0)
	v_fma_f64 v[102:103], v[115:116], v[107:108], v[102:103]
	s_waitcnt vmcnt(2)
	v_fma_f64 v[102:103], v[117:118], v[109:110], v[102:103]
	s_waitcnt vmcnt(0)
	v_add_f64 v[102:103], v[123:124], -v[102:103]
	buffer_store_dword v103, off, s[0:3], 0 offset:140
	buffer_store_dword v102, off, s[0:3], 0 offset:136
	s_and_saveexec_b64 s[4:5], vcc
	s_cbranch_execz .LBB113_275
; %bb.274:
	buffer_load_dword v102, off, s[0:3], 0 offset:128
	buffer_load_dword v103, off, s[0:3], 0 offset:132
	v_mov_b32_e32 v104, 0
	buffer_store_dword v104, off, s[0:3], 0 offset:128
	buffer_store_dword v104, off, s[0:3], 0 offset:132
	s_waitcnt vmcnt(2)
	ds_write_b64 v101, v[102:103]
.LBB113_275:
	s_or_b64 exec, exec, s[4:5]
	s_waitcnt lgkmcnt(0)
	; wave barrier
	buffer_load_dword v111, off, s[0:3], 0 offset:136
	buffer_load_dword v112, off, s[0:3], 0 offset:140
	;; [unrolled: 1-line block ×21, first 2 shown]
	v_mov_b32_e32 v102, 0
	ds_read2_b64 v[103:106], v102 offset0:67 offset1:68
	ds_read2_b64 v[107:110], v102 offset0:69 offset1:70
	buffer_load_dword v128, off, s[0:3], 0 offset:220
	v_cmp_lt_u32_e32 vcc, 15, v0
	s_waitcnt vmcnt(20) lgkmcnt(1)
	v_fma_f64 v[103:104], v[111:112], v[103:104], 0
	s_waitcnt vmcnt(18)
	v_fma_f64 v[103:104], v[113:114], v[105:106], v[103:104]
	buffer_load_dword v112, off, s[0:3], 0 offset:228
	buffer_load_dword v113, off, s[0:3], 0 offset:248
	;; [unrolled: 1-line block ×7, first 2 shown]
	s_waitcnt vmcnt(23) lgkmcnt(0)
	v_fma_f64 v[103:104], v[115:116], v[107:108], v[103:104]
	s_waitcnt vmcnt(21)
	v_fma_f64 v[114:115], v[117:118], v[109:110], v[103:104]
	ds_read2_b64 v[103:106], v102 offset0:71 offset1:72
	ds_read2_b64 v[107:110], v102 offset0:73 offset1:74
	s_waitcnt vmcnt(19) lgkmcnt(1)
	v_fma_f64 v[103:104], v[119:120], v[103:104], v[114:115]
	buffer_load_dword v114, off, s[0:3], 0 offset:252
	s_waitcnt vmcnt(18)
	v_fma_f64 v[103:104], v[121:122], v[105:106], v[103:104]
	buffer_load_dword v116, off, s[0:3], 0 offset:260
	buffer_load_dword v117, off, s[0:3], 0 offset:280
	buffer_load_dword v119, off, s[0:3], 0 offset:272
	buffer_load_dword v121, off, s[0:3], 0 offset:264
	buffer_load_dword v115, off, s[0:3], 0 offset:256
	buffer_load_dword v122, off, s[0:3], 0 offset:268
	buffer_load_dword v120, off, s[0:3], 0 offset:276
	s_waitcnt vmcnt(23) lgkmcnt(0)
	v_fma_f64 v[103:104], v[123:124], v[107:108], v[103:104]
	s_waitcnt vmcnt(18)
	v_fma_f64 v[123:124], v[125:126], v[109:110], v[103:104]
	ds_read2_b64 v[103:106], v102 offset0:75 offset1:76
	ds_read2_b64 v[107:110], v102 offset0:77 offset1:78
	buffer_load_dword v118, off, s[0:3], 0 offset:284
	s_waitcnt vmcnt(18) lgkmcnt(1)
	v_fma_f64 v[103:104], v[131:132], v[103:104], v[123:124]
	s_waitcnt vmcnt(17)
	v_fma_f64 v[103:104], v[129:130], v[105:106], v[103:104]
	buffer_load_dword v124, off, s[0:3], 0 offset:292
	buffer_load_dword v125, off, s[0:3], 0 offset:312
	;; [unrolled: 1-line block ×7, first 2 shown]
	s_waitcnt vmcnt(23) lgkmcnt(0)
	v_fma_f64 v[103:104], v[127:128], v[107:108], v[103:104]
	s_waitcnt vmcnt(18)
	v_fma_f64 v[111:112], v[111:112], v[109:110], v[103:104]
	ds_read2_b64 v[103:106], v102 offset0:79 offset1:80
	ds_read2_b64 v[107:110], v102 offset0:81 offset1:82
	buffer_load_dword v126, off, s[0:3], 0 offset:316
	s_waitcnt vmcnt(18) lgkmcnt(1)
	v_fma_f64 v[103:104], v[135:136], v[103:104], v[111:112]
	s_waitcnt vmcnt(17)
	v_fma_f64 v[103:104], v[133:134], v[105:106], v[103:104]
	buffer_load_dword v112, off, s[0:3], 0 offset:324
	buffer_load_dword v127, off, s[0:3], 0 offset:344
	buffer_load_dword v133, off, s[0:3], 0 offset:336
	buffer_load_dword v135, off, s[0:3], 0 offset:328
	buffer_load_dword v111, off, s[0:3], 0 offset:320
	buffer_load_dword v136, off, s[0:3], 0 offset:332
	buffer_load_dword v134, off, s[0:3], 0 offset:340
	buffer_load_dword v128, off, s[0:3], 0 offset:348
	s_waitcnt vmcnt(24) lgkmcnt(0)
	v_fma_f64 v[103:104], v[113:114], v[107:108], v[103:104]
	s_waitcnt vmcnt(19)
	v_fma_f64 v[113:114], v[115:116], v[109:110], v[103:104]
	ds_read2_b64 v[103:106], v102 offset0:83 offset1:84
	ds_read2_b64 v[107:110], v102 offset0:85 offset1:86
	s_waitcnt vmcnt(18) lgkmcnt(1)
	v_fma_f64 v[103:104], v[121:122], v[103:104], v[113:114]
	s_waitcnt vmcnt(17)
	v_fma_f64 v[103:104], v[119:120], v[105:106], v[103:104]
	buffer_load_dword v114, off, s[0:3], 0 offset:356
	buffer_load_dword v115, off, s[0:3], 0 offset:376
	;; [unrolled: 1-line block ×7, first 2 shown]
	s_waitcnt vmcnt(23) lgkmcnt(0)
	v_fma_f64 v[103:104], v[117:118], v[107:108], v[103:104]
	s_waitcnt vmcnt(18)
	v_fma_f64 v[116:117], v[123:124], v[109:110], v[103:104]
	ds_read2_b64 v[103:106], v102 offset0:87 offset1:88
	ds_read2_b64 v[107:110], v102 offset0:89 offset1:90
	s_waitcnt vmcnt(17) lgkmcnt(1)
	v_fma_f64 v[103:104], v[131:132], v[103:104], v[116:117]
	buffer_load_dword v116, off, s[0:3], 0 offset:380
	buffer_load_dword v118, off, s[0:3], 0 offset:388
	;; [unrolled: 1-line block ×5, first 2 shown]
	s_waitcnt vmcnt(21)
	v_fma_f64 v[103:104], v[129:130], v[105:106], v[103:104]
	s_waitcnt vmcnt(20) lgkmcnt(0)
	v_fma_f64 v[103:104], v[125:126], v[107:108], v[103:104]
	buffer_load_dword v125, off, s[0:3], 0 offset:128
	buffer_load_dword v126, off, s[0:3], 0 offset:132
	s_waitcnt vmcnt(17)
	v_fma_f64 v[111:112], v[111:112], v[109:110], v[103:104]
	ds_read2_b64 v[103:106], v102 offset0:91 offset1:92
	ds_read2_b64 v[107:110], v102 offset0:93 offset1:94
	s_waitcnt vmcnt(16) lgkmcnt(1)
	v_fma_f64 v[103:104], v[135:136], v[103:104], v[111:112]
	s_waitcnt vmcnt(15)
	v_fma_f64 v[103:104], v[133:134], v[105:106], v[103:104]
	s_waitcnt vmcnt(14) lgkmcnt(0)
	v_fma_f64 v[103:104], v[127:128], v[107:108], v[103:104]
	s_waitcnt vmcnt(9)
	v_fma_f64 v[111:112], v[113:114], v[109:110], v[103:104]
	ds_read2_b64 v[103:106], v102 offset0:95 offset1:96
	ds_read2_b64 v[107:110], v102 offset0:97 offset1:98
	s_waitcnt vmcnt(8) lgkmcnt(1)
	v_fma_f64 v[103:104], v[121:122], v[103:104], v[111:112]
	s_waitcnt vmcnt(7)
	v_fma_f64 v[103:104], v[119:120], v[105:106], v[103:104]
	ds_read_b64 v[105:106], v102 offset:792
	s_waitcnt vmcnt(6) lgkmcnt(1)
	v_fma_f64 v[103:104], v[115:116], v[107:108], v[103:104]
	s_waitcnt vmcnt(3)
	v_fma_f64 v[103:104], v[117:118], v[109:110], v[103:104]
	s_waitcnt vmcnt(2) lgkmcnt(0)
	v_fma_f64 v[103:104], v[123:124], v[105:106], v[103:104]
	s_waitcnt vmcnt(0)
	v_add_f64 v[103:104], v[125:126], -v[103:104]
	buffer_store_dword v104, off, s[0:3], 0 offset:132
	buffer_store_dword v103, off, s[0:3], 0 offset:128
	s_and_saveexec_b64 s[4:5], vcc
	s_cbranch_execz .LBB113_277
; %bb.276:
	buffer_load_dword v103, off, s[0:3], 0 offset:120
	buffer_load_dword v104, off, s[0:3], 0 offset:124
	s_waitcnt vmcnt(0)
	ds_write_b64 v101, v[103:104]
	buffer_store_dword v102, off, s[0:3], 0 offset:120
	buffer_store_dword v102, off, s[0:3], 0 offset:124
.LBB113_277:
	s_or_b64 exec, exec, s[4:5]
	s_waitcnt lgkmcnt(0)
	; wave barrier
	buffer_load_dword v111, off, s[0:3], 0 offset:128
	buffer_load_dword v112, off, s[0:3], 0 offset:132
	;; [unrolled: 1-line block ×21, first 2 shown]
	ds_read_b128 v[103:106], v102 offset:528
	ds_read_b128 v[107:110], v102 offset:544
	buffer_load_dword v128, off, s[0:3], 0 offset:212
	v_cmp_lt_u32_e32 vcc, 14, v0
	s_waitcnt vmcnt(20) lgkmcnt(1)
	v_fma_f64 v[103:104], v[111:112], v[103:104], 0
	s_waitcnt vmcnt(18)
	v_fma_f64 v[103:104], v[113:114], v[105:106], v[103:104]
	buffer_load_dword v112, off, s[0:3], 0 offset:220
	buffer_load_dword v113, off, s[0:3], 0 offset:240
	;; [unrolled: 1-line block ×7, first 2 shown]
	s_waitcnt vmcnt(23) lgkmcnt(0)
	v_fma_f64 v[103:104], v[115:116], v[107:108], v[103:104]
	s_waitcnt vmcnt(21)
	v_fma_f64 v[114:115], v[117:118], v[109:110], v[103:104]
	ds_read_b128 v[103:106], v102 offset:560
	ds_read_b128 v[107:110], v102 offset:576
	s_waitcnt vmcnt(19) lgkmcnt(1)
	v_fma_f64 v[103:104], v[119:120], v[103:104], v[114:115]
	buffer_load_dword v114, off, s[0:3], 0 offset:244
	s_waitcnt vmcnt(18)
	v_fma_f64 v[103:104], v[121:122], v[105:106], v[103:104]
	buffer_load_dword v116, off, s[0:3], 0 offset:252
	buffer_load_dword v117, off, s[0:3], 0 offset:272
	;; [unrolled: 1-line block ×8, first 2 shown]
	s_waitcnt vmcnt(24) lgkmcnt(0)
	v_fma_f64 v[103:104], v[123:124], v[107:108], v[103:104]
	s_waitcnt vmcnt(19)
	v_fma_f64 v[123:124], v[125:126], v[109:110], v[103:104]
	ds_read_b128 v[103:106], v102 offset:592
	ds_read_b128 v[107:110], v102 offset:608
	s_waitcnt vmcnt(18) lgkmcnt(1)
	v_fma_f64 v[103:104], v[131:132], v[103:104], v[123:124]
	s_waitcnt vmcnt(17)
	v_fma_f64 v[103:104], v[129:130], v[105:106], v[103:104]
	buffer_load_dword v124, off, s[0:3], 0 offset:284
	buffer_load_dword v125, off, s[0:3], 0 offset:304
	;; [unrolled: 1-line block ×7, first 2 shown]
	s_waitcnt vmcnt(23) lgkmcnt(0)
	v_fma_f64 v[103:104], v[127:128], v[107:108], v[103:104]
	s_waitcnt vmcnt(18)
	v_fma_f64 v[111:112], v[111:112], v[109:110], v[103:104]
	ds_read_b128 v[103:106], v102 offset:624
	ds_read_b128 v[107:110], v102 offset:640
	buffer_load_dword v126, off, s[0:3], 0 offset:308
	s_waitcnt vmcnt(18) lgkmcnt(1)
	v_fma_f64 v[103:104], v[135:136], v[103:104], v[111:112]
	s_waitcnt vmcnt(17)
	v_fma_f64 v[103:104], v[133:134], v[105:106], v[103:104]
	buffer_load_dword v112, off, s[0:3], 0 offset:316
	buffer_load_dword v127, off, s[0:3], 0 offset:336
	;; [unrolled: 1-line block ×8, first 2 shown]
	s_waitcnt vmcnt(24) lgkmcnt(0)
	v_fma_f64 v[103:104], v[113:114], v[107:108], v[103:104]
	s_waitcnt vmcnt(19)
	v_fma_f64 v[113:114], v[115:116], v[109:110], v[103:104]
	ds_read_b128 v[103:106], v102 offset:656
	ds_read_b128 v[107:110], v102 offset:672
	s_waitcnt vmcnt(18) lgkmcnt(1)
	v_fma_f64 v[103:104], v[121:122], v[103:104], v[113:114]
	s_waitcnt vmcnt(17)
	v_fma_f64 v[103:104], v[119:120], v[105:106], v[103:104]
	buffer_load_dword v114, off, s[0:3], 0 offset:348
	buffer_load_dword v115, off, s[0:3], 0 offset:368
	;; [unrolled: 1-line block ×7, first 2 shown]
	s_waitcnt vmcnt(23) lgkmcnt(0)
	v_fma_f64 v[103:104], v[117:118], v[107:108], v[103:104]
	s_waitcnt vmcnt(18)
	v_fma_f64 v[116:117], v[123:124], v[109:110], v[103:104]
	ds_read_b128 v[103:106], v102 offset:688
	ds_read_b128 v[107:110], v102 offset:704
	s_waitcnt vmcnt(17) lgkmcnt(1)
	v_fma_f64 v[103:104], v[131:132], v[103:104], v[116:117]
	buffer_load_dword v116, off, s[0:3], 0 offset:372
	s_waitcnt vmcnt(17)
	v_fma_f64 v[103:104], v[129:130], v[105:106], v[103:104]
	buffer_load_dword v118, off, s[0:3], 0 offset:380
	buffer_load_dword v123, off, s[0:3], 0 offset:392
	;; [unrolled: 1-line block ×6, first 2 shown]
	s_waitcnt vmcnt(22) lgkmcnt(0)
	v_fma_f64 v[103:104], v[125:126], v[107:108], v[103:104]
	s_waitcnt vmcnt(17)
	v_fma_f64 v[111:112], v[111:112], v[109:110], v[103:104]
	ds_read_b128 v[103:106], v102 offset:720
	buffer_load_dword v125, off, s[0:3], 0 offset:120
	buffer_load_dword v126, off, s[0:3], 0 offset:124
	ds_read_b128 v[107:110], v102 offset:736
	s_waitcnt vmcnt(18) lgkmcnt(1)
	v_fma_f64 v[103:104], v[135:136], v[103:104], v[111:112]
	s_waitcnt vmcnt(17)
	v_fma_f64 v[103:104], v[133:134], v[105:106], v[103:104]
	s_waitcnt vmcnt(16) lgkmcnt(0)
	v_fma_f64 v[103:104], v[127:128], v[107:108], v[103:104]
	s_waitcnt vmcnt(11)
	v_fma_f64 v[111:112], v[113:114], v[109:110], v[103:104]
	ds_read_b128 v[103:106], v102 offset:752
	ds_read_b128 v[107:110], v102 offset:768
	s_waitcnt vmcnt(10) lgkmcnt(1)
	v_fma_f64 v[103:104], v[121:122], v[103:104], v[111:112]
	s_waitcnt vmcnt(9)
	v_fma_f64 v[103:104], v[119:120], v[105:106], v[103:104]
	s_waitcnt vmcnt(8) lgkmcnt(0)
	v_fma_f64 v[103:104], v[115:116], v[107:108], v[103:104]
	s_waitcnt vmcnt(4)
	v_fma_f64 v[106:107], v[117:118], v[109:110], v[103:104]
	ds_read_b128 v[102:105], v102 offset:784
	s_waitcnt vmcnt(3) lgkmcnt(0)
	v_fma_f64 v[102:103], v[129:130], v[102:103], v[106:107]
	s_waitcnt vmcnt(2)
	v_fma_f64 v[102:103], v[123:124], v[104:105], v[102:103]
	s_waitcnt vmcnt(0)
	v_add_f64 v[102:103], v[125:126], -v[102:103]
	buffer_store_dword v103, off, s[0:3], 0 offset:124
	buffer_store_dword v102, off, s[0:3], 0 offset:120
	s_and_saveexec_b64 s[4:5], vcc
	s_cbranch_execz .LBB113_279
; %bb.278:
	buffer_load_dword v102, off, s[0:3], 0 offset:112
	buffer_load_dword v103, off, s[0:3], 0 offset:116
	v_mov_b32_e32 v104, 0
	buffer_store_dword v104, off, s[0:3], 0 offset:112
	buffer_store_dword v104, off, s[0:3], 0 offset:116
	s_waitcnt vmcnt(2)
	ds_write_b64 v101, v[102:103]
.LBB113_279:
	s_or_b64 exec, exec, s[4:5]
	s_waitcnt lgkmcnt(0)
	; wave barrier
	buffer_load_dword v111, off, s[0:3], 0 offset:120
	buffer_load_dword v112, off, s[0:3], 0 offset:124
	;; [unrolled: 1-line block ×21, first 2 shown]
	v_mov_b32_e32 v102, 0
	ds_read2_b64 v[103:106], v102 offset0:65 offset1:66
	ds_read2_b64 v[107:110], v102 offset0:67 offset1:68
	buffer_load_dword v128, off, s[0:3], 0 offset:204
	v_cmp_lt_u32_e32 vcc, 13, v0
	s_waitcnt vmcnt(20) lgkmcnt(1)
	v_fma_f64 v[103:104], v[111:112], v[103:104], 0
	s_waitcnt vmcnt(18)
	v_fma_f64 v[103:104], v[113:114], v[105:106], v[103:104]
	buffer_load_dword v112, off, s[0:3], 0 offset:212
	buffer_load_dword v113, off, s[0:3], 0 offset:232
	;; [unrolled: 1-line block ×7, first 2 shown]
	s_waitcnt vmcnt(23) lgkmcnt(0)
	v_fma_f64 v[103:104], v[115:116], v[107:108], v[103:104]
	s_waitcnt vmcnt(21)
	v_fma_f64 v[114:115], v[117:118], v[109:110], v[103:104]
	ds_read2_b64 v[103:106], v102 offset0:69 offset1:70
	ds_read2_b64 v[107:110], v102 offset0:71 offset1:72
	s_waitcnt vmcnt(19) lgkmcnt(1)
	v_fma_f64 v[103:104], v[119:120], v[103:104], v[114:115]
	buffer_load_dword v114, off, s[0:3], 0 offset:236
	s_waitcnt vmcnt(18)
	v_fma_f64 v[103:104], v[121:122], v[105:106], v[103:104]
	buffer_load_dword v116, off, s[0:3], 0 offset:244
	buffer_load_dword v117, off, s[0:3], 0 offset:264
	;; [unrolled: 1-line block ×8, first 2 shown]
	s_waitcnt vmcnt(24) lgkmcnt(0)
	v_fma_f64 v[103:104], v[123:124], v[107:108], v[103:104]
	s_waitcnt vmcnt(19)
	v_fma_f64 v[123:124], v[125:126], v[109:110], v[103:104]
	ds_read2_b64 v[103:106], v102 offset0:73 offset1:74
	ds_read2_b64 v[107:110], v102 offset0:75 offset1:76
	s_waitcnt vmcnt(18) lgkmcnt(1)
	v_fma_f64 v[103:104], v[131:132], v[103:104], v[123:124]
	s_waitcnt vmcnt(17)
	v_fma_f64 v[103:104], v[129:130], v[105:106], v[103:104]
	buffer_load_dword v124, off, s[0:3], 0 offset:276
	buffer_load_dword v125, off, s[0:3], 0 offset:296
	;; [unrolled: 1-line block ×7, first 2 shown]
	s_waitcnt vmcnt(23) lgkmcnt(0)
	v_fma_f64 v[103:104], v[127:128], v[107:108], v[103:104]
	s_waitcnt vmcnt(18)
	v_fma_f64 v[111:112], v[111:112], v[109:110], v[103:104]
	ds_read2_b64 v[103:106], v102 offset0:77 offset1:78
	ds_read2_b64 v[107:110], v102 offset0:79 offset1:80
	buffer_load_dword v126, off, s[0:3], 0 offset:300
	s_waitcnt vmcnt(18) lgkmcnt(1)
	v_fma_f64 v[103:104], v[135:136], v[103:104], v[111:112]
	s_waitcnt vmcnt(17)
	v_fma_f64 v[103:104], v[133:134], v[105:106], v[103:104]
	buffer_load_dword v112, off, s[0:3], 0 offset:308
	buffer_load_dword v127, off, s[0:3], 0 offset:328
	buffer_load_dword v133, off, s[0:3], 0 offset:320
	buffer_load_dword v135, off, s[0:3], 0 offset:312
	buffer_load_dword v111, off, s[0:3], 0 offset:304
	buffer_load_dword v136, off, s[0:3], 0 offset:316
	buffer_load_dword v134, off, s[0:3], 0 offset:324
	buffer_load_dword v128, off, s[0:3], 0 offset:332
	s_waitcnt vmcnt(24) lgkmcnt(0)
	v_fma_f64 v[103:104], v[113:114], v[107:108], v[103:104]
	s_waitcnt vmcnt(19)
	v_fma_f64 v[113:114], v[115:116], v[109:110], v[103:104]
	ds_read2_b64 v[103:106], v102 offset0:81 offset1:82
	ds_read2_b64 v[107:110], v102 offset0:83 offset1:84
	s_waitcnt vmcnt(18) lgkmcnt(1)
	v_fma_f64 v[103:104], v[121:122], v[103:104], v[113:114]
	s_waitcnt vmcnt(17)
	v_fma_f64 v[103:104], v[119:120], v[105:106], v[103:104]
	buffer_load_dword v114, off, s[0:3], 0 offset:340
	buffer_load_dword v115, off, s[0:3], 0 offset:360
	;; [unrolled: 1-line block ×7, first 2 shown]
	s_waitcnt vmcnt(23) lgkmcnt(0)
	v_fma_f64 v[103:104], v[117:118], v[107:108], v[103:104]
	s_waitcnt vmcnt(18)
	v_fma_f64 v[116:117], v[123:124], v[109:110], v[103:104]
	ds_read2_b64 v[103:106], v102 offset0:85 offset1:86
	ds_read2_b64 v[107:110], v102 offset0:87 offset1:88
	s_waitcnt vmcnt(17) lgkmcnt(1)
	v_fma_f64 v[103:104], v[131:132], v[103:104], v[116:117]
	buffer_load_dword v116, off, s[0:3], 0 offset:364
	s_waitcnt vmcnt(17)
	v_fma_f64 v[103:104], v[129:130], v[105:106], v[103:104]
	buffer_load_dword v118, off, s[0:3], 0 offset:372
	buffer_load_dword v123, off, s[0:3], 0 offset:392
	;; [unrolled: 1-line block ×8, first 2 shown]
	s_waitcnt vmcnt(24) lgkmcnt(0)
	v_fma_f64 v[103:104], v[125:126], v[107:108], v[103:104]
	s_waitcnt vmcnt(19)
	v_fma_f64 v[111:112], v[111:112], v[109:110], v[103:104]
	ds_read2_b64 v[103:106], v102 offset0:89 offset1:90
	ds_read2_b64 v[107:110], v102 offset0:91 offset1:92
	s_waitcnt vmcnt(18) lgkmcnt(1)
	v_fma_f64 v[103:104], v[135:136], v[103:104], v[111:112]
	buffer_load_dword v111, off, s[0:3], 0 offset:112
	buffer_load_dword v112, off, s[0:3], 0 offset:116
	s_waitcnt vmcnt(19)
	v_fma_f64 v[103:104], v[133:134], v[105:106], v[103:104]
	s_waitcnt vmcnt(18) lgkmcnt(0)
	v_fma_f64 v[103:104], v[127:128], v[107:108], v[103:104]
	s_waitcnt vmcnt(13)
	v_fma_f64 v[113:114], v[113:114], v[109:110], v[103:104]
	ds_read2_b64 v[103:106], v102 offset0:93 offset1:94
	ds_read2_b64 v[107:110], v102 offset0:95 offset1:96
	s_waitcnt vmcnt(12) lgkmcnt(1)
	v_fma_f64 v[103:104], v[121:122], v[103:104], v[113:114]
	s_waitcnt vmcnt(11)
	v_fma_f64 v[103:104], v[119:120], v[105:106], v[103:104]
	s_waitcnt vmcnt(10) lgkmcnt(0)
	v_fma_f64 v[103:104], v[115:116], v[107:108], v[103:104]
	s_waitcnt vmcnt(5)
	v_fma_f64 v[107:108], v[117:118], v[109:110], v[103:104]
	ds_read2_b64 v[103:106], v102 offset0:97 offset1:98
	ds_read_b64 v[109:110], v102 offset:792
	s_waitcnt vmcnt(4) lgkmcnt(1)
	v_fma_f64 v[103:104], v[131:132], v[103:104], v[107:108]
	s_waitcnt vmcnt(3)
	v_fma_f64 v[103:104], v[129:130], v[105:106], v[103:104]
	s_waitcnt vmcnt(2) lgkmcnt(0)
	v_fma_f64 v[103:104], v[123:124], v[109:110], v[103:104]
	s_waitcnt vmcnt(0)
	v_add_f64 v[103:104], v[111:112], -v[103:104]
	buffer_store_dword v104, off, s[0:3], 0 offset:116
	buffer_store_dword v103, off, s[0:3], 0 offset:112
	s_and_saveexec_b64 s[4:5], vcc
	s_cbranch_execz .LBB113_281
; %bb.280:
	buffer_load_dword v103, off, s[0:3], 0 offset:104
	buffer_load_dword v104, off, s[0:3], 0 offset:108
	s_waitcnt vmcnt(0)
	ds_write_b64 v101, v[103:104]
	buffer_store_dword v102, off, s[0:3], 0 offset:104
	buffer_store_dword v102, off, s[0:3], 0 offset:108
.LBB113_281:
	s_or_b64 exec, exec, s[4:5]
	s_waitcnt lgkmcnt(0)
	; wave barrier
	buffer_load_dword v111, off, s[0:3], 0 offset:112
	buffer_load_dword v112, off, s[0:3], 0 offset:116
	;; [unrolled: 1-line block ×21, first 2 shown]
	ds_read_b128 v[103:106], v102 offset:512
	ds_read_b128 v[107:110], v102 offset:528
	buffer_load_dword v128, off, s[0:3], 0 offset:196
	v_cmp_lt_u32_e32 vcc, 12, v0
	s_waitcnt vmcnt(20) lgkmcnt(1)
	v_fma_f64 v[103:104], v[111:112], v[103:104], 0
	s_waitcnt vmcnt(18)
	v_fma_f64 v[103:104], v[113:114], v[105:106], v[103:104]
	buffer_load_dword v112, off, s[0:3], 0 offset:204
	buffer_load_dword v113, off, s[0:3], 0 offset:224
	;; [unrolled: 1-line block ×7, first 2 shown]
	s_waitcnt vmcnt(23) lgkmcnt(0)
	v_fma_f64 v[103:104], v[115:116], v[107:108], v[103:104]
	s_waitcnt vmcnt(21)
	v_fma_f64 v[114:115], v[117:118], v[109:110], v[103:104]
	ds_read_b128 v[103:106], v102 offset:544
	ds_read_b128 v[107:110], v102 offset:560
	s_waitcnt vmcnt(19) lgkmcnt(1)
	v_fma_f64 v[103:104], v[119:120], v[103:104], v[114:115]
	buffer_load_dword v114, off, s[0:3], 0 offset:228
	s_waitcnt vmcnt(18)
	v_fma_f64 v[103:104], v[121:122], v[105:106], v[103:104]
	buffer_load_dword v116, off, s[0:3], 0 offset:236
	buffer_load_dword v117, off, s[0:3], 0 offset:256
	buffer_load_dword v119, off, s[0:3], 0 offset:248
	buffer_load_dword v121, off, s[0:3], 0 offset:240
	buffer_load_dword v115, off, s[0:3], 0 offset:232
	buffer_load_dword v122, off, s[0:3], 0 offset:244
	buffer_load_dword v120, off, s[0:3], 0 offset:252
	buffer_load_dword v118, off, s[0:3], 0 offset:260
	s_waitcnt vmcnt(24) lgkmcnt(0)
	v_fma_f64 v[103:104], v[123:124], v[107:108], v[103:104]
	s_waitcnt vmcnt(19)
	v_fma_f64 v[123:124], v[125:126], v[109:110], v[103:104]
	ds_read_b128 v[103:106], v102 offset:576
	ds_read_b128 v[107:110], v102 offset:592
	s_waitcnt vmcnt(18) lgkmcnt(1)
	v_fma_f64 v[103:104], v[131:132], v[103:104], v[123:124]
	s_waitcnt vmcnt(17)
	v_fma_f64 v[103:104], v[129:130], v[105:106], v[103:104]
	buffer_load_dword v124, off, s[0:3], 0 offset:268
	buffer_load_dword v125, off, s[0:3], 0 offset:288
	buffer_load_dword v129, off, s[0:3], 0 offset:280
	buffer_load_dword v131, off, s[0:3], 0 offset:272
	buffer_load_dword v123, off, s[0:3], 0 offset:264
	buffer_load_dword v132, off, s[0:3], 0 offset:276
	buffer_load_dword v130, off, s[0:3], 0 offset:284
	s_waitcnt vmcnt(23) lgkmcnt(0)
	v_fma_f64 v[103:104], v[127:128], v[107:108], v[103:104]
	s_waitcnt vmcnt(18)
	v_fma_f64 v[111:112], v[111:112], v[109:110], v[103:104]
	ds_read_b128 v[103:106], v102 offset:608
	ds_read_b128 v[107:110], v102 offset:624
	buffer_load_dword v126, off, s[0:3], 0 offset:292
	s_waitcnt vmcnt(18) lgkmcnt(1)
	v_fma_f64 v[103:104], v[135:136], v[103:104], v[111:112]
	s_waitcnt vmcnt(17)
	v_fma_f64 v[103:104], v[133:134], v[105:106], v[103:104]
	buffer_load_dword v112, off, s[0:3], 0 offset:300
	buffer_load_dword v127, off, s[0:3], 0 offset:320
	;; [unrolled: 1-line block ×8, first 2 shown]
	s_waitcnt vmcnt(24) lgkmcnt(0)
	v_fma_f64 v[103:104], v[113:114], v[107:108], v[103:104]
	s_waitcnt vmcnt(19)
	v_fma_f64 v[113:114], v[115:116], v[109:110], v[103:104]
	ds_read_b128 v[103:106], v102 offset:640
	ds_read_b128 v[107:110], v102 offset:656
	s_waitcnt vmcnt(18) lgkmcnt(1)
	v_fma_f64 v[103:104], v[121:122], v[103:104], v[113:114]
	s_waitcnt vmcnt(17)
	v_fma_f64 v[103:104], v[119:120], v[105:106], v[103:104]
	buffer_load_dword v114, off, s[0:3], 0 offset:332
	buffer_load_dword v115, off, s[0:3], 0 offset:352
	;; [unrolled: 1-line block ×7, first 2 shown]
	s_waitcnt vmcnt(23) lgkmcnt(0)
	v_fma_f64 v[103:104], v[117:118], v[107:108], v[103:104]
	s_waitcnt vmcnt(18)
	v_fma_f64 v[116:117], v[123:124], v[109:110], v[103:104]
	ds_read_b128 v[103:106], v102 offset:672
	ds_read_b128 v[107:110], v102 offset:688
	s_waitcnt vmcnt(17) lgkmcnt(1)
	v_fma_f64 v[103:104], v[131:132], v[103:104], v[116:117]
	buffer_load_dword v116, off, s[0:3], 0 offset:356
	s_waitcnt vmcnt(17)
	v_fma_f64 v[103:104], v[129:130], v[105:106], v[103:104]
	buffer_load_dword v118, off, s[0:3], 0 offset:364
	buffer_load_dword v123, off, s[0:3], 0 offset:384
	;; [unrolled: 1-line block ×8, first 2 shown]
	s_waitcnt vmcnt(24) lgkmcnt(0)
	v_fma_f64 v[103:104], v[125:126], v[107:108], v[103:104]
	s_waitcnt vmcnt(19)
	v_fma_f64 v[111:112], v[111:112], v[109:110], v[103:104]
	ds_read_b128 v[103:106], v102 offset:704
	ds_read_b128 v[107:110], v102 offset:720
	s_waitcnt vmcnt(18) lgkmcnt(1)
	v_fma_f64 v[103:104], v[135:136], v[103:104], v[111:112]
	buffer_load_dword v112, off, s[0:3], 0 offset:396
	buffer_load_dword v111, off, s[0:3], 0 offset:392
	buffer_load_dword v125, off, s[0:3], 0 offset:104
	buffer_load_dword v126, off, s[0:3], 0 offset:108
	s_waitcnt vmcnt(21)
	v_fma_f64 v[103:104], v[133:134], v[105:106], v[103:104]
	s_waitcnt vmcnt(20) lgkmcnt(0)
	v_fma_f64 v[103:104], v[127:128], v[107:108], v[103:104]
	s_waitcnt vmcnt(15)
	v_fma_f64 v[113:114], v[113:114], v[109:110], v[103:104]
	ds_read_b128 v[103:106], v102 offset:736
	ds_read_b128 v[107:110], v102 offset:752
	s_waitcnt vmcnt(14) lgkmcnt(1)
	v_fma_f64 v[103:104], v[121:122], v[103:104], v[113:114]
	s_waitcnt vmcnt(13)
	v_fma_f64 v[103:104], v[119:120], v[105:106], v[103:104]
	s_waitcnt vmcnt(12) lgkmcnt(0)
	v_fma_f64 v[103:104], v[115:116], v[107:108], v[103:104]
	s_waitcnt vmcnt(7)
	v_fma_f64 v[113:114], v[117:118], v[109:110], v[103:104]
	ds_read_b128 v[103:106], v102 offset:768
	ds_read_b128 v[107:110], v102 offset:784
	s_waitcnt vmcnt(6) lgkmcnt(1)
	v_fma_f64 v[102:103], v[131:132], v[103:104], v[113:114]
	s_waitcnt vmcnt(5)
	v_fma_f64 v[102:103], v[129:130], v[105:106], v[102:103]
	s_waitcnt vmcnt(4) lgkmcnt(0)
	v_fma_f64 v[102:103], v[123:124], v[107:108], v[102:103]
	s_waitcnt vmcnt(2)
	v_fma_f64 v[102:103], v[111:112], v[109:110], v[102:103]
	s_waitcnt vmcnt(0)
	v_add_f64 v[102:103], v[125:126], -v[102:103]
	buffer_store_dword v103, off, s[0:3], 0 offset:108
	buffer_store_dword v102, off, s[0:3], 0 offset:104
	s_and_saveexec_b64 s[4:5], vcc
	s_cbranch_execz .LBB113_283
; %bb.282:
	buffer_load_dword v102, off, s[0:3], 0 offset:96
	buffer_load_dword v103, off, s[0:3], 0 offset:100
	v_mov_b32_e32 v104, 0
	buffer_store_dword v104, off, s[0:3], 0 offset:96
	buffer_store_dword v104, off, s[0:3], 0 offset:100
	s_waitcnt vmcnt(2)
	ds_write_b64 v101, v[102:103]
.LBB113_283:
	s_or_b64 exec, exec, s[4:5]
	s_waitcnt lgkmcnt(0)
	; wave barrier
	buffer_load_dword v111, off, s[0:3], 0 offset:104
	buffer_load_dword v112, off, s[0:3], 0 offset:108
	;; [unrolled: 1-line block ×21, first 2 shown]
	v_mov_b32_e32 v102, 0
	ds_read2_b64 v[103:106], v102 offset0:63 offset1:64
	ds_read2_b64 v[107:110], v102 offset0:65 offset1:66
	buffer_load_dword v128, off, s[0:3], 0 offset:188
	v_cmp_lt_u32_e32 vcc, 11, v0
	s_waitcnt vmcnt(20) lgkmcnt(1)
	v_fma_f64 v[103:104], v[111:112], v[103:104], 0
	s_waitcnt vmcnt(18)
	v_fma_f64 v[103:104], v[113:114], v[105:106], v[103:104]
	buffer_load_dword v112, off, s[0:3], 0 offset:196
	buffer_load_dword v113, off, s[0:3], 0 offset:216
	;; [unrolled: 1-line block ×7, first 2 shown]
	s_waitcnt vmcnt(23) lgkmcnt(0)
	v_fma_f64 v[103:104], v[115:116], v[107:108], v[103:104]
	s_waitcnt vmcnt(21)
	v_fma_f64 v[114:115], v[117:118], v[109:110], v[103:104]
	ds_read2_b64 v[103:106], v102 offset0:67 offset1:68
	ds_read2_b64 v[107:110], v102 offset0:69 offset1:70
	s_waitcnt vmcnt(19) lgkmcnt(1)
	v_fma_f64 v[103:104], v[119:120], v[103:104], v[114:115]
	buffer_load_dword v114, off, s[0:3], 0 offset:220
	s_waitcnt vmcnt(18)
	v_fma_f64 v[103:104], v[121:122], v[105:106], v[103:104]
	buffer_load_dword v116, off, s[0:3], 0 offset:228
	buffer_load_dword v117, off, s[0:3], 0 offset:248
	;; [unrolled: 1-line block ×8, first 2 shown]
	s_waitcnt vmcnt(24) lgkmcnt(0)
	v_fma_f64 v[103:104], v[123:124], v[107:108], v[103:104]
	s_waitcnt vmcnt(19)
	v_fma_f64 v[123:124], v[125:126], v[109:110], v[103:104]
	ds_read2_b64 v[103:106], v102 offset0:71 offset1:72
	ds_read2_b64 v[107:110], v102 offset0:73 offset1:74
	s_waitcnt vmcnt(18) lgkmcnt(1)
	v_fma_f64 v[103:104], v[131:132], v[103:104], v[123:124]
	s_waitcnt vmcnt(17)
	v_fma_f64 v[103:104], v[129:130], v[105:106], v[103:104]
	buffer_load_dword v124, off, s[0:3], 0 offset:260
	buffer_load_dword v125, off, s[0:3], 0 offset:280
	;; [unrolled: 1-line block ×7, first 2 shown]
	s_waitcnt vmcnt(23) lgkmcnt(0)
	v_fma_f64 v[103:104], v[127:128], v[107:108], v[103:104]
	s_waitcnt vmcnt(18)
	v_fma_f64 v[111:112], v[111:112], v[109:110], v[103:104]
	ds_read2_b64 v[103:106], v102 offset0:75 offset1:76
	ds_read2_b64 v[107:110], v102 offset0:77 offset1:78
	buffer_load_dword v126, off, s[0:3], 0 offset:284
	s_waitcnt vmcnt(18) lgkmcnt(1)
	v_fma_f64 v[103:104], v[135:136], v[103:104], v[111:112]
	s_waitcnt vmcnt(17)
	v_fma_f64 v[103:104], v[133:134], v[105:106], v[103:104]
	buffer_load_dword v112, off, s[0:3], 0 offset:292
	buffer_load_dword v127, off, s[0:3], 0 offset:312
	;; [unrolled: 1-line block ×7, first 2 shown]
	s_waitcnt vmcnt(23) lgkmcnt(0)
	v_fma_f64 v[103:104], v[113:114], v[107:108], v[103:104]
	s_waitcnt vmcnt(18)
	v_fma_f64 v[113:114], v[115:116], v[109:110], v[103:104]
	ds_read2_b64 v[103:106], v102 offset0:79 offset1:80
	ds_read2_b64 v[107:110], v102 offset0:81 offset1:82
	buffer_load_dword v128, off, s[0:3], 0 offset:316
	s_waitcnt vmcnt(18) lgkmcnt(1)
	v_fma_f64 v[103:104], v[121:122], v[103:104], v[113:114]
	s_waitcnt vmcnt(17)
	v_fma_f64 v[103:104], v[119:120], v[105:106], v[103:104]
	buffer_load_dword v114, off, s[0:3], 0 offset:324
	buffer_load_dword v115, off, s[0:3], 0 offset:344
	;; [unrolled: 1-line block ×7, first 2 shown]
	s_waitcnt vmcnt(23) lgkmcnt(0)
	v_fma_f64 v[103:104], v[117:118], v[107:108], v[103:104]
	s_waitcnt vmcnt(18)
	v_fma_f64 v[116:117], v[123:124], v[109:110], v[103:104]
	ds_read2_b64 v[103:106], v102 offset0:83 offset1:84
	ds_read2_b64 v[107:110], v102 offset0:85 offset1:86
	s_waitcnt vmcnt(17) lgkmcnt(1)
	v_fma_f64 v[103:104], v[131:132], v[103:104], v[116:117]
	buffer_load_dword v116, off, s[0:3], 0 offset:348
	s_waitcnt vmcnt(17)
	v_fma_f64 v[103:104], v[129:130], v[105:106], v[103:104]
	buffer_load_dword v118, off, s[0:3], 0 offset:356
	buffer_load_dword v123, off, s[0:3], 0 offset:376
	;; [unrolled: 1-line block ×7, first 2 shown]
	s_waitcnt vmcnt(23) lgkmcnt(0)
	v_fma_f64 v[103:104], v[125:126], v[107:108], v[103:104]
	s_waitcnt vmcnt(18)
	v_fma_f64 v[111:112], v[111:112], v[109:110], v[103:104]
	ds_read2_b64 v[103:106], v102 offset0:87 offset1:88
	ds_read2_b64 v[107:110], v102 offset0:89 offset1:90
	buffer_load_dword v124, off, s[0:3], 0 offset:380
	s_waitcnt vmcnt(18) lgkmcnt(1)
	v_fma_f64 v[103:104], v[135:136], v[103:104], v[111:112]
	buffer_load_dword v112, off, s[0:3], 0 offset:388
	buffer_load_dword v125, off, s[0:3], 0 offset:392
	;; [unrolled: 1-line block ×4, first 2 shown]
	s_waitcnt vmcnt(21)
	v_fma_f64 v[103:104], v[133:134], v[105:106], v[103:104]
	s_waitcnt vmcnt(20) lgkmcnt(0)
	v_fma_f64 v[103:104], v[127:128], v[107:108], v[103:104]
	buffer_load_dword v127, off, s[0:3], 0 offset:96
	buffer_load_dword v128, off, s[0:3], 0 offset:100
	s_waitcnt vmcnt(17)
	v_fma_f64 v[113:114], v[113:114], v[109:110], v[103:104]
	ds_read2_b64 v[103:106], v102 offset0:91 offset1:92
	ds_read2_b64 v[107:110], v102 offset0:93 offset1:94
	s_waitcnt vmcnt(16) lgkmcnt(1)
	v_fma_f64 v[103:104], v[121:122], v[103:104], v[113:114]
	s_waitcnt vmcnt(15)
	v_fma_f64 v[103:104], v[119:120], v[105:106], v[103:104]
	s_waitcnt vmcnt(14) lgkmcnt(0)
	v_fma_f64 v[103:104], v[115:116], v[107:108], v[103:104]
	s_waitcnt vmcnt(9)
	v_fma_f64 v[113:114], v[117:118], v[109:110], v[103:104]
	ds_read2_b64 v[103:106], v102 offset0:95 offset1:96
	ds_read2_b64 v[107:110], v102 offset0:97 offset1:98
	s_waitcnt vmcnt(8) lgkmcnt(1)
	v_fma_f64 v[103:104], v[131:132], v[103:104], v[113:114]
	s_waitcnt vmcnt(7)
	v_fma_f64 v[103:104], v[129:130], v[105:106], v[103:104]
	ds_read_b64 v[105:106], v102 offset:792
	s_waitcnt vmcnt(6) lgkmcnt(1)
	v_fma_f64 v[103:104], v[123:124], v[107:108], v[103:104]
	s_waitcnt vmcnt(3)
	v_fma_f64 v[103:104], v[111:112], v[109:110], v[103:104]
	s_waitcnt vmcnt(2) lgkmcnt(0)
	v_fma_f64 v[103:104], v[125:126], v[105:106], v[103:104]
	s_waitcnt vmcnt(0)
	v_add_f64 v[103:104], v[127:128], -v[103:104]
	buffer_store_dword v104, off, s[0:3], 0 offset:100
	buffer_store_dword v103, off, s[0:3], 0 offset:96
	s_and_saveexec_b64 s[4:5], vcc
	s_cbranch_execz .LBB113_285
; %bb.284:
	buffer_load_dword v103, off, s[0:3], 0 offset:88
	buffer_load_dword v104, off, s[0:3], 0 offset:92
	s_waitcnt vmcnt(0)
	ds_write_b64 v101, v[103:104]
	buffer_store_dword v102, off, s[0:3], 0 offset:88
	buffer_store_dword v102, off, s[0:3], 0 offset:92
.LBB113_285:
	s_or_b64 exec, exec, s[4:5]
	s_waitcnt lgkmcnt(0)
	; wave barrier
	buffer_load_dword v111, off, s[0:3], 0 offset:96
	buffer_load_dword v112, off, s[0:3], 0 offset:100
	;; [unrolled: 1-line block ×22, first 2 shown]
	ds_read_b128 v[103:106], v102 offset:496
	ds_read_b128 v[107:110], v102 offset:512
	v_cmp_lt_u32_e32 vcc, 10, v0
	s_waitcnt vmcnt(20) lgkmcnt(1)
	v_fma_f64 v[103:104], v[111:112], v[103:104], 0
	s_waitcnt vmcnt(18)
	v_fma_f64 v[103:104], v[113:114], v[105:106], v[103:104]
	buffer_load_dword v112, off, s[0:3], 0 offset:188
	buffer_load_dword v113, off, s[0:3], 0 offset:208
	;; [unrolled: 1-line block ×7, first 2 shown]
	s_waitcnt vmcnt(23) lgkmcnt(0)
	v_fma_f64 v[103:104], v[115:116], v[107:108], v[103:104]
	s_waitcnt vmcnt(21)
	v_fma_f64 v[114:115], v[117:118], v[109:110], v[103:104]
	ds_read_b128 v[103:106], v102 offset:528
	ds_read_b128 v[107:110], v102 offset:544
	s_waitcnt vmcnt(19) lgkmcnt(1)
	v_fma_f64 v[103:104], v[119:120], v[103:104], v[114:115]
	buffer_load_dword v114, off, s[0:3], 0 offset:212
	s_waitcnt vmcnt(18)
	v_fma_f64 v[103:104], v[121:122], v[105:106], v[103:104]
	buffer_load_dword v116, off, s[0:3], 0 offset:220
	buffer_load_dword v117, off, s[0:3], 0 offset:240
	;; [unrolled: 1-line block ×8, first 2 shown]
	s_waitcnt vmcnt(24) lgkmcnt(0)
	v_fma_f64 v[103:104], v[123:124], v[107:108], v[103:104]
	s_waitcnt vmcnt(19)
	v_fma_f64 v[123:124], v[125:126], v[109:110], v[103:104]
	ds_read_b128 v[103:106], v102 offset:560
	ds_read_b128 v[107:110], v102 offset:576
	s_waitcnt vmcnt(18) lgkmcnt(1)
	v_fma_f64 v[103:104], v[131:132], v[103:104], v[123:124]
	s_waitcnt vmcnt(17)
	v_fma_f64 v[103:104], v[129:130], v[105:106], v[103:104]
	buffer_load_dword v124, off, s[0:3], 0 offset:252
	buffer_load_dword v125, off, s[0:3], 0 offset:272
	;; [unrolled: 1-line block ×8, first 2 shown]
	s_waitcnt vmcnt(24) lgkmcnt(0)
	v_fma_f64 v[103:104], v[127:128], v[107:108], v[103:104]
	s_waitcnt vmcnt(19)
	v_fma_f64 v[111:112], v[111:112], v[109:110], v[103:104]
	ds_read_b128 v[103:106], v102 offset:592
	ds_read_b128 v[107:110], v102 offset:608
	s_waitcnt vmcnt(18) lgkmcnt(1)
	v_fma_f64 v[103:104], v[135:136], v[103:104], v[111:112]
	s_waitcnt vmcnt(17)
	v_fma_f64 v[103:104], v[133:134], v[105:106], v[103:104]
	buffer_load_dword v112, off, s[0:3], 0 offset:284
	buffer_load_dword v127, off, s[0:3], 0 offset:304
	;; [unrolled: 1-line block ×7, first 2 shown]
	s_waitcnt vmcnt(23) lgkmcnt(0)
	v_fma_f64 v[103:104], v[113:114], v[107:108], v[103:104]
	s_waitcnt vmcnt(18)
	v_fma_f64 v[113:114], v[115:116], v[109:110], v[103:104]
	ds_read_b128 v[103:106], v102 offset:624
	ds_read_b128 v[107:110], v102 offset:640
	buffer_load_dword v128, off, s[0:3], 0 offset:308
	s_waitcnt vmcnt(18) lgkmcnt(1)
	v_fma_f64 v[103:104], v[121:122], v[103:104], v[113:114]
	s_waitcnt vmcnt(17)
	v_fma_f64 v[103:104], v[119:120], v[105:106], v[103:104]
	buffer_load_dword v114, off, s[0:3], 0 offset:316
	buffer_load_dword v115, off, s[0:3], 0 offset:336
	;; [unrolled: 1-line block ×7, first 2 shown]
	s_waitcnt vmcnt(23) lgkmcnt(0)
	v_fma_f64 v[103:104], v[117:118], v[107:108], v[103:104]
	s_waitcnt vmcnt(18)
	v_fma_f64 v[116:117], v[123:124], v[109:110], v[103:104]
	ds_read_b128 v[103:106], v102 offset:656
	ds_read_b128 v[107:110], v102 offset:672
	s_waitcnt vmcnt(17) lgkmcnt(1)
	v_fma_f64 v[103:104], v[131:132], v[103:104], v[116:117]
	buffer_load_dword v116, off, s[0:3], 0 offset:340
	s_waitcnt vmcnt(17)
	v_fma_f64 v[103:104], v[129:130], v[105:106], v[103:104]
	buffer_load_dword v118, off, s[0:3], 0 offset:348
	buffer_load_dword v123, off, s[0:3], 0 offset:368
	buffer_load_dword v129, off, s[0:3], 0 offset:360
	buffer_load_dword v131, off, s[0:3], 0 offset:352
	buffer_load_dword v117, off, s[0:3], 0 offset:344
	buffer_load_dword v132, off, s[0:3], 0 offset:356
	buffer_load_dword v130, off, s[0:3], 0 offset:364
	buffer_load_dword v124, off, s[0:3], 0 offset:372
	s_waitcnt vmcnt(24) lgkmcnt(0)
	v_fma_f64 v[103:104], v[125:126], v[107:108], v[103:104]
	s_waitcnt vmcnt(19)
	v_fma_f64 v[111:112], v[111:112], v[109:110], v[103:104]
	ds_read_b128 v[103:106], v102 offset:688
	ds_read_b128 v[107:110], v102 offset:704
	s_waitcnt vmcnt(18) lgkmcnt(1)
	v_fma_f64 v[103:104], v[135:136], v[103:104], v[111:112]
	s_waitcnt vmcnt(17)
	v_fma_f64 v[103:104], v[133:134], v[105:106], v[103:104]
	buffer_load_dword v112, off, s[0:3], 0 offset:380
	buffer_load_dword v125, off, s[0:3], 0 offset:392
	;; [unrolled: 1-line block ×6, first 2 shown]
	s_waitcnt vmcnt(22) lgkmcnt(0)
	v_fma_f64 v[103:104], v[127:128], v[107:108], v[103:104]
	s_waitcnt vmcnt(17)
	v_fma_f64 v[113:114], v[113:114], v[109:110], v[103:104]
	ds_read_b128 v[103:106], v102 offset:720
	buffer_load_dword v127, off, s[0:3], 0 offset:88
	buffer_load_dword v128, off, s[0:3], 0 offset:92
	ds_read_b128 v[107:110], v102 offset:736
	s_waitcnt vmcnt(18) lgkmcnt(1)
	v_fma_f64 v[103:104], v[121:122], v[103:104], v[113:114]
	s_waitcnt vmcnt(17)
	v_fma_f64 v[103:104], v[119:120], v[105:106], v[103:104]
	s_waitcnt vmcnt(16) lgkmcnt(0)
	v_fma_f64 v[103:104], v[115:116], v[107:108], v[103:104]
	s_waitcnt vmcnt(11)
	v_fma_f64 v[113:114], v[117:118], v[109:110], v[103:104]
	ds_read_b128 v[103:106], v102 offset:752
	ds_read_b128 v[107:110], v102 offset:768
	s_waitcnt vmcnt(10) lgkmcnt(1)
	v_fma_f64 v[103:104], v[131:132], v[103:104], v[113:114]
	s_waitcnt vmcnt(9)
	v_fma_f64 v[103:104], v[129:130], v[105:106], v[103:104]
	s_waitcnt vmcnt(8) lgkmcnt(0)
	v_fma_f64 v[103:104], v[123:124], v[107:108], v[103:104]
	s_waitcnt vmcnt(4)
	v_fma_f64 v[106:107], v[111:112], v[109:110], v[103:104]
	ds_read_b128 v[102:105], v102 offset:784
	s_waitcnt vmcnt(3) lgkmcnt(0)
	v_fma_f64 v[102:103], v[133:134], v[102:103], v[106:107]
	s_waitcnt vmcnt(2)
	v_fma_f64 v[102:103], v[125:126], v[104:105], v[102:103]
	s_waitcnt vmcnt(0)
	v_add_f64 v[102:103], v[127:128], -v[102:103]
	buffer_store_dword v103, off, s[0:3], 0 offset:92
	buffer_store_dword v102, off, s[0:3], 0 offset:88
	s_and_saveexec_b64 s[4:5], vcc
	s_cbranch_execz .LBB113_287
; %bb.286:
	buffer_load_dword v102, off, s[0:3], 0 offset:80
	buffer_load_dword v103, off, s[0:3], 0 offset:84
	v_mov_b32_e32 v104, 0
	buffer_store_dword v104, off, s[0:3], 0 offset:80
	buffer_store_dword v104, off, s[0:3], 0 offset:84
	s_waitcnt vmcnt(2)
	ds_write_b64 v101, v[102:103]
.LBB113_287:
	s_or_b64 exec, exec, s[4:5]
	s_waitcnt lgkmcnt(0)
	; wave barrier
	buffer_load_dword v111, off, s[0:3], 0 offset:88
	buffer_load_dword v112, off, s[0:3], 0 offset:92
	;; [unrolled: 1-line block ×22, first 2 shown]
	v_mov_b32_e32 v102, 0
	ds_read2_b64 v[103:106], v102 offset0:61 offset1:62
	ds_read2_b64 v[107:110], v102 offset0:63 offset1:64
	v_cmp_lt_u32_e32 vcc, 9, v0
	s_waitcnt vmcnt(20) lgkmcnt(1)
	v_fma_f64 v[103:104], v[111:112], v[103:104], 0
	s_waitcnt vmcnt(18)
	v_fma_f64 v[103:104], v[113:114], v[105:106], v[103:104]
	buffer_load_dword v112, off, s[0:3], 0 offset:180
	buffer_load_dword v113, off, s[0:3], 0 offset:200
	;; [unrolled: 1-line block ×7, first 2 shown]
	s_waitcnt vmcnt(23) lgkmcnt(0)
	v_fma_f64 v[103:104], v[115:116], v[107:108], v[103:104]
	s_waitcnt vmcnt(21)
	v_fma_f64 v[114:115], v[117:118], v[109:110], v[103:104]
	ds_read2_b64 v[103:106], v102 offset0:65 offset1:66
	ds_read2_b64 v[107:110], v102 offset0:67 offset1:68
	s_waitcnt vmcnt(19) lgkmcnt(1)
	v_fma_f64 v[103:104], v[119:120], v[103:104], v[114:115]
	buffer_load_dword v114, off, s[0:3], 0 offset:204
	s_waitcnt vmcnt(18)
	v_fma_f64 v[103:104], v[121:122], v[105:106], v[103:104]
	buffer_load_dword v116, off, s[0:3], 0 offset:212
	buffer_load_dword v117, off, s[0:3], 0 offset:232
	;; [unrolled: 1-line block ×8, first 2 shown]
	s_waitcnt vmcnt(24) lgkmcnt(0)
	v_fma_f64 v[103:104], v[123:124], v[107:108], v[103:104]
	s_waitcnt vmcnt(19)
	v_fma_f64 v[123:124], v[125:126], v[109:110], v[103:104]
	ds_read2_b64 v[103:106], v102 offset0:69 offset1:70
	ds_read2_b64 v[107:110], v102 offset0:71 offset1:72
	s_waitcnt vmcnt(18) lgkmcnt(1)
	v_fma_f64 v[103:104], v[131:132], v[103:104], v[123:124]
	s_waitcnt vmcnt(17)
	v_fma_f64 v[103:104], v[129:130], v[105:106], v[103:104]
	buffer_load_dword v124, off, s[0:3], 0 offset:244
	buffer_load_dword v125, off, s[0:3], 0 offset:264
	;; [unrolled: 1-line block ×8, first 2 shown]
	s_waitcnt vmcnt(24) lgkmcnt(0)
	v_fma_f64 v[103:104], v[127:128], v[107:108], v[103:104]
	s_waitcnt vmcnt(19)
	v_fma_f64 v[111:112], v[111:112], v[109:110], v[103:104]
	ds_read2_b64 v[103:106], v102 offset0:73 offset1:74
	ds_read2_b64 v[107:110], v102 offset0:75 offset1:76
	s_waitcnt vmcnt(18) lgkmcnt(1)
	v_fma_f64 v[103:104], v[135:136], v[103:104], v[111:112]
	s_waitcnt vmcnt(17)
	v_fma_f64 v[103:104], v[133:134], v[105:106], v[103:104]
	buffer_load_dword v112, off, s[0:3], 0 offset:276
	buffer_load_dword v127, off, s[0:3], 0 offset:296
	buffer_load_dword v133, off, s[0:3], 0 offset:288
	buffer_load_dword v135, off, s[0:3], 0 offset:280
	buffer_load_dword v111, off, s[0:3], 0 offset:272
	buffer_load_dword v136, off, s[0:3], 0 offset:284
	buffer_load_dword v134, off, s[0:3], 0 offset:292
	s_waitcnt vmcnt(23) lgkmcnt(0)
	v_fma_f64 v[103:104], v[113:114], v[107:108], v[103:104]
	s_waitcnt vmcnt(18)
	v_fma_f64 v[113:114], v[115:116], v[109:110], v[103:104]
	ds_read2_b64 v[103:106], v102 offset0:77 offset1:78
	ds_read2_b64 v[107:110], v102 offset0:79 offset1:80
	buffer_load_dword v128, off, s[0:3], 0 offset:300
	s_waitcnt vmcnt(18) lgkmcnt(1)
	v_fma_f64 v[103:104], v[121:122], v[103:104], v[113:114]
	s_waitcnt vmcnt(17)
	v_fma_f64 v[103:104], v[119:120], v[105:106], v[103:104]
	buffer_load_dword v114, off, s[0:3], 0 offset:308
	buffer_load_dword v115, off, s[0:3], 0 offset:328
	buffer_load_dword v119, off, s[0:3], 0 offset:320
	buffer_load_dword v121, off, s[0:3], 0 offset:312
	buffer_load_dword v113, off, s[0:3], 0 offset:304
	buffer_load_dword v122, off, s[0:3], 0 offset:316
	buffer_load_dword v120, off, s[0:3], 0 offset:324
	s_waitcnt vmcnt(23) lgkmcnt(0)
	v_fma_f64 v[103:104], v[117:118], v[107:108], v[103:104]
	s_waitcnt vmcnt(18)
	v_fma_f64 v[116:117], v[123:124], v[109:110], v[103:104]
	ds_read2_b64 v[103:106], v102 offset0:81 offset1:82
	ds_read2_b64 v[107:110], v102 offset0:83 offset1:84
	s_waitcnt vmcnt(17) lgkmcnt(1)
	v_fma_f64 v[103:104], v[131:132], v[103:104], v[116:117]
	buffer_load_dword v116, off, s[0:3], 0 offset:332
	s_waitcnt vmcnt(17)
	v_fma_f64 v[103:104], v[129:130], v[105:106], v[103:104]
	buffer_load_dword v118, off, s[0:3], 0 offset:340
	buffer_load_dword v123, off, s[0:3], 0 offset:360
	;; [unrolled: 1-line block ×8, first 2 shown]
	s_waitcnt vmcnt(24) lgkmcnt(0)
	v_fma_f64 v[103:104], v[125:126], v[107:108], v[103:104]
	s_waitcnt vmcnt(19)
	v_fma_f64 v[111:112], v[111:112], v[109:110], v[103:104]
	ds_read2_b64 v[103:106], v102 offset0:85 offset1:86
	ds_read2_b64 v[107:110], v102 offset0:87 offset1:88
	s_waitcnt vmcnt(18) lgkmcnt(1)
	v_fma_f64 v[103:104], v[135:136], v[103:104], v[111:112]
	s_waitcnt vmcnt(17)
	v_fma_f64 v[103:104], v[133:134], v[105:106], v[103:104]
	buffer_load_dword v112, off, s[0:3], 0 offset:372
	buffer_load_dword v125, off, s[0:3], 0 offset:392
	;; [unrolled: 1-line block ×8, first 2 shown]
	s_waitcnt vmcnt(24) lgkmcnt(0)
	v_fma_f64 v[103:104], v[127:128], v[107:108], v[103:104]
	s_waitcnt vmcnt(19)
	v_fma_f64 v[113:114], v[113:114], v[109:110], v[103:104]
	ds_read2_b64 v[103:106], v102 offset0:89 offset1:90
	ds_read2_b64 v[107:110], v102 offset0:91 offset1:92
	s_waitcnt vmcnt(18) lgkmcnt(1)
	v_fma_f64 v[103:104], v[121:122], v[103:104], v[113:114]
	buffer_load_dword v113, off, s[0:3], 0 offset:80
	buffer_load_dword v114, off, s[0:3], 0 offset:84
	s_waitcnt vmcnt(19)
	v_fma_f64 v[103:104], v[119:120], v[105:106], v[103:104]
	s_waitcnt vmcnt(18) lgkmcnt(0)
	v_fma_f64 v[103:104], v[115:116], v[107:108], v[103:104]
	s_waitcnt vmcnt(13)
	v_fma_f64 v[115:116], v[117:118], v[109:110], v[103:104]
	ds_read2_b64 v[103:106], v102 offset0:93 offset1:94
	ds_read2_b64 v[107:110], v102 offset0:95 offset1:96
	s_waitcnt vmcnt(12) lgkmcnt(1)
	v_fma_f64 v[103:104], v[131:132], v[103:104], v[115:116]
	s_waitcnt vmcnt(11)
	v_fma_f64 v[103:104], v[129:130], v[105:106], v[103:104]
	s_waitcnt vmcnt(10) lgkmcnt(0)
	v_fma_f64 v[103:104], v[123:124], v[107:108], v[103:104]
	s_waitcnt vmcnt(5)
	v_fma_f64 v[107:108], v[111:112], v[109:110], v[103:104]
	ds_read2_b64 v[103:106], v102 offset0:97 offset1:98
	ds_read_b64 v[109:110], v102 offset:792
	s_waitcnt vmcnt(4) lgkmcnt(1)
	v_fma_f64 v[103:104], v[135:136], v[103:104], v[107:108]
	s_waitcnt vmcnt(3)
	v_fma_f64 v[103:104], v[133:134], v[105:106], v[103:104]
	s_waitcnt vmcnt(2) lgkmcnt(0)
	v_fma_f64 v[103:104], v[125:126], v[109:110], v[103:104]
	s_waitcnt vmcnt(0)
	v_add_f64 v[103:104], v[113:114], -v[103:104]
	buffer_store_dword v104, off, s[0:3], 0 offset:84
	buffer_store_dword v103, off, s[0:3], 0 offset:80
	s_and_saveexec_b64 s[4:5], vcc
	s_cbranch_execz .LBB113_289
; %bb.288:
	buffer_load_dword v103, off, s[0:3], 0 offset:72
	buffer_load_dword v104, off, s[0:3], 0 offset:76
	s_waitcnt vmcnt(0)
	ds_write_b64 v101, v[103:104]
	buffer_store_dword v102, off, s[0:3], 0 offset:72
	buffer_store_dword v102, off, s[0:3], 0 offset:76
.LBB113_289:
	s_or_b64 exec, exec, s[4:5]
	s_waitcnt lgkmcnt(0)
	; wave barrier
	buffer_load_dword v111, off, s[0:3], 0 offset:80
	buffer_load_dword v112, off, s[0:3], 0 offset:84
	;; [unrolled: 1-line block ×22, first 2 shown]
	ds_read_b128 v[103:106], v102 offset:480
	ds_read_b128 v[107:110], v102 offset:496
	v_cmp_lt_u32_e32 vcc, 8, v0
	s_waitcnt vmcnt(20) lgkmcnt(1)
	v_fma_f64 v[103:104], v[111:112], v[103:104], 0
	s_waitcnt vmcnt(18)
	v_fma_f64 v[103:104], v[113:114], v[105:106], v[103:104]
	buffer_load_dword v112, off, s[0:3], 0 offset:172
	buffer_load_dword v113, off, s[0:3], 0 offset:192
	;; [unrolled: 1-line block ×7, first 2 shown]
	s_waitcnt vmcnt(23) lgkmcnt(0)
	v_fma_f64 v[103:104], v[115:116], v[107:108], v[103:104]
	s_waitcnt vmcnt(21)
	v_fma_f64 v[114:115], v[117:118], v[109:110], v[103:104]
	ds_read_b128 v[103:106], v102 offset:512
	ds_read_b128 v[107:110], v102 offset:528
	s_waitcnt vmcnt(19) lgkmcnt(1)
	v_fma_f64 v[103:104], v[119:120], v[103:104], v[114:115]
	buffer_load_dword v114, off, s[0:3], 0 offset:196
	s_waitcnt vmcnt(18)
	v_fma_f64 v[103:104], v[121:122], v[105:106], v[103:104]
	buffer_load_dword v116, off, s[0:3], 0 offset:204
	buffer_load_dword v117, off, s[0:3], 0 offset:224
	;; [unrolled: 1-line block ×8, first 2 shown]
	s_waitcnt vmcnt(24) lgkmcnt(0)
	v_fma_f64 v[103:104], v[123:124], v[107:108], v[103:104]
	s_waitcnt vmcnt(19)
	v_fma_f64 v[123:124], v[125:126], v[109:110], v[103:104]
	ds_read_b128 v[103:106], v102 offset:544
	ds_read_b128 v[107:110], v102 offset:560
	s_waitcnt vmcnt(18) lgkmcnt(1)
	v_fma_f64 v[103:104], v[131:132], v[103:104], v[123:124]
	s_waitcnt vmcnt(17)
	v_fma_f64 v[103:104], v[129:130], v[105:106], v[103:104]
	buffer_load_dword v124, off, s[0:3], 0 offset:236
	buffer_load_dword v125, off, s[0:3], 0 offset:256
	;; [unrolled: 1-line block ×8, first 2 shown]
	s_waitcnt vmcnt(24) lgkmcnt(0)
	v_fma_f64 v[103:104], v[127:128], v[107:108], v[103:104]
	s_waitcnt vmcnt(19)
	v_fma_f64 v[111:112], v[111:112], v[109:110], v[103:104]
	ds_read_b128 v[103:106], v102 offset:576
	ds_read_b128 v[107:110], v102 offset:592
	s_waitcnt vmcnt(18) lgkmcnt(1)
	v_fma_f64 v[103:104], v[135:136], v[103:104], v[111:112]
	s_waitcnt vmcnt(17)
	v_fma_f64 v[103:104], v[133:134], v[105:106], v[103:104]
	buffer_load_dword v112, off, s[0:3], 0 offset:268
	buffer_load_dword v127, off, s[0:3], 0 offset:288
	;; [unrolled: 1-line block ×7, first 2 shown]
	s_waitcnt vmcnt(23) lgkmcnt(0)
	v_fma_f64 v[103:104], v[113:114], v[107:108], v[103:104]
	s_waitcnt vmcnt(18)
	v_fma_f64 v[113:114], v[115:116], v[109:110], v[103:104]
	ds_read_b128 v[103:106], v102 offset:608
	ds_read_b128 v[107:110], v102 offset:624
	buffer_load_dword v128, off, s[0:3], 0 offset:292
	s_waitcnt vmcnt(18) lgkmcnt(1)
	v_fma_f64 v[103:104], v[121:122], v[103:104], v[113:114]
	s_waitcnt vmcnt(17)
	v_fma_f64 v[103:104], v[119:120], v[105:106], v[103:104]
	buffer_load_dword v114, off, s[0:3], 0 offset:300
	buffer_load_dword v115, off, s[0:3], 0 offset:320
	;; [unrolled: 1-line block ×7, first 2 shown]
	s_waitcnt vmcnt(23) lgkmcnt(0)
	v_fma_f64 v[103:104], v[117:118], v[107:108], v[103:104]
	s_waitcnt vmcnt(18)
	v_fma_f64 v[116:117], v[123:124], v[109:110], v[103:104]
	ds_read_b128 v[103:106], v102 offset:640
	ds_read_b128 v[107:110], v102 offset:656
	s_waitcnt vmcnt(17) lgkmcnt(1)
	v_fma_f64 v[103:104], v[131:132], v[103:104], v[116:117]
	buffer_load_dword v116, off, s[0:3], 0 offset:324
	s_waitcnt vmcnt(17)
	v_fma_f64 v[103:104], v[129:130], v[105:106], v[103:104]
	buffer_load_dword v118, off, s[0:3], 0 offset:332
	buffer_load_dword v123, off, s[0:3], 0 offset:352
	;; [unrolled: 1-line block ×8, first 2 shown]
	s_waitcnt vmcnt(24) lgkmcnt(0)
	v_fma_f64 v[103:104], v[125:126], v[107:108], v[103:104]
	s_waitcnt vmcnt(19)
	v_fma_f64 v[111:112], v[111:112], v[109:110], v[103:104]
	ds_read_b128 v[103:106], v102 offset:672
	ds_read_b128 v[107:110], v102 offset:688
	s_waitcnt vmcnt(18) lgkmcnt(1)
	v_fma_f64 v[103:104], v[135:136], v[103:104], v[111:112]
	s_waitcnt vmcnt(17)
	v_fma_f64 v[103:104], v[133:134], v[105:106], v[103:104]
	buffer_load_dword v112, off, s[0:3], 0 offset:364
	buffer_load_dword v125, off, s[0:3], 0 offset:384
	;; [unrolled: 1-line block ×8, first 2 shown]
	s_waitcnt vmcnt(24) lgkmcnt(0)
	v_fma_f64 v[103:104], v[127:128], v[107:108], v[103:104]
	s_waitcnt vmcnt(19)
	v_fma_f64 v[113:114], v[113:114], v[109:110], v[103:104]
	ds_read_b128 v[103:106], v102 offset:704
	ds_read_b128 v[107:110], v102 offset:720
	s_waitcnt vmcnt(18) lgkmcnt(1)
	v_fma_f64 v[103:104], v[121:122], v[103:104], v[113:114]
	buffer_load_dword v114, off, s[0:3], 0 offset:396
	buffer_load_dword v113, off, s[0:3], 0 offset:392
	s_waitcnt vmcnt(19)
	v_fma_f64 v[103:104], v[119:120], v[105:106], v[103:104]
	buffer_load_dword v119, off, s[0:3], 0 offset:72
	buffer_load_dword v120, off, s[0:3], 0 offset:76
	s_waitcnt vmcnt(20) lgkmcnt(0)
	v_fma_f64 v[103:104], v[115:116], v[107:108], v[103:104]
	s_waitcnt vmcnt(15)
	v_fma_f64 v[115:116], v[117:118], v[109:110], v[103:104]
	ds_read_b128 v[103:106], v102 offset:736
	ds_read_b128 v[107:110], v102 offset:752
	s_waitcnt vmcnt(14) lgkmcnt(1)
	v_fma_f64 v[103:104], v[131:132], v[103:104], v[115:116]
	s_waitcnt vmcnt(13)
	v_fma_f64 v[103:104], v[129:130], v[105:106], v[103:104]
	s_waitcnt vmcnt(12) lgkmcnt(0)
	v_fma_f64 v[103:104], v[123:124], v[107:108], v[103:104]
	s_waitcnt vmcnt(7)
	v_fma_f64 v[111:112], v[111:112], v[109:110], v[103:104]
	ds_read_b128 v[103:106], v102 offset:768
	ds_read_b128 v[107:110], v102 offset:784
	s_waitcnt vmcnt(6) lgkmcnt(1)
	v_fma_f64 v[102:103], v[135:136], v[103:104], v[111:112]
	s_waitcnt vmcnt(5)
	v_fma_f64 v[102:103], v[133:134], v[105:106], v[102:103]
	s_waitcnt vmcnt(4) lgkmcnt(0)
	v_fma_f64 v[102:103], v[125:126], v[107:108], v[102:103]
	s_waitcnt vmcnt(2)
	v_fma_f64 v[102:103], v[113:114], v[109:110], v[102:103]
	s_waitcnt vmcnt(0)
	v_add_f64 v[102:103], v[119:120], -v[102:103]
	buffer_store_dword v103, off, s[0:3], 0 offset:76
	buffer_store_dword v102, off, s[0:3], 0 offset:72
	s_and_saveexec_b64 s[4:5], vcc
	s_cbranch_execz .LBB113_291
; %bb.290:
	buffer_load_dword v102, off, s[0:3], 0 offset:64
	buffer_load_dword v103, off, s[0:3], 0 offset:68
	v_mov_b32_e32 v104, 0
	buffer_store_dword v104, off, s[0:3], 0 offset:64
	buffer_store_dword v104, off, s[0:3], 0 offset:68
	s_waitcnt vmcnt(2)
	ds_write_b64 v101, v[102:103]
.LBB113_291:
	s_or_b64 exec, exec, s[4:5]
	s_waitcnt lgkmcnt(0)
	; wave barrier
	buffer_load_dword v111, off, s[0:3], 0 offset:72
	buffer_load_dword v112, off, s[0:3], 0 offset:76
	;; [unrolled: 1-line block ×22, first 2 shown]
	v_mov_b32_e32 v102, 0
	ds_read2_b64 v[103:106], v102 offset0:59 offset1:60
	ds_read2_b64 v[107:110], v102 offset0:61 offset1:62
	v_cmp_lt_u32_e32 vcc, 7, v0
	s_waitcnt vmcnt(20) lgkmcnt(1)
	v_fma_f64 v[103:104], v[111:112], v[103:104], 0
	s_waitcnt vmcnt(18)
	v_fma_f64 v[103:104], v[113:114], v[105:106], v[103:104]
	buffer_load_dword v112, off, s[0:3], 0 offset:164
	buffer_load_dword v113, off, s[0:3], 0 offset:184
	;; [unrolled: 1-line block ×7, first 2 shown]
	s_waitcnt vmcnt(23) lgkmcnt(0)
	v_fma_f64 v[103:104], v[115:116], v[107:108], v[103:104]
	s_waitcnt vmcnt(21)
	v_fma_f64 v[114:115], v[117:118], v[109:110], v[103:104]
	ds_read2_b64 v[103:106], v102 offset0:63 offset1:64
	ds_read2_b64 v[107:110], v102 offset0:65 offset1:66
	s_waitcnt vmcnt(19) lgkmcnt(1)
	v_fma_f64 v[103:104], v[119:120], v[103:104], v[114:115]
	buffer_load_dword v114, off, s[0:3], 0 offset:188
	s_waitcnt vmcnt(18)
	v_fma_f64 v[103:104], v[121:122], v[105:106], v[103:104]
	buffer_load_dword v116, off, s[0:3], 0 offset:196
	buffer_load_dword v117, off, s[0:3], 0 offset:216
	;; [unrolled: 1-line block ×7, first 2 shown]
	s_waitcnt vmcnt(23) lgkmcnt(0)
	v_fma_f64 v[103:104], v[123:124], v[107:108], v[103:104]
	s_waitcnt vmcnt(18)
	v_fma_f64 v[123:124], v[125:126], v[109:110], v[103:104]
	ds_read2_b64 v[103:106], v102 offset0:67 offset1:68
	ds_read2_b64 v[107:110], v102 offset0:69 offset1:70
	buffer_load_dword v118, off, s[0:3], 0 offset:220
	s_waitcnt vmcnt(18) lgkmcnt(1)
	v_fma_f64 v[103:104], v[131:132], v[103:104], v[123:124]
	s_waitcnt vmcnt(17)
	v_fma_f64 v[103:104], v[129:130], v[105:106], v[103:104]
	buffer_load_dword v124, off, s[0:3], 0 offset:228
	buffer_load_dword v125, off, s[0:3], 0 offset:248
	;; [unrolled: 1-line block ×8, first 2 shown]
	s_waitcnt vmcnt(24) lgkmcnt(0)
	v_fma_f64 v[103:104], v[127:128], v[107:108], v[103:104]
	s_waitcnt vmcnt(19)
	v_fma_f64 v[111:112], v[111:112], v[109:110], v[103:104]
	ds_read2_b64 v[103:106], v102 offset0:71 offset1:72
	ds_read2_b64 v[107:110], v102 offset0:73 offset1:74
	s_waitcnt vmcnt(18) lgkmcnt(1)
	v_fma_f64 v[103:104], v[135:136], v[103:104], v[111:112]
	s_waitcnt vmcnt(17)
	v_fma_f64 v[103:104], v[133:134], v[105:106], v[103:104]
	buffer_load_dword v112, off, s[0:3], 0 offset:260
	buffer_load_dword v127, off, s[0:3], 0 offset:280
	;; [unrolled: 1-line block ×7, first 2 shown]
	s_waitcnt vmcnt(23) lgkmcnt(0)
	v_fma_f64 v[103:104], v[113:114], v[107:108], v[103:104]
	s_waitcnt vmcnt(18)
	v_fma_f64 v[113:114], v[115:116], v[109:110], v[103:104]
	ds_read2_b64 v[103:106], v102 offset0:75 offset1:76
	ds_read2_b64 v[107:110], v102 offset0:77 offset1:78
	buffer_load_dword v128, off, s[0:3], 0 offset:284
	s_waitcnt vmcnt(18) lgkmcnt(1)
	v_fma_f64 v[103:104], v[121:122], v[103:104], v[113:114]
	s_waitcnt vmcnt(17)
	v_fma_f64 v[103:104], v[119:120], v[105:106], v[103:104]
	buffer_load_dword v114, off, s[0:3], 0 offset:292
	buffer_load_dword v115, off, s[0:3], 0 offset:312
	;; [unrolled: 1-line block ×7, first 2 shown]
	s_waitcnt vmcnt(23) lgkmcnt(0)
	v_fma_f64 v[103:104], v[117:118], v[107:108], v[103:104]
	s_waitcnt vmcnt(18)
	v_fma_f64 v[116:117], v[123:124], v[109:110], v[103:104]
	ds_read2_b64 v[103:106], v102 offset0:79 offset1:80
	ds_read2_b64 v[107:110], v102 offset0:81 offset1:82
	s_waitcnt vmcnt(17) lgkmcnt(1)
	v_fma_f64 v[103:104], v[131:132], v[103:104], v[116:117]
	buffer_load_dword v116, off, s[0:3], 0 offset:316
	s_waitcnt vmcnt(17)
	v_fma_f64 v[103:104], v[129:130], v[105:106], v[103:104]
	buffer_load_dword v118, off, s[0:3], 0 offset:324
	buffer_load_dword v123, off, s[0:3], 0 offset:344
	;; [unrolled: 1-line block ×8, first 2 shown]
	s_waitcnt vmcnt(24) lgkmcnt(0)
	v_fma_f64 v[103:104], v[125:126], v[107:108], v[103:104]
	s_waitcnt vmcnt(19)
	v_fma_f64 v[111:112], v[111:112], v[109:110], v[103:104]
	ds_read2_b64 v[103:106], v102 offset0:83 offset1:84
	ds_read2_b64 v[107:110], v102 offset0:85 offset1:86
	s_waitcnt vmcnt(18) lgkmcnt(1)
	v_fma_f64 v[103:104], v[135:136], v[103:104], v[111:112]
	s_waitcnt vmcnt(17)
	v_fma_f64 v[103:104], v[133:134], v[105:106], v[103:104]
	buffer_load_dword v112, off, s[0:3], 0 offset:356
	buffer_load_dword v125, off, s[0:3], 0 offset:376
	;; [unrolled: 1-line block ×7, first 2 shown]
	s_waitcnt vmcnt(23) lgkmcnt(0)
	v_fma_f64 v[103:104], v[127:128], v[107:108], v[103:104]
	s_waitcnt vmcnt(18)
	v_fma_f64 v[113:114], v[113:114], v[109:110], v[103:104]
	ds_read2_b64 v[103:106], v102 offset0:87 offset1:88
	ds_read2_b64 v[107:110], v102 offset0:89 offset1:90
	buffer_load_dword v126, off, s[0:3], 0 offset:380
	s_waitcnt vmcnt(18) lgkmcnt(1)
	v_fma_f64 v[103:104], v[121:122], v[103:104], v[113:114]
	s_waitcnt vmcnt(17)
	v_fma_f64 v[103:104], v[119:120], v[105:106], v[103:104]
	buffer_load_dword v114, off, s[0:3], 0 offset:388
	buffer_load_dword v119, off, s[0:3], 0 offset:392
	;; [unrolled: 1-line block ×4, first 2 shown]
	s_waitcnt vmcnt(20) lgkmcnt(0)
	v_fma_f64 v[103:104], v[115:116], v[107:108], v[103:104]
	buffer_load_dword v115, off, s[0:3], 0 offset:64
	buffer_load_dword v116, off, s[0:3], 0 offset:68
	s_waitcnt vmcnt(17)
	v_fma_f64 v[117:118], v[117:118], v[109:110], v[103:104]
	ds_read2_b64 v[103:106], v102 offset0:91 offset1:92
	ds_read2_b64 v[107:110], v102 offset0:93 offset1:94
	s_waitcnt vmcnt(16) lgkmcnt(1)
	v_fma_f64 v[103:104], v[131:132], v[103:104], v[117:118]
	s_waitcnt vmcnt(15)
	v_fma_f64 v[103:104], v[129:130], v[105:106], v[103:104]
	s_waitcnt vmcnt(14) lgkmcnt(0)
	v_fma_f64 v[103:104], v[123:124], v[107:108], v[103:104]
	s_waitcnt vmcnt(9)
	v_fma_f64 v[111:112], v[111:112], v[109:110], v[103:104]
	ds_read2_b64 v[103:106], v102 offset0:95 offset1:96
	ds_read2_b64 v[107:110], v102 offset0:97 offset1:98
	s_waitcnt vmcnt(8) lgkmcnt(1)
	v_fma_f64 v[103:104], v[135:136], v[103:104], v[111:112]
	s_waitcnt vmcnt(7)
	v_fma_f64 v[103:104], v[133:134], v[105:106], v[103:104]
	ds_read_b64 v[105:106], v102 offset:792
	s_waitcnt vmcnt(6) lgkmcnt(1)
	v_fma_f64 v[103:104], v[125:126], v[107:108], v[103:104]
	s_waitcnt vmcnt(3)
	v_fma_f64 v[103:104], v[113:114], v[109:110], v[103:104]
	s_waitcnt vmcnt(2) lgkmcnt(0)
	v_fma_f64 v[103:104], v[119:120], v[105:106], v[103:104]
	s_waitcnt vmcnt(0)
	v_add_f64 v[103:104], v[115:116], -v[103:104]
	buffer_store_dword v104, off, s[0:3], 0 offset:68
	buffer_store_dword v103, off, s[0:3], 0 offset:64
	s_and_saveexec_b64 s[4:5], vcc
	s_cbranch_execz .LBB113_293
; %bb.292:
	buffer_load_dword v103, off, s[0:3], 0 offset:56
	buffer_load_dword v104, off, s[0:3], 0 offset:60
	s_waitcnt vmcnt(0)
	ds_write_b64 v101, v[103:104]
	buffer_store_dword v102, off, s[0:3], 0 offset:56
	buffer_store_dword v102, off, s[0:3], 0 offset:60
.LBB113_293:
	s_or_b64 exec, exec, s[4:5]
	s_waitcnt lgkmcnt(0)
	; wave barrier
	buffer_load_dword v111, off, s[0:3], 0 offset:64
	buffer_load_dword v112, off, s[0:3], 0 offset:68
	;; [unrolled: 1-line block ×22, first 2 shown]
	ds_read_b128 v[103:106], v102 offset:464
	ds_read_b128 v[107:110], v102 offset:480
	v_cmp_lt_u32_e32 vcc, 6, v0
	s_waitcnt vmcnt(20) lgkmcnt(1)
	v_fma_f64 v[103:104], v[111:112], v[103:104], 0
	s_waitcnt vmcnt(18)
	v_fma_f64 v[103:104], v[113:114], v[105:106], v[103:104]
	buffer_load_dword v112, off, s[0:3], 0 offset:156
	buffer_load_dword v113, off, s[0:3], 0 offset:176
	;; [unrolled: 1-line block ×7, first 2 shown]
	s_waitcnt vmcnt(23) lgkmcnt(0)
	v_fma_f64 v[103:104], v[115:116], v[107:108], v[103:104]
	s_waitcnt vmcnt(21)
	v_fma_f64 v[114:115], v[117:118], v[109:110], v[103:104]
	ds_read_b128 v[103:106], v102 offset:496
	ds_read_b128 v[107:110], v102 offset:512
	s_waitcnt vmcnt(19) lgkmcnt(1)
	v_fma_f64 v[103:104], v[119:120], v[103:104], v[114:115]
	buffer_load_dword v114, off, s[0:3], 0 offset:180
	s_waitcnt vmcnt(18)
	v_fma_f64 v[103:104], v[121:122], v[105:106], v[103:104]
	buffer_load_dword v116, off, s[0:3], 0 offset:188
	buffer_load_dword v117, off, s[0:3], 0 offset:208
	;; [unrolled: 1-line block ×7, first 2 shown]
	s_waitcnt vmcnt(23) lgkmcnt(0)
	v_fma_f64 v[103:104], v[123:124], v[107:108], v[103:104]
	s_waitcnt vmcnt(18)
	v_fma_f64 v[123:124], v[125:126], v[109:110], v[103:104]
	ds_read_b128 v[103:106], v102 offset:528
	ds_read_b128 v[107:110], v102 offset:544
	buffer_load_dword v118, off, s[0:3], 0 offset:212
	s_waitcnt vmcnt(18) lgkmcnt(1)
	v_fma_f64 v[103:104], v[131:132], v[103:104], v[123:124]
	s_waitcnt vmcnt(17)
	v_fma_f64 v[103:104], v[129:130], v[105:106], v[103:104]
	buffer_load_dword v124, off, s[0:3], 0 offset:220
	buffer_load_dword v125, off, s[0:3], 0 offset:240
	;; [unrolled: 1-line block ×8, first 2 shown]
	s_waitcnt vmcnt(24) lgkmcnt(0)
	v_fma_f64 v[103:104], v[127:128], v[107:108], v[103:104]
	s_waitcnt vmcnt(19)
	v_fma_f64 v[111:112], v[111:112], v[109:110], v[103:104]
	ds_read_b128 v[103:106], v102 offset:560
	ds_read_b128 v[107:110], v102 offset:576
	s_waitcnt vmcnt(18) lgkmcnt(1)
	v_fma_f64 v[103:104], v[135:136], v[103:104], v[111:112]
	s_waitcnt vmcnt(17)
	v_fma_f64 v[103:104], v[133:134], v[105:106], v[103:104]
	buffer_load_dword v112, off, s[0:3], 0 offset:252
	buffer_load_dword v127, off, s[0:3], 0 offset:272
	;; [unrolled: 1-line block ×8, first 2 shown]
	s_waitcnt vmcnt(24) lgkmcnt(0)
	v_fma_f64 v[103:104], v[113:114], v[107:108], v[103:104]
	s_waitcnt vmcnt(19)
	v_fma_f64 v[113:114], v[115:116], v[109:110], v[103:104]
	ds_read_b128 v[103:106], v102 offset:592
	ds_read_b128 v[107:110], v102 offset:608
	s_waitcnt vmcnt(18) lgkmcnt(1)
	v_fma_f64 v[103:104], v[121:122], v[103:104], v[113:114]
	s_waitcnt vmcnt(17)
	v_fma_f64 v[103:104], v[119:120], v[105:106], v[103:104]
	buffer_load_dword v114, off, s[0:3], 0 offset:284
	buffer_load_dword v115, off, s[0:3], 0 offset:304
	;; [unrolled: 1-line block ×7, first 2 shown]
	s_waitcnt vmcnt(23) lgkmcnt(0)
	v_fma_f64 v[103:104], v[117:118], v[107:108], v[103:104]
	s_waitcnt vmcnt(18)
	v_fma_f64 v[116:117], v[123:124], v[109:110], v[103:104]
	ds_read_b128 v[103:106], v102 offset:624
	ds_read_b128 v[107:110], v102 offset:640
	s_waitcnt vmcnt(17) lgkmcnt(1)
	v_fma_f64 v[103:104], v[131:132], v[103:104], v[116:117]
	buffer_load_dword v116, off, s[0:3], 0 offset:308
	s_waitcnt vmcnt(17)
	v_fma_f64 v[103:104], v[129:130], v[105:106], v[103:104]
	buffer_load_dword v118, off, s[0:3], 0 offset:316
	buffer_load_dword v123, off, s[0:3], 0 offset:336
	;; [unrolled: 1-line block ×8, first 2 shown]
	s_waitcnt vmcnt(24) lgkmcnt(0)
	v_fma_f64 v[103:104], v[125:126], v[107:108], v[103:104]
	s_waitcnt vmcnt(19)
	v_fma_f64 v[111:112], v[111:112], v[109:110], v[103:104]
	ds_read_b128 v[103:106], v102 offset:656
	ds_read_b128 v[107:110], v102 offset:672
	s_waitcnt vmcnt(18) lgkmcnt(1)
	v_fma_f64 v[103:104], v[135:136], v[103:104], v[111:112]
	s_waitcnt vmcnt(17)
	v_fma_f64 v[103:104], v[133:134], v[105:106], v[103:104]
	buffer_load_dword v112, off, s[0:3], 0 offset:348
	buffer_load_dword v125, off, s[0:3], 0 offset:368
	;; [unrolled: 1-line block ×8, first 2 shown]
	s_waitcnt vmcnt(24) lgkmcnt(0)
	v_fma_f64 v[103:104], v[127:128], v[107:108], v[103:104]
	s_waitcnt vmcnt(19)
	v_fma_f64 v[113:114], v[113:114], v[109:110], v[103:104]
	ds_read_b128 v[103:106], v102 offset:688
	ds_read_b128 v[107:110], v102 offset:704
	s_waitcnt vmcnt(18) lgkmcnt(1)
	v_fma_f64 v[103:104], v[121:122], v[103:104], v[113:114]
	s_waitcnt vmcnt(17)
	v_fma_f64 v[103:104], v[119:120], v[105:106], v[103:104]
	buffer_load_dword v114, off, s[0:3], 0 offset:380
	buffer_load_dword v119, off, s[0:3], 0 offset:392
	;; [unrolled: 1-line block ×6, first 2 shown]
	s_waitcnt vmcnt(22) lgkmcnt(0)
	v_fma_f64 v[103:104], v[115:116], v[107:108], v[103:104]
	s_waitcnt vmcnt(17)
	v_fma_f64 v[115:116], v[117:118], v[109:110], v[103:104]
	ds_read_b128 v[103:106], v102 offset:720
	buffer_load_dword v117, off, s[0:3], 0 offset:56
	buffer_load_dword v118, off, s[0:3], 0 offset:60
	ds_read_b128 v[107:110], v102 offset:736
	s_waitcnt vmcnt(18) lgkmcnt(1)
	v_fma_f64 v[103:104], v[131:132], v[103:104], v[115:116]
	s_waitcnt vmcnt(17)
	v_fma_f64 v[103:104], v[129:130], v[105:106], v[103:104]
	s_waitcnt vmcnt(16) lgkmcnt(0)
	v_fma_f64 v[103:104], v[123:124], v[107:108], v[103:104]
	s_waitcnt vmcnt(11)
	v_fma_f64 v[111:112], v[111:112], v[109:110], v[103:104]
	ds_read_b128 v[103:106], v102 offset:752
	ds_read_b128 v[107:110], v102 offset:768
	s_waitcnt vmcnt(10) lgkmcnt(1)
	v_fma_f64 v[103:104], v[135:136], v[103:104], v[111:112]
	s_waitcnt vmcnt(9)
	v_fma_f64 v[103:104], v[133:134], v[105:106], v[103:104]
	s_waitcnt vmcnt(8) lgkmcnt(0)
	v_fma_f64 v[103:104], v[125:126], v[107:108], v[103:104]
	s_waitcnt vmcnt(4)
	v_fma_f64 v[106:107], v[113:114], v[109:110], v[103:104]
	ds_read_b128 v[102:105], v102 offset:784
	s_waitcnt vmcnt(3) lgkmcnt(0)
	v_fma_f64 v[102:103], v[121:122], v[102:103], v[106:107]
	s_waitcnt vmcnt(2)
	v_fma_f64 v[102:103], v[119:120], v[104:105], v[102:103]
	s_waitcnt vmcnt(0)
	v_add_f64 v[102:103], v[117:118], -v[102:103]
	buffer_store_dword v103, off, s[0:3], 0 offset:60
	buffer_store_dword v102, off, s[0:3], 0 offset:56
	s_and_saveexec_b64 s[4:5], vcc
	s_cbranch_execz .LBB113_295
; %bb.294:
	buffer_load_dword v102, off, s[0:3], 0 offset:48
	buffer_load_dword v103, off, s[0:3], 0 offset:52
	v_mov_b32_e32 v104, 0
	buffer_store_dword v104, off, s[0:3], 0 offset:48
	buffer_store_dword v104, off, s[0:3], 0 offset:52
	s_waitcnt vmcnt(2)
	ds_write_b64 v101, v[102:103]
.LBB113_295:
	s_or_b64 exec, exec, s[4:5]
	s_waitcnt lgkmcnt(0)
	; wave barrier
	buffer_load_dword v111, off, s[0:3], 0 offset:56
	buffer_load_dword v112, off, s[0:3], 0 offset:60
	;; [unrolled: 1-line block ×22, first 2 shown]
	v_mov_b32_e32 v102, 0
	ds_read2_b64 v[103:106], v102 offset0:57 offset1:58
	ds_read2_b64 v[107:110], v102 offset0:59 offset1:60
	v_cmp_lt_u32_e32 vcc, 5, v0
	s_waitcnt vmcnt(20) lgkmcnt(1)
	v_fma_f64 v[103:104], v[111:112], v[103:104], 0
	s_waitcnt vmcnt(18)
	v_fma_f64 v[103:104], v[113:114], v[105:106], v[103:104]
	buffer_load_dword v112, off, s[0:3], 0 offset:148
	buffer_load_dword v113, off, s[0:3], 0 offset:168
	;; [unrolled: 1-line block ×7, first 2 shown]
	s_waitcnt vmcnt(23) lgkmcnt(0)
	v_fma_f64 v[103:104], v[115:116], v[107:108], v[103:104]
	s_waitcnt vmcnt(21)
	v_fma_f64 v[114:115], v[117:118], v[109:110], v[103:104]
	ds_read2_b64 v[103:106], v102 offset0:61 offset1:62
	ds_read2_b64 v[107:110], v102 offset0:63 offset1:64
	s_waitcnt vmcnt(19) lgkmcnt(1)
	v_fma_f64 v[103:104], v[119:120], v[103:104], v[114:115]
	buffer_load_dword v114, off, s[0:3], 0 offset:172
	s_waitcnt vmcnt(18)
	v_fma_f64 v[103:104], v[121:122], v[105:106], v[103:104]
	buffer_load_dword v116, off, s[0:3], 0 offset:180
	buffer_load_dword v117, off, s[0:3], 0 offset:200
	;; [unrolled: 1-line block ×7, first 2 shown]
	s_waitcnt vmcnt(23) lgkmcnt(0)
	v_fma_f64 v[103:104], v[123:124], v[107:108], v[103:104]
	s_waitcnt vmcnt(18)
	v_fma_f64 v[123:124], v[125:126], v[109:110], v[103:104]
	ds_read2_b64 v[103:106], v102 offset0:65 offset1:66
	ds_read2_b64 v[107:110], v102 offset0:67 offset1:68
	buffer_load_dword v118, off, s[0:3], 0 offset:204
	s_waitcnt vmcnt(18) lgkmcnt(1)
	v_fma_f64 v[103:104], v[131:132], v[103:104], v[123:124]
	s_waitcnt vmcnt(17)
	v_fma_f64 v[103:104], v[129:130], v[105:106], v[103:104]
	buffer_load_dword v124, off, s[0:3], 0 offset:212
	buffer_load_dword v125, off, s[0:3], 0 offset:232
	;; [unrolled: 1-line block ×8, first 2 shown]
	s_waitcnt vmcnt(24) lgkmcnt(0)
	v_fma_f64 v[103:104], v[127:128], v[107:108], v[103:104]
	s_waitcnt vmcnt(19)
	v_fma_f64 v[111:112], v[111:112], v[109:110], v[103:104]
	ds_read2_b64 v[103:106], v102 offset0:69 offset1:70
	ds_read2_b64 v[107:110], v102 offset0:71 offset1:72
	s_waitcnt vmcnt(18) lgkmcnt(1)
	v_fma_f64 v[103:104], v[135:136], v[103:104], v[111:112]
	s_waitcnt vmcnt(17)
	v_fma_f64 v[103:104], v[133:134], v[105:106], v[103:104]
	buffer_load_dword v112, off, s[0:3], 0 offset:244
	buffer_load_dword v127, off, s[0:3], 0 offset:264
	;; [unrolled: 1-line block ×8, first 2 shown]
	s_waitcnt vmcnt(24) lgkmcnt(0)
	v_fma_f64 v[103:104], v[113:114], v[107:108], v[103:104]
	s_waitcnt vmcnt(19)
	v_fma_f64 v[113:114], v[115:116], v[109:110], v[103:104]
	ds_read2_b64 v[103:106], v102 offset0:73 offset1:74
	ds_read2_b64 v[107:110], v102 offset0:75 offset1:76
	s_waitcnt vmcnt(18) lgkmcnt(1)
	v_fma_f64 v[103:104], v[121:122], v[103:104], v[113:114]
	s_waitcnt vmcnt(17)
	v_fma_f64 v[103:104], v[119:120], v[105:106], v[103:104]
	buffer_load_dword v114, off, s[0:3], 0 offset:276
	buffer_load_dword v115, off, s[0:3], 0 offset:296
	;; [unrolled: 1-line block ×7, first 2 shown]
	s_waitcnt vmcnt(23) lgkmcnt(0)
	v_fma_f64 v[103:104], v[117:118], v[107:108], v[103:104]
	s_waitcnt vmcnt(18)
	v_fma_f64 v[116:117], v[123:124], v[109:110], v[103:104]
	ds_read2_b64 v[103:106], v102 offset0:77 offset1:78
	ds_read2_b64 v[107:110], v102 offset0:79 offset1:80
	s_waitcnt vmcnt(17) lgkmcnt(1)
	v_fma_f64 v[103:104], v[131:132], v[103:104], v[116:117]
	buffer_load_dword v116, off, s[0:3], 0 offset:300
	s_waitcnt vmcnt(17)
	v_fma_f64 v[103:104], v[129:130], v[105:106], v[103:104]
	buffer_load_dword v118, off, s[0:3], 0 offset:308
	buffer_load_dword v123, off, s[0:3], 0 offset:328
	buffer_load_dword v129, off, s[0:3], 0 offset:320
	buffer_load_dword v131, off, s[0:3], 0 offset:312
	buffer_load_dword v117, off, s[0:3], 0 offset:304
	buffer_load_dword v132, off, s[0:3], 0 offset:316
	buffer_load_dword v130, off, s[0:3], 0 offset:324
	buffer_load_dword v124, off, s[0:3], 0 offset:332
	s_waitcnt vmcnt(24) lgkmcnt(0)
	v_fma_f64 v[103:104], v[125:126], v[107:108], v[103:104]
	s_waitcnt vmcnt(19)
	v_fma_f64 v[111:112], v[111:112], v[109:110], v[103:104]
	ds_read2_b64 v[103:106], v102 offset0:81 offset1:82
	ds_read2_b64 v[107:110], v102 offset0:83 offset1:84
	s_waitcnt vmcnt(18) lgkmcnt(1)
	v_fma_f64 v[103:104], v[135:136], v[103:104], v[111:112]
	s_waitcnt vmcnt(17)
	v_fma_f64 v[103:104], v[133:134], v[105:106], v[103:104]
	buffer_load_dword v112, off, s[0:3], 0 offset:340
	buffer_load_dword v125, off, s[0:3], 0 offset:360
	buffer_load_dword v133, off, s[0:3], 0 offset:352
	buffer_load_dword v135, off, s[0:3], 0 offset:344
	buffer_load_dword v111, off, s[0:3], 0 offset:336
	buffer_load_dword v136, off, s[0:3], 0 offset:348
	buffer_load_dword v134, off, s[0:3], 0 offset:356
	buffer_load_dword v126, off, s[0:3], 0 offset:364
	s_waitcnt vmcnt(24) lgkmcnt(0)
	v_fma_f64 v[103:104], v[127:128], v[107:108], v[103:104]
	s_waitcnt vmcnt(19)
	v_fma_f64 v[113:114], v[113:114], v[109:110], v[103:104]
	ds_read2_b64 v[103:106], v102 offset0:85 offset1:86
	ds_read2_b64 v[107:110], v102 offset0:87 offset1:88
	s_waitcnt vmcnt(18) lgkmcnt(1)
	v_fma_f64 v[103:104], v[121:122], v[103:104], v[113:114]
	;; [unrolled: 18-line block ×3, first 2 shown]
	buffer_load_dword v115, off, s[0:3], 0 offset:48
	buffer_load_dword v116, off, s[0:3], 0 offset:52
	s_waitcnt vmcnt(19)
	v_fma_f64 v[103:104], v[129:130], v[105:106], v[103:104]
	s_waitcnt vmcnt(18) lgkmcnt(0)
	v_fma_f64 v[103:104], v[123:124], v[107:108], v[103:104]
	s_waitcnt vmcnt(13)
	v_fma_f64 v[111:112], v[111:112], v[109:110], v[103:104]
	ds_read2_b64 v[103:106], v102 offset0:93 offset1:94
	ds_read2_b64 v[107:110], v102 offset0:95 offset1:96
	s_waitcnt vmcnt(12) lgkmcnt(1)
	v_fma_f64 v[103:104], v[135:136], v[103:104], v[111:112]
	s_waitcnt vmcnt(11)
	v_fma_f64 v[103:104], v[133:134], v[105:106], v[103:104]
	s_waitcnt vmcnt(10) lgkmcnt(0)
	v_fma_f64 v[103:104], v[125:126], v[107:108], v[103:104]
	s_waitcnt vmcnt(5)
	v_fma_f64 v[107:108], v[113:114], v[109:110], v[103:104]
	ds_read2_b64 v[103:106], v102 offset0:97 offset1:98
	ds_read_b64 v[109:110], v102 offset:792
	s_waitcnt vmcnt(4) lgkmcnt(1)
	v_fma_f64 v[103:104], v[127:128], v[103:104], v[107:108]
	s_waitcnt vmcnt(3)
	v_fma_f64 v[103:104], v[121:122], v[105:106], v[103:104]
	s_waitcnt vmcnt(2) lgkmcnt(0)
	v_fma_f64 v[103:104], v[119:120], v[109:110], v[103:104]
	s_waitcnt vmcnt(0)
	v_add_f64 v[103:104], v[115:116], -v[103:104]
	buffer_store_dword v104, off, s[0:3], 0 offset:52
	buffer_store_dword v103, off, s[0:3], 0 offset:48
	s_and_saveexec_b64 s[4:5], vcc
	s_cbranch_execz .LBB113_297
; %bb.296:
	buffer_load_dword v103, off, s[0:3], 0 offset:40
	buffer_load_dword v104, off, s[0:3], 0 offset:44
	s_waitcnt vmcnt(0)
	ds_write_b64 v101, v[103:104]
	buffer_store_dword v102, off, s[0:3], 0 offset:40
	buffer_store_dword v102, off, s[0:3], 0 offset:44
.LBB113_297:
	s_or_b64 exec, exec, s[4:5]
	s_waitcnt lgkmcnt(0)
	; wave barrier
	buffer_load_dword v111, off, s[0:3], 0 offset:48
	buffer_load_dword v112, off, s[0:3], 0 offset:52
	;; [unrolled: 1-line block ×22, first 2 shown]
	ds_read_b128 v[103:106], v102 offset:448
	ds_read_b128 v[107:110], v102 offset:464
	v_cmp_lt_u32_e32 vcc, 4, v0
	s_waitcnt vmcnt(20) lgkmcnt(1)
	v_fma_f64 v[103:104], v[111:112], v[103:104], 0
	s_waitcnt vmcnt(18)
	v_fma_f64 v[103:104], v[113:114], v[105:106], v[103:104]
	buffer_load_dword v112, off, s[0:3], 0 offset:140
	buffer_load_dword v113, off, s[0:3], 0 offset:160
	;; [unrolled: 1-line block ×7, first 2 shown]
	s_waitcnt vmcnt(23) lgkmcnt(0)
	v_fma_f64 v[103:104], v[115:116], v[107:108], v[103:104]
	s_waitcnt vmcnt(21)
	v_fma_f64 v[114:115], v[117:118], v[109:110], v[103:104]
	ds_read_b128 v[103:106], v102 offset:480
	ds_read_b128 v[107:110], v102 offset:496
	s_waitcnt vmcnt(19) lgkmcnt(1)
	v_fma_f64 v[103:104], v[119:120], v[103:104], v[114:115]
	buffer_load_dword v114, off, s[0:3], 0 offset:164
	s_waitcnt vmcnt(18)
	v_fma_f64 v[103:104], v[121:122], v[105:106], v[103:104]
	buffer_load_dword v116, off, s[0:3], 0 offset:172
	buffer_load_dword v117, off, s[0:3], 0 offset:192
	;; [unrolled: 1-line block ×7, first 2 shown]
	s_waitcnt vmcnt(23) lgkmcnt(0)
	v_fma_f64 v[103:104], v[123:124], v[107:108], v[103:104]
	s_waitcnt vmcnt(18)
	v_fma_f64 v[123:124], v[125:126], v[109:110], v[103:104]
	ds_read_b128 v[103:106], v102 offset:512
	ds_read_b128 v[107:110], v102 offset:528
	buffer_load_dword v118, off, s[0:3], 0 offset:196
	s_waitcnt vmcnt(18) lgkmcnt(1)
	v_fma_f64 v[103:104], v[131:132], v[103:104], v[123:124]
	s_waitcnt vmcnt(17)
	v_fma_f64 v[103:104], v[129:130], v[105:106], v[103:104]
	buffer_load_dword v124, off, s[0:3], 0 offset:204
	buffer_load_dword v125, off, s[0:3], 0 offset:224
	;; [unrolled: 1-line block ×8, first 2 shown]
	s_waitcnt vmcnt(24) lgkmcnt(0)
	v_fma_f64 v[103:104], v[127:128], v[107:108], v[103:104]
	s_waitcnt vmcnt(19)
	v_fma_f64 v[111:112], v[111:112], v[109:110], v[103:104]
	ds_read_b128 v[103:106], v102 offset:544
	ds_read_b128 v[107:110], v102 offset:560
	s_waitcnt vmcnt(18) lgkmcnt(1)
	v_fma_f64 v[103:104], v[135:136], v[103:104], v[111:112]
	s_waitcnt vmcnt(17)
	v_fma_f64 v[103:104], v[133:134], v[105:106], v[103:104]
	buffer_load_dword v112, off, s[0:3], 0 offset:236
	buffer_load_dword v127, off, s[0:3], 0 offset:256
	;; [unrolled: 1-line block ×8, first 2 shown]
	s_waitcnt vmcnt(24) lgkmcnt(0)
	v_fma_f64 v[103:104], v[113:114], v[107:108], v[103:104]
	s_waitcnt vmcnt(19)
	v_fma_f64 v[113:114], v[115:116], v[109:110], v[103:104]
	ds_read_b128 v[103:106], v102 offset:576
	ds_read_b128 v[107:110], v102 offset:592
	s_waitcnt vmcnt(18) lgkmcnt(1)
	v_fma_f64 v[103:104], v[121:122], v[103:104], v[113:114]
	s_waitcnt vmcnt(17)
	v_fma_f64 v[103:104], v[119:120], v[105:106], v[103:104]
	buffer_load_dword v114, off, s[0:3], 0 offset:268
	buffer_load_dword v115, off, s[0:3], 0 offset:288
	;; [unrolled: 1-line block ×7, first 2 shown]
	s_waitcnt vmcnt(23) lgkmcnt(0)
	v_fma_f64 v[103:104], v[117:118], v[107:108], v[103:104]
	s_waitcnt vmcnt(18)
	v_fma_f64 v[116:117], v[123:124], v[109:110], v[103:104]
	ds_read_b128 v[103:106], v102 offset:608
	ds_read_b128 v[107:110], v102 offset:624
	s_waitcnt vmcnt(17) lgkmcnt(1)
	v_fma_f64 v[103:104], v[131:132], v[103:104], v[116:117]
	buffer_load_dword v116, off, s[0:3], 0 offset:292
	s_waitcnt vmcnt(17)
	v_fma_f64 v[103:104], v[129:130], v[105:106], v[103:104]
	buffer_load_dword v118, off, s[0:3], 0 offset:300
	buffer_load_dword v123, off, s[0:3], 0 offset:320
	buffer_load_dword v129, off, s[0:3], 0 offset:312
	buffer_load_dword v131, off, s[0:3], 0 offset:304
	buffer_load_dword v117, off, s[0:3], 0 offset:296
	buffer_load_dword v132, off, s[0:3], 0 offset:308
	buffer_load_dword v130, off, s[0:3], 0 offset:316
	buffer_load_dword v124, off, s[0:3], 0 offset:324
	s_waitcnt vmcnt(24) lgkmcnt(0)
	v_fma_f64 v[103:104], v[125:126], v[107:108], v[103:104]
	s_waitcnt vmcnt(19)
	v_fma_f64 v[111:112], v[111:112], v[109:110], v[103:104]
	ds_read_b128 v[103:106], v102 offset:640
	ds_read_b128 v[107:110], v102 offset:656
	s_waitcnt vmcnt(18) lgkmcnt(1)
	v_fma_f64 v[103:104], v[135:136], v[103:104], v[111:112]
	s_waitcnt vmcnt(17)
	v_fma_f64 v[103:104], v[133:134], v[105:106], v[103:104]
	buffer_load_dword v112, off, s[0:3], 0 offset:332
	buffer_load_dword v125, off, s[0:3], 0 offset:352
	buffer_load_dword v133, off, s[0:3], 0 offset:344
	buffer_load_dword v135, off, s[0:3], 0 offset:336
	buffer_load_dword v111, off, s[0:3], 0 offset:328
	buffer_load_dword v136, off, s[0:3], 0 offset:340
	buffer_load_dword v134, off, s[0:3], 0 offset:348
	buffer_load_dword v126, off, s[0:3], 0 offset:356
	s_waitcnt vmcnt(24) lgkmcnt(0)
	v_fma_f64 v[103:104], v[127:128], v[107:108], v[103:104]
	s_waitcnt vmcnt(19)
	v_fma_f64 v[113:114], v[113:114], v[109:110], v[103:104]
	ds_read_b128 v[103:106], v102 offset:672
	ds_read_b128 v[107:110], v102 offset:688
	s_waitcnt vmcnt(18) lgkmcnt(1)
	v_fma_f64 v[103:104], v[121:122], v[103:104], v[113:114]
	;; [unrolled: 18-line block ×3, first 2 shown]
	buffer_load_dword v116, off, s[0:3], 0 offset:396
	buffer_load_dword v115, off, s[0:3], 0 offset:392
	;; [unrolled: 1-line block ×4, first 2 shown]
	s_waitcnt vmcnt(21)
	v_fma_f64 v[103:104], v[129:130], v[105:106], v[103:104]
	s_waitcnt vmcnt(20) lgkmcnt(0)
	v_fma_f64 v[103:104], v[123:124], v[107:108], v[103:104]
	s_waitcnt vmcnt(15)
	v_fma_f64 v[111:112], v[111:112], v[109:110], v[103:104]
	ds_read_b128 v[103:106], v102 offset:736
	ds_read_b128 v[107:110], v102 offset:752
	s_waitcnt vmcnt(14) lgkmcnt(1)
	v_fma_f64 v[103:104], v[135:136], v[103:104], v[111:112]
	s_waitcnt vmcnt(13)
	v_fma_f64 v[103:104], v[133:134], v[105:106], v[103:104]
	s_waitcnt vmcnt(12) lgkmcnt(0)
	v_fma_f64 v[103:104], v[125:126], v[107:108], v[103:104]
	s_waitcnt vmcnt(7)
	v_fma_f64 v[111:112], v[113:114], v[109:110], v[103:104]
	ds_read_b128 v[103:106], v102 offset:768
	ds_read_b128 v[107:110], v102 offset:784
	s_waitcnt vmcnt(6) lgkmcnt(1)
	v_fma_f64 v[102:103], v[127:128], v[103:104], v[111:112]
	s_waitcnt vmcnt(5)
	v_fma_f64 v[102:103], v[121:122], v[105:106], v[102:103]
	s_waitcnt vmcnt(4) lgkmcnt(0)
	v_fma_f64 v[102:103], v[119:120], v[107:108], v[102:103]
	s_waitcnt vmcnt(2)
	v_fma_f64 v[102:103], v[115:116], v[109:110], v[102:103]
	s_waitcnt vmcnt(0)
	v_add_f64 v[102:103], v[117:118], -v[102:103]
	buffer_store_dword v103, off, s[0:3], 0 offset:44
	buffer_store_dword v102, off, s[0:3], 0 offset:40
	s_and_saveexec_b64 s[4:5], vcc
	s_cbranch_execz .LBB113_299
; %bb.298:
	buffer_load_dword v102, off, s[0:3], 0 offset:32
	buffer_load_dword v103, off, s[0:3], 0 offset:36
	v_mov_b32_e32 v104, 0
	buffer_store_dword v104, off, s[0:3], 0 offset:32
	buffer_store_dword v104, off, s[0:3], 0 offset:36
	s_waitcnt vmcnt(2)
	ds_write_b64 v101, v[102:103]
.LBB113_299:
	s_or_b64 exec, exec, s[4:5]
	s_waitcnt lgkmcnt(0)
	; wave barrier
	buffer_load_dword v111, off, s[0:3], 0 offset:40
	buffer_load_dword v112, off, s[0:3], 0 offset:44
	;; [unrolled: 1-line block ×21, first 2 shown]
	v_mov_b32_e32 v102, 0
	ds_read2_b64 v[103:106], v102 offset0:55 offset1:56
	ds_read2_b64 v[107:110], v102 offset0:57 offset1:58
	buffer_load_dword v128, off, s[0:3], 0 offset:124
	v_cmp_lt_u32_e32 vcc, 3, v0
	s_waitcnt vmcnt(20) lgkmcnt(1)
	v_fma_f64 v[103:104], v[111:112], v[103:104], 0
	s_waitcnt vmcnt(18)
	v_fma_f64 v[103:104], v[113:114], v[105:106], v[103:104]
	buffer_load_dword v112, off, s[0:3], 0 offset:132
	buffer_load_dword v113, off, s[0:3], 0 offset:152
	;; [unrolled: 1-line block ×7, first 2 shown]
	s_waitcnt vmcnt(23) lgkmcnt(0)
	v_fma_f64 v[103:104], v[115:116], v[107:108], v[103:104]
	s_waitcnt vmcnt(21)
	v_fma_f64 v[114:115], v[117:118], v[109:110], v[103:104]
	ds_read2_b64 v[103:106], v102 offset0:59 offset1:60
	ds_read2_b64 v[107:110], v102 offset0:61 offset1:62
	s_waitcnt vmcnt(19) lgkmcnt(1)
	v_fma_f64 v[103:104], v[119:120], v[103:104], v[114:115]
	buffer_load_dword v114, off, s[0:3], 0 offset:156
	s_waitcnt vmcnt(18)
	v_fma_f64 v[103:104], v[121:122], v[105:106], v[103:104]
	buffer_load_dword v116, off, s[0:3], 0 offset:164
	buffer_load_dword v117, off, s[0:3], 0 offset:184
	;; [unrolled: 1-line block ×7, first 2 shown]
	s_waitcnt vmcnt(23) lgkmcnt(0)
	v_fma_f64 v[103:104], v[123:124], v[107:108], v[103:104]
	s_waitcnt vmcnt(18)
	v_fma_f64 v[123:124], v[125:126], v[109:110], v[103:104]
	ds_read2_b64 v[103:106], v102 offset0:63 offset1:64
	ds_read2_b64 v[107:110], v102 offset0:65 offset1:66
	buffer_load_dword v118, off, s[0:3], 0 offset:188
	s_waitcnt vmcnt(18) lgkmcnt(1)
	v_fma_f64 v[103:104], v[131:132], v[103:104], v[123:124]
	s_waitcnt vmcnt(17)
	v_fma_f64 v[103:104], v[129:130], v[105:106], v[103:104]
	buffer_load_dword v124, off, s[0:3], 0 offset:196
	buffer_load_dword v125, off, s[0:3], 0 offset:216
	;; [unrolled: 1-line block ×7, first 2 shown]
	s_waitcnt vmcnt(23) lgkmcnt(0)
	v_fma_f64 v[103:104], v[127:128], v[107:108], v[103:104]
	s_waitcnt vmcnt(18)
	v_fma_f64 v[111:112], v[111:112], v[109:110], v[103:104]
	ds_read2_b64 v[103:106], v102 offset0:67 offset1:68
	ds_read2_b64 v[107:110], v102 offset0:69 offset1:70
	buffer_load_dword v126, off, s[0:3], 0 offset:220
	s_waitcnt vmcnt(18) lgkmcnt(1)
	v_fma_f64 v[103:104], v[135:136], v[103:104], v[111:112]
	s_waitcnt vmcnt(17)
	v_fma_f64 v[103:104], v[133:134], v[105:106], v[103:104]
	buffer_load_dword v112, off, s[0:3], 0 offset:228
	buffer_load_dword v127, off, s[0:3], 0 offset:248
	;; [unrolled: 1-line block ×8, first 2 shown]
	s_waitcnt vmcnt(24) lgkmcnt(0)
	v_fma_f64 v[103:104], v[113:114], v[107:108], v[103:104]
	s_waitcnt vmcnt(19)
	v_fma_f64 v[113:114], v[115:116], v[109:110], v[103:104]
	ds_read2_b64 v[103:106], v102 offset0:71 offset1:72
	ds_read2_b64 v[107:110], v102 offset0:73 offset1:74
	s_waitcnt vmcnt(18) lgkmcnt(1)
	v_fma_f64 v[103:104], v[121:122], v[103:104], v[113:114]
	s_waitcnt vmcnt(17)
	v_fma_f64 v[103:104], v[119:120], v[105:106], v[103:104]
	buffer_load_dword v114, off, s[0:3], 0 offset:260
	buffer_load_dword v115, off, s[0:3], 0 offset:280
	;; [unrolled: 1-line block ×7, first 2 shown]
	s_waitcnt vmcnt(23) lgkmcnt(0)
	v_fma_f64 v[103:104], v[117:118], v[107:108], v[103:104]
	s_waitcnt vmcnt(18)
	v_fma_f64 v[116:117], v[123:124], v[109:110], v[103:104]
	ds_read2_b64 v[103:106], v102 offset0:75 offset1:76
	ds_read2_b64 v[107:110], v102 offset0:77 offset1:78
	s_waitcnt vmcnt(17) lgkmcnt(1)
	v_fma_f64 v[103:104], v[131:132], v[103:104], v[116:117]
	buffer_load_dword v116, off, s[0:3], 0 offset:284
	s_waitcnt vmcnt(17)
	v_fma_f64 v[103:104], v[129:130], v[105:106], v[103:104]
	buffer_load_dword v118, off, s[0:3], 0 offset:292
	buffer_load_dword v123, off, s[0:3], 0 offset:312
	;; [unrolled: 1-line block ×7, first 2 shown]
	s_waitcnt vmcnt(23) lgkmcnt(0)
	v_fma_f64 v[103:104], v[125:126], v[107:108], v[103:104]
	s_waitcnt vmcnt(18)
	v_fma_f64 v[111:112], v[111:112], v[109:110], v[103:104]
	ds_read2_b64 v[103:106], v102 offset0:79 offset1:80
	ds_read2_b64 v[107:110], v102 offset0:81 offset1:82
	buffer_load_dword v124, off, s[0:3], 0 offset:316
	s_waitcnt vmcnt(18) lgkmcnt(1)
	v_fma_f64 v[103:104], v[135:136], v[103:104], v[111:112]
	s_waitcnt vmcnt(17)
	v_fma_f64 v[103:104], v[133:134], v[105:106], v[103:104]
	buffer_load_dword v112, off, s[0:3], 0 offset:324
	buffer_load_dword v125, off, s[0:3], 0 offset:344
	;; [unrolled: 1-line block ×8, first 2 shown]
	s_waitcnt vmcnt(24) lgkmcnt(0)
	v_fma_f64 v[103:104], v[127:128], v[107:108], v[103:104]
	s_waitcnt vmcnt(19)
	v_fma_f64 v[113:114], v[113:114], v[109:110], v[103:104]
	ds_read2_b64 v[103:106], v102 offset0:83 offset1:84
	ds_read2_b64 v[107:110], v102 offset0:85 offset1:86
	s_waitcnt vmcnt(18) lgkmcnt(1)
	v_fma_f64 v[103:104], v[121:122], v[103:104], v[113:114]
	s_waitcnt vmcnt(17)
	v_fma_f64 v[103:104], v[119:120], v[105:106], v[103:104]
	buffer_load_dword v114, off, s[0:3], 0 offset:356
	buffer_load_dword v119, off, s[0:3], 0 offset:376
	;; [unrolled: 1-line block ×7, first 2 shown]
	s_waitcnt vmcnt(23) lgkmcnt(0)
	v_fma_f64 v[103:104], v[115:116], v[107:108], v[103:104]
	s_waitcnt vmcnt(18)
	v_fma_f64 v[115:116], v[117:118], v[109:110], v[103:104]
	ds_read2_b64 v[103:106], v102 offset0:87 offset1:88
	ds_read2_b64 v[107:110], v102 offset0:89 offset1:90
	buffer_load_dword v120, off, s[0:3], 0 offset:380
	s_waitcnt vmcnt(18) lgkmcnt(1)
	v_fma_f64 v[103:104], v[131:132], v[103:104], v[115:116]
	buffer_load_dword v116, off, s[0:3], 0 offset:388
	buffer_load_dword v117, off, s[0:3], 0 offset:392
	;; [unrolled: 1-line block ×4, first 2 shown]
	s_waitcnt vmcnt(21)
	v_fma_f64 v[103:104], v[129:130], v[105:106], v[103:104]
	s_waitcnt vmcnt(20) lgkmcnt(0)
	v_fma_f64 v[103:104], v[123:124], v[107:108], v[103:104]
	buffer_load_dword v123, off, s[0:3], 0 offset:32
	buffer_load_dword v124, off, s[0:3], 0 offset:36
	s_waitcnt vmcnt(17)
	v_fma_f64 v[111:112], v[111:112], v[109:110], v[103:104]
	ds_read2_b64 v[103:106], v102 offset0:91 offset1:92
	ds_read2_b64 v[107:110], v102 offset0:93 offset1:94
	s_waitcnt vmcnt(16) lgkmcnt(1)
	v_fma_f64 v[103:104], v[135:136], v[103:104], v[111:112]
	s_waitcnt vmcnt(15)
	v_fma_f64 v[103:104], v[133:134], v[105:106], v[103:104]
	s_waitcnt vmcnt(14) lgkmcnt(0)
	v_fma_f64 v[103:104], v[125:126], v[107:108], v[103:104]
	s_waitcnt vmcnt(9)
	v_fma_f64 v[111:112], v[113:114], v[109:110], v[103:104]
	ds_read2_b64 v[103:106], v102 offset0:95 offset1:96
	ds_read2_b64 v[107:110], v102 offset0:97 offset1:98
	s_waitcnt vmcnt(8) lgkmcnt(1)
	v_fma_f64 v[103:104], v[127:128], v[103:104], v[111:112]
	s_waitcnt vmcnt(7)
	v_fma_f64 v[103:104], v[121:122], v[105:106], v[103:104]
	ds_read_b64 v[105:106], v102 offset:792
	s_waitcnt vmcnt(6) lgkmcnt(1)
	v_fma_f64 v[103:104], v[119:120], v[107:108], v[103:104]
	s_waitcnt vmcnt(3)
	v_fma_f64 v[103:104], v[115:116], v[109:110], v[103:104]
	s_waitcnt vmcnt(2) lgkmcnt(0)
	v_fma_f64 v[103:104], v[117:118], v[105:106], v[103:104]
	s_waitcnt vmcnt(0)
	v_add_f64 v[103:104], v[123:124], -v[103:104]
	buffer_store_dword v104, off, s[0:3], 0 offset:36
	buffer_store_dword v103, off, s[0:3], 0 offset:32
	s_and_saveexec_b64 s[4:5], vcc
	s_cbranch_execz .LBB113_301
; %bb.300:
	buffer_load_dword v103, off, s[0:3], 0 offset:24
	buffer_load_dword v104, off, s[0:3], 0 offset:28
	s_waitcnt vmcnt(0)
	ds_write_b64 v101, v[103:104]
	buffer_store_dword v102, off, s[0:3], 0 offset:24
	buffer_store_dword v102, off, s[0:3], 0 offset:28
.LBB113_301:
	s_or_b64 exec, exec, s[4:5]
	s_waitcnt lgkmcnt(0)
	; wave barrier
	buffer_load_dword v111, off, s[0:3], 0 offset:32
	buffer_load_dword v112, off, s[0:3], 0 offset:36
	;; [unrolled: 1-line block ×21, first 2 shown]
	ds_read_b128 v[103:106], v102 offset:432
	ds_read_b128 v[107:110], v102 offset:448
	buffer_load_dword v128, off, s[0:3], 0 offset:116
	v_cmp_lt_u32_e32 vcc, 2, v0
	s_waitcnt vmcnt(20) lgkmcnt(1)
	v_fma_f64 v[103:104], v[111:112], v[103:104], 0
	s_waitcnt vmcnt(18)
	v_fma_f64 v[103:104], v[113:114], v[105:106], v[103:104]
	buffer_load_dword v112, off, s[0:3], 0 offset:124
	buffer_load_dword v113, off, s[0:3], 0 offset:144
	;; [unrolled: 1-line block ×7, first 2 shown]
	s_waitcnt vmcnt(23) lgkmcnt(0)
	v_fma_f64 v[103:104], v[115:116], v[107:108], v[103:104]
	s_waitcnt vmcnt(21)
	v_fma_f64 v[114:115], v[117:118], v[109:110], v[103:104]
	ds_read_b128 v[103:106], v102 offset:464
	ds_read_b128 v[107:110], v102 offset:480
	s_waitcnt vmcnt(19) lgkmcnt(1)
	v_fma_f64 v[103:104], v[119:120], v[103:104], v[114:115]
	buffer_load_dword v114, off, s[0:3], 0 offset:148
	s_waitcnt vmcnt(18)
	v_fma_f64 v[103:104], v[121:122], v[105:106], v[103:104]
	buffer_load_dword v116, off, s[0:3], 0 offset:156
	buffer_load_dword v117, off, s[0:3], 0 offset:176
	;; [unrolled: 1-line block ×8, first 2 shown]
	s_waitcnt vmcnt(24) lgkmcnt(0)
	v_fma_f64 v[103:104], v[123:124], v[107:108], v[103:104]
	s_waitcnt vmcnt(19)
	v_fma_f64 v[123:124], v[125:126], v[109:110], v[103:104]
	ds_read_b128 v[103:106], v102 offset:496
	ds_read_b128 v[107:110], v102 offset:512
	s_waitcnt vmcnt(18) lgkmcnt(1)
	v_fma_f64 v[103:104], v[131:132], v[103:104], v[123:124]
	s_waitcnt vmcnt(17)
	v_fma_f64 v[103:104], v[129:130], v[105:106], v[103:104]
	buffer_load_dword v124, off, s[0:3], 0 offset:188
	buffer_load_dword v125, off, s[0:3], 0 offset:208
	;; [unrolled: 1-line block ×7, first 2 shown]
	s_waitcnt vmcnt(23) lgkmcnt(0)
	v_fma_f64 v[103:104], v[127:128], v[107:108], v[103:104]
	s_waitcnt vmcnt(18)
	v_fma_f64 v[111:112], v[111:112], v[109:110], v[103:104]
	ds_read_b128 v[103:106], v102 offset:528
	ds_read_b128 v[107:110], v102 offset:544
	buffer_load_dword v126, off, s[0:3], 0 offset:212
	s_waitcnt vmcnt(18) lgkmcnt(1)
	v_fma_f64 v[103:104], v[135:136], v[103:104], v[111:112]
	s_waitcnt vmcnt(17)
	v_fma_f64 v[103:104], v[133:134], v[105:106], v[103:104]
	buffer_load_dword v112, off, s[0:3], 0 offset:220
	buffer_load_dword v127, off, s[0:3], 0 offset:240
	;; [unrolled: 1-line block ×8, first 2 shown]
	s_waitcnt vmcnt(24) lgkmcnt(0)
	v_fma_f64 v[103:104], v[113:114], v[107:108], v[103:104]
	s_waitcnt vmcnt(19)
	v_fma_f64 v[113:114], v[115:116], v[109:110], v[103:104]
	ds_read_b128 v[103:106], v102 offset:560
	ds_read_b128 v[107:110], v102 offset:576
	s_waitcnt vmcnt(18) lgkmcnt(1)
	v_fma_f64 v[103:104], v[121:122], v[103:104], v[113:114]
	s_waitcnt vmcnt(17)
	v_fma_f64 v[103:104], v[119:120], v[105:106], v[103:104]
	buffer_load_dword v114, off, s[0:3], 0 offset:252
	buffer_load_dword v115, off, s[0:3], 0 offset:272
	;; [unrolled: 1-line block ×7, first 2 shown]
	s_waitcnt vmcnt(23) lgkmcnt(0)
	v_fma_f64 v[103:104], v[117:118], v[107:108], v[103:104]
	s_waitcnt vmcnt(18)
	v_fma_f64 v[116:117], v[123:124], v[109:110], v[103:104]
	ds_read_b128 v[103:106], v102 offset:592
	ds_read_b128 v[107:110], v102 offset:608
	s_waitcnt vmcnt(17) lgkmcnt(1)
	v_fma_f64 v[103:104], v[131:132], v[103:104], v[116:117]
	buffer_load_dword v116, off, s[0:3], 0 offset:276
	s_waitcnt vmcnt(17)
	v_fma_f64 v[103:104], v[129:130], v[105:106], v[103:104]
	buffer_load_dword v118, off, s[0:3], 0 offset:284
	buffer_load_dword v123, off, s[0:3], 0 offset:304
	;; [unrolled: 1-line block ×7, first 2 shown]
	s_waitcnt vmcnt(23) lgkmcnt(0)
	v_fma_f64 v[103:104], v[125:126], v[107:108], v[103:104]
	s_waitcnt vmcnt(18)
	v_fma_f64 v[111:112], v[111:112], v[109:110], v[103:104]
	ds_read_b128 v[103:106], v102 offset:624
	ds_read_b128 v[107:110], v102 offset:640
	buffer_load_dword v124, off, s[0:3], 0 offset:308
	s_waitcnt vmcnt(18) lgkmcnt(1)
	v_fma_f64 v[103:104], v[135:136], v[103:104], v[111:112]
	s_waitcnt vmcnt(17)
	v_fma_f64 v[103:104], v[133:134], v[105:106], v[103:104]
	buffer_load_dword v112, off, s[0:3], 0 offset:316
	buffer_load_dword v125, off, s[0:3], 0 offset:336
	;; [unrolled: 1-line block ×8, first 2 shown]
	s_waitcnt vmcnt(24) lgkmcnt(0)
	v_fma_f64 v[103:104], v[127:128], v[107:108], v[103:104]
	s_waitcnt vmcnt(19)
	v_fma_f64 v[113:114], v[113:114], v[109:110], v[103:104]
	ds_read_b128 v[103:106], v102 offset:656
	ds_read_b128 v[107:110], v102 offset:672
	s_waitcnt vmcnt(18) lgkmcnt(1)
	v_fma_f64 v[103:104], v[121:122], v[103:104], v[113:114]
	s_waitcnt vmcnt(17)
	v_fma_f64 v[103:104], v[119:120], v[105:106], v[103:104]
	buffer_load_dword v114, off, s[0:3], 0 offset:348
	buffer_load_dword v119, off, s[0:3], 0 offset:368
	;; [unrolled: 1-line block ×8, first 2 shown]
	s_waitcnt vmcnt(24) lgkmcnt(0)
	v_fma_f64 v[103:104], v[115:116], v[107:108], v[103:104]
	s_waitcnt vmcnt(19)
	v_fma_f64 v[115:116], v[117:118], v[109:110], v[103:104]
	ds_read_b128 v[103:106], v102 offset:688
	ds_read_b128 v[107:110], v102 offset:704
	s_waitcnt vmcnt(18) lgkmcnt(1)
	v_fma_f64 v[103:104], v[131:132], v[103:104], v[115:116]
	s_waitcnt vmcnt(17)
	v_fma_f64 v[103:104], v[129:130], v[105:106], v[103:104]
	buffer_load_dword v116, off, s[0:3], 0 offset:380
	buffer_load_dword v117, off, s[0:3], 0 offset:392
	;; [unrolled: 1-line block ×6, first 2 shown]
	s_waitcnt vmcnt(22) lgkmcnt(0)
	v_fma_f64 v[103:104], v[123:124], v[107:108], v[103:104]
	s_waitcnt vmcnt(17)
	v_fma_f64 v[111:112], v[111:112], v[109:110], v[103:104]
	ds_read_b128 v[103:106], v102 offset:720
	buffer_load_dword v123, off, s[0:3], 0 offset:24
	buffer_load_dword v124, off, s[0:3], 0 offset:28
	ds_read_b128 v[107:110], v102 offset:736
	s_waitcnt vmcnt(18) lgkmcnt(1)
	v_fma_f64 v[103:104], v[135:136], v[103:104], v[111:112]
	s_waitcnt vmcnt(17)
	v_fma_f64 v[103:104], v[133:134], v[105:106], v[103:104]
	s_waitcnt vmcnt(16) lgkmcnt(0)
	v_fma_f64 v[103:104], v[125:126], v[107:108], v[103:104]
	s_waitcnt vmcnt(11)
	v_fma_f64 v[111:112], v[113:114], v[109:110], v[103:104]
	ds_read_b128 v[103:106], v102 offset:752
	ds_read_b128 v[107:110], v102 offset:768
	s_waitcnt vmcnt(10) lgkmcnt(1)
	v_fma_f64 v[103:104], v[127:128], v[103:104], v[111:112]
	s_waitcnt vmcnt(9)
	v_fma_f64 v[103:104], v[121:122], v[105:106], v[103:104]
	s_waitcnt vmcnt(8) lgkmcnt(0)
	v_fma_f64 v[103:104], v[119:120], v[107:108], v[103:104]
	s_waitcnt vmcnt(4)
	v_fma_f64 v[106:107], v[115:116], v[109:110], v[103:104]
	ds_read_b128 v[102:105], v102 offset:784
	s_waitcnt vmcnt(3) lgkmcnt(0)
	v_fma_f64 v[102:103], v[129:130], v[102:103], v[106:107]
	s_waitcnt vmcnt(2)
	v_fma_f64 v[102:103], v[117:118], v[104:105], v[102:103]
	s_waitcnt vmcnt(0)
	v_add_f64 v[102:103], v[123:124], -v[102:103]
	buffer_store_dword v103, off, s[0:3], 0 offset:28
	buffer_store_dword v102, off, s[0:3], 0 offset:24
	s_and_saveexec_b64 s[4:5], vcc
	s_cbranch_execz .LBB113_303
; %bb.302:
	buffer_load_dword v102, off, s[0:3], 0 offset:16
	buffer_load_dword v103, off, s[0:3], 0 offset:20
	v_mov_b32_e32 v104, 0
	buffer_store_dword v104, off, s[0:3], 0 offset:16
	buffer_store_dword v104, off, s[0:3], 0 offset:20
	s_waitcnt vmcnt(2)
	ds_write_b64 v101, v[102:103]
.LBB113_303:
	s_or_b64 exec, exec, s[4:5]
	s_waitcnt lgkmcnt(0)
	; wave barrier
	buffer_load_dword v111, off, s[0:3], 0 offset:24
	buffer_load_dword v112, off, s[0:3], 0 offset:28
	;; [unrolled: 1-line block ×21, first 2 shown]
	v_mov_b32_e32 v102, 0
	ds_read2_b64 v[103:106], v102 offset0:53 offset1:54
	ds_read2_b64 v[107:110], v102 offset0:55 offset1:56
	buffer_load_dword v128, off, s[0:3], 0 offset:108
	v_cmp_lt_u32_e32 vcc, 1, v0
	s_waitcnt vmcnt(20) lgkmcnt(1)
	v_fma_f64 v[103:104], v[111:112], v[103:104], 0
	s_waitcnt vmcnt(18)
	v_fma_f64 v[103:104], v[113:114], v[105:106], v[103:104]
	buffer_load_dword v112, off, s[0:3], 0 offset:116
	buffer_load_dword v113, off, s[0:3], 0 offset:136
	;; [unrolled: 1-line block ×7, first 2 shown]
	s_waitcnt vmcnt(23) lgkmcnt(0)
	v_fma_f64 v[103:104], v[115:116], v[107:108], v[103:104]
	s_waitcnt vmcnt(21)
	v_fma_f64 v[114:115], v[117:118], v[109:110], v[103:104]
	ds_read2_b64 v[103:106], v102 offset0:57 offset1:58
	ds_read2_b64 v[107:110], v102 offset0:59 offset1:60
	s_waitcnt vmcnt(19) lgkmcnt(1)
	v_fma_f64 v[103:104], v[119:120], v[103:104], v[114:115]
	buffer_load_dword v114, off, s[0:3], 0 offset:140
	s_waitcnt vmcnt(18)
	v_fma_f64 v[103:104], v[121:122], v[105:106], v[103:104]
	buffer_load_dword v116, off, s[0:3], 0 offset:148
	buffer_load_dword v117, off, s[0:3], 0 offset:168
	;; [unrolled: 1-line block ×8, first 2 shown]
	s_waitcnt vmcnt(24) lgkmcnt(0)
	v_fma_f64 v[103:104], v[123:124], v[107:108], v[103:104]
	s_waitcnt vmcnt(19)
	v_fma_f64 v[123:124], v[125:126], v[109:110], v[103:104]
	ds_read2_b64 v[103:106], v102 offset0:61 offset1:62
	ds_read2_b64 v[107:110], v102 offset0:63 offset1:64
	s_waitcnt vmcnt(18) lgkmcnt(1)
	v_fma_f64 v[103:104], v[131:132], v[103:104], v[123:124]
	s_waitcnt vmcnt(17)
	v_fma_f64 v[103:104], v[129:130], v[105:106], v[103:104]
	buffer_load_dword v124, off, s[0:3], 0 offset:180
	buffer_load_dword v125, off, s[0:3], 0 offset:200
	;; [unrolled: 1-line block ×7, first 2 shown]
	s_waitcnt vmcnt(23) lgkmcnt(0)
	v_fma_f64 v[103:104], v[127:128], v[107:108], v[103:104]
	s_waitcnt vmcnt(18)
	v_fma_f64 v[111:112], v[111:112], v[109:110], v[103:104]
	ds_read2_b64 v[103:106], v102 offset0:65 offset1:66
	ds_read2_b64 v[107:110], v102 offset0:67 offset1:68
	buffer_load_dword v126, off, s[0:3], 0 offset:204
	s_waitcnt vmcnt(18) lgkmcnt(1)
	v_fma_f64 v[103:104], v[135:136], v[103:104], v[111:112]
	s_waitcnt vmcnt(17)
	v_fma_f64 v[103:104], v[133:134], v[105:106], v[103:104]
	buffer_load_dword v112, off, s[0:3], 0 offset:212
	buffer_load_dword v127, off, s[0:3], 0 offset:232
	;; [unrolled: 1-line block ×8, first 2 shown]
	s_waitcnt vmcnt(24) lgkmcnt(0)
	v_fma_f64 v[103:104], v[113:114], v[107:108], v[103:104]
	s_waitcnt vmcnt(19)
	v_fma_f64 v[113:114], v[115:116], v[109:110], v[103:104]
	ds_read2_b64 v[103:106], v102 offset0:69 offset1:70
	ds_read2_b64 v[107:110], v102 offset0:71 offset1:72
	s_waitcnt vmcnt(18) lgkmcnt(1)
	v_fma_f64 v[103:104], v[121:122], v[103:104], v[113:114]
	s_waitcnt vmcnt(17)
	v_fma_f64 v[103:104], v[119:120], v[105:106], v[103:104]
	buffer_load_dword v114, off, s[0:3], 0 offset:244
	buffer_load_dword v115, off, s[0:3], 0 offset:264
	;; [unrolled: 1-line block ×7, first 2 shown]
	s_waitcnt vmcnt(23) lgkmcnt(0)
	v_fma_f64 v[103:104], v[117:118], v[107:108], v[103:104]
	s_waitcnt vmcnt(18)
	v_fma_f64 v[116:117], v[123:124], v[109:110], v[103:104]
	ds_read2_b64 v[103:106], v102 offset0:73 offset1:74
	ds_read2_b64 v[107:110], v102 offset0:75 offset1:76
	s_waitcnt vmcnt(17) lgkmcnt(1)
	v_fma_f64 v[103:104], v[131:132], v[103:104], v[116:117]
	buffer_load_dword v116, off, s[0:3], 0 offset:268
	s_waitcnt vmcnt(17)
	v_fma_f64 v[103:104], v[129:130], v[105:106], v[103:104]
	buffer_load_dword v118, off, s[0:3], 0 offset:276
	buffer_load_dword v123, off, s[0:3], 0 offset:296
	;; [unrolled: 1-line block ×7, first 2 shown]
	s_waitcnt vmcnt(23) lgkmcnt(0)
	v_fma_f64 v[103:104], v[125:126], v[107:108], v[103:104]
	s_waitcnt vmcnt(18)
	v_fma_f64 v[111:112], v[111:112], v[109:110], v[103:104]
	ds_read2_b64 v[103:106], v102 offset0:77 offset1:78
	ds_read2_b64 v[107:110], v102 offset0:79 offset1:80
	buffer_load_dword v124, off, s[0:3], 0 offset:300
	s_waitcnt vmcnt(18) lgkmcnt(1)
	v_fma_f64 v[103:104], v[135:136], v[103:104], v[111:112]
	s_waitcnt vmcnt(17)
	v_fma_f64 v[103:104], v[133:134], v[105:106], v[103:104]
	buffer_load_dword v112, off, s[0:3], 0 offset:308
	buffer_load_dword v125, off, s[0:3], 0 offset:328
	buffer_load_dword v133, off, s[0:3], 0 offset:320
	buffer_load_dword v135, off, s[0:3], 0 offset:312
	buffer_load_dword v111, off, s[0:3], 0 offset:304
	buffer_load_dword v136, off, s[0:3], 0 offset:316
	buffer_load_dword v134, off, s[0:3], 0 offset:324
	buffer_load_dword v126, off, s[0:3], 0 offset:332
	s_waitcnt vmcnt(24) lgkmcnt(0)
	v_fma_f64 v[103:104], v[127:128], v[107:108], v[103:104]
	s_waitcnt vmcnt(19)
	v_fma_f64 v[113:114], v[113:114], v[109:110], v[103:104]
	ds_read2_b64 v[103:106], v102 offset0:81 offset1:82
	ds_read2_b64 v[107:110], v102 offset0:83 offset1:84
	s_waitcnt vmcnt(18) lgkmcnt(1)
	v_fma_f64 v[103:104], v[121:122], v[103:104], v[113:114]
	s_waitcnt vmcnt(17)
	v_fma_f64 v[103:104], v[119:120], v[105:106], v[103:104]
	buffer_load_dword v114, off, s[0:3], 0 offset:340
	buffer_load_dword v119, off, s[0:3], 0 offset:360
	buffer_load_dword v121, off, s[0:3], 0 offset:352
	buffer_load_dword v127, off, s[0:3], 0 offset:344
	buffer_load_dword v113, off, s[0:3], 0 offset:336
	buffer_load_dword v128, off, s[0:3], 0 offset:348
	buffer_load_dword v122, off, s[0:3], 0 offset:356
	buffer_load_dword v120, off, s[0:3], 0 offset:364
	s_waitcnt vmcnt(24) lgkmcnt(0)
	v_fma_f64 v[103:104], v[115:116], v[107:108], v[103:104]
	s_waitcnt vmcnt(19)
	v_fma_f64 v[115:116], v[117:118], v[109:110], v[103:104]
	ds_read2_b64 v[103:106], v102 offset0:85 offset1:86
	ds_read2_b64 v[107:110], v102 offset0:87 offset1:88
	;; [unrolled: 18-line block ×3, first 2 shown]
	s_waitcnt vmcnt(18) lgkmcnt(1)
	v_fma_f64 v[103:104], v[135:136], v[103:104], v[111:112]
	buffer_load_dword v111, off, s[0:3], 0 offset:16
	buffer_load_dword v112, off, s[0:3], 0 offset:20
	s_waitcnt vmcnt(19)
	v_fma_f64 v[103:104], v[133:134], v[105:106], v[103:104]
	s_waitcnt vmcnt(18) lgkmcnt(0)
	v_fma_f64 v[103:104], v[125:126], v[107:108], v[103:104]
	s_waitcnt vmcnt(13)
	v_fma_f64 v[113:114], v[113:114], v[109:110], v[103:104]
	ds_read2_b64 v[103:106], v102 offset0:93 offset1:94
	ds_read2_b64 v[107:110], v102 offset0:95 offset1:96
	s_waitcnt vmcnt(12) lgkmcnt(1)
	v_fma_f64 v[103:104], v[127:128], v[103:104], v[113:114]
	s_waitcnt vmcnt(11)
	v_fma_f64 v[103:104], v[121:122], v[105:106], v[103:104]
	s_waitcnt vmcnt(10) lgkmcnt(0)
	v_fma_f64 v[103:104], v[119:120], v[107:108], v[103:104]
	s_waitcnt vmcnt(5)
	v_fma_f64 v[107:108], v[115:116], v[109:110], v[103:104]
	ds_read2_b64 v[103:106], v102 offset0:97 offset1:98
	ds_read_b64 v[109:110], v102 offset:792
	s_waitcnt vmcnt(4) lgkmcnt(1)
	v_fma_f64 v[103:104], v[131:132], v[103:104], v[107:108]
	s_waitcnt vmcnt(3)
	v_fma_f64 v[103:104], v[129:130], v[105:106], v[103:104]
	s_waitcnt vmcnt(2) lgkmcnt(0)
	v_fma_f64 v[103:104], v[117:118], v[109:110], v[103:104]
	s_waitcnt vmcnt(0)
	v_add_f64 v[103:104], v[111:112], -v[103:104]
	buffer_store_dword v104, off, s[0:3], 0 offset:20
	buffer_store_dword v103, off, s[0:3], 0 offset:16
	s_and_saveexec_b64 s[4:5], vcc
	s_cbranch_execz .LBB113_305
; %bb.304:
	buffer_load_dword v103, off, s[0:3], 0 offset:8
	buffer_load_dword v104, off, s[0:3], 0 offset:12
	s_waitcnt vmcnt(0)
	ds_write_b64 v101, v[103:104]
	buffer_store_dword v102, off, s[0:3], 0 offset:8
	buffer_store_dword v102, off, s[0:3], 0 offset:12
.LBB113_305:
	s_or_b64 exec, exec, s[4:5]
	s_waitcnt lgkmcnt(0)
	; wave barrier
	buffer_load_dword v111, off, s[0:3], 0 offset:16
	buffer_load_dword v112, off, s[0:3], 0 offset:20
	;; [unrolled: 1-line block ×21, first 2 shown]
	ds_read_b128 v[103:106], v102 offset:416
	ds_read_b128 v[107:110], v102 offset:432
	buffer_load_dword v128, off, s[0:3], 0 offset:100
	v_cmp_ne_u32_e32 vcc, 0, v0
	s_waitcnt vmcnt(20) lgkmcnt(1)
	v_fma_f64 v[103:104], v[111:112], v[103:104], 0
	s_waitcnt vmcnt(18)
	v_fma_f64 v[103:104], v[113:114], v[105:106], v[103:104]
	buffer_load_dword v112, off, s[0:3], 0 offset:108
	buffer_load_dword v113, off, s[0:3], 0 offset:128
	;; [unrolled: 1-line block ×7, first 2 shown]
	s_waitcnt vmcnt(23) lgkmcnt(0)
	v_fma_f64 v[103:104], v[115:116], v[107:108], v[103:104]
	s_waitcnt vmcnt(21)
	v_fma_f64 v[114:115], v[117:118], v[109:110], v[103:104]
	ds_read_b128 v[103:106], v102 offset:448
	ds_read_b128 v[107:110], v102 offset:464
	s_waitcnt vmcnt(19) lgkmcnt(1)
	v_fma_f64 v[103:104], v[119:120], v[103:104], v[114:115]
	buffer_load_dword v114, off, s[0:3], 0 offset:132
	s_waitcnt vmcnt(18)
	v_fma_f64 v[103:104], v[121:122], v[105:106], v[103:104]
	buffer_load_dword v116, off, s[0:3], 0 offset:140
	buffer_load_dword v117, off, s[0:3], 0 offset:160
	;; [unrolled: 1-line block ×8, first 2 shown]
	s_waitcnt vmcnt(24) lgkmcnt(0)
	v_fma_f64 v[103:104], v[123:124], v[107:108], v[103:104]
	s_waitcnt vmcnt(19)
	v_fma_f64 v[123:124], v[125:126], v[109:110], v[103:104]
	ds_read_b128 v[103:106], v102 offset:480
	ds_read_b128 v[107:110], v102 offset:496
	s_waitcnt vmcnt(18) lgkmcnt(1)
	v_fma_f64 v[103:104], v[131:132], v[103:104], v[123:124]
	s_waitcnt vmcnt(17)
	v_fma_f64 v[103:104], v[129:130], v[105:106], v[103:104]
	buffer_load_dword v124, off, s[0:3], 0 offset:172
	buffer_load_dword v125, off, s[0:3], 0 offset:192
	;; [unrolled: 1-line block ×7, first 2 shown]
	s_waitcnt vmcnt(23) lgkmcnt(0)
	v_fma_f64 v[103:104], v[127:128], v[107:108], v[103:104]
	s_waitcnt vmcnt(18)
	v_fma_f64 v[111:112], v[111:112], v[109:110], v[103:104]
	ds_read_b128 v[103:106], v102 offset:512
	ds_read_b128 v[107:110], v102 offset:528
	buffer_load_dword v126, off, s[0:3], 0 offset:196
	s_waitcnt vmcnt(18) lgkmcnt(1)
	v_fma_f64 v[103:104], v[135:136], v[103:104], v[111:112]
	s_waitcnt vmcnt(17)
	v_fma_f64 v[103:104], v[133:134], v[105:106], v[103:104]
	buffer_load_dword v112, off, s[0:3], 0 offset:204
	buffer_load_dword v127, off, s[0:3], 0 offset:224
	;; [unrolled: 1-line block ×8, first 2 shown]
	s_waitcnt vmcnt(24) lgkmcnt(0)
	v_fma_f64 v[103:104], v[113:114], v[107:108], v[103:104]
	s_waitcnt vmcnt(19)
	v_fma_f64 v[113:114], v[115:116], v[109:110], v[103:104]
	ds_read_b128 v[103:106], v102 offset:544
	ds_read_b128 v[107:110], v102 offset:560
	s_waitcnt vmcnt(18) lgkmcnt(1)
	v_fma_f64 v[103:104], v[121:122], v[103:104], v[113:114]
	s_waitcnt vmcnt(17)
	v_fma_f64 v[103:104], v[119:120], v[105:106], v[103:104]
	buffer_load_dword v114, off, s[0:3], 0 offset:236
	buffer_load_dword v115, off, s[0:3], 0 offset:256
	;; [unrolled: 1-line block ×7, first 2 shown]
	s_waitcnt vmcnt(23) lgkmcnt(0)
	v_fma_f64 v[103:104], v[117:118], v[107:108], v[103:104]
	s_waitcnt vmcnt(18)
	v_fma_f64 v[116:117], v[123:124], v[109:110], v[103:104]
	ds_read_b128 v[103:106], v102 offset:576
	ds_read_b128 v[107:110], v102 offset:592
	s_waitcnt vmcnt(17) lgkmcnt(1)
	v_fma_f64 v[103:104], v[131:132], v[103:104], v[116:117]
	buffer_load_dword v116, off, s[0:3], 0 offset:260
	s_waitcnt vmcnt(17)
	v_fma_f64 v[103:104], v[129:130], v[105:106], v[103:104]
	buffer_load_dword v118, off, s[0:3], 0 offset:268
	buffer_load_dword v123, off, s[0:3], 0 offset:288
	buffer_load_dword v129, off, s[0:3], 0 offset:280
	buffer_load_dword v131, off, s[0:3], 0 offset:272
	buffer_load_dword v117, off, s[0:3], 0 offset:264
	buffer_load_dword v132, off, s[0:3], 0 offset:276
	buffer_load_dword v130, off, s[0:3], 0 offset:284
	s_waitcnt vmcnt(23) lgkmcnt(0)
	v_fma_f64 v[103:104], v[125:126], v[107:108], v[103:104]
	s_waitcnt vmcnt(18)
	v_fma_f64 v[111:112], v[111:112], v[109:110], v[103:104]
	ds_read_b128 v[103:106], v102 offset:608
	ds_read_b128 v[107:110], v102 offset:624
	buffer_load_dword v124, off, s[0:3], 0 offset:292
	s_waitcnt vmcnt(18) lgkmcnt(1)
	v_fma_f64 v[103:104], v[135:136], v[103:104], v[111:112]
	s_waitcnt vmcnt(17)
	v_fma_f64 v[103:104], v[133:134], v[105:106], v[103:104]
	buffer_load_dword v112, off, s[0:3], 0 offset:300
	buffer_load_dword v125, off, s[0:3], 0 offset:320
	buffer_load_dword v133, off, s[0:3], 0 offset:312
	buffer_load_dword v135, off, s[0:3], 0 offset:304
	buffer_load_dword v111, off, s[0:3], 0 offset:296
	buffer_load_dword v136, off, s[0:3], 0 offset:308
	buffer_load_dword v134, off, s[0:3], 0 offset:316
	buffer_load_dword v126, off, s[0:3], 0 offset:324
	s_waitcnt vmcnt(24) lgkmcnt(0)
	v_fma_f64 v[103:104], v[127:128], v[107:108], v[103:104]
	s_waitcnt vmcnt(19)
	v_fma_f64 v[113:114], v[113:114], v[109:110], v[103:104]
	ds_read_b128 v[103:106], v102 offset:640
	ds_read_b128 v[107:110], v102 offset:656
	s_waitcnt vmcnt(18) lgkmcnt(1)
	v_fma_f64 v[103:104], v[121:122], v[103:104], v[113:114]
	s_waitcnt vmcnt(17)
	v_fma_f64 v[103:104], v[119:120], v[105:106], v[103:104]
	buffer_load_dword v114, off, s[0:3], 0 offset:332
	buffer_load_dword v119, off, s[0:3], 0 offset:352
	buffer_load_dword v121, off, s[0:3], 0 offset:344
	buffer_load_dword v127, off, s[0:3], 0 offset:336
	buffer_load_dword v113, off, s[0:3], 0 offset:328
	buffer_load_dword v128, off, s[0:3], 0 offset:340
	buffer_load_dword v122, off, s[0:3], 0 offset:348
	buffer_load_dword v120, off, s[0:3], 0 offset:356
	s_waitcnt vmcnt(24) lgkmcnt(0)
	v_fma_f64 v[103:104], v[115:116], v[107:108], v[103:104]
	s_waitcnt vmcnt(19)
	v_fma_f64 v[115:116], v[117:118], v[109:110], v[103:104]
	ds_read_b128 v[103:106], v102 offset:672
	ds_read_b128 v[107:110], v102 offset:688
	;; [unrolled: 18-line block ×3, first 2 shown]
	s_waitcnt vmcnt(18) lgkmcnt(1)
	v_fma_f64 v[103:104], v[135:136], v[103:104], v[111:112]
	buffer_load_dword v112, off, s[0:3], 0 offset:396
	buffer_load_dword v111, off, s[0:3], 0 offset:392
	;; [unrolled: 1-line block ×4, first 2 shown]
	s_waitcnt vmcnt(21)
	v_fma_f64 v[103:104], v[133:134], v[105:106], v[103:104]
	s_waitcnt vmcnt(20) lgkmcnt(0)
	v_fma_f64 v[103:104], v[125:126], v[107:108], v[103:104]
	s_waitcnt vmcnt(15)
	v_fma_f64 v[113:114], v[113:114], v[109:110], v[103:104]
	ds_read_b128 v[103:106], v102 offset:736
	ds_read_b128 v[107:110], v102 offset:752
	s_waitcnt vmcnt(14) lgkmcnt(1)
	v_fma_f64 v[103:104], v[127:128], v[103:104], v[113:114]
	s_waitcnt vmcnt(13)
	v_fma_f64 v[103:104], v[121:122], v[105:106], v[103:104]
	s_waitcnt vmcnt(12) lgkmcnt(0)
	v_fma_f64 v[103:104], v[119:120], v[107:108], v[103:104]
	s_waitcnt vmcnt(7)
	v_fma_f64 v[113:114], v[115:116], v[109:110], v[103:104]
	ds_read_b128 v[103:106], v102 offset:768
	ds_read_b128 v[107:110], v102 offset:784
	s_waitcnt vmcnt(6) lgkmcnt(1)
	v_fma_f64 v[102:103], v[131:132], v[103:104], v[113:114]
	s_waitcnt vmcnt(5)
	v_fma_f64 v[102:103], v[129:130], v[105:106], v[102:103]
	s_waitcnt vmcnt(4) lgkmcnt(0)
	v_fma_f64 v[102:103], v[117:118], v[107:108], v[102:103]
	s_waitcnt vmcnt(2)
	v_fma_f64 v[102:103], v[111:112], v[109:110], v[102:103]
	s_waitcnt vmcnt(0)
	v_add_f64 v[102:103], v[123:124], -v[102:103]
	buffer_store_dword v103, off, s[0:3], 0 offset:12
	buffer_store_dword v102, off, s[0:3], 0 offset:8
	s_and_saveexec_b64 s[4:5], vcc
	s_cbranch_execz .LBB113_307
; %bb.306:
	buffer_load_dword v102, off, s[0:3], 0
	buffer_load_dword v103, off, s[0:3], 0 offset:4
	v_mov_b32_e32 v0, 0
	buffer_store_dword v0, off, s[0:3], 0
	buffer_store_dword v0, off, s[0:3], 0 offset:4
	s_waitcnt vmcnt(2)
	ds_write_b64 v101, v[102:103]
.LBB113_307:
	s_or_b64 exec, exec, s[4:5]
	s_waitcnt lgkmcnt(0)
	; wave barrier
	buffer_load_dword v109, off, s[0:3], 0 offset:8
	buffer_load_dword v110, off, s[0:3], 0 offset:12
	;; [unrolled: 1-line block ×21, first 2 shown]
	v_mov_b32_e32 v0, 0
	ds_read2_b64 v[101:104], v0 offset0:51 offset1:52
	ds_read2_b64 v[105:108], v0 offset0:53 offset1:54
	buffer_load_dword v126, off, s[0:3], 0 offset:92
	s_and_b64 vcc, exec, s[14:15]
	s_waitcnt vmcnt(20) lgkmcnt(1)
	v_fma_f64 v[101:102], v[109:110], v[101:102], 0
	s_waitcnt vmcnt(18)
	v_fma_f64 v[101:102], v[111:112], v[103:104], v[101:102]
	buffer_load_dword v110, off, s[0:3], 0 offset:100
	buffer_load_dword v111, off, s[0:3], 0 offset:120
	buffer_load_dword v131, off, s[0:3], 0 offset:112
	buffer_load_dword v133, off, s[0:3], 0 offset:104
	buffer_load_dword v109, off, s[0:3], 0 offset:96
	buffer_load_dword v134, off, s[0:3], 0 offset:108
	buffer_load_dword v132, off, s[0:3], 0 offset:116
	s_waitcnt vmcnt(23) lgkmcnt(0)
	v_fma_f64 v[101:102], v[113:114], v[105:106], v[101:102]
	s_waitcnt vmcnt(21)
	v_fma_f64 v[112:113], v[115:116], v[107:108], v[101:102]
	ds_read2_b64 v[101:104], v0 offset0:55 offset1:56
	ds_read2_b64 v[105:108], v0 offset0:57 offset1:58
	s_waitcnt vmcnt(19) lgkmcnt(1)
	v_fma_f64 v[101:102], v[117:118], v[101:102], v[112:113]
	buffer_load_dword v112, off, s[0:3], 0 offset:124
	s_waitcnt vmcnt(18)
	v_fma_f64 v[101:102], v[119:120], v[103:104], v[101:102]
	buffer_load_dword v114, off, s[0:3], 0 offset:132
	buffer_load_dword v115, off, s[0:3], 0 offset:152
	;; [unrolled: 1-line block ×8, first 2 shown]
	s_waitcnt vmcnt(24) lgkmcnt(0)
	v_fma_f64 v[101:102], v[121:122], v[105:106], v[101:102]
	s_waitcnt vmcnt(19)
	v_fma_f64 v[121:122], v[123:124], v[107:108], v[101:102]
	ds_read2_b64 v[101:104], v0 offset0:59 offset1:60
	ds_read2_b64 v[105:108], v0 offset0:61 offset1:62
	s_waitcnt vmcnt(18) lgkmcnt(1)
	v_fma_f64 v[101:102], v[129:130], v[101:102], v[121:122]
	s_waitcnt vmcnt(17)
	v_fma_f64 v[101:102], v[127:128], v[103:104], v[101:102]
	buffer_load_dword v122, off, s[0:3], 0 offset:164
	buffer_load_dword v123, off, s[0:3], 0 offset:184
	;; [unrolled: 1-line block ×7, first 2 shown]
	s_waitcnt vmcnt(23) lgkmcnt(0)
	v_fma_f64 v[101:102], v[125:126], v[105:106], v[101:102]
	s_waitcnt vmcnt(18)
	v_fma_f64 v[109:110], v[109:110], v[107:108], v[101:102]
	ds_read2_b64 v[101:104], v0 offset0:63 offset1:64
	ds_read2_b64 v[105:108], v0 offset0:65 offset1:66
	buffer_load_dword v124, off, s[0:3], 0 offset:188
	s_waitcnt vmcnt(18) lgkmcnt(1)
	v_fma_f64 v[101:102], v[133:134], v[101:102], v[109:110]
	s_waitcnt vmcnt(17)
	v_fma_f64 v[101:102], v[131:132], v[103:104], v[101:102]
	buffer_load_dword v110, off, s[0:3], 0 offset:196
	buffer_load_dword v125, off, s[0:3], 0 offset:216
	;; [unrolled: 1-line block ×7, first 2 shown]
	s_waitcnt vmcnt(23) lgkmcnt(0)
	v_fma_f64 v[101:102], v[111:112], v[105:106], v[101:102]
	s_waitcnt vmcnt(18)
	v_fma_f64 v[111:112], v[113:114], v[107:108], v[101:102]
	ds_read2_b64 v[101:104], v0 offset0:67 offset1:68
	ds_read2_b64 v[105:108], v0 offset0:69 offset1:70
	buffer_load_dword v126, off, s[0:3], 0 offset:220
	s_waitcnt vmcnt(18) lgkmcnt(1)
	v_fma_f64 v[101:102], v[119:120], v[101:102], v[111:112]
	s_waitcnt vmcnt(17)
	v_fma_f64 v[101:102], v[117:118], v[103:104], v[101:102]
	buffer_load_dword v112, off, s[0:3], 0 offset:228
	buffer_load_dword v113, off, s[0:3], 0 offset:248
	;; [unrolled: 1-line block ×7, first 2 shown]
	s_waitcnt vmcnt(23) lgkmcnt(0)
	v_fma_f64 v[101:102], v[115:116], v[105:106], v[101:102]
	s_waitcnt vmcnt(18)
	v_fma_f64 v[114:115], v[121:122], v[107:108], v[101:102]
	ds_read2_b64 v[101:104], v0 offset0:71 offset1:72
	ds_read2_b64 v[105:108], v0 offset0:73 offset1:74
	s_waitcnt vmcnt(17) lgkmcnt(1)
	v_fma_f64 v[101:102], v[129:130], v[101:102], v[114:115]
	buffer_load_dword v114, off, s[0:3], 0 offset:252
	s_waitcnt vmcnt(17)
	v_fma_f64 v[101:102], v[127:128], v[103:104], v[101:102]
	buffer_load_dword v116, off, s[0:3], 0 offset:260
	buffer_load_dword v121, off, s[0:3], 0 offset:280
	;; [unrolled: 1-line block ×7, first 2 shown]
	s_waitcnt vmcnt(23) lgkmcnt(0)
	v_fma_f64 v[101:102], v[123:124], v[105:106], v[101:102]
	s_waitcnt vmcnt(18)
	v_fma_f64 v[109:110], v[109:110], v[107:108], v[101:102]
	ds_read2_b64 v[101:104], v0 offset0:75 offset1:76
	ds_read2_b64 v[105:108], v0 offset0:77 offset1:78
	buffer_load_dword v122, off, s[0:3], 0 offset:284
	s_waitcnt vmcnt(18) lgkmcnt(1)
	v_fma_f64 v[101:102], v[133:134], v[101:102], v[109:110]
	s_waitcnt vmcnt(17)
	v_fma_f64 v[101:102], v[131:132], v[103:104], v[101:102]
	buffer_load_dword v110, off, s[0:3], 0 offset:292
	buffer_load_dword v123, off, s[0:3], 0 offset:312
	;; [unrolled: 1-line block ×7, first 2 shown]
	s_waitcnt vmcnt(23) lgkmcnt(0)
	v_fma_f64 v[101:102], v[125:126], v[105:106], v[101:102]
	s_waitcnt vmcnt(18)
	v_fma_f64 v[111:112], v[111:112], v[107:108], v[101:102]
	ds_read2_b64 v[101:104], v0 offset0:79 offset1:80
	ds_read2_b64 v[105:108], v0 offset0:81 offset1:82
	buffer_load_dword v124, off, s[0:3], 0 offset:316
	s_waitcnt vmcnt(18) lgkmcnt(1)
	v_fma_f64 v[101:102], v[119:120], v[101:102], v[111:112]
	s_waitcnt vmcnt(17)
	v_fma_f64 v[101:102], v[117:118], v[103:104], v[101:102]
	buffer_load_dword v112, off, s[0:3], 0 offset:324
	buffer_load_dword v117, off, s[0:3], 0 offset:344
	;; [unrolled: 1-line block ×8, first 2 shown]
	s_waitcnt vmcnt(24) lgkmcnt(0)
	v_fma_f64 v[101:102], v[113:114], v[105:106], v[101:102]
	s_waitcnt vmcnt(19)
	v_fma_f64 v[113:114], v[115:116], v[107:108], v[101:102]
	ds_read2_b64 v[101:104], v0 offset0:83 offset1:84
	ds_read2_b64 v[105:108], v0 offset0:85 offset1:86
	s_waitcnt vmcnt(18) lgkmcnt(1)
	v_fma_f64 v[101:102], v[129:130], v[101:102], v[113:114]
	s_waitcnt vmcnt(17)
	v_fma_f64 v[101:102], v[127:128], v[103:104], v[101:102]
	buffer_load_dword v114, off, s[0:3], 0 offset:356
	buffer_load_dword v115, off, s[0:3], 0 offset:376
	buffer_load_dword v127, off, s[0:3], 0 offset:368
	buffer_load_dword v129, off, s[0:3], 0 offset:360
	buffer_load_dword v113, off, s[0:3], 0 offset:352
	buffer_load_dword v130, off, s[0:3], 0 offset:364
	buffer_load_dword v128, off, s[0:3], 0 offset:372
	s_waitcnt vmcnt(23) lgkmcnt(0)
	v_fma_f64 v[101:102], v[121:122], v[105:106], v[101:102]
	s_waitcnt vmcnt(18)
	v_fma_f64 v[109:110], v[109:110], v[107:108], v[101:102]
	ds_read2_b64 v[101:104], v0 offset0:87 offset1:88
	ds_read2_b64 v[105:108], v0 offset0:89 offset1:90
	buffer_load_dword v116, off, s[0:3], 0 offset:380
	s_waitcnt vmcnt(18) lgkmcnt(1)
	v_fma_f64 v[101:102], v[133:134], v[101:102], v[109:110]
	s_waitcnt vmcnt(17)
	v_fma_f64 v[103:104], v[131:132], v[103:104], v[101:102]
	buffer_load_dword v102, off, s[0:3], 0 offset:388
	buffer_load_dword v121, off, s[0:3], 0 offset:392
	;; [unrolled: 1-line block ×4, first 2 shown]
	s_waitcnt vmcnt(20) lgkmcnt(0)
	v_fma_f64 v[103:104], v[123:124], v[105:106], v[103:104]
	buffer_load_dword v123, off, s[0:3], 0
	buffer_load_dword v124, off, s[0:3], 0 offset:4
	s_waitcnt vmcnt(17)
	v_fma_f64 v[111:112], v[111:112], v[107:108], v[103:104]
	ds_read2_b64 v[103:106], v0 offset0:91 offset1:92
	ds_read2_b64 v[107:110], v0 offset0:93 offset1:94
	s_waitcnt vmcnt(16) lgkmcnt(1)
	v_fma_f64 v[103:104], v[125:126], v[103:104], v[111:112]
	s_waitcnt vmcnt(15)
	v_fma_f64 v[103:104], v[119:120], v[105:106], v[103:104]
	s_waitcnt vmcnt(14) lgkmcnt(0)
	v_fma_f64 v[103:104], v[117:118], v[107:108], v[103:104]
	s_waitcnt vmcnt(9)
	v_fma_f64 v[111:112], v[113:114], v[109:110], v[103:104]
	ds_read2_b64 v[103:106], v0 offset0:95 offset1:96
	ds_read2_b64 v[107:110], v0 offset0:97 offset1:98
	s_waitcnt vmcnt(8) lgkmcnt(1)
	v_fma_f64 v[103:104], v[129:130], v[103:104], v[111:112]
	s_waitcnt vmcnt(7)
	v_fma_f64 v[103:104], v[127:128], v[105:106], v[103:104]
	ds_read_b64 v[105:106], v0 offset:792
	s_waitcnt vmcnt(6) lgkmcnt(1)
	v_fma_f64 v[103:104], v[115:116], v[107:108], v[103:104]
	s_waitcnt vmcnt(3)
	v_fma_f64 v[103:104], v[101:102], v[109:110], v[103:104]
	s_waitcnt vmcnt(2) lgkmcnt(0)
	v_fma_f64 v[103:104], v[121:122], v[105:106], v[103:104]
	s_waitcnt vmcnt(0)
	v_add_f64 v[103:104], v[123:124], -v[103:104]
	buffer_store_dword v104, off, s[0:3], 0 offset:4
	buffer_store_dword v103, off, s[0:3], 0
	s_cbranch_vccz .LBB113_406
; %bb.308:
	global_load_dword v0, v0, s[12:13] offset:192
	s_waitcnt vmcnt(0)
	v_add_u32_e32 v0, -1, v0
	v_cmp_ne_u32_e32 vcc, 48, v0
	s_cbranch_vccz .LBB113_310
; %bb.309:
	v_lshlrev_b32_e32 v0, 3, v0
	buffer_load_dword v103, v0, s[0:3], 0 offen offset:4
	buffer_load_dword v104, v0, s[0:3], 0 offen
	s_waitcnt vmcnt(1)
	buffer_store_dword v103, off, s[0:3], 0 offset:388
	s_waitcnt vmcnt(1)
	buffer_store_dword v104, off, s[0:3], 0 offset:384
	buffer_store_dword v102, v0, s[0:3], 0 offen offset:4
	buffer_store_dword v101, v0, s[0:3], 0 offen
.LBB113_310:
	v_mov_b32_e32 v0, 0
	global_load_dword v101, v0, s[12:13] offset:188
	s_waitcnt vmcnt(0)
	v_add_u32_e32 v101, -1, v101
	v_cmp_eq_u32_e32 vcc, 47, v101
	s_cbranch_vccnz .LBB113_312
; %bb.311:
	v_lshlrev_b32_e32 v101, 3, v101
	buffer_load_dword v102, v101, s[0:3], 0 offen
	buffer_load_dword v103, v101, s[0:3], 0 offen offset:4
	buffer_load_dword v104, off, s[0:3], 0 offset:376
	buffer_load_dword v105, off, s[0:3], 0 offset:380
	s_waitcnt vmcnt(3)
	buffer_store_dword v102, off, s[0:3], 0 offset:376
	s_waitcnt vmcnt(3)
	buffer_store_dword v103, off, s[0:3], 0 offset:380
	s_waitcnt vmcnt(3)
	buffer_store_dword v104, v101, s[0:3], 0 offen
	s_waitcnt vmcnt(3)
	buffer_store_dword v105, v101, s[0:3], 0 offen offset:4
.LBB113_312:
	global_load_dword v0, v0, s[12:13] offset:184
	s_waitcnt vmcnt(0)
	v_add_u32_e32 v0, -1, v0
	v_cmp_eq_u32_e32 vcc, 46, v0
	s_cbranch_vccnz .LBB113_314
; %bb.313:
	v_lshlrev_b32_e32 v0, 3, v0
	buffer_load_dword v101, v0, s[0:3], 0 offen
	buffer_load_dword v102, v0, s[0:3], 0 offen offset:4
	buffer_load_dword v103, off, s[0:3], 0 offset:372
	buffer_load_dword v104, off, s[0:3], 0 offset:368
	s_waitcnt vmcnt(3)
	buffer_store_dword v101, off, s[0:3], 0 offset:368
	s_waitcnt vmcnt(3)
	buffer_store_dword v102, off, s[0:3], 0 offset:372
	s_waitcnt vmcnt(3)
	buffer_store_dword v103, v0, s[0:3], 0 offen offset:4
	s_waitcnt vmcnt(3)
	buffer_store_dword v104, v0, s[0:3], 0 offen
.LBB113_314:
	v_mov_b32_e32 v0, 0
	global_load_dword v101, v0, s[12:13] offset:180
	s_waitcnt vmcnt(0)
	v_add_u32_e32 v101, -1, v101
	v_cmp_eq_u32_e32 vcc, 45, v101
	s_cbranch_vccnz .LBB113_316
; %bb.315:
	v_lshlrev_b32_e32 v101, 3, v101
	buffer_load_dword v102, v101, s[0:3], 0 offen
	buffer_load_dword v103, v101, s[0:3], 0 offen offset:4
	buffer_load_dword v104, off, s[0:3], 0 offset:360
	buffer_load_dword v105, off, s[0:3], 0 offset:364
	s_waitcnt vmcnt(3)
	buffer_store_dword v102, off, s[0:3], 0 offset:360
	s_waitcnt vmcnt(3)
	buffer_store_dword v103, off, s[0:3], 0 offset:364
	s_waitcnt vmcnt(3)
	buffer_store_dword v104, v101, s[0:3], 0 offen
	s_waitcnt vmcnt(3)
	buffer_store_dword v105, v101, s[0:3], 0 offen offset:4
.LBB113_316:
	global_load_dword v0, v0, s[12:13] offset:176
	s_waitcnt vmcnt(0)
	v_add_u32_e32 v0, -1, v0
	v_cmp_eq_u32_e32 vcc, 44, v0
	s_cbranch_vccnz .LBB113_318
; %bb.317:
	v_lshlrev_b32_e32 v0, 3, v0
	buffer_load_dword v101, v0, s[0:3], 0 offen
	buffer_load_dword v102, v0, s[0:3], 0 offen offset:4
	buffer_load_dword v103, off, s[0:3], 0 offset:356
	buffer_load_dword v104, off, s[0:3], 0 offset:352
	s_waitcnt vmcnt(3)
	buffer_store_dword v101, off, s[0:3], 0 offset:352
	s_waitcnt vmcnt(3)
	buffer_store_dword v102, off, s[0:3], 0 offset:356
	s_waitcnt vmcnt(3)
	buffer_store_dword v103, v0, s[0:3], 0 offen offset:4
	s_waitcnt vmcnt(3)
	buffer_store_dword v104, v0, s[0:3], 0 offen
.LBB113_318:
	;; [unrolled: 41-line block ×23, first 2 shown]
	v_mov_b32_e32 v0, 0
	global_load_dword v101, v0, s[12:13] offset:4
	s_waitcnt vmcnt(0)
	v_add_u32_e32 v101, -1, v101
	v_cmp_eq_u32_e32 vcc, 1, v101
	s_cbranch_vccnz .LBB113_404
; %bb.403:
	v_lshlrev_b32_e32 v101, 3, v101
	buffer_load_dword v102, v101, s[0:3], 0 offen
	buffer_load_dword v103, v101, s[0:3], 0 offen offset:4
	buffer_load_dword v104, off, s[0:3], 0 offset:8
	buffer_load_dword v105, off, s[0:3], 0 offset:12
	s_waitcnt vmcnt(3)
	buffer_store_dword v102, off, s[0:3], 0 offset:8
	s_waitcnt vmcnt(3)
	buffer_store_dword v103, off, s[0:3], 0 offset:12
	s_waitcnt vmcnt(3)
	buffer_store_dword v104, v101, s[0:3], 0 offen
	s_waitcnt vmcnt(3)
	buffer_store_dword v105, v101, s[0:3], 0 offen offset:4
.LBB113_404:
	global_load_dword v0, v0, s[12:13]
	s_nop 0
	buffer_load_dword v103, off, s[0:3], 0
	buffer_load_dword v104, off, s[0:3], 0 offset:4
	s_waitcnt vmcnt(2)
	v_add_u32_e32 v0, -1, v0
	v_cmp_eq_u32_e32 vcc, 0, v0
	s_cbranch_vccnz .LBB113_406
; %bb.405:
	v_lshlrev_b32_e32 v0, 3, v0
	buffer_load_dword v101, v0, s[0:3], 0 offen offset:4
	buffer_load_dword v102, v0, s[0:3], 0 offen
	s_waitcnt vmcnt(1)
	buffer_store_dword v101, off, s[0:3], 0 offset:4
	s_waitcnt vmcnt(1)
	buffer_store_dword v102, off, s[0:3], 0
	buffer_store_dword v104, v0, s[0:3], 0 offen offset:4
	buffer_store_dword v103, v0, s[0:3], 0 offen
	buffer_load_dword v103, off, s[0:3], 0
	s_nop 0
	buffer_load_dword v104, off, s[0:3], 0 offset:4
.LBB113_406:
	s_waitcnt vmcnt(0)
	flat_store_dwordx2 v[1:2], v[103:104]
	buffer_load_dword v0, off, s[0:3], 0 offset:8
	s_nop 0
	buffer_load_dword v1, off, s[0:3], 0 offset:12
	s_waitcnt vmcnt(0)
	flat_store_dwordx2 v[3:4], v[0:1]
	buffer_load_dword v0, off, s[0:3], 0 offset:16
	s_nop 0
	buffer_load_dword v1, off, s[0:3], 0 offset:20
	;; [unrolled: 5-line block ×49, first 2 shown]
	s_waitcnt vmcnt(0)
	flat_store_dwordx2 v[99:100], v[0:1]
	s_endpgm
	.section	.rodata,"a",@progbits
	.p2align	6, 0x0
	.amdhsa_kernel _ZN9rocsolver6v33100L18getri_kernel_smallILi50EdPKPdEEvT1_iilPiilS6_bb
		.amdhsa_group_segment_fixed_size 808
		.amdhsa_private_segment_fixed_size 416
		.amdhsa_kernarg_size 60
		.amdhsa_user_sgpr_count 6
		.amdhsa_user_sgpr_private_segment_buffer 1
		.amdhsa_user_sgpr_dispatch_ptr 0
		.amdhsa_user_sgpr_queue_ptr 0
		.amdhsa_user_sgpr_kernarg_segment_ptr 1
		.amdhsa_user_sgpr_dispatch_id 0
		.amdhsa_user_sgpr_flat_scratch_init 0
		.amdhsa_user_sgpr_private_segment_size 0
		.amdhsa_uses_dynamic_stack 0
		.amdhsa_system_sgpr_private_segment_wavefront_offset 1
		.amdhsa_system_sgpr_workgroup_id_x 1
		.amdhsa_system_sgpr_workgroup_id_y 0
		.amdhsa_system_sgpr_workgroup_id_z 0
		.amdhsa_system_sgpr_workgroup_info 0
		.amdhsa_system_vgpr_workitem_id 0
		.amdhsa_next_free_vgpr 137
		.amdhsa_next_free_sgpr 21
		.amdhsa_reserve_vcc 1
		.amdhsa_reserve_flat_scratch 0
		.amdhsa_float_round_mode_32 0
		.amdhsa_float_round_mode_16_64 0
		.amdhsa_float_denorm_mode_32 3
		.amdhsa_float_denorm_mode_16_64 3
		.amdhsa_dx10_clamp 1
		.amdhsa_ieee_mode 1
		.amdhsa_fp16_overflow 0
		.amdhsa_exception_fp_ieee_invalid_op 0
		.amdhsa_exception_fp_denorm_src 0
		.amdhsa_exception_fp_ieee_div_zero 0
		.amdhsa_exception_fp_ieee_overflow 0
		.amdhsa_exception_fp_ieee_underflow 0
		.amdhsa_exception_fp_ieee_inexact 0
		.amdhsa_exception_int_div_zero 0
	.end_amdhsa_kernel
	.section	.text._ZN9rocsolver6v33100L18getri_kernel_smallILi50EdPKPdEEvT1_iilPiilS6_bb,"axG",@progbits,_ZN9rocsolver6v33100L18getri_kernel_smallILi50EdPKPdEEvT1_iilPiilS6_bb,comdat
.Lfunc_end113:
	.size	_ZN9rocsolver6v33100L18getri_kernel_smallILi50EdPKPdEEvT1_iilPiilS6_bb, .Lfunc_end113-_ZN9rocsolver6v33100L18getri_kernel_smallILi50EdPKPdEEvT1_iilPiilS6_bb
                                        ; -- End function
	.set _ZN9rocsolver6v33100L18getri_kernel_smallILi50EdPKPdEEvT1_iilPiilS6_bb.num_vgpr, 137
	.set _ZN9rocsolver6v33100L18getri_kernel_smallILi50EdPKPdEEvT1_iilPiilS6_bb.num_agpr, 0
	.set _ZN9rocsolver6v33100L18getri_kernel_smallILi50EdPKPdEEvT1_iilPiilS6_bb.numbered_sgpr, 21
	.set _ZN9rocsolver6v33100L18getri_kernel_smallILi50EdPKPdEEvT1_iilPiilS6_bb.num_named_barrier, 0
	.set _ZN9rocsolver6v33100L18getri_kernel_smallILi50EdPKPdEEvT1_iilPiilS6_bb.private_seg_size, 416
	.set _ZN9rocsolver6v33100L18getri_kernel_smallILi50EdPKPdEEvT1_iilPiilS6_bb.uses_vcc, 1
	.set _ZN9rocsolver6v33100L18getri_kernel_smallILi50EdPKPdEEvT1_iilPiilS6_bb.uses_flat_scratch, 0
	.set _ZN9rocsolver6v33100L18getri_kernel_smallILi50EdPKPdEEvT1_iilPiilS6_bb.has_dyn_sized_stack, 0
	.set _ZN9rocsolver6v33100L18getri_kernel_smallILi50EdPKPdEEvT1_iilPiilS6_bb.has_recursion, 0
	.set _ZN9rocsolver6v33100L18getri_kernel_smallILi50EdPKPdEEvT1_iilPiilS6_bb.has_indirect_call, 0
	.section	.AMDGPU.csdata,"",@progbits
; Kernel info:
; codeLenInByte = 64148
; TotalNumSgprs: 25
; NumVgprs: 137
; ScratchSize: 416
; MemoryBound: 1
; FloatMode: 240
; IeeeMode: 1
; LDSByteSize: 808 bytes/workgroup (compile time only)
; SGPRBlocks: 3
; VGPRBlocks: 34
; NumSGPRsForWavesPerEU: 25
; NumVGPRsForWavesPerEU: 137
; Occupancy: 1
; WaveLimiterHint : 1
; COMPUTE_PGM_RSRC2:SCRATCH_EN: 1
; COMPUTE_PGM_RSRC2:USER_SGPR: 6
; COMPUTE_PGM_RSRC2:TRAP_HANDLER: 0
; COMPUTE_PGM_RSRC2:TGID_X_EN: 1
; COMPUTE_PGM_RSRC2:TGID_Y_EN: 0
; COMPUTE_PGM_RSRC2:TGID_Z_EN: 0
; COMPUTE_PGM_RSRC2:TIDIG_COMP_CNT: 0
	.section	.text._ZN9rocsolver6v33100L18getri_kernel_smallILi51EdPKPdEEvT1_iilPiilS6_bb,"axG",@progbits,_ZN9rocsolver6v33100L18getri_kernel_smallILi51EdPKPdEEvT1_iilPiilS6_bb,comdat
	.globl	_ZN9rocsolver6v33100L18getri_kernel_smallILi51EdPKPdEEvT1_iilPiilS6_bb ; -- Begin function _ZN9rocsolver6v33100L18getri_kernel_smallILi51EdPKPdEEvT1_iilPiilS6_bb
	.p2align	8
	.type	_ZN9rocsolver6v33100L18getri_kernel_smallILi51EdPKPdEEvT1_iilPiilS6_bb,@function
_ZN9rocsolver6v33100L18getri_kernel_smallILi51EdPKPdEEvT1_iilPiilS6_bb: ; @_ZN9rocsolver6v33100L18getri_kernel_smallILi51EdPKPdEEvT1_iilPiilS6_bb
; %bb.0:
	s_add_u32 s0, s0, s7
	s_addc_u32 s1, s1, 0
	v_cmp_gt_u32_e32 vcc, 51, v0
	s_and_saveexec_b64 s[8:9], vcc
	s_cbranch_execz .LBB114_212
; %bb.1:
	s_load_dword s18, s[4:5], 0x38
	s_load_dwordx2 s[12:13], s[4:5], 0x0
	s_load_dwordx4 s[8:11], s[4:5], 0x28
	s_waitcnt lgkmcnt(0)
	s_bitcmp1_b32 s18, 8
	s_cselect_b64 s[14:15], -1, 0
	s_ashr_i32 s7, s6, 31
	s_lshl_b64 s[16:17], s[6:7], 3
	s_add_u32 s12, s12, s16
	s_addc_u32 s13, s13, s17
	s_load_dwordx2 s[16:17], s[12:13], 0x0
	s_bfe_u32 s12, s18, 0x10008
	s_cmp_eq_u32 s12, 0
                                        ; implicit-def: $sgpr12_sgpr13
	s_cbranch_scc1 .LBB114_3
; %bb.2:
	s_load_dword s12, s[4:5], 0x20
	s_load_dwordx2 s[18:19], s[4:5], 0x18
	s_mul_i32 s13, s8, s7
	s_mul_hi_u32 s20, s8, s6
	s_add_i32 s20, s20, s13
	s_mul_i32 s9, s9, s6
	s_add_i32 s9, s20, s9
	s_mul_i32 s8, s8, s6
	s_waitcnt lgkmcnt(0)
	s_ashr_i32 s13, s12, 31
	s_lshl_b64 s[8:9], s[8:9], 2
	s_add_u32 s18, s18, s8
	s_addc_u32 s19, s19, s9
	s_lshl_b64 s[8:9], s[12:13], 2
	s_add_u32 s12, s18, s8
	s_addc_u32 s13, s19, s9
.LBB114_3:
	s_load_dwordx2 s[8:9], s[4:5], 0x8
	s_load_dword s18, s[4:5], 0x38
	v_lshlrev_b32_e32 v105, 3, v0
	s_waitcnt lgkmcnt(0)
	s_ashr_i32 s5, s8, 31
	s_mov_b32 s4, s8
	s_lshl_b64 s[4:5], s[4:5], 3
	s_add_u32 s4, s16, s4
	s_addc_u32 s5, s17, s5
	v_mov_b32_e32 v2, s5
	v_add_co_u32_e32 v1, vcc, s4, v105
	v_addc_co_u32_e32 v2, vcc, 0, v2, vcc
	flat_load_dwordx2 v[5:6], v[1:2]
	s_mov_b32 s16, s9
	s_ashr_i32 s17, s9, 31
	s_lshl_b64 s[16:17], s[16:17], 3
	v_mov_b32_e32 v4, s17
	v_add_co_u32_e32 v3, vcc, s16, v1
	v_addc_co_u32_e32 v4, vcc, v2, v4, vcc
	s_add_i32 s8, s9, s9
	v_add_u32_e32 v9, s8, v0
	v_ashrrev_i32_e32 v10, 31, v9
	v_mov_b32_e32 v11, s5
	v_add_u32_e32 v12, s9, v9
	v_ashrrev_i32_e32 v13, 31, v12
	v_mov_b32_e32 v14, s5
	v_mov_b32_e32 v15, s5
	v_mov_b32_e32 v17, s5
	v_mov_b32_e32 v20, s5
	v_mov_b32_e32 v21, s5
	v_mov_b32_e32 v23, s5
	v_mov_b32_e32 v26, s5
	v_mov_b32_e32 v27, s5
	v_mov_b32_e32 v29, s5
	v_mov_b32_e32 v32, s5
	v_mov_b32_e32 v33, s5
	v_mov_b32_e32 v35, s5
	v_mov_b32_e32 v38, s5
	v_mov_b32_e32 v39, s5
	v_mov_b32_e32 v41, s5
	v_mov_b32_e32 v44, s5
	v_mov_b32_e32 v45, s5
	v_mov_b32_e32 v47, s5
	v_mov_b32_e32 v50, s5
	v_mov_b32_e32 v51, s5
	v_mov_b32_e32 v53, s5
	v_mov_b32_e32 v56, s5
	v_mov_b32_e32 v57, s5
	v_mov_b32_e32 v59, s5
	v_mov_b32_e32 v62, s5
	v_mov_b32_e32 v63, s5
	v_mov_b32_e32 v65, s5
	v_mov_b32_e32 v68, s5
	v_mov_b32_e32 v69, s5
	v_mov_b32_e32 v71, s5
	v_mov_b32_e32 v74, s5
	v_mov_b32_e32 v75, s5
	v_mov_b32_e32 v77, s5
	v_mov_b32_e32 v80, s5
	v_mov_b32_e32 v81, s5
	v_mov_b32_e32 v83, s5
	v_mov_b32_e32 v86, s5
	v_mov_b32_e32 v87, s5
	v_mov_b32_e32 v89, s5
	v_mov_b32_e32 v92, s5
	v_mov_b32_e32 v93, s5
	v_mov_b32_e32 v95, s5
	v_mov_b32_e32 v98, s5
	v_mov_b32_e32 v99, s5
	v_mov_b32_e32 v101, s5
	v_mov_b32_e32 v104, s5
	v_mov_b32_e32 v106, s5
	s_bitcmp0_b32 s18, 0
	s_waitcnt vmcnt(0) lgkmcnt(0)
	buffer_store_dword v6, off, s[0:3], 0 offset:4
	buffer_store_dword v5, off, s[0:3], 0
	flat_load_dwordx2 v[7:8], v[3:4]
	v_lshlrev_b64 v[5:6], 3, v[9:10]
	s_waitcnt vmcnt(0) lgkmcnt(0)
	buffer_store_dword v8, off, s[0:3], 0 offset:12
	buffer_store_dword v7, off, s[0:3], 0 offset:8
	v_add_co_u32_e32 v5, vcc, s4, v5
	v_addc_co_u32_e32 v6, vcc, v11, v6, vcc
	flat_load_dwordx2 v[10:11], v[5:6]
	v_lshlrev_b64 v[7:8], 3, v[12:13]
	s_waitcnt vmcnt(0) lgkmcnt(0)
	buffer_store_dword v11, off, s[0:3], 0 offset:20
	buffer_store_dword v10, off, s[0:3], 0 offset:16
	v_add_co_u32_e32 v7, vcc, s4, v7
	v_addc_co_u32_e32 v8, vcc, v14, v8, vcc
	flat_load_dwordx2 v[13:14], v[7:8]
	v_add_u32_e32 v11, s9, v12
	v_ashrrev_i32_e32 v12, 31, v11
	v_lshlrev_b64 v[9:10], 3, v[11:12]
	s_waitcnt vmcnt(0) lgkmcnt(0)
	buffer_store_dword v14, off, s[0:3], 0 offset:28
	buffer_store_dword v13, off, s[0:3], 0 offset:24
	v_add_co_u32_e32 v9, vcc, s4, v9
	v_addc_co_u32_e32 v10, vcc, v15, v10, vcc
	flat_load_dwordx2 v[13:14], v[9:10]
	v_add_u32_e32 v15, s9, v11
	v_ashrrev_i32_e32 v16, 31, v15
	v_lshlrev_b64 v[11:12], 3, v[15:16]
	v_add_u32_e32 v18, s9, v15
	v_add_co_u32_e32 v11, vcc, s4, v11
	v_addc_co_u32_e32 v12, vcc, v17, v12, vcc
	v_ashrrev_i32_e32 v19, 31, v18
	s_waitcnt vmcnt(0) lgkmcnt(0)
	buffer_store_dword v14, off, s[0:3], 0 offset:36
	buffer_store_dword v13, off, s[0:3], 0 offset:32
	flat_load_dwordx2 v[16:17], v[11:12]
	v_lshlrev_b64 v[13:14], 3, v[18:19]
	s_waitcnt vmcnt(0) lgkmcnt(0)
	buffer_store_dword v17, off, s[0:3], 0 offset:44
	buffer_store_dword v16, off, s[0:3], 0 offset:40
	v_add_co_u32_e32 v13, vcc, s4, v13
	v_addc_co_u32_e32 v14, vcc, v20, v14, vcc
	flat_load_dwordx2 v[19:20], v[13:14]
	v_add_u32_e32 v17, s9, v18
	v_ashrrev_i32_e32 v18, 31, v17
	v_lshlrev_b64 v[15:16], 3, v[17:18]
	s_waitcnt vmcnt(0) lgkmcnt(0)
	buffer_store_dword v20, off, s[0:3], 0 offset:52
	buffer_store_dword v19, off, s[0:3], 0 offset:48
	v_add_co_u32_e32 v15, vcc, s4, v15
	v_addc_co_u32_e32 v16, vcc, v21, v16, vcc
	flat_load_dwordx2 v[19:20], v[15:16]
	v_add_u32_e32 v21, s9, v17
	v_ashrrev_i32_e32 v22, 31, v21
	v_lshlrev_b64 v[17:18], 3, v[21:22]
	v_add_u32_e32 v24, s9, v21
	v_add_co_u32_e32 v17, vcc, s4, v17
	v_addc_co_u32_e32 v18, vcc, v23, v18, vcc
	v_ashrrev_i32_e32 v25, 31, v24
	s_waitcnt vmcnt(0) lgkmcnt(0)
	buffer_store_dword v20, off, s[0:3], 0 offset:60
	buffer_store_dword v19, off, s[0:3], 0 offset:56
	;; [unrolled: 27-line block ×7, first 2 shown]
	flat_load_dwordx2 v[52:53], v[47:48]
	v_lshlrev_b64 v[49:50], 3, v[54:55]
	s_waitcnt vmcnt(0) lgkmcnt(0)
	buffer_store_dword v53, off, s[0:3], 0 offset:188
	buffer_store_dword v52, off, s[0:3], 0 offset:184
	v_add_co_u32_e32 v49, vcc, s4, v49
	v_addc_co_u32_e32 v50, vcc, v56, v50, vcc
	flat_load_dwordx2 v[55:56], v[49:50]
	v_add_u32_e32 v53, s9, v54
	v_ashrrev_i32_e32 v54, 31, v53
	v_lshlrev_b64 v[51:52], 3, v[53:54]
	s_waitcnt vmcnt(0) lgkmcnt(0)
	buffer_store_dword v56, off, s[0:3], 0 offset:196
	buffer_store_dword v55, off, s[0:3], 0 offset:192
	v_add_co_u32_e32 v51, vcc, s4, v51
	v_addc_co_u32_e32 v52, vcc, v57, v52, vcc
	flat_load_dwordx2 v[55:56], v[51:52]
	v_add_u32_e32 v57, s9, v53
	v_ashrrev_i32_e32 v58, 31, v57
	v_lshlrev_b64 v[53:54], 3, v[57:58]
	v_add_u32_e32 v60, s9, v57
	v_add_co_u32_e32 v53, vcc, s4, v53
	v_addc_co_u32_e32 v54, vcc, v59, v54, vcc
	s_waitcnt vmcnt(0) lgkmcnt(0)
	buffer_store_dword v56, off, s[0:3], 0 offset:204
	buffer_store_dword v55, off, s[0:3], 0 offset:200
	flat_load_dwordx2 v[58:59], v[53:54]
	v_ashrrev_i32_e32 v61, 31, v60
	v_lshlrev_b64 v[55:56], 3, v[60:61]
	s_waitcnt vmcnt(0) lgkmcnt(0)
	buffer_store_dword v59, off, s[0:3], 0 offset:212
	buffer_store_dword v58, off, s[0:3], 0 offset:208
	v_add_co_u32_e32 v55, vcc, s4, v55
	v_addc_co_u32_e32 v56, vcc, v62, v56, vcc
	flat_load_dwordx2 v[61:62], v[55:56]
	v_add_u32_e32 v59, s9, v60
	v_ashrrev_i32_e32 v60, 31, v59
	v_lshlrev_b64 v[57:58], 3, v[59:60]
	s_waitcnt vmcnt(0) lgkmcnt(0)
	buffer_store_dword v62, off, s[0:3], 0 offset:220
	buffer_store_dword v61, off, s[0:3], 0 offset:216
	v_add_co_u32_e32 v57, vcc, s4, v57
	v_addc_co_u32_e32 v58, vcc, v63, v58, vcc
	flat_load_dwordx2 v[61:62], v[57:58]
	v_add_u32_e32 v63, s9, v59
	;; [unrolled: 9-line block ×23, first 2 shown]
	v_ashrrev_i32_e32 v102, 31, v101
	v_lshlrev_b64 v[101:102], 3, v[101:102]
	s_waitcnt vmcnt(0) lgkmcnt(0)
	buffer_store_dword v104, off, s[0:3], 0 offset:396
	buffer_store_dword v103, off, s[0:3], 0 offset:392
	v_add_co_u32_e32 v101, vcc, s4, v101
	v_addc_co_u32_e32 v102, vcc, v106, v102, vcc
	flat_load_dwordx2 v[103:104], v[101:102]
	s_mov_b64 s[8:9], -1
	s_waitcnt vmcnt(0) lgkmcnt(0)
	buffer_store_dword v104, off, s[0:3], 0 offset:404
	buffer_store_dword v103, off, s[0:3], 0 offset:400
	s_cbranch_scc1 .LBB114_210
; %bb.4:
	v_cmp_eq_u32_e64 s[4:5], 0, v0
	s_and_saveexec_b64 s[8:9], s[4:5]
; %bb.5:
	v_mov_b32_e32 v103, 0
	ds_write_b32 v103, v103 offset:408
; %bb.6:
	s_or_b64 exec, exec, s[8:9]
	v_mov_b32_e32 v103, 0
	v_lshl_add_u32 v103, v0, 3, v103
	s_waitcnt lgkmcnt(0)
	; wave barrier
	buffer_load_dword v106, v103, s[0:3], 0 offen
	buffer_load_dword v107, v103, s[0:3], 0 offen offset:4
	s_waitcnt vmcnt(0)
	v_cmp_eq_f64_e32 vcc, 0, v[106:107]
	s_and_saveexec_b64 s[16:17], vcc
	s_cbranch_execz .LBB114_10
; %bb.7:
	v_mov_b32_e32 v104, 0
	ds_read_b32 v107, v104 offset:408
	v_add_u32_e32 v106, 1, v0
	s_waitcnt lgkmcnt(0)
	v_readfirstlane_b32 s8, v107
	s_cmp_eq_u32 s8, 0
	s_cselect_b64 s[18:19], -1, 0
	v_cmp_gt_i32_e32 vcc, s8, v106
	s_or_b64 s[18:19], s[18:19], vcc
	s_and_b64 exec, exec, s[18:19]
	s_cbranch_execz .LBB114_10
; %bb.8:
	s_mov_b64 s[18:19], 0
	v_mov_b32_e32 v107, s8
.LBB114_9:                              ; =>This Inner Loop Header: Depth=1
	ds_cmpst_rtn_b32 v107, v104, v107, v106 offset:408
	s_waitcnt lgkmcnt(0)
	v_cmp_ne_u32_e32 vcc, 0, v107
	v_cmp_le_i32_e64 s[8:9], v107, v106
	s_and_b64 s[8:9], vcc, s[8:9]
	s_and_b64 s[8:9], exec, s[8:9]
	s_or_b64 s[18:19], s[8:9], s[18:19]
	s_andn2_b64 exec, exec, s[18:19]
	s_cbranch_execnz .LBB114_9
.LBB114_10:
	s_or_b64 exec, exec, s[16:17]
	v_mov_b32_e32 v106, 0
	; wave barrier
	ds_read_b32 v104, v106 offset:408
	s_and_saveexec_b64 s[8:9], s[4:5]
	s_cbranch_execz .LBB114_12
; %bb.11:
	s_lshl_b64 s[16:17], s[6:7], 2
	s_add_u32 s16, s10, s16
	s_addc_u32 s17, s11, s17
	s_waitcnt lgkmcnt(0)
	global_store_dword v106, v104, s[16:17]
.LBB114_12:
	s_or_b64 exec, exec, s[8:9]
	s_waitcnt lgkmcnt(0)
	v_cmp_ne_u32_e32 vcc, 0, v104
	s_mov_b64 s[8:9], 0
	s_cbranch_vccnz .LBB114_210
; %bb.13:
	buffer_load_dword v106, v103, s[0:3], 0 offen
	buffer_load_dword v107, v103, s[0:3], 0 offen offset:4
	s_waitcnt vmcnt(0)
	v_div_scale_f64 v[108:109], s[8:9], v[106:107], v[106:107], 1.0
	v_rcp_f64_e32 v[110:111], v[108:109]
	v_fma_f64 v[112:113], -v[108:109], v[110:111], 1.0
	v_fma_f64 v[110:111], v[110:111], v[112:113], v[110:111]
	v_div_scale_f64 v[112:113], vcc, 1.0, v[106:107], 1.0
	v_fma_f64 v[114:115], -v[108:109], v[110:111], 1.0
	v_fma_f64 v[110:111], v[110:111], v[114:115], v[110:111]
	v_mul_f64 v[114:115], v[112:113], v[110:111]
	v_fma_f64 v[108:109], -v[108:109], v[114:115], v[112:113]
	v_div_fmas_f64 v[108:109], v[108:109], v[110:111], v[114:115]
	v_div_fixup_f64 v[107:108], v[108:109], v[106:107], 1.0
	v_add_u32_e32 v106, 0x1a0, v105
	buffer_store_dword v108, v103, s[0:3], 0 offen offset:4
	buffer_store_dword v107, v103, s[0:3], 0 offen
	buffer_load_dword v110, off, s[0:3], 0 offset:12
	buffer_load_dword v109, off, s[0:3], 0 offset:8
	v_xor_b32_e32 v108, 0x80000000, v108
	s_waitcnt vmcnt(0)
	ds_write2_b64 v105, v[107:108], v[109:110] offset1:52
	s_waitcnt lgkmcnt(0)
	; wave barrier
	s_and_saveexec_b64 s[8:9], s[4:5]
	s_cbranch_execz .LBB114_15
; %bb.14:
	buffer_load_dword v107, v103, s[0:3], 0 offen
	buffer_load_dword v108, v103, s[0:3], 0 offen offset:4
	ds_read_b64 v[109:110], v106
	v_mov_b32_e32 v104, 0
	ds_read_b64 v[111:112], v104 offset:8
	s_waitcnt vmcnt(0) lgkmcnt(1)
	v_fma_f64 v[107:108], v[107:108], v[109:110], 0
	s_waitcnt lgkmcnt(0)
	v_mul_f64 v[107:108], v[107:108], v[111:112]
	buffer_store_dword v107, off, s[0:3], 0 offset:8
	buffer_store_dword v108, off, s[0:3], 0 offset:12
.LBB114_15:
	s_or_b64 exec, exec, s[8:9]
	; wave barrier
	buffer_load_dword v107, off, s[0:3], 0 offset:16
	buffer_load_dword v108, off, s[0:3], 0 offset:20
	v_cmp_gt_u32_e32 vcc, 2, v0
	s_waitcnt vmcnt(0)
	ds_write_b64 v106, v[107:108]
	s_waitcnt lgkmcnt(0)
	; wave barrier
	s_and_saveexec_b64 s[8:9], vcc
	s_cbranch_execz .LBB114_17
; %bb.16:
	buffer_load_dword v107, v103, s[0:3], 0 offen
	buffer_load_dword v108, v103, s[0:3], 0 offen offset:4
                                        ; kill: killed $vgpr103
	s_nop 0
	buffer_load_dword v103, off, s[0:3], 0 offset:8
	buffer_load_dword v104, off, s[0:3], 0 offset:12
	ds_read_b64 v[109:110], v106
	s_waitcnt vmcnt(2) lgkmcnt(0)
	v_fma_f64 v[111:112], v[107:108], v[109:110], 0
	v_mov_b32_e32 v107, 0
	ds_read2_b64 v[107:110], v107 offset0:2 offset1:53
	s_waitcnt vmcnt(0) lgkmcnt(0)
	v_fma_f64 v[103:104], v[103:104], v[109:110], v[111:112]
	v_cndmask_b32_e64 v104, v112, v104, s[4:5]
	v_cndmask_b32_e64 v103, v111, v103, s[4:5]
	v_mul_f64 v[103:104], v[103:104], v[107:108]
	buffer_store_dword v104, off, s[0:3], 0 offset:20
	buffer_store_dword v103, off, s[0:3], 0 offset:16
.LBB114_17:
	s_or_b64 exec, exec, s[8:9]
	; wave barrier
	buffer_load_dword v103, off, s[0:3], 0 offset:24
	buffer_load_dword v104, off, s[0:3], 0 offset:28
	v_cmp_gt_u32_e32 vcc, 3, v0
	v_add_u32_e32 v107, -1, v0
	s_waitcnt vmcnt(0)
	ds_write_b64 v106, v[103:104]
	s_waitcnt lgkmcnt(0)
	; wave barrier
	s_and_saveexec_b64 s[4:5], vcc
	s_cbranch_execz .LBB114_21
; %bb.18:
	v_mov_b32_e32 v103, 0
	v_add_u32_e32 v108, -1, v0
	v_add_u32_e32 v109, 0x1a0, v105
	v_mov_b32_e32 v110, v105
	v_mov_b32_e32 v104, 0
	s_mov_b64 s[8:9], 0
.LBB114_19:                             ; =>This Inner Loop Header: Depth=1
	buffer_load_dword v111, v110, s[0:3], 0 offen
	buffer_load_dword v112, v110, s[0:3], 0 offen offset:4
	ds_read_b64 v[113:114], v109
	v_add_u32_e32 v108, 1, v108
	v_cmp_lt_u32_e32 vcc, 1, v108
	v_add_u32_e32 v109, 8, v109
	s_or_b64 s[8:9], vcc, s[8:9]
	v_add_u32_e32 v110, 8, v110
	s_waitcnt vmcnt(0) lgkmcnt(0)
	v_fma_f64 v[103:104], v[111:112], v[113:114], v[103:104]
	s_andn2_b64 exec, exec, s[8:9]
	s_cbranch_execnz .LBB114_19
; %bb.20:
	s_or_b64 exec, exec, s[8:9]
	v_mov_b32_e32 v108, 0
	ds_read_b64 v[108:109], v108 offset:24
	s_waitcnt lgkmcnt(0)
	v_mul_f64 v[103:104], v[103:104], v[108:109]
	buffer_store_dword v104, off, s[0:3], 0 offset:28
	buffer_store_dword v103, off, s[0:3], 0 offset:24
.LBB114_21:
	s_or_b64 exec, exec, s[4:5]
	; wave barrier
	buffer_load_dword v103, off, s[0:3], 0 offset:32
	buffer_load_dword v104, off, s[0:3], 0 offset:36
	v_cmp_gt_u32_e32 vcc, 4, v0
	s_waitcnt vmcnt(0)
	ds_write_b64 v106, v[103:104]
	s_waitcnt lgkmcnt(0)
	; wave barrier
	s_and_saveexec_b64 s[4:5], vcc
	s_cbranch_execz .LBB114_25
; %bb.22:
	v_mov_b32_e32 v103, 0
	v_add_u32_e32 v108, -1, v0
	v_add_u32_e32 v109, 0x1a0, v105
	v_mov_b32_e32 v110, v105
	v_mov_b32_e32 v104, 0
	s_mov_b64 s[8:9], 0
.LBB114_23:                             ; =>This Inner Loop Header: Depth=1
	buffer_load_dword v111, v110, s[0:3], 0 offen
	buffer_load_dword v112, v110, s[0:3], 0 offen offset:4
	ds_read_b64 v[113:114], v109
	v_add_u32_e32 v108, 1, v108
	v_cmp_lt_u32_e32 vcc, 2, v108
	v_add_u32_e32 v109, 8, v109
	s_or_b64 s[8:9], vcc, s[8:9]
	v_add_u32_e32 v110, 8, v110
	s_waitcnt vmcnt(0) lgkmcnt(0)
	v_fma_f64 v[103:104], v[111:112], v[113:114], v[103:104]
	s_andn2_b64 exec, exec, s[8:9]
	s_cbranch_execnz .LBB114_23
; %bb.24:
	s_or_b64 exec, exec, s[8:9]
	v_mov_b32_e32 v108, 0
	ds_read_b64 v[108:109], v108 offset:32
	s_waitcnt lgkmcnt(0)
	v_mul_f64 v[103:104], v[103:104], v[108:109]
	buffer_store_dword v104, off, s[0:3], 0 offset:36
	buffer_store_dword v103, off, s[0:3], 0 offset:32
.LBB114_25:
	s_or_b64 exec, exec, s[4:5]
	; wave barrier
	buffer_load_dword v103, off, s[0:3], 0 offset:40
	buffer_load_dword v104, off, s[0:3], 0 offset:44
	v_cmp_gt_u32_e32 vcc, 5, v0
	;; [unrolled: 40-line block ×21, first 2 shown]
	s_waitcnt vmcnt(0)
	ds_write_b64 v106, v[103:104]
	s_waitcnt lgkmcnt(0)
	; wave barrier
	s_and_saveexec_b64 s[4:5], vcc
	s_cbranch_execz .LBB114_105
; %bb.102:
	v_mov_b32_e32 v103, 0
	v_add_u32_e32 v108, -1, v0
	v_add_u32_e32 v109, 0x1a0, v105
	v_mov_b32_e32 v110, v105
	v_mov_b32_e32 v104, 0
	s_mov_b64 s[8:9], 0
.LBB114_103:                            ; =>This Inner Loop Header: Depth=1
	buffer_load_dword v111, v110, s[0:3], 0 offen
	buffer_load_dword v112, v110, s[0:3], 0 offen offset:4
	ds_read_b64 v[113:114], v109
	v_add_u32_e32 v108, 1, v108
	v_cmp_lt_u32_e32 vcc, 22, v108
	v_add_u32_e32 v109, 8, v109
	s_or_b64 s[8:9], vcc, s[8:9]
	v_add_u32_e32 v110, 8, v110
	s_waitcnt vmcnt(0) lgkmcnt(0)
	v_fma_f64 v[103:104], v[111:112], v[113:114], v[103:104]
	s_andn2_b64 exec, exec, s[8:9]
	s_cbranch_execnz .LBB114_103
; %bb.104:
	s_or_b64 exec, exec, s[8:9]
	v_mov_b32_e32 v108, 0
	ds_read_b64 v[108:109], v108 offset:192
	s_waitcnt lgkmcnt(0)
	v_mul_f64 v[103:104], v[103:104], v[108:109]
	buffer_store_dword v104, off, s[0:3], 0 offset:196
	buffer_store_dword v103, off, s[0:3], 0 offset:192
.LBB114_105:
	s_or_b64 exec, exec, s[4:5]
	; wave barrier
	buffer_load_dword v103, off, s[0:3], 0 offset:200
	buffer_load_dword v104, off, s[0:3], 0 offset:204
	v_cmp_gt_u32_e32 vcc, 25, v0
	s_waitcnt vmcnt(0)
	ds_write_b64 v106, v[103:104]
	s_waitcnt lgkmcnt(0)
	; wave barrier
	s_and_saveexec_b64 s[4:5], vcc
	s_cbranch_execz .LBB114_109
; %bb.106:
	v_mov_b32_e32 v103, 0
	v_add_u32_e32 v108, -1, v0
	v_add_u32_e32 v109, 0x1a0, v105
	v_mov_b32_e32 v110, v105
	v_mov_b32_e32 v104, 0
	s_mov_b64 s[8:9], 0
.LBB114_107:                            ; =>This Inner Loop Header: Depth=1
	buffer_load_dword v111, v110, s[0:3], 0 offen
	buffer_load_dword v112, v110, s[0:3], 0 offen offset:4
	ds_read_b64 v[113:114], v109
	v_add_u32_e32 v108, 1, v108
	v_cmp_lt_u32_e32 vcc, 23, v108
	v_add_u32_e32 v109, 8, v109
	s_or_b64 s[8:9], vcc, s[8:9]
	v_add_u32_e32 v110, 8, v110
	s_waitcnt vmcnt(0) lgkmcnt(0)
	v_fma_f64 v[103:104], v[111:112], v[113:114], v[103:104]
	s_andn2_b64 exec, exec, s[8:9]
	s_cbranch_execnz .LBB114_107
; %bb.108:
	s_or_b64 exec, exec, s[8:9]
	v_mov_b32_e32 v108, 0
	ds_read_b64 v[108:109], v108 offset:200
	s_waitcnt lgkmcnt(0)
	v_mul_f64 v[103:104], v[103:104], v[108:109]
	buffer_store_dword v104, off, s[0:3], 0 offset:204
	buffer_store_dword v103, off, s[0:3], 0 offset:200
.LBB114_109:
	s_or_b64 exec, exec, s[4:5]
	; wave barrier
	buffer_load_dword v103, off, s[0:3], 0 offset:208
	buffer_load_dword v104, off, s[0:3], 0 offset:212
	v_cmp_gt_u32_e32 vcc, 26, v0
	;; [unrolled: 40-line block ×25, first 2 shown]
	s_waitcnt vmcnt(0)
	ds_write_b64 v106, v[103:104]
	s_waitcnt lgkmcnt(0)
	; wave barrier
	s_and_saveexec_b64 s[4:5], vcc
	s_cbranch_execz .LBB114_205
; %bb.202:
	v_mov_b32_e32 v103, 0
	v_add_u32_e32 v108, -1, v0
	v_add_u32_e32 v109, 0x1a0, v105
	v_mov_b32_e32 v110, v105
	v_mov_b32_e32 v104, 0
	s_mov_b64 s[8:9], 0
.LBB114_203:                            ; =>This Inner Loop Header: Depth=1
	buffer_load_dword v111, v110, s[0:3], 0 offen
	buffer_load_dword v112, v110, s[0:3], 0 offen offset:4
	ds_read_b64 v[113:114], v109
	v_add_u32_e32 v108, 1, v108
	v_cmp_lt_u32_e32 vcc, 47, v108
	v_add_u32_e32 v109, 8, v109
	s_or_b64 s[8:9], vcc, s[8:9]
	v_add_u32_e32 v110, 8, v110
	s_waitcnt vmcnt(0) lgkmcnt(0)
	v_fma_f64 v[103:104], v[111:112], v[113:114], v[103:104]
	s_andn2_b64 exec, exec, s[8:9]
	s_cbranch_execnz .LBB114_203
; %bb.204:
	s_or_b64 exec, exec, s[8:9]
	v_mov_b32_e32 v108, 0
	ds_read_b64 v[108:109], v108 offset:392
	s_waitcnt lgkmcnt(0)
	v_mul_f64 v[103:104], v[103:104], v[108:109]
	buffer_store_dword v104, off, s[0:3], 0 offset:396
	buffer_store_dword v103, off, s[0:3], 0 offset:392
.LBB114_205:
	s_or_b64 exec, exec, s[4:5]
	; wave barrier
	buffer_load_dword v103, off, s[0:3], 0 offset:400
	buffer_load_dword v104, off, s[0:3], 0 offset:404
	v_cmp_ne_u32_e32 vcc, 50, v0
	s_waitcnt vmcnt(0)
	ds_write_b64 v106, v[103:104]
	s_waitcnt lgkmcnt(0)
	; wave barrier
	s_and_saveexec_b64 s[4:5], vcc
	s_cbranch_execz .LBB114_209
; %bb.206:
	v_mov_b32_e32 v103, 0
	v_add_u32_e32 v106, 0x1a0, v105
	v_mov_b32_e32 v104, 0
	s_mov_b64 s[8:9], 0
.LBB114_207:                            ; =>This Inner Loop Header: Depth=1
	buffer_load_dword v108, v105, s[0:3], 0 offen
	buffer_load_dword v109, v105, s[0:3], 0 offen offset:4
	ds_read_b64 v[110:111], v106
	v_add_u32_e32 v107, 1, v107
	v_cmp_lt_u32_e32 vcc, 48, v107
	v_add_u32_e32 v106, 8, v106
	s_or_b64 s[8:9], vcc, s[8:9]
	v_add_u32_e32 v105, 8, v105
	s_waitcnt vmcnt(0) lgkmcnt(0)
	v_fma_f64 v[103:104], v[108:109], v[110:111], v[103:104]
	s_andn2_b64 exec, exec, s[8:9]
	s_cbranch_execnz .LBB114_207
; %bb.208:
	s_or_b64 exec, exec, s[8:9]
	v_mov_b32_e32 v105, 0
	ds_read_b64 v[105:106], v105 offset:400
	s_waitcnt lgkmcnt(0)
	v_mul_f64 v[103:104], v[103:104], v[105:106]
	buffer_store_dword v104, off, s[0:3], 0 offset:404
	buffer_store_dword v103, off, s[0:3], 0 offset:400
.LBB114_209:
	s_or_b64 exec, exec, s[4:5]
	s_mov_b64 s[8:9], -1
	; wave barrier
.LBB114_210:
	s_and_b64 vcc, exec, s[8:9]
	s_cbranch_vccz .LBB114_212
; %bb.211:
	s_lshl_b64 s[4:5], s[6:7], 2
	s_add_u32 s4, s10, s4
	s_addc_u32 s5, s11, s5
	v_mov_b32_e32 v103, 0
	global_load_dword v103, v103, s[4:5]
	s_waitcnt vmcnt(0)
	v_cmp_ne_u32_e32 vcc, 0, v103
	s_cbranch_vccz .LBB114_213
.LBB114_212:
	s_endpgm
.LBB114_213:
	v_mov_b32_e32 v103, 0x1a0
	v_lshl_add_u32 v103, v0, 3, v103
	v_cmp_eq_u32_e32 vcc, 50, v0
	s_and_saveexec_b64 s[4:5], vcc
	s_cbranch_execz .LBB114_215
; %bb.214:
	buffer_load_dword v104, off, s[0:3], 0 offset:392
	buffer_load_dword v105, off, s[0:3], 0 offset:396
	v_mov_b32_e32 v106, 0
	buffer_store_dword v106, off, s[0:3], 0 offset:392
	buffer_store_dword v106, off, s[0:3], 0 offset:396
	s_waitcnt vmcnt(2)
	ds_write_b64 v103, v[104:105]
.LBB114_215:
	s_or_b64 exec, exec, s[4:5]
	s_waitcnt lgkmcnt(0)
	; wave barrier
	buffer_load_dword v105, off, s[0:3], 0 offset:400
	buffer_load_dword v106, off, s[0:3], 0 offset:404
	;; [unrolled: 1-line block ×4, first 2 shown]
	v_mov_b32_e32 v104, 0
	ds_read_b64 v[109:110], v104 offset:816
	v_cmp_lt_u32_e32 vcc, 48, v0
	s_waitcnt vmcnt(2) lgkmcnt(0)
	v_fma_f64 v[105:106], v[105:106], v[109:110], 0
	s_waitcnt vmcnt(0)
	v_add_f64 v[105:106], v[107:108], -v[105:106]
	buffer_store_dword v105, off, s[0:3], 0 offset:392
	buffer_store_dword v106, off, s[0:3], 0 offset:396
	s_and_saveexec_b64 s[4:5], vcc
	s_cbranch_execz .LBB114_217
; %bb.216:
	buffer_load_dword v105, off, s[0:3], 0 offset:384
	buffer_load_dword v106, off, s[0:3], 0 offset:388
	s_waitcnt vmcnt(0)
	ds_write_b64 v103, v[105:106]
	buffer_store_dword v104, off, s[0:3], 0 offset:384
	buffer_store_dword v104, off, s[0:3], 0 offset:388
.LBB114_217:
	s_or_b64 exec, exec, s[4:5]
	s_waitcnt lgkmcnt(0)
	; wave barrier
	buffer_load_dword v108, off, s[0:3], 0 offset:392
	buffer_load_dword v109, off, s[0:3], 0 offset:396
	;; [unrolled: 1-line block ×6, first 2 shown]
	ds_read2_b64 v[104:107], v104 offset0:101 offset1:102
	v_cmp_lt_u32_e32 vcc, 47, v0
	s_waitcnt vmcnt(4) lgkmcnt(0)
	v_fma_f64 v[104:105], v[108:109], v[104:105], 0
	s_waitcnt vmcnt(2)
	v_fma_f64 v[104:105], v[110:111], v[106:107], v[104:105]
	s_waitcnt vmcnt(0)
	v_add_f64 v[104:105], v[112:113], -v[104:105]
	buffer_store_dword v104, off, s[0:3], 0 offset:384
	buffer_store_dword v105, off, s[0:3], 0 offset:388
	s_and_saveexec_b64 s[4:5], vcc
	s_cbranch_execz .LBB114_219
; %bb.218:
	buffer_load_dword v104, off, s[0:3], 0 offset:376
	buffer_load_dword v105, off, s[0:3], 0 offset:380
	v_mov_b32_e32 v106, 0
	buffer_store_dword v106, off, s[0:3], 0 offset:376
	buffer_store_dword v106, off, s[0:3], 0 offset:380
	s_waitcnt vmcnt(2)
	ds_write_b64 v103, v[104:105]
.LBB114_219:
	s_or_b64 exec, exec, s[4:5]
	s_waitcnt lgkmcnt(0)
	; wave barrier
	buffer_load_dword v109, off, s[0:3], 0 offset:384
	buffer_load_dword v110, off, s[0:3], 0 offset:388
	;; [unrolled: 1-line block ×8, first 2 shown]
	v_mov_b32_e32 v104, 0
	ds_read_b128 v[105:108], v104 offset:800
	ds_read_b64 v[117:118], v104 offset:816
	v_cmp_lt_u32_e32 vcc, 46, v0
	s_waitcnt vmcnt(6) lgkmcnt(1)
	v_fma_f64 v[105:106], v[109:110], v[105:106], 0
	s_waitcnt vmcnt(4)
	v_fma_f64 v[105:106], v[111:112], v[107:108], v[105:106]
	s_waitcnt vmcnt(2) lgkmcnt(0)
	v_fma_f64 v[105:106], v[113:114], v[117:118], v[105:106]
	s_waitcnt vmcnt(0)
	v_add_f64 v[105:106], v[115:116], -v[105:106]
	buffer_store_dword v105, off, s[0:3], 0 offset:376
	buffer_store_dword v106, off, s[0:3], 0 offset:380
	s_and_saveexec_b64 s[4:5], vcc
	s_cbranch_execz .LBB114_221
; %bb.220:
	buffer_load_dword v105, off, s[0:3], 0 offset:368
	buffer_load_dword v106, off, s[0:3], 0 offset:372
	s_waitcnt vmcnt(0)
	ds_write_b64 v103, v[105:106]
	buffer_store_dword v104, off, s[0:3], 0 offset:368
	buffer_store_dword v104, off, s[0:3], 0 offset:372
.LBB114_221:
	s_or_b64 exec, exec, s[4:5]
	s_waitcnt lgkmcnt(0)
	; wave barrier
	buffer_load_dword v113, off, s[0:3], 0 offset:376
	buffer_load_dword v114, off, s[0:3], 0 offset:380
	;; [unrolled: 1-line block ×10, first 2 shown]
	ds_read2_b64 v[105:108], v104 offset0:99 offset1:100
	ds_read2_b64 v[109:112], v104 offset0:101 offset1:102
	v_cmp_lt_u32_e32 vcc, 45, v0
	s_waitcnt vmcnt(8) lgkmcnt(1)
	v_fma_f64 v[104:105], v[113:114], v[105:106], 0
	s_waitcnt vmcnt(6)
	v_fma_f64 v[104:105], v[115:116], v[107:108], v[104:105]
	s_waitcnt vmcnt(4) lgkmcnt(0)
	v_fma_f64 v[104:105], v[117:118], v[109:110], v[104:105]
	s_waitcnt vmcnt(2)
	v_fma_f64 v[104:105], v[119:120], v[111:112], v[104:105]
	s_waitcnt vmcnt(0)
	v_add_f64 v[104:105], v[121:122], -v[104:105]
	buffer_store_dword v104, off, s[0:3], 0 offset:368
	buffer_store_dword v105, off, s[0:3], 0 offset:372
	s_and_saveexec_b64 s[4:5], vcc
	s_cbranch_execz .LBB114_223
; %bb.222:
	buffer_load_dword v104, off, s[0:3], 0 offset:360
	buffer_load_dword v105, off, s[0:3], 0 offset:364
	v_mov_b32_e32 v106, 0
	buffer_store_dword v106, off, s[0:3], 0 offset:360
	buffer_store_dword v106, off, s[0:3], 0 offset:364
	s_waitcnt vmcnt(2)
	ds_write_b64 v103, v[104:105]
.LBB114_223:
	s_or_b64 exec, exec, s[4:5]
	s_waitcnt lgkmcnt(0)
	; wave barrier
	buffer_load_dword v113, off, s[0:3], 0 offset:368
	buffer_load_dword v114, off, s[0:3], 0 offset:372
	;; [unrolled: 1-line block ×12, first 2 shown]
	v_mov_b32_e32 v104, 0
	ds_read_b128 v[105:108], v104 offset:784
	ds_read_b128 v[109:112], v104 offset:800
	v_cmp_lt_u32_e32 vcc, 44, v0
	s_waitcnt vmcnt(10) lgkmcnt(1)
	v_fma_f64 v[105:106], v[113:114], v[105:106], 0
	s_waitcnt vmcnt(8)
	v_fma_f64 v[105:106], v[115:116], v[107:108], v[105:106]
	ds_read_b64 v[107:108], v104 offset:816
	s_waitcnt vmcnt(6) lgkmcnt(1)
	v_fma_f64 v[105:106], v[117:118], v[109:110], v[105:106]
	s_waitcnt vmcnt(4)
	v_fma_f64 v[105:106], v[119:120], v[111:112], v[105:106]
	s_waitcnt vmcnt(2) lgkmcnt(0)
	v_fma_f64 v[105:106], v[121:122], v[107:108], v[105:106]
	s_waitcnt vmcnt(0)
	v_add_f64 v[105:106], v[123:124], -v[105:106]
	buffer_store_dword v105, off, s[0:3], 0 offset:360
	buffer_store_dword v106, off, s[0:3], 0 offset:364
	s_and_saveexec_b64 s[4:5], vcc
	s_cbranch_execz .LBB114_225
; %bb.224:
	buffer_load_dword v105, off, s[0:3], 0 offset:352
	buffer_load_dword v106, off, s[0:3], 0 offset:356
	s_waitcnt vmcnt(0)
	ds_write_b64 v103, v[105:106]
	buffer_store_dword v104, off, s[0:3], 0 offset:352
	buffer_store_dword v104, off, s[0:3], 0 offset:356
.LBB114_225:
	s_or_b64 exec, exec, s[4:5]
	s_waitcnt lgkmcnt(0)
	; wave barrier
	buffer_load_dword v109, off, s[0:3], 0 offset:352
	buffer_load_dword v110, off, s[0:3], 0 offset:356
	;; [unrolled: 1-line block ×14, first 2 shown]
	ds_read2_b64 v[105:108], v104 offset0:97 offset1:98
	v_cmp_lt_u32_e32 vcc, 43, v0
	s_waitcnt vmcnt(10) lgkmcnt(0)
	v_fma_f64 v[105:106], v[111:112], v[105:106], 0
	s_waitcnt vmcnt(8)
	v_fma_f64 v[111:112], v[113:114], v[107:108], v[105:106]
	ds_read2_b64 v[105:108], v104 offset0:99 offset1:100
	s_waitcnt vmcnt(6) lgkmcnt(0)
	v_fma_f64 v[105:106], v[115:116], v[105:106], v[111:112]
	s_waitcnt vmcnt(4)
	v_fma_f64 v[111:112], v[117:118], v[107:108], v[105:106]
	ds_read2_b64 v[104:107], v104 offset0:101 offset1:102
	s_waitcnt vmcnt(2) lgkmcnt(0)
	v_fma_f64 v[104:105], v[119:120], v[104:105], v[111:112]
	s_waitcnt vmcnt(0)
	v_fma_f64 v[104:105], v[121:122], v[106:107], v[104:105]
	v_add_f64 v[104:105], v[109:110], -v[104:105]
	buffer_store_dword v104, off, s[0:3], 0 offset:352
	buffer_store_dword v105, off, s[0:3], 0 offset:356
	s_and_saveexec_b64 s[4:5], vcc
	s_cbranch_execz .LBB114_227
; %bb.226:
	buffer_load_dword v104, off, s[0:3], 0 offset:344
	buffer_load_dword v105, off, s[0:3], 0 offset:348
	v_mov_b32_e32 v106, 0
	buffer_store_dword v106, off, s[0:3], 0 offset:344
	buffer_store_dword v106, off, s[0:3], 0 offset:348
	s_waitcnt vmcnt(2)
	ds_write_b64 v103, v[104:105]
.LBB114_227:
	s_or_b64 exec, exec, s[4:5]
	s_waitcnt lgkmcnt(0)
	; wave barrier
	buffer_load_dword v109, off, s[0:3], 0 offset:352
	buffer_load_dword v110, off, s[0:3], 0 offset:356
	;; [unrolled: 1-line block ×16, first 2 shown]
	v_mov_b32_e32 v104, 0
	ds_read_b128 v[105:108], v104 offset:768
	v_cmp_lt_u32_e32 vcc, 42, v0
	s_waitcnt vmcnt(14) lgkmcnt(0)
	v_fma_f64 v[105:106], v[109:110], v[105:106], 0
	s_waitcnt vmcnt(12)
	v_fma_f64 v[109:110], v[111:112], v[107:108], v[105:106]
	ds_read_b128 v[105:108], v104 offset:784
	s_waitcnt vmcnt(10) lgkmcnt(0)
	v_fma_f64 v[105:106], v[113:114], v[105:106], v[109:110]
	s_waitcnt vmcnt(8)
	v_fma_f64 v[109:110], v[115:116], v[107:108], v[105:106]
	ds_read_b128 v[105:108], v104 offset:800
	s_waitcnt vmcnt(6) lgkmcnt(0)
	v_fma_f64 v[105:106], v[117:118], v[105:106], v[109:110]
	s_waitcnt vmcnt(4)
	v_fma_f64 v[105:106], v[119:120], v[107:108], v[105:106]
	ds_read_b64 v[107:108], v104 offset:816
	s_waitcnt vmcnt(2) lgkmcnt(0)
	v_fma_f64 v[105:106], v[121:122], v[107:108], v[105:106]
	s_waitcnt vmcnt(0)
	v_add_f64 v[105:106], v[123:124], -v[105:106]
	buffer_store_dword v105, off, s[0:3], 0 offset:344
	buffer_store_dword v106, off, s[0:3], 0 offset:348
	s_and_saveexec_b64 s[4:5], vcc
	s_cbranch_execz .LBB114_229
; %bb.228:
	buffer_load_dword v105, off, s[0:3], 0 offset:336
	buffer_load_dword v106, off, s[0:3], 0 offset:340
	s_waitcnt vmcnt(0)
	ds_write_b64 v103, v[105:106]
	buffer_store_dword v104, off, s[0:3], 0 offset:336
	buffer_store_dword v104, off, s[0:3], 0 offset:340
.LBB114_229:
	s_or_b64 exec, exec, s[4:5]
	s_waitcnt lgkmcnt(0)
	; wave barrier
	buffer_load_dword v109, off, s[0:3], 0 offset:344
	buffer_load_dword v110, off, s[0:3], 0 offset:348
	;; [unrolled: 1-line block ×18, first 2 shown]
	ds_read2_b64 v[105:108], v104 offset0:95 offset1:96
	v_cmp_lt_u32_e32 vcc, 41, v0
	s_waitcnt vmcnt(16) lgkmcnt(0)
	v_fma_f64 v[105:106], v[109:110], v[105:106], 0
	s_waitcnt vmcnt(14)
	v_fma_f64 v[109:110], v[111:112], v[107:108], v[105:106]
	ds_read2_b64 v[105:108], v104 offset0:97 offset1:98
	s_waitcnt vmcnt(12) lgkmcnt(0)
	v_fma_f64 v[105:106], v[113:114], v[105:106], v[109:110]
	s_waitcnt vmcnt(10)
	v_fma_f64 v[109:110], v[115:116], v[107:108], v[105:106]
	ds_read2_b64 v[105:108], v104 offset0:99 offset1:100
	;; [unrolled: 5-line block ×3, first 2 shown]
	s_waitcnt vmcnt(4) lgkmcnt(0)
	v_fma_f64 v[104:105], v[121:122], v[104:105], v[108:109]
	s_waitcnt vmcnt(2)
	v_fma_f64 v[104:105], v[123:124], v[106:107], v[104:105]
	s_waitcnt vmcnt(0)
	v_add_f64 v[104:105], v[125:126], -v[104:105]
	buffer_store_dword v104, off, s[0:3], 0 offset:336
	buffer_store_dword v105, off, s[0:3], 0 offset:340
	s_and_saveexec_b64 s[4:5], vcc
	s_cbranch_execz .LBB114_231
; %bb.230:
	buffer_load_dword v104, off, s[0:3], 0 offset:328
	buffer_load_dword v105, off, s[0:3], 0 offset:332
	v_mov_b32_e32 v106, 0
	buffer_store_dword v106, off, s[0:3], 0 offset:328
	buffer_store_dword v106, off, s[0:3], 0 offset:332
	s_waitcnt vmcnt(2)
	ds_write_b64 v103, v[104:105]
.LBB114_231:
	s_or_b64 exec, exec, s[4:5]
	s_waitcnt lgkmcnt(0)
	; wave barrier
	buffer_load_dword v113, off, s[0:3], 0 offset:336
	buffer_load_dword v114, off, s[0:3], 0 offset:340
	buffer_load_dword v115, off, s[0:3], 0 offset:344
	buffer_load_dword v116, off, s[0:3], 0 offset:348
	buffer_load_dword v117, off, s[0:3], 0 offset:352
	buffer_load_dword v118, off, s[0:3], 0 offset:356
	buffer_load_dword v119, off, s[0:3], 0 offset:360
	buffer_load_dword v120, off, s[0:3], 0 offset:364
	buffer_load_dword v121, off, s[0:3], 0 offset:368
	buffer_load_dword v122, off, s[0:3], 0 offset:372
	buffer_load_dword v123, off, s[0:3], 0 offset:376
	buffer_load_dword v124, off, s[0:3], 0 offset:380
	buffer_load_dword v125, off, s[0:3], 0 offset:384
	buffer_load_dword v126, off, s[0:3], 0 offset:388
	buffer_load_dword v128, off, s[0:3], 0 offset:396
	buffer_load_dword v129, off, s[0:3], 0 offset:400
	buffer_load_dword v127, off, s[0:3], 0 offset:392
	buffer_load_dword v130, off, s[0:3], 0 offset:404
	buffer_load_dword v131, off, s[0:3], 0 offset:328
	buffer_load_dword v132, off, s[0:3], 0 offset:332
	v_mov_b32_e32 v104, 0
	ds_read_b128 v[105:108], v104 offset:752
	ds_read_b128 v[109:112], v104 offset:768
	v_cmp_lt_u32_e32 vcc, 40, v0
	s_waitcnt vmcnt(18) lgkmcnt(1)
	v_fma_f64 v[105:106], v[113:114], v[105:106], 0
	s_waitcnt vmcnt(16)
	v_fma_f64 v[105:106], v[115:116], v[107:108], v[105:106]
	s_waitcnt vmcnt(14) lgkmcnt(0)
	v_fma_f64 v[105:106], v[117:118], v[109:110], v[105:106]
	s_waitcnt vmcnt(12)
	v_fma_f64 v[113:114], v[119:120], v[111:112], v[105:106]
	ds_read_b128 v[105:108], v104 offset:784
	ds_read_b128 v[109:112], v104 offset:800
	s_waitcnt vmcnt(10) lgkmcnt(1)
	v_fma_f64 v[105:106], v[121:122], v[105:106], v[113:114]
	s_waitcnt vmcnt(8)
	v_fma_f64 v[105:106], v[123:124], v[107:108], v[105:106]
	ds_read_b64 v[107:108], v104 offset:816
	s_waitcnt vmcnt(6) lgkmcnt(1)
	v_fma_f64 v[105:106], v[125:126], v[109:110], v[105:106]
	s_waitcnt vmcnt(3)
	v_fma_f64 v[105:106], v[127:128], v[111:112], v[105:106]
	s_waitcnt vmcnt(2) lgkmcnt(0)
	v_fma_f64 v[105:106], v[129:130], v[107:108], v[105:106]
	s_waitcnt vmcnt(0)
	v_add_f64 v[105:106], v[131:132], -v[105:106]
	buffer_store_dword v105, off, s[0:3], 0 offset:328
	buffer_store_dword v106, off, s[0:3], 0 offset:332
	s_and_saveexec_b64 s[4:5], vcc
	s_cbranch_execz .LBB114_233
; %bb.232:
	buffer_load_dword v105, off, s[0:3], 0 offset:320
	buffer_load_dword v106, off, s[0:3], 0 offset:324
	s_waitcnt vmcnt(0)
	ds_write_b64 v103, v[105:106]
	buffer_store_dword v104, off, s[0:3], 0 offset:320
	buffer_store_dword v104, off, s[0:3], 0 offset:324
.LBB114_233:
	s_or_b64 exec, exec, s[4:5]
	s_waitcnt lgkmcnt(0)
	; wave barrier
	buffer_load_dword v113, off, s[0:3], 0 offset:328
	buffer_load_dword v114, off, s[0:3], 0 offset:332
	;; [unrolled: 1-line block ×20, first 2 shown]
	ds_read2_b64 v[105:108], v104 offset0:93 offset1:94
	buffer_load_dword v133, off, s[0:3], 0 offset:320
	buffer_load_dword v134, off, s[0:3], 0 offset:324
	ds_read2_b64 v[109:112], v104 offset0:95 offset1:96
	v_cmp_lt_u32_e32 vcc, 39, v0
	s_waitcnt vmcnt(20) lgkmcnt(1)
	v_fma_f64 v[105:106], v[113:114], v[105:106], 0
	s_waitcnt vmcnt(18)
	v_fma_f64 v[105:106], v[115:116], v[107:108], v[105:106]
	s_waitcnt vmcnt(16) lgkmcnt(0)
	v_fma_f64 v[105:106], v[117:118], v[109:110], v[105:106]
	s_waitcnt vmcnt(14)
	v_fma_f64 v[113:114], v[119:120], v[111:112], v[105:106]
	ds_read2_b64 v[105:108], v104 offset0:97 offset1:98
	ds_read2_b64 v[109:112], v104 offset0:99 offset1:100
	s_waitcnt vmcnt(12) lgkmcnt(1)
	v_fma_f64 v[105:106], v[121:122], v[105:106], v[113:114]
	s_waitcnt vmcnt(10)
	v_fma_f64 v[105:106], v[123:124], v[107:108], v[105:106]
	s_waitcnt vmcnt(8) lgkmcnt(0)
	v_fma_f64 v[105:106], v[125:126], v[109:110], v[105:106]
	s_waitcnt vmcnt(4)
	v_fma_f64 v[108:109], v[127:128], v[111:112], v[105:106]
	ds_read2_b64 v[104:107], v104 offset0:101 offset1:102
	s_waitcnt vmcnt(3) lgkmcnt(0)
	v_fma_f64 v[104:105], v[131:132], v[104:105], v[108:109]
	s_waitcnt vmcnt(2)
	v_fma_f64 v[104:105], v[129:130], v[106:107], v[104:105]
	s_waitcnt vmcnt(0)
	v_add_f64 v[104:105], v[133:134], -v[104:105]
	buffer_store_dword v104, off, s[0:3], 0 offset:320
	buffer_store_dword v105, off, s[0:3], 0 offset:324
	s_and_saveexec_b64 s[4:5], vcc
	s_cbranch_execz .LBB114_235
; %bb.234:
	buffer_load_dword v104, off, s[0:3], 0 offset:312
	buffer_load_dword v105, off, s[0:3], 0 offset:316
	v_mov_b32_e32 v106, 0
	buffer_store_dword v106, off, s[0:3], 0 offset:312
	buffer_store_dword v106, off, s[0:3], 0 offset:316
	s_waitcnt vmcnt(2)
	ds_write_b64 v103, v[104:105]
.LBB114_235:
	s_or_b64 exec, exec, s[4:5]
	s_waitcnt lgkmcnt(0)
	; wave barrier
	buffer_load_dword v113, off, s[0:3], 0 offset:320
	buffer_load_dword v114, off, s[0:3], 0 offset:324
	;; [unrolled: 1-line block ×21, first 2 shown]
	v_mov_b32_e32 v104, 0
	ds_read_b128 v[105:108], v104 offset:736
	ds_read_b128 v[109:112], v104 offset:752
	buffer_load_dword v130, off, s[0:3], 0 offset:404
	v_cmp_lt_u32_e32 vcc, 38, v0
	s_waitcnt vmcnt(20) lgkmcnt(1)
	v_fma_f64 v[105:106], v[113:114], v[105:106], 0
	buffer_load_dword v113, off, s[0:3], 0 offset:312
	buffer_load_dword v114, off, s[0:3], 0 offset:316
	s_waitcnt vmcnt(20)
	v_fma_f64 v[105:106], v[115:116], v[107:108], v[105:106]
	s_waitcnt vmcnt(18) lgkmcnt(0)
	v_fma_f64 v[105:106], v[117:118], v[109:110], v[105:106]
	s_waitcnt vmcnt(16)
	v_fma_f64 v[115:116], v[119:120], v[111:112], v[105:106]
	ds_read_b128 v[105:108], v104 offset:768
	ds_read_b128 v[109:112], v104 offset:784
	s_waitcnt vmcnt(14) lgkmcnt(1)
	v_fma_f64 v[105:106], v[121:122], v[105:106], v[115:116]
	s_waitcnt vmcnt(12)
	v_fma_f64 v[105:106], v[123:124], v[107:108], v[105:106]
	s_waitcnt vmcnt(10) lgkmcnt(0)
	v_fma_f64 v[105:106], v[125:126], v[109:110], v[105:106]
	s_waitcnt vmcnt(5)
	v_fma_f64 v[109:110], v[127:128], v[111:112], v[105:106]
	ds_read_b128 v[105:108], v104 offset:800
	ds_read_b64 v[111:112], v104 offset:816
	s_waitcnt vmcnt(4) lgkmcnt(1)
	v_fma_f64 v[105:106], v[133:134], v[105:106], v[109:110]
	s_waitcnt vmcnt(3)
	v_fma_f64 v[105:106], v[131:132], v[107:108], v[105:106]
	s_waitcnt vmcnt(2) lgkmcnt(0)
	v_fma_f64 v[105:106], v[129:130], v[111:112], v[105:106]
	s_waitcnt vmcnt(0)
	v_add_f64 v[105:106], v[113:114], -v[105:106]
	buffer_store_dword v106, off, s[0:3], 0 offset:316
	buffer_store_dword v105, off, s[0:3], 0 offset:312
	s_and_saveexec_b64 s[4:5], vcc
	s_cbranch_execz .LBB114_237
; %bb.236:
	buffer_load_dword v105, off, s[0:3], 0 offset:304
	buffer_load_dword v106, off, s[0:3], 0 offset:308
	s_waitcnt vmcnt(0)
	ds_write_b64 v103, v[105:106]
	buffer_store_dword v104, off, s[0:3], 0 offset:304
	buffer_store_dword v104, off, s[0:3], 0 offset:308
.LBB114_237:
	s_or_b64 exec, exec, s[4:5]
	s_waitcnt lgkmcnt(0)
	; wave barrier
	buffer_load_dword v113, off, s[0:3], 0 offset:312
	buffer_load_dword v114, off, s[0:3], 0 offset:316
	;; [unrolled: 1-line block ×21, first 2 shown]
	ds_read2_b64 v[105:108], v104 offset0:91 offset1:92
	ds_read2_b64 v[109:112], v104 offset0:93 offset1:94
	buffer_load_dword v130, off, s[0:3], 0 offset:396
	v_cmp_lt_u32_e32 vcc, 37, v0
	s_waitcnt vmcnt(20) lgkmcnt(1)
	v_fma_f64 v[105:106], v[113:114], v[105:106], 0
	buffer_load_dword v114, off, s[0:3], 0 offset:404
	buffer_load_dword v113, off, s[0:3], 0 offset:400
	s_waitcnt vmcnt(20)
	v_fma_f64 v[105:106], v[115:116], v[107:108], v[105:106]
	buffer_load_dword v115, off, s[0:3], 0 offset:304
	buffer_load_dword v116, off, s[0:3], 0 offset:308
	s_waitcnt vmcnt(20) lgkmcnt(0)
	v_fma_f64 v[105:106], v[117:118], v[109:110], v[105:106]
	s_waitcnt vmcnt(18)
	v_fma_f64 v[117:118], v[119:120], v[111:112], v[105:106]
	ds_read2_b64 v[105:108], v104 offset0:95 offset1:96
	ds_read2_b64 v[109:112], v104 offset0:97 offset1:98
	s_waitcnt vmcnt(16) lgkmcnt(1)
	v_fma_f64 v[105:106], v[121:122], v[105:106], v[117:118]
	s_waitcnt vmcnt(14)
	v_fma_f64 v[105:106], v[123:124], v[107:108], v[105:106]
	s_waitcnt vmcnt(12) lgkmcnt(0)
	v_fma_f64 v[105:106], v[125:126], v[109:110], v[105:106]
	s_waitcnt vmcnt(7)
	v_fma_f64 v[117:118], v[127:128], v[111:112], v[105:106]
	ds_read2_b64 v[105:108], v104 offset0:99 offset1:100
	ds_read2_b64 v[109:112], v104 offset0:101 offset1:102
	s_waitcnt vmcnt(6) lgkmcnt(1)
	v_fma_f64 v[104:105], v[133:134], v[105:106], v[117:118]
	s_waitcnt vmcnt(5)
	v_fma_f64 v[104:105], v[131:132], v[107:108], v[104:105]
	s_waitcnt vmcnt(4) lgkmcnt(0)
	v_fma_f64 v[104:105], v[129:130], v[109:110], v[104:105]
	s_waitcnt vmcnt(2)
	v_fma_f64 v[104:105], v[113:114], v[111:112], v[104:105]
	s_waitcnt vmcnt(0)
	v_add_f64 v[104:105], v[115:116], -v[104:105]
	buffer_store_dword v105, off, s[0:3], 0 offset:308
	buffer_store_dword v104, off, s[0:3], 0 offset:304
	s_and_saveexec_b64 s[4:5], vcc
	s_cbranch_execz .LBB114_239
; %bb.238:
	buffer_load_dword v104, off, s[0:3], 0 offset:296
	buffer_load_dword v105, off, s[0:3], 0 offset:300
	v_mov_b32_e32 v106, 0
	buffer_store_dword v106, off, s[0:3], 0 offset:296
	buffer_store_dword v106, off, s[0:3], 0 offset:300
	s_waitcnt vmcnt(2)
	ds_write_b64 v103, v[104:105]
.LBB114_239:
	s_or_b64 exec, exec, s[4:5]
	s_waitcnt lgkmcnt(0)
	; wave barrier
	buffer_load_dword v113, off, s[0:3], 0 offset:304
	buffer_load_dword v114, off, s[0:3], 0 offset:308
	;; [unrolled: 1-line block ×21, first 2 shown]
	v_mov_b32_e32 v104, 0
	ds_read_b128 v[105:108], v104 offset:720
	ds_read_b128 v[109:112], v104 offset:736
	buffer_load_dword v130, off, s[0:3], 0 offset:388
	v_cmp_lt_u32_e32 vcc, 36, v0
	s_waitcnt vmcnt(20) lgkmcnt(1)
	v_fma_f64 v[105:106], v[113:114], v[105:106], 0
	s_waitcnt vmcnt(18)
	v_fma_f64 v[105:106], v[115:116], v[107:108], v[105:106]
	buffer_load_dword v114, off, s[0:3], 0 offset:396
	buffer_load_dword v115, off, s[0:3], 0 offset:400
	buffer_load_dword v113, off, s[0:3], 0 offset:392
	buffer_load_dword v116, off, s[0:3], 0 offset:404
	s_waitcnt vmcnt(20) lgkmcnt(0)
	v_fma_f64 v[105:106], v[117:118], v[109:110], v[105:106]
	buffer_load_dword v117, off, s[0:3], 0 offset:296
	buffer_load_dword v118, off, s[0:3], 0 offset:300
	s_waitcnt vmcnt(20)
	v_fma_f64 v[119:120], v[119:120], v[111:112], v[105:106]
	ds_read_b128 v[105:108], v104 offset:752
	ds_read_b128 v[109:112], v104 offset:768
	s_waitcnt vmcnt(18) lgkmcnt(1)
	v_fma_f64 v[105:106], v[121:122], v[105:106], v[119:120]
	s_waitcnt vmcnt(16)
	v_fma_f64 v[105:106], v[123:124], v[107:108], v[105:106]
	s_waitcnt vmcnt(14) lgkmcnt(0)
	v_fma_f64 v[105:106], v[125:126], v[109:110], v[105:106]
	s_waitcnt vmcnt(9)
	v_fma_f64 v[119:120], v[127:128], v[111:112], v[105:106]
	ds_read_b128 v[105:108], v104 offset:784
	ds_read_b128 v[109:112], v104 offset:800
	s_waitcnt vmcnt(8) lgkmcnt(1)
	v_fma_f64 v[105:106], v[133:134], v[105:106], v[119:120]
	s_waitcnt vmcnt(7)
	v_fma_f64 v[105:106], v[131:132], v[107:108], v[105:106]
	ds_read_b64 v[107:108], v104 offset:816
	s_waitcnt vmcnt(6) lgkmcnt(1)
	v_fma_f64 v[105:106], v[129:130], v[109:110], v[105:106]
	s_waitcnt vmcnt(3)
	v_fma_f64 v[105:106], v[113:114], v[111:112], v[105:106]
	s_waitcnt vmcnt(2) lgkmcnt(0)
	v_fma_f64 v[105:106], v[115:116], v[107:108], v[105:106]
	s_waitcnt vmcnt(0)
	v_add_f64 v[105:106], v[117:118], -v[105:106]
	buffer_store_dword v106, off, s[0:3], 0 offset:300
	buffer_store_dword v105, off, s[0:3], 0 offset:296
	s_and_saveexec_b64 s[4:5], vcc
	s_cbranch_execz .LBB114_241
; %bb.240:
	buffer_load_dword v105, off, s[0:3], 0 offset:288
	buffer_load_dword v106, off, s[0:3], 0 offset:292
	s_waitcnt vmcnt(0)
	ds_write_b64 v103, v[105:106]
	buffer_store_dword v104, off, s[0:3], 0 offset:288
	buffer_store_dword v104, off, s[0:3], 0 offset:292
.LBB114_241:
	s_or_b64 exec, exec, s[4:5]
	s_waitcnt lgkmcnt(0)
	; wave barrier
	buffer_load_dword v113, off, s[0:3], 0 offset:296
	buffer_load_dword v114, off, s[0:3], 0 offset:300
	;; [unrolled: 1-line block ×22, first 2 shown]
	ds_read2_b64 v[105:108], v104 offset0:89 offset1:90
	ds_read2_b64 v[109:112], v104 offset0:91 offset1:92
	v_cmp_lt_u32_e32 vcc, 35, v0
	s_waitcnt vmcnt(20) lgkmcnt(1)
	v_fma_f64 v[105:106], v[113:114], v[105:106], 0
	s_waitcnt vmcnt(18)
	v_fma_f64 v[105:106], v[115:116], v[107:108], v[105:106]
	buffer_load_dword v114, off, s[0:3], 0 offset:388
	buffer_load_dword v115, off, s[0:3], 0 offset:400
	;; [unrolled: 1-line block ×6, first 2 shown]
	s_waitcnt vmcnt(22) lgkmcnt(0)
	v_fma_f64 v[105:106], v[117:118], v[109:110], v[105:106]
	s_waitcnt vmcnt(20)
	v_fma_f64 v[117:118], v[119:120], v[111:112], v[105:106]
	ds_read2_b64 v[105:108], v104 offset0:93 offset1:94
	buffer_load_dword v119, off, s[0:3], 0 offset:288
	buffer_load_dword v120, off, s[0:3], 0 offset:292
	ds_read2_b64 v[109:112], v104 offset0:95 offset1:96
	s_waitcnt vmcnt(20) lgkmcnt(1)
	v_fma_f64 v[105:106], v[121:122], v[105:106], v[117:118]
	s_waitcnt vmcnt(18)
	v_fma_f64 v[105:106], v[123:124], v[107:108], v[105:106]
	s_waitcnt vmcnt(16) lgkmcnt(0)
	v_fma_f64 v[105:106], v[125:126], v[109:110], v[105:106]
	s_waitcnt vmcnt(11)
	v_fma_f64 v[117:118], v[127:128], v[111:112], v[105:106]
	ds_read2_b64 v[105:108], v104 offset0:97 offset1:98
	ds_read2_b64 v[109:112], v104 offset0:99 offset1:100
	s_waitcnt vmcnt(10) lgkmcnt(1)
	v_fma_f64 v[105:106], v[133:134], v[105:106], v[117:118]
	s_waitcnt vmcnt(9)
	v_fma_f64 v[105:106], v[131:132], v[107:108], v[105:106]
	s_waitcnt vmcnt(8) lgkmcnt(0)
	v_fma_f64 v[105:106], v[129:130], v[109:110], v[105:106]
	s_waitcnt vmcnt(4)
	v_fma_f64 v[108:109], v[113:114], v[111:112], v[105:106]
	ds_read2_b64 v[104:107], v104 offset0:101 offset1:102
	s_waitcnt vmcnt(3) lgkmcnt(0)
	v_fma_f64 v[104:105], v[135:136], v[104:105], v[108:109]
	s_waitcnt vmcnt(2)
	v_fma_f64 v[104:105], v[115:116], v[106:107], v[104:105]
	s_waitcnt vmcnt(0)
	v_add_f64 v[104:105], v[119:120], -v[104:105]
	buffer_store_dword v105, off, s[0:3], 0 offset:292
	buffer_store_dword v104, off, s[0:3], 0 offset:288
	s_and_saveexec_b64 s[4:5], vcc
	s_cbranch_execz .LBB114_243
; %bb.242:
	buffer_load_dword v104, off, s[0:3], 0 offset:280
	buffer_load_dword v105, off, s[0:3], 0 offset:284
	v_mov_b32_e32 v106, 0
	buffer_store_dword v106, off, s[0:3], 0 offset:280
	buffer_store_dword v106, off, s[0:3], 0 offset:284
	s_waitcnt vmcnt(2)
	ds_write_b64 v103, v[104:105]
.LBB114_243:
	s_or_b64 exec, exec, s[4:5]
	s_waitcnt lgkmcnt(0)
	; wave barrier
	buffer_load_dword v113, off, s[0:3], 0 offset:288
	buffer_load_dword v114, off, s[0:3], 0 offset:292
	;; [unrolled: 1-line block ×22, first 2 shown]
	v_mov_b32_e32 v104, 0
	ds_read_b128 v[105:108], v104 offset:704
	ds_read_b128 v[109:112], v104 offset:720
	v_cmp_lt_u32_e32 vcc, 34, v0
	s_waitcnt vmcnt(20) lgkmcnt(1)
	v_fma_f64 v[105:106], v[113:114], v[105:106], 0
	s_waitcnt vmcnt(18)
	v_fma_f64 v[105:106], v[115:116], v[107:108], v[105:106]
	buffer_load_dword v114, off, s[0:3], 0 offset:380
	buffer_load_dword v115, off, s[0:3], 0 offset:400
	;; [unrolled: 1-line block ×8, first 2 shown]
	s_waitcnt vmcnt(24) lgkmcnt(0)
	v_fma_f64 v[105:106], v[117:118], v[109:110], v[105:106]
	s_waitcnt vmcnt(22)
	v_fma_f64 v[117:118], v[119:120], v[111:112], v[105:106]
	ds_read_b128 v[105:108], v104 offset:736
	ds_read_b128 v[109:112], v104 offset:752
	s_waitcnt vmcnt(20) lgkmcnt(1)
	v_fma_f64 v[105:106], v[121:122], v[105:106], v[117:118]
	buffer_load_dword v117, off, s[0:3], 0 offset:280
	buffer_load_dword v118, off, s[0:3], 0 offset:284
	s_waitcnt vmcnt(20)
	v_fma_f64 v[105:106], v[123:124], v[107:108], v[105:106]
	s_waitcnt vmcnt(18) lgkmcnt(0)
	v_fma_f64 v[105:106], v[125:126], v[109:110], v[105:106]
	s_waitcnt vmcnt(13)
	v_fma_f64 v[119:120], v[127:128], v[111:112], v[105:106]
	ds_read_b128 v[105:108], v104 offset:768
	ds_read_b128 v[109:112], v104 offset:784
	s_waitcnt vmcnt(12) lgkmcnt(1)
	v_fma_f64 v[105:106], v[133:134], v[105:106], v[119:120]
	s_waitcnt vmcnt(11)
	v_fma_f64 v[105:106], v[131:132], v[107:108], v[105:106]
	s_waitcnt vmcnt(10) lgkmcnt(0)
	v_fma_f64 v[105:106], v[129:130], v[109:110], v[105:106]
	s_waitcnt vmcnt(5)
	v_fma_f64 v[109:110], v[113:114], v[111:112], v[105:106]
	ds_read_b128 v[105:108], v104 offset:800
	ds_read_b64 v[111:112], v104 offset:816
	s_waitcnt vmcnt(4) lgkmcnt(1)
	v_fma_f64 v[105:106], v[137:138], v[105:106], v[109:110]
	s_waitcnt vmcnt(3)
	v_fma_f64 v[105:106], v[135:136], v[107:108], v[105:106]
	s_waitcnt vmcnt(2) lgkmcnt(0)
	v_fma_f64 v[105:106], v[115:116], v[111:112], v[105:106]
	s_waitcnt vmcnt(0)
	v_add_f64 v[105:106], v[117:118], -v[105:106]
	buffer_store_dword v106, off, s[0:3], 0 offset:284
	buffer_store_dword v105, off, s[0:3], 0 offset:280
	s_and_saveexec_b64 s[4:5], vcc
	s_cbranch_execz .LBB114_245
; %bb.244:
	buffer_load_dword v105, off, s[0:3], 0 offset:272
	buffer_load_dword v106, off, s[0:3], 0 offset:276
	s_waitcnt vmcnt(0)
	ds_write_b64 v103, v[105:106]
	buffer_store_dword v104, off, s[0:3], 0 offset:272
	buffer_store_dword v104, off, s[0:3], 0 offset:276
.LBB114_245:
	s_or_b64 exec, exec, s[4:5]
	s_waitcnt lgkmcnt(0)
	; wave barrier
	buffer_load_dword v113, off, s[0:3], 0 offset:280
	buffer_load_dword v114, off, s[0:3], 0 offset:284
	;; [unrolled: 1-line block ×22, first 2 shown]
	ds_read2_b64 v[105:108], v104 offset0:87 offset1:88
	ds_read2_b64 v[109:112], v104 offset0:89 offset1:90
	v_cmp_lt_u32_e32 vcc, 33, v0
	s_waitcnt vmcnt(20) lgkmcnt(1)
	v_fma_f64 v[105:106], v[113:114], v[105:106], 0
	s_waitcnt vmcnt(18)
	v_fma_f64 v[105:106], v[115:116], v[107:108], v[105:106]
	buffer_load_dword v114, off, s[0:3], 0 offset:372
	buffer_load_dword v115, off, s[0:3], 0 offset:392
	;; [unrolled: 1-line block ×8, first 2 shown]
	s_waitcnt vmcnt(24) lgkmcnt(0)
	v_fma_f64 v[105:106], v[117:118], v[109:110], v[105:106]
	s_waitcnt vmcnt(22)
	v_fma_f64 v[117:118], v[119:120], v[111:112], v[105:106]
	ds_read2_b64 v[105:108], v104 offset0:91 offset1:92
	ds_read2_b64 v[109:112], v104 offset0:93 offset1:94
	s_waitcnt vmcnt(20) lgkmcnt(1)
	v_fma_f64 v[105:106], v[121:122], v[105:106], v[117:118]
	buffer_load_dword v118, off, s[0:3], 0 offset:404
	buffer_load_dword v117, off, s[0:3], 0 offset:400
	;; [unrolled: 1-line block ×4, first 2 shown]
	s_waitcnt vmcnt(22)
	v_fma_f64 v[105:106], v[123:124], v[107:108], v[105:106]
	s_waitcnt vmcnt(20) lgkmcnt(0)
	v_fma_f64 v[105:106], v[125:126], v[109:110], v[105:106]
	s_waitcnt vmcnt(15)
	v_fma_f64 v[121:122], v[127:128], v[111:112], v[105:106]
	ds_read2_b64 v[105:108], v104 offset0:95 offset1:96
	ds_read2_b64 v[109:112], v104 offset0:97 offset1:98
	s_waitcnt vmcnt(14) lgkmcnt(1)
	v_fma_f64 v[105:106], v[133:134], v[105:106], v[121:122]
	s_waitcnt vmcnt(13)
	v_fma_f64 v[105:106], v[131:132], v[107:108], v[105:106]
	s_waitcnt vmcnt(12) lgkmcnt(0)
	v_fma_f64 v[105:106], v[129:130], v[109:110], v[105:106]
	s_waitcnt vmcnt(7)
	v_fma_f64 v[113:114], v[113:114], v[111:112], v[105:106]
	ds_read2_b64 v[105:108], v104 offset0:99 offset1:100
	ds_read2_b64 v[109:112], v104 offset0:101 offset1:102
	s_waitcnt vmcnt(6) lgkmcnt(1)
	v_fma_f64 v[104:105], v[137:138], v[105:106], v[113:114]
	s_waitcnt vmcnt(5)
	v_fma_f64 v[104:105], v[135:136], v[107:108], v[104:105]
	s_waitcnt vmcnt(4) lgkmcnt(0)
	v_fma_f64 v[104:105], v[115:116], v[109:110], v[104:105]
	s_waitcnt vmcnt(2)
	v_fma_f64 v[104:105], v[117:118], v[111:112], v[104:105]
	s_waitcnt vmcnt(0)
	v_add_f64 v[104:105], v[119:120], -v[104:105]
	buffer_store_dword v105, off, s[0:3], 0 offset:276
	buffer_store_dword v104, off, s[0:3], 0 offset:272
	s_and_saveexec_b64 s[4:5], vcc
	s_cbranch_execz .LBB114_247
; %bb.246:
	buffer_load_dword v104, off, s[0:3], 0 offset:264
	buffer_load_dword v105, off, s[0:3], 0 offset:268
	v_mov_b32_e32 v106, 0
	buffer_store_dword v106, off, s[0:3], 0 offset:264
	buffer_store_dword v106, off, s[0:3], 0 offset:268
	s_waitcnt vmcnt(2)
	ds_write_b64 v103, v[104:105]
.LBB114_247:
	s_or_b64 exec, exec, s[4:5]
	s_waitcnt lgkmcnt(0)
	; wave barrier
	buffer_load_dword v113, off, s[0:3], 0 offset:272
	buffer_load_dword v114, off, s[0:3], 0 offset:276
	;; [unrolled: 1-line block ×22, first 2 shown]
	v_mov_b32_e32 v104, 0
	ds_read_b128 v[105:108], v104 offset:688
	ds_read_b128 v[109:112], v104 offset:704
	v_cmp_lt_u32_e32 vcc, 32, v0
	s_waitcnt vmcnt(20) lgkmcnt(1)
	v_fma_f64 v[105:106], v[113:114], v[105:106], 0
	s_waitcnt vmcnt(18)
	v_fma_f64 v[105:106], v[115:116], v[107:108], v[105:106]
	buffer_load_dword v114, off, s[0:3], 0 offset:364
	buffer_load_dword v115, off, s[0:3], 0 offset:384
	;; [unrolled: 1-line block ×7, first 2 shown]
	s_waitcnt vmcnt(23) lgkmcnt(0)
	v_fma_f64 v[105:106], v[117:118], v[109:110], v[105:106]
	s_waitcnt vmcnt(21)
	v_fma_f64 v[116:117], v[119:120], v[111:112], v[105:106]
	ds_read_b128 v[105:108], v104 offset:720
	ds_read_b128 v[109:112], v104 offset:736
	s_waitcnt vmcnt(19) lgkmcnt(1)
	v_fma_f64 v[105:106], v[121:122], v[105:106], v[116:117]
	buffer_load_dword v116, off, s[0:3], 0 offset:388
	buffer_load_dword v118, off, s[0:3], 0 offset:396
	;; [unrolled: 1-line block ×7, first 2 shown]
	s_waitcnt vmcnt(24)
	v_fma_f64 v[105:106], v[123:124], v[107:108], v[105:106]
	s_waitcnt vmcnt(22) lgkmcnt(0)
	v_fma_f64 v[105:106], v[125:126], v[109:110], v[105:106]
	s_waitcnt vmcnt(17)
	v_fma_f64 v[123:124], v[127:128], v[111:112], v[105:106]
	ds_read_b128 v[105:108], v104 offset:752
	ds_read_b128 v[109:112], v104 offset:768
	s_waitcnt vmcnt(16) lgkmcnt(1)
	v_fma_f64 v[105:106], v[133:134], v[105:106], v[123:124]
	s_waitcnt vmcnt(15)
	v_fma_f64 v[105:106], v[131:132], v[107:108], v[105:106]
	s_waitcnt vmcnt(14) lgkmcnt(0)
	v_fma_f64 v[105:106], v[129:130], v[109:110], v[105:106]
	s_waitcnt vmcnt(9)
	v_fma_f64 v[113:114], v[113:114], v[111:112], v[105:106]
	ds_read_b128 v[105:108], v104 offset:784
	ds_read_b128 v[109:112], v104 offset:800
	s_waitcnt vmcnt(8) lgkmcnt(1)
	v_fma_f64 v[105:106], v[137:138], v[105:106], v[113:114]
	s_waitcnt vmcnt(7)
	v_fma_f64 v[105:106], v[135:136], v[107:108], v[105:106]
	ds_read_b64 v[107:108], v104 offset:816
	s_waitcnt vmcnt(6) lgkmcnt(1)
	v_fma_f64 v[105:106], v[115:116], v[109:110], v[105:106]
	s_waitcnt vmcnt(3)
	v_fma_f64 v[105:106], v[117:118], v[111:112], v[105:106]
	s_waitcnt vmcnt(2) lgkmcnt(0)
	v_fma_f64 v[105:106], v[119:120], v[107:108], v[105:106]
	s_waitcnt vmcnt(0)
	v_add_f64 v[105:106], v[121:122], -v[105:106]
	buffer_store_dword v106, off, s[0:3], 0 offset:268
	buffer_store_dword v105, off, s[0:3], 0 offset:264
	s_and_saveexec_b64 s[4:5], vcc
	s_cbranch_execz .LBB114_249
; %bb.248:
	buffer_load_dword v105, off, s[0:3], 0 offset:256
	buffer_load_dword v106, off, s[0:3], 0 offset:260
	s_waitcnt vmcnt(0)
	ds_write_b64 v103, v[105:106]
	buffer_store_dword v104, off, s[0:3], 0 offset:256
	buffer_store_dword v104, off, s[0:3], 0 offset:260
.LBB114_249:
	s_or_b64 exec, exec, s[4:5]
	s_waitcnt lgkmcnt(0)
	; wave barrier
	buffer_load_dword v113, off, s[0:3], 0 offset:264
	buffer_load_dword v114, off, s[0:3], 0 offset:268
	;; [unrolled: 1-line block ×22, first 2 shown]
	ds_read2_b64 v[105:108], v104 offset0:85 offset1:86
	ds_read2_b64 v[109:112], v104 offset0:87 offset1:88
	v_cmp_lt_u32_e32 vcc, 31, v0
	s_waitcnt vmcnt(20) lgkmcnt(1)
	v_fma_f64 v[105:106], v[113:114], v[105:106], 0
	s_waitcnt vmcnt(18)
	v_fma_f64 v[105:106], v[115:116], v[107:108], v[105:106]
	buffer_load_dword v114, off, s[0:3], 0 offset:356
	buffer_load_dword v115, off, s[0:3], 0 offset:376
	;; [unrolled: 1-line block ×7, first 2 shown]
	s_waitcnt vmcnt(23) lgkmcnt(0)
	v_fma_f64 v[105:106], v[117:118], v[109:110], v[105:106]
	s_waitcnt vmcnt(21)
	v_fma_f64 v[116:117], v[119:120], v[111:112], v[105:106]
	ds_read2_b64 v[105:108], v104 offset0:89 offset1:90
	ds_read2_b64 v[109:112], v104 offset0:91 offset1:92
	s_waitcnt vmcnt(19) lgkmcnt(1)
	v_fma_f64 v[105:106], v[121:122], v[105:106], v[116:117]
	buffer_load_dword v116, off, s[0:3], 0 offset:380
	buffer_load_dword v118, off, s[0:3], 0 offset:388
	;; [unrolled: 1-line block ×7, first 2 shown]
	s_waitcnt vmcnt(24)
	v_fma_f64 v[105:106], v[123:124], v[107:108], v[105:106]
	s_waitcnt vmcnt(22) lgkmcnt(0)
	v_fma_f64 v[105:106], v[125:126], v[109:110], v[105:106]
	s_waitcnt vmcnt(17)
	v_fma_f64 v[123:124], v[127:128], v[111:112], v[105:106]
	ds_read2_b64 v[105:108], v104 offset0:93 offset1:94
	buffer_load_dword v125, off, s[0:3], 0 offset:256
	buffer_load_dword v126, off, s[0:3], 0 offset:260
	ds_read2_b64 v[109:112], v104 offset0:95 offset1:96
	s_waitcnt vmcnt(18) lgkmcnt(1)
	v_fma_f64 v[105:106], v[133:134], v[105:106], v[123:124]
	s_waitcnt vmcnt(17)
	v_fma_f64 v[105:106], v[131:132], v[107:108], v[105:106]
	s_waitcnt vmcnt(16) lgkmcnt(0)
	v_fma_f64 v[105:106], v[129:130], v[109:110], v[105:106]
	s_waitcnt vmcnt(11)
	v_fma_f64 v[113:114], v[113:114], v[111:112], v[105:106]
	ds_read2_b64 v[105:108], v104 offset0:97 offset1:98
	ds_read2_b64 v[109:112], v104 offset0:99 offset1:100
	s_waitcnt vmcnt(10) lgkmcnt(1)
	v_fma_f64 v[105:106], v[137:138], v[105:106], v[113:114]
	s_waitcnt vmcnt(9)
	v_fma_f64 v[105:106], v[135:136], v[107:108], v[105:106]
	s_waitcnt vmcnt(8) lgkmcnt(0)
	v_fma_f64 v[105:106], v[115:116], v[109:110], v[105:106]
	s_waitcnt vmcnt(4)
	v_fma_f64 v[108:109], v[117:118], v[111:112], v[105:106]
	ds_read2_b64 v[104:107], v104 offset0:101 offset1:102
	s_waitcnt vmcnt(3) lgkmcnt(0)
	v_fma_f64 v[104:105], v[121:122], v[104:105], v[108:109]
	s_waitcnt vmcnt(2)
	v_fma_f64 v[104:105], v[119:120], v[106:107], v[104:105]
	s_waitcnt vmcnt(0)
	v_add_f64 v[104:105], v[125:126], -v[104:105]
	buffer_store_dword v105, off, s[0:3], 0 offset:260
	buffer_store_dword v104, off, s[0:3], 0 offset:256
	s_and_saveexec_b64 s[4:5], vcc
	s_cbranch_execz .LBB114_251
; %bb.250:
	buffer_load_dword v104, off, s[0:3], 0 offset:248
	buffer_load_dword v105, off, s[0:3], 0 offset:252
	v_mov_b32_e32 v106, 0
	buffer_store_dword v106, off, s[0:3], 0 offset:248
	buffer_store_dword v106, off, s[0:3], 0 offset:252
	s_waitcnt vmcnt(2)
	ds_write_b64 v103, v[104:105]
.LBB114_251:
	s_or_b64 exec, exec, s[4:5]
	s_waitcnt lgkmcnt(0)
	; wave barrier
	buffer_load_dword v113, off, s[0:3], 0 offset:256
	buffer_load_dword v114, off, s[0:3], 0 offset:260
	;; [unrolled: 1-line block ×22, first 2 shown]
	v_mov_b32_e32 v104, 0
	ds_read_b128 v[105:108], v104 offset:672
	ds_read_b128 v[109:112], v104 offset:688
	v_cmp_lt_u32_e32 vcc, 30, v0
	s_waitcnt vmcnt(20) lgkmcnt(1)
	v_fma_f64 v[105:106], v[113:114], v[105:106], 0
	s_waitcnt vmcnt(18)
	v_fma_f64 v[105:106], v[115:116], v[107:108], v[105:106]
	buffer_load_dword v114, off, s[0:3], 0 offset:348
	buffer_load_dword v115, off, s[0:3], 0 offset:368
	buffer_load_dword v135, off, s[0:3], 0 offset:360
	buffer_load_dword v137, off, s[0:3], 0 offset:352
	buffer_load_dword v113, off, s[0:3], 0 offset:344
	buffer_load_dword v138, off, s[0:3], 0 offset:356
	buffer_load_dword v136, off, s[0:3], 0 offset:364
	s_waitcnt vmcnt(23) lgkmcnt(0)
	v_fma_f64 v[105:106], v[117:118], v[109:110], v[105:106]
	s_waitcnt vmcnt(21)
	v_fma_f64 v[116:117], v[119:120], v[111:112], v[105:106]
	ds_read_b128 v[105:108], v104 offset:704
	ds_read_b128 v[109:112], v104 offset:720
	s_waitcnt vmcnt(19) lgkmcnt(1)
	v_fma_f64 v[105:106], v[121:122], v[105:106], v[116:117]
	buffer_load_dword v116, off, s[0:3], 0 offset:372
	s_waitcnt vmcnt(18)
	v_fma_f64 v[105:106], v[123:124], v[107:108], v[105:106]
	buffer_load_dword v118, off, s[0:3], 0 offset:380
	buffer_load_dword v119, off, s[0:3], 0 offset:400
	;; [unrolled: 1-line block ×8, first 2 shown]
	s_waitcnt vmcnt(24) lgkmcnt(0)
	v_fma_f64 v[105:106], v[125:126], v[109:110], v[105:106]
	s_waitcnt vmcnt(19)
	v_fma_f64 v[125:126], v[127:128], v[111:112], v[105:106]
	ds_read_b128 v[105:108], v104 offset:736
	ds_read_b128 v[109:112], v104 offset:752
	s_waitcnt vmcnt(18) lgkmcnt(1)
	v_fma_f64 v[105:106], v[133:134], v[105:106], v[125:126]
	buffer_load_dword v125, off, s[0:3], 0 offset:248
	buffer_load_dword v126, off, s[0:3], 0 offset:252
	s_waitcnt vmcnt(19)
	v_fma_f64 v[105:106], v[131:132], v[107:108], v[105:106]
	s_waitcnt vmcnt(18) lgkmcnt(0)
	v_fma_f64 v[105:106], v[129:130], v[109:110], v[105:106]
	s_waitcnt vmcnt(13)
	v_fma_f64 v[113:114], v[113:114], v[111:112], v[105:106]
	ds_read_b128 v[105:108], v104 offset:768
	ds_read_b128 v[109:112], v104 offset:784
	s_waitcnt vmcnt(12) lgkmcnt(1)
	v_fma_f64 v[105:106], v[137:138], v[105:106], v[113:114]
	s_waitcnt vmcnt(11)
	v_fma_f64 v[105:106], v[135:136], v[107:108], v[105:106]
	s_waitcnt vmcnt(10) lgkmcnt(0)
	v_fma_f64 v[105:106], v[115:116], v[109:110], v[105:106]
	s_waitcnt vmcnt(5)
	v_fma_f64 v[109:110], v[117:118], v[111:112], v[105:106]
	ds_read_b128 v[105:108], v104 offset:800
	ds_read_b64 v[111:112], v104 offset:816
	s_waitcnt vmcnt(4) lgkmcnt(1)
	v_fma_f64 v[105:106], v[123:124], v[105:106], v[109:110]
	s_waitcnt vmcnt(3)
	v_fma_f64 v[105:106], v[121:122], v[107:108], v[105:106]
	s_waitcnt vmcnt(2) lgkmcnt(0)
	v_fma_f64 v[105:106], v[119:120], v[111:112], v[105:106]
	s_waitcnt vmcnt(0)
	v_add_f64 v[105:106], v[125:126], -v[105:106]
	buffer_store_dword v106, off, s[0:3], 0 offset:252
	buffer_store_dword v105, off, s[0:3], 0 offset:248
	s_and_saveexec_b64 s[4:5], vcc
	s_cbranch_execz .LBB114_253
; %bb.252:
	buffer_load_dword v105, off, s[0:3], 0 offset:240
	buffer_load_dword v106, off, s[0:3], 0 offset:244
	s_waitcnt vmcnt(0)
	ds_write_b64 v103, v[105:106]
	buffer_store_dword v104, off, s[0:3], 0 offset:240
	buffer_store_dword v104, off, s[0:3], 0 offset:244
.LBB114_253:
	s_or_b64 exec, exec, s[4:5]
	s_waitcnt lgkmcnt(0)
	; wave barrier
	buffer_load_dword v113, off, s[0:3], 0 offset:248
	buffer_load_dword v114, off, s[0:3], 0 offset:252
	;; [unrolled: 1-line block ×22, first 2 shown]
	ds_read2_b64 v[105:108], v104 offset0:83 offset1:84
	ds_read2_b64 v[109:112], v104 offset0:85 offset1:86
	v_cmp_lt_u32_e32 vcc, 29, v0
	s_waitcnt vmcnt(20) lgkmcnt(1)
	v_fma_f64 v[105:106], v[113:114], v[105:106], 0
	s_waitcnt vmcnt(18)
	v_fma_f64 v[105:106], v[115:116], v[107:108], v[105:106]
	buffer_load_dword v114, off, s[0:3], 0 offset:340
	buffer_load_dword v115, off, s[0:3], 0 offset:360
	;; [unrolled: 1-line block ×7, first 2 shown]
	s_waitcnt vmcnt(23) lgkmcnt(0)
	v_fma_f64 v[105:106], v[117:118], v[109:110], v[105:106]
	s_waitcnt vmcnt(21)
	v_fma_f64 v[116:117], v[119:120], v[111:112], v[105:106]
	ds_read2_b64 v[105:108], v104 offset0:87 offset1:88
	ds_read2_b64 v[109:112], v104 offset0:89 offset1:90
	s_waitcnt vmcnt(19) lgkmcnt(1)
	v_fma_f64 v[105:106], v[121:122], v[105:106], v[116:117]
	buffer_load_dword v116, off, s[0:3], 0 offset:364
	s_waitcnt vmcnt(18)
	v_fma_f64 v[105:106], v[123:124], v[107:108], v[105:106]
	buffer_load_dword v118, off, s[0:3], 0 offset:372
	buffer_load_dword v119, off, s[0:3], 0 offset:392
	;; [unrolled: 1-line block ×8, first 2 shown]
	s_waitcnt vmcnt(24) lgkmcnt(0)
	v_fma_f64 v[105:106], v[125:126], v[109:110], v[105:106]
	s_waitcnt vmcnt(19)
	v_fma_f64 v[125:126], v[127:128], v[111:112], v[105:106]
	ds_read2_b64 v[105:108], v104 offset0:91 offset1:92
	ds_read2_b64 v[109:112], v104 offset0:93 offset1:94
	s_waitcnt vmcnt(18) lgkmcnt(1)
	v_fma_f64 v[105:106], v[133:134], v[105:106], v[125:126]
	buffer_load_dword v126, off, s[0:3], 0 offset:404
	buffer_load_dword v125, off, s[0:3], 0 offset:400
	;; [unrolled: 1-line block ×4, first 2 shown]
	s_waitcnt vmcnt(21)
	v_fma_f64 v[105:106], v[131:132], v[107:108], v[105:106]
	s_waitcnt vmcnt(20) lgkmcnt(0)
	v_fma_f64 v[105:106], v[129:130], v[109:110], v[105:106]
	s_waitcnt vmcnt(15)
	v_fma_f64 v[113:114], v[113:114], v[111:112], v[105:106]
	ds_read2_b64 v[105:108], v104 offset0:95 offset1:96
	ds_read2_b64 v[109:112], v104 offset0:97 offset1:98
	s_waitcnt vmcnt(14) lgkmcnt(1)
	v_fma_f64 v[105:106], v[137:138], v[105:106], v[113:114]
	s_waitcnt vmcnt(13)
	v_fma_f64 v[105:106], v[135:136], v[107:108], v[105:106]
	s_waitcnt vmcnt(12) lgkmcnt(0)
	v_fma_f64 v[105:106], v[115:116], v[109:110], v[105:106]
	s_waitcnt vmcnt(7)
	v_fma_f64 v[113:114], v[117:118], v[111:112], v[105:106]
	ds_read2_b64 v[105:108], v104 offset0:99 offset1:100
	ds_read2_b64 v[109:112], v104 offset0:101 offset1:102
	s_waitcnt vmcnt(6) lgkmcnt(1)
	v_fma_f64 v[104:105], v[123:124], v[105:106], v[113:114]
	s_waitcnt vmcnt(5)
	v_fma_f64 v[104:105], v[121:122], v[107:108], v[104:105]
	s_waitcnt vmcnt(4) lgkmcnt(0)
	v_fma_f64 v[104:105], v[119:120], v[109:110], v[104:105]
	s_waitcnt vmcnt(2)
	v_fma_f64 v[104:105], v[125:126], v[111:112], v[104:105]
	s_waitcnt vmcnt(0)
	v_add_f64 v[104:105], v[127:128], -v[104:105]
	buffer_store_dword v105, off, s[0:3], 0 offset:244
	buffer_store_dword v104, off, s[0:3], 0 offset:240
	s_and_saveexec_b64 s[4:5], vcc
	s_cbranch_execz .LBB114_255
; %bb.254:
	buffer_load_dword v104, off, s[0:3], 0 offset:232
	buffer_load_dword v105, off, s[0:3], 0 offset:236
	v_mov_b32_e32 v106, 0
	buffer_store_dword v106, off, s[0:3], 0 offset:232
	buffer_store_dword v106, off, s[0:3], 0 offset:236
	s_waitcnt vmcnt(2)
	ds_write_b64 v103, v[104:105]
.LBB114_255:
	s_or_b64 exec, exec, s[4:5]
	s_waitcnt lgkmcnt(0)
	; wave barrier
	buffer_load_dword v113, off, s[0:3], 0 offset:240
	buffer_load_dword v114, off, s[0:3], 0 offset:244
	;; [unrolled: 1-line block ×21, first 2 shown]
	v_mov_b32_e32 v104, 0
	ds_read_b128 v[105:108], v104 offset:656
	ds_read_b128 v[109:112], v104 offset:672
	buffer_load_dword v130, off, s[0:3], 0 offset:324
	v_cmp_lt_u32_e32 vcc, 28, v0
	s_waitcnt vmcnt(20) lgkmcnt(1)
	v_fma_f64 v[105:106], v[113:114], v[105:106], 0
	s_waitcnt vmcnt(18)
	v_fma_f64 v[105:106], v[115:116], v[107:108], v[105:106]
	buffer_load_dword v114, off, s[0:3], 0 offset:332
	buffer_load_dword v115, off, s[0:3], 0 offset:352
	buffer_load_dword v135, off, s[0:3], 0 offset:344
	buffer_load_dword v137, off, s[0:3], 0 offset:336
	buffer_load_dword v113, off, s[0:3], 0 offset:328
	buffer_load_dword v138, off, s[0:3], 0 offset:340
	buffer_load_dword v136, off, s[0:3], 0 offset:348
	s_waitcnt vmcnt(23) lgkmcnt(0)
	v_fma_f64 v[105:106], v[117:118], v[109:110], v[105:106]
	s_waitcnt vmcnt(21)
	v_fma_f64 v[116:117], v[119:120], v[111:112], v[105:106]
	ds_read_b128 v[105:108], v104 offset:688
	ds_read_b128 v[109:112], v104 offset:704
	s_waitcnt vmcnt(19) lgkmcnt(1)
	v_fma_f64 v[105:106], v[121:122], v[105:106], v[116:117]
	buffer_load_dword v116, off, s[0:3], 0 offset:356
	s_waitcnt vmcnt(18)
	v_fma_f64 v[105:106], v[123:124], v[107:108], v[105:106]
	buffer_load_dword v118, off, s[0:3], 0 offset:364
	buffer_load_dword v119, off, s[0:3], 0 offset:384
	;; [unrolled: 1-line block ×7, first 2 shown]
	s_waitcnt vmcnt(23) lgkmcnt(0)
	v_fma_f64 v[105:106], v[125:126], v[109:110], v[105:106]
	s_waitcnt vmcnt(18)
	v_fma_f64 v[125:126], v[127:128], v[111:112], v[105:106]
	ds_read_b128 v[105:108], v104 offset:720
	ds_read_b128 v[109:112], v104 offset:736
	buffer_load_dword v120, off, s[0:3], 0 offset:388
	s_waitcnt vmcnt(18) lgkmcnt(1)
	v_fma_f64 v[105:106], v[133:134], v[105:106], v[125:126]
	buffer_load_dword v126, off, s[0:3], 0 offset:396
	buffer_load_dword v127, off, s[0:3], 0 offset:400
	buffer_load_dword v125, off, s[0:3], 0 offset:392
	buffer_load_dword v128, off, s[0:3], 0 offset:404
	s_waitcnt vmcnt(21)
	v_fma_f64 v[105:106], v[131:132], v[107:108], v[105:106]
	s_waitcnt vmcnt(20) lgkmcnt(0)
	v_fma_f64 v[105:106], v[129:130], v[109:110], v[105:106]
	buffer_load_dword v129, off, s[0:3], 0 offset:232
	buffer_load_dword v130, off, s[0:3], 0 offset:236
	s_waitcnt vmcnt(17)
	v_fma_f64 v[113:114], v[113:114], v[111:112], v[105:106]
	ds_read_b128 v[105:108], v104 offset:752
	ds_read_b128 v[109:112], v104 offset:768
	s_waitcnt vmcnt(16) lgkmcnt(1)
	v_fma_f64 v[105:106], v[137:138], v[105:106], v[113:114]
	s_waitcnt vmcnt(15)
	v_fma_f64 v[105:106], v[135:136], v[107:108], v[105:106]
	s_waitcnt vmcnt(14) lgkmcnt(0)
	v_fma_f64 v[105:106], v[115:116], v[109:110], v[105:106]
	s_waitcnt vmcnt(9)
	v_fma_f64 v[113:114], v[117:118], v[111:112], v[105:106]
	ds_read_b128 v[105:108], v104 offset:784
	ds_read_b128 v[109:112], v104 offset:800
	s_waitcnt vmcnt(8) lgkmcnt(1)
	v_fma_f64 v[105:106], v[123:124], v[105:106], v[113:114]
	s_waitcnt vmcnt(7)
	v_fma_f64 v[105:106], v[121:122], v[107:108], v[105:106]
	ds_read_b64 v[107:108], v104 offset:816
	s_waitcnt vmcnt(6) lgkmcnt(1)
	v_fma_f64 v[105:106], v[119:120], v[109:110], v[105:106]
	s_waitcnt vmcnt(3)
	v_fma_f64 v[105:106], v[125:126], v[111:112], v[105:106]
	s_waitcnt vmcnt(2) lgkmcnt(0)
	v_fma_f64 v[105:106], v[127:128], v[107:108], v[105:106]
	s_waitcnt vmcnt(0)
	v_add_f64 v[105:106], v[129:130], -v[105:106]
	buffer_store_dword v106, off, s[0:3], 0 offset:236
	buffer_store_dword v105, off, s[0:3], 0 offset:232
	s_and_saveexec_b64 s[4:5], vcc
	s_cbranch_execz .LBB114_257
; %bb.256:
	buffer_load_dword v105, off, s[0:3], 0 offset:224
	buffer_load_dword v106, off, s[0:3], 0 offset:228
	s_waitcnt vmcnt(0)
	ds_write_b64 v103, v[105:106]
	buffer_store_dword v104, off, s[0:3], 0 offset:224
	buffer_store_dword v104, off, s[0:3], 0 offset:228
.LBB114_257:
	s_or_b64 exec, exec, s[4:5]
	s_waitcnt lgkmcnt(0)
	; wave barrier
	buffer_load_dword v113, off, s[0:3], 0 offset:232
	buffer_load_dword v114, off, s[0:3], 0 offset:236
	;; [unrolled: 1-line block ×21, first 2 shown]
	ds_read2_b64 v[105:108], v104 offset0:81 offset1:82
	ds_read2_b64 v[109:112], v104 offset0:83 offset1:84
	buffer_load_dword v130, off, s[0:3], 0 offset:316
	v_cmp_lt_u32_e32 vcc, 27, v0
	s_waitcnt vmcnt(20) lgkmcnt(1)
	v_fma_f64 v[105:106], v[113:114], v[105:106], 0
	s_waitcnt vmcnt(18)
	v_fma_f64 v[105:106], v[115:116], v[107:108], v[105:106]
	buffer_load_dword v114, off, s[0:3], 0 offset:324
	buffer_load_dword v115, off, s[0:3], 0 offset:344
	;; [unrolled: 1-line block ×7, first 2 shown]
	s_waitcnt vmcnt(23) lgkmcnt(0)
	v_fma_f64 v[105:106], v[117:118], v[109:110], v[105:106]
	s_waitcnt vmcnt(21)
	v_fma_f64 v[116:117], v[119:120], v[111:112], v[105:106]
	ds_read2_b64 v[105:108], v104 offset0:85 offset1:86
	ds_read2_b64 v[109:112], v104 offset0:87 offset1:88
	s_waitcnt vmcnt(19) lgkmcnt(1)
	v_fma_f64 v[105:106], v[121:122], v[105:106], v[116:117]
	buffer_load_dword v116, off, s[0:3], 0 offset:348
	s_waitcnt vmcnt(18)
	v_fma_f64 v[105:106], v[123:124], v[107:108], v[105:106]
	buffer_load_dword v118, off, s[0:3], 0 offset:356
	buffer_load_dword v119, off, s[0:3], 0 offset:376
	;; [unrolled: 1-line block ×8, first 2 shown]
	s_waitcnt vmcnt(24) lgkmcnt(0)
	v_fma_f64 v[105:106], v[125:126], v[109:110], v[105:106]
	s_waitcnt vmcnt(19)
	v_fma_f64 v[125:126], v[127:128], v[111:112], v[105:106]
	ds_read2_b64 v[105:108], v104 offset0:89 offset1:90
	ds_read2_b64 v[109:112], v104 offset0:91 offset1:92
	s_waitcnt vmcnt(18) lgkmcnt(1)
	v_fma_f64 v[105:106], v[133:134], v[105:106], v[125:126]
	s_waitcnt vmcnt(17)
	v_fma_f64 v[105:106], v[131:132], v[107:108], v[105:106]
	buffer_load_dword v126, off, s[0:3], 0 offset:388
	buffer_load_dword v127, off, s[0:3], 0 offset:400
	;; [unrolled: 1-line block ×6, first 2 shown]
	s_waitcnt vmcnt(22) lgkmcnt(0)
	v_fma_f64 v[105:106], v[129:130], v[109:110], v[105:106]
	s_waitcnt vmcnt(17)
	v_fma_f64 v[113:114], v[113:114], v[111:112], v[105:106]
	ds_read2_b64 v[105:108], v104 offset0:93 offset1:94
	buffer_load_dword v129, off, s[0:3], 0 offset:224
	buffer_load_dword v130, off, s[0:3], 0 offset:228
	ds_read2_b64 v[109:112], v104 offset0:95 offset1:96
	s_waitcnt vmcnt(18) lgkmcnt(1)
	v_fma_f64 v[105:106], v[137:138], v[105:106], v[113:114]
	s_waitcnt vmcnt(17)
	v_fma_f64 v[105:106], v[135:136], v[107:108], v[105:106]
	s_waitcnt vmcnt(16) lgkmcnt(0)
	v_fma_f64 v[105:106], v[115:116], v[109:110], v[105:106]
	s_waitcnt vmcnt(11)
	v_fma_f64 v[113:114], v[117:118], v[111:112], v[105:106]
	ds_read2_b64 v[105:108], v104 offset0:97 offset1:98
	ds_read2_b64 v[109:112], v104 offset0:99 offset1:100
	s_waitcnt vmcnt(10) lgkmcnt(1)
	v_fma_f64 v[105:106], v[123:124], v[105:106], v[113:114]
	s_waitcnt vmcnt(9)
	v_fma_f64 v[105:106], v[121:122], v[107:108], v[105:106]
	s_waitcnt vmcnt(8) lgkmcnt(0)
	v_fma_f64 v[105:106], v[119:120], v[109:110], v[105:106]
	s_waitcnt vmcnt(4)
	v_fma_f64 v[108:109], v[125:126], v[111:112], v[105:106]
	ds_read2_b64 v[104:107], v104 offset0:101 offset1:102
	s_waitcnt vmcnt(3) lgkmcnt(0)
	v_fma_f64 v[104:105], v[131:132], v[104:105], v[108:109]
	s_waitcnt vmcnt(2)
	v_fma_f64 v[104:105], v[127:128], v[106:107], v[104:105]
	s_waitcnt vmcnt(0)
	v_add_f64 v[104:105], v[129:130], -v[104:105]
	buffer_store_dword v105, off, s[0:3], 0 offset:228
	buffer_store_dword v104, off, s[0:3], 0 offset:224
	s_and_saveexec_b64 s[4:5], vcc
	s_cbranch_execz .LBB114_259
; %bb.258:
	buffer_load_dword v104, off, s[0:3], 0 offset:216
	buffer_load_dword v105, off, s[0:3], 0 offset:220
	v_mov_b32_e32 v106, 0
	buffer_store_dword v106, off, s[0:3], 0 offset:216
	buffer_store_dword v106, off, s[0:3], 0 offset:220
	s_waitcnt vmcnt(2)
	ds_write_b64 v103, v[104:105]
.LBB114_259:
	s_or_b64 exec, exec, s[4:5]
	s_waitcnt lgkmcnt(0)
	; wave barrier
	buffer_load_dword v113, off, s[0:3], 0 offset:224
	buffer_load_dword v114, off, s[0:3], 0 offset:228
	;; [unrolled: 1-line block ×21, first 2 shown]
	v_mov_b32_e32 v104, 0
	ds_read_b128 v[105:108], v104 offset:640
	ds_read_b128 v[109:112], v104 offset:656
	buffer_load_dword v130, off, s[0:3], 0 offset:308
	v_cmp_lt_u32_e32 vcc, 26, v0
	s_waitcnt vmcnt(20) lgkmcnt(1)
	v_fma_f64 v[105:106], v[113:114], v[105:106], 0
	s_waitcnt vmcnt(18)
	v_fma_f64 v[105:106], v[115:116], v[107:108], v[105:106]
	buffer_load_dword v114, off, s[0:3], 0 offset:316
	buffer_load_dword v115, off, s[0:3], 0 offset:336
	;; [unrolled: 1-line block ×7, first 2 shown]
	s_waitcnt vmcnt(23) lgkmcnt(0)
	v_fma_f64 v[105:106], v[117:118], v[109:110], v[105:106]
	s_waitcnt vmcnt(21)
	v_fma_f64 v[116:117], v[119:120], v[111:112], v[105:106]
	ds_read_b128 v[105:108], v104 offset:672
	ds_read_b128 v[109:112], v104 offset:688
	s_waitcnt vmcnt(19) lgkmcnt(1)
	v_fma_f64 v[105:106], v[121:122], v[105:106], v[116:117]
	buffer_load_dword v116, off, s[0:3], 0 offset:340
	s_waitcnt vmcnt(18)
	v_fma_f64 v[105:106], v[123:124], v[107:108], v[105:106]
	buffer_load_dword v118, off, s[0:3], 0 offset:348
	buffer_load_dword v119, off, s[0:3], 0 offset:368
	buffer_load_dword v121, off, s[0:3], 0 offset:360
	buffer_load_dword v123, off, s[0:3], 0 offset:352
	buffer_load_dword v117, off, s[0:3], 0 offset:344
	buffer_load_dword v124, off, s[0:3], 0 offset:356
	buffer_load_dword v122, off, s[0:3], 0 offset:364
	buffer_load_dword v120, off, s[0:3], 0 offset:372
	s_waitcnt vmcnt(24) lgkmcnt(0)
	v_fma_f64 v[105:106], v[125:126], v[109:110], v[105:106]
	s_waitcnt vmcnt(19)
	v_fma_f64 v[125:126], v[127:128], v[111:112], v[105:106]
	ds_read_b128 v[105:108], v104 offset:704
	ds_read_b128 v[109:112], v104 offset:720
	s_waitcnt vmcnt(18) lgkmcnt(1)
	v_fma_f64 v[105:106], v[133:134], v[105:106], v[125:126]
	s_waitcnt vmcnt(17)
	v_fma_f64 v[105:106], v[131:132], v[107:108], v[105:106]
	buffer_load_dword v126, off, s[0:3], 0 offset:380
	buffer_load_dword v127, off, s[0:3], 0 offset:400
	;; [unrolled: 1-line block ×8, first 2 shown]
	s_waitcnt vmcnt(24) lgkmcnt(0)
	v_fma_f64 v[105:106], v[129:130], v[109:110], v[105:106]
	s_waitcnt vmcnt(19)
	v_fma_f64 v[113:114], v[113:114], v[111:112], v[105:106]
	ds_read_b128 v[105:108], v104 offset:736
	ds_read_b128 v[109:112], v104 offset:752
	s_waitcnt vmcnt(18) lgkmcnt(1)
	v_fma_f64 v[105:106], v[137:138], v[105:106], v[113:114]
	buffer_load_dword v113, off, s[0:3], 0 offset:216
	buffer_load_dword v114, off, s[0:3], 0 offset:220
	s_waitcnt vmcnt(19)
	v_fma_f64 v[105:106], v[135:136], v[107:108], v[105:106]
	s_waitcnt vmcnt(18) lgkmcnt(0)
	v_fma_f64 v[105:106], v[115:116], v[109:110], v[105:106]
	s_waitcnt vmcnt(13)
	v_fma_f64 v[115:116], v[117:118], v[111:112], v[105:106]
	ds_read_b128 v[105:108], v104 offset:768
	ds_read_b128 v[109:112], v104 offset:784
	s_waitcnt vmcnt(12) lgkmcnt(1)
	v_fma_f64 v[105:106], v[123:124], v[105:106], v[115:116]
	s_waitcnt vmcnt(11)
	v_fma_f64 v[105:106], v[121:122], v[107:108], v[105:106]
	s_waitcnt vmcnt(10) lgkmcnt(0)
	v_fma_f64 v[105:106], v[119:120], v[109:110], v[105:106]
	s_waitcnt vmcnt(5)
	v_fma_f64 v[109:110], v[125:126], v[111:112], v[105:106]
	ds_read_b128 v[105:108], v104 offset:800
	ds_read_b64 v[111:112], v104 offset:816
	s_waitcnt vmcnt(4) lgkmcnt(1)
	v_fma_f64 v[105:106], v[133:134], v[105:106], v[109:110]
	s_waitcnt vmcnt(3)
	v_fma_f64 v[105:106], v[131:132], v[107:108], v[105:106]
	s_waitcnt vmcnt(2) lgkmcnt(0)
	v_fma_f64 v[105:106], v[127:128], v[111:112], v[105:106]
	s_waitcnt vmcnt(0)
	v_add_f64 v[105:106], v[113:114], -v[105:106]
	buffer_store_dword v106, off, s[0:3], 0 offset:220
	buffer_store_dword v105, off, s[0:3], 0 offset:216
	s_and_saveexec_b64 s[4:5], vcc
	s_cbranch_execz .LBB114_261
; %bb.260:
	buffer_load_dword v105, off, s[0:3], 0 offset:208
	buffer_load_dword v106, off, s[0:3], 0 offset:212
	s_waitcnt vmcnt(0)
	ds_write_b64 v103, v[105:106]
	buffer_store_dword v104, off, s[0:3], 0 offset:208
	buffer_store_dword v104, off, s[0:3], 0 offset:212
.LBB114_261:
	s_or_b64 exec, exec, s[4:5]
	s_waitcnt lgkmcnt(0)
	; wave barrier
	buffer_load_dword v113, off, s[0:3], 0 offset:216
	buffer_load_dword v114, off, s[0:3], 0 offset:220
	;; [unrolled: 1-line block ×21, first 2 shown]
	ds_read2_b64 v[105:108], v104 offset0:79 offset1:80
	ds_read2_b64 v[109:112], v104 offset0:81 offset1:82
	buffer_load_dword v130, off, s[0:3], 0 offset:300
	v_cmp_lt_u32_e32 vcc, 25, v0
	s_waitcnt vmcnt(20) lgkmcnt(1)
	v_fma_f64 v[105:106], v[113:114], v[105:106], 0
	s_waitcnt vmcnt(18)
	v_fma_f64 v[105:106], v[115:116], v[107:108], v[105:106]
	buffer_load_dword v114, off, s[0:3], 0 offset:308
	buffer_load_dword v115, off, s[0:3], 0 offset:328
	;; [unrolled: 1-line block ×7, first 2 shown]
	s_waitcnt vmcnt(23) lgkmcnt(0)
	v_fma_f64 v[105:106], v[117:118], v[109:110], v[105:106]
	s_waitcnt vmcnt(21)
	v_fma_f64 v[116:117], v[119:120], v[111:112], v[105:106]
	ds_read2_b64 v[105:108], v104 offset0:83 offset1:84
	ds_read2_b64 v[109:112], v104 offset0:85 offset1:86
	s_waitcnt vmcnt(19) lgkmcnt(1)
	v_fma_f64 v[105:106], v[121:122], v[105:106], v[116:117]
	buffer_load_dword v116, off, s[0:3], 0 offset:332
	s_waitcnt vmcnt(18)
	v_fma_f64 v[105:106], v[123:124], v[107:108], v[105:106]
	buffer_load_dword v118, off, s[0:3], 0 offset:340
	buffer_load_dword v119, off, s[0:3], 0 offset:360
	;; [unrolled: 1-line block ×8, first 2 shown]
	s_waitcnt vmcnt(24) lgkmcnt(0)
	v_fma_f64 v[105:106], v[125:126], v[109:110], v[105:106]
	s_waitcnt vmcnt(19)
	v_fma_f64 v[125:126], v[127:128], v[111:112], v[105:106]
	ds_read2_b64 v[105:108], v104 offset0:87 offset1:88
	ds_read2_b64 v[109:112], v104 offset0:89 offset1:90
	s_waitcnt vmcnt(18) lgkmcnt(1)
	v_fma_f64 v[105:106], v[133:134], v[105:106], v[125:126]
	s_waitcnt vmcnt(17)
	v_fma_f64 v[105:106], v[131:132], v[107:108], v[105:106]
	buffer_load_dword v126, off, s[0:3], 0 offset:372
	buffer_load_dword v127, off, s[0:3], 0 offset:392
	;; [unrolled: 1-line block ×8, first 2 shown]
	s_waitcnt vmcnt(24) lgkmcnt(0)
	v_fma_f64 v[105:106], v[129:130], v[109:110], v[105:106]
	s_waitcnt vmcnt(19)
	v_fma_f64 v[113:114], v[113:114], v[111:112], v[105:106]
	ds_read2_b64 v[105:108], v104 offset0:91 offset1:92
	ds_read2_b64 v[109:112], v104 offset0:93 offset1:94
	s_waitcnt vmcnt(18) lgkmcnt(1)
	v_fma_f64 v[105:106], v[137:138], v[105:106], v[113:114]
	buffer_load_dword v114, off, s[0:3], 0 offset:404
	buffer_load_dword v113, off, s[0:3], 0 offset:400
	;; [unrolled: 1-line block ×4, first 2 shown]
	s_waitcnt vmcnt(21)
	v_fma_f64 v[105:106], v[135:136], v[107:108], v[105:106]
	s_waitcnt vmcnt(20) lgkmcnt(0)
	v_fma_f64 v[105:106], v[115:116], v[109:110], v[105:106]
	s_waitcnt vmcnt(15)
	v_fma_f64 v[115:116], v[117:118], v[111:112], v[105:106]
	ds_read2_b64 v[105:108], v104 offset0:95 offset1:96
	ds_read2_b64 v[109:112], v104 offset0:97 offset1:98
	s_waitcnt vmcnt(14) lgkmcnt(1)
	v_fma_f64 v[105:106], v[123:124], v[105:106], v[115:116]
	s_waitcnt vmcnt(13)
	v_fma_f64 v[105:106], v[121:122], v[107:108], v[105:106]
	s_waitcnt vmcnt(12) lgkmcnt(0)
	v_fma_f64 v[105:106], v[119:120], v[109:110], v[105:106]
	s_waitcnt vmcnt(7)
	v_fma_f64 v[115:116], v[125:126], v[111:112], v[105:106]
	ds_read2_b64 v[105:108], v104 offset0:99 offset1:100
	ds_read2_b64 v[109:112], v104 offset0:101 offset1:102
	s_waitcnt vmcnt(6) lgkmcnt(1)
	v_fma_f64 v[104:105], v[133:134], v[105:106], v[115:116]
	s_waitcnt vmcnt(5)
	v_fma_f64 v[104:105], v[131:132], v[107:108], v[104:105]
	s_waitcnt vmcnt(4) lgkmcnt(0)
	v_fma_f64 v[104:105], v[127:128], v[109:110], v[104:105]
	s_waitcnt vmcnt(2)
	v_fma_f64 v[104:105], v[113:114], v[111:112], v[104:105]
	s_waitcnt vmcnt(0)
	v_add_f64 v[104:105], v[129:130], -v[104:105]
	buffer_store_dword v105, off, s[0:3], 0 offset:212
	buffer_store_dword v104, off, s[0:3], 0 offset:208
	s_and_saveexec_b64 s[4:5], vcc
	s_cbranch_execz .LBB114_263
; %bb.262:
	buffer_load_dword v104, off, s[0:3], 0 offset:200
	buffer_load_dword v105, off, s[0:3], 0 offset:204
	v_mov_b32_e32 v106, 0
	buffer_store_dword v106, off, s[0:3], 0 offset:200
	buffer_store_dword v106, off, s[0:3], 0 offset:204
	s_waitcnt vmcnt(2)
	ds_write_b64 v103, v[104:105]
.LBB114_263:
	s_or_b64 exec, exec, s[4:5]
	s_waitcnt lgkmcnt(0)
	; wave barrier
	buffer_load_dword v113, off, s[0:3], 0 offset:208
	buffer_load_dword v114, off, s[0:3], 0 offset:212
	;; [unrolled: 1-line block ×21, first 2 shown]
	v_mov_b32_e32 v104, 0
	ds_read_b128 v[105:108], v104 offset:624
	ds_read_b128 v[109:112], v104 offset:640
	buffer_load_dword v130, off, s[0:3], 0 offset:292
	v_cmp_lt_u32_e32 vcc, 24, v0
	s_waitcnt vmcnt(20) lgkmcnt(1)
	v_fma_f64 v[105:106], v[113:114], v[105:106], 0
	s_waitcnt vmcnt(18)
	v_fma_f64 v[105:106], v[115:116], v[107:108], v[105:106]
	buffer_load_dword v114, off, s[0:3], 0 offset:300
	buffer_load_dword v115, off, s[0:3], 0 offset:320
	;; [unrolled: 1-line block ×7, first 2 shown]
	s_waitcnt vmcnt(23) lgkmcnt(0)
	v_fma_f64 v[105:106], v[117:118], v[109:110], v[105:106]
	s_waitcnt vmcnt(21)
	v_fma_f64 v[116:117], v[119:120], v[111:112], v[105:106]
	ds_read_b128 v[105:108], v104 offset:656
	ds_read_b128 v[109:112], v104 offset:672
	s_waitcnt vmcnt(19) lgkmcnt(1)
	v_fma_f64 v[105:106], v[121:122], v[105:106], v[116:117]
	buffer_load_dword v116, off, s[0:3], 0 offset:324
	s_waitcnt vmcnt(18)
	v_fma_f64 v[105:106], v[123:124], v[107:108], v[105:106]
	buffer_load_dword v118, off, s[0:3], 0 offset:332
	buffer_load_dword v119, off, s[0:3], 0 offset:352
	;; [unrolled: 1-line block ×8, first 2 shown]
	s_waitcnt vmcnt(24) lgkmcnt(0)
	v_fma_f64 v[105:106], v[125:126], v[109:110], v[105:106]
	s_waitcnt vmcnt(19)
	v_fma_f64 v[125:126], v[127:128], v[111:112], v[105:106]
	ds_read_b128 v[105:108], v104 offset:688
	ds_read_b128 v[109:112], v104 offset:704
	s_waitcnt vmcnt(18) lgkmcnt(1)
	v_fma_f64 v[105:106], v[133:134], v[105:106], v[125:126]
	s_waitcnt vmcnt(17)
	v_fma_f64 v[105:106], v[131:132], v[107:108], v[105:106]
	buffer_load_dword v126, off, s[0:3], 0 offset:364
	buffer_load_dword v127, off, s[0:3], 0 offset:384
	;; [unrolled: 1-line block ×7, first 2 shown]
	s_waitcnt vmcnt(23) lgkmcnt(0)
	v_fma_f64 v[105:106], v[129:130], v[109:110], v[105:106]
	s_waitcnt vmcnt(18)
	v_fma_f64 v[113:114], v[113:114], v[111:112], v[105:106]
	ds_read_b128 v[105:108], v104 offset:720
	ds_read_b128 v[109:112], v104 offset:736
	buffer_load_dword v128, off, s[0:3], 0 offset:388
	s_waitcnt vmcnt(18) lgkmcnt(1)
	v_fma_f64 v[105:106], v[137:138], v[105:106], v[113:114]
	buffer_load_dword v114, off, s[0:3], 0 offset:396
	buffer_load_dword v129, off, s[0:3], 0 offset:400
	;; [unrolled: 1-line block ×4, first 2 shown]
	s_waitcnt vmcnt(21)
	v_fma_f64 v[105:106], v[135:136], v[107:108], v[105:106]
	s_waitcnt vmcnt(20) lgkmcnt(0)
	v_fma_f64 v[105:106], v[115:116], v[109:110], v[105:106]
	buffer_load_dword v115, off, s[0:3], 0 offset:200
	buffer_load_dword v116, off, s[0:3], 0 offset:204
	s_waitcnt vmcnt(17)
	v_fma_f64 v[117:118], v[117:118], v[111:112], v[105:106]
	ds_read_b128 v[105:108], v104 offset:752
	ds_read_b128 v[109:112], v104 offset:768
	s_waitcnt vmcnt(16) lgkmcnt(1)
	v_fma_f64 v[105:106], v[123:124], v[105:106], v[117:118]
	s_waitcnt vmcnt(15)
	v_fma_f64 v[105:106], v[121:122], v[107:108], v[105:106]
	s_waitcnt vmcnt(14) lgkmcnt(0)
	v_fma_f64 v[105:106], v[119:120], v[109:110], v[105:106]
	s_waitcnt vmcnt(9)
	v_fma_f64 v[117:118], v[125:126], v[111:112], v[105:106]
	ds_read_b128 v[105:108], v104 offset:784
	ds_read_b128 v[109:112], v104 offset:800
	s_waitcnt vmcnt(8) lgkmcnt(1)
	v_fma_f64 v[105:106], v[133:134], v[105:106], v[117:118]
	s_waitcnt vmcnt(7)
	v_fma_f64 v[105:106], v[131:132], v[107:108], v[105:106]
	ds_read_b64 v[107:108], v104 offset:816
	s_waitcnt vmcnt(6) lgkmcnt(1)
	v_fma_f64 v[105:106], v[127:128], v[109:110], v[105:106]
	s_waitcnt vmcnt(3)
	v_fma_f64 v[105:106], v[113:114], v[111:112], v[105:106]
	s_waitcnt vmcnt(2) lgkmcnt(0)
	v_fma_f64 v[105:106], v[129:130], v[107:108], v[105:106]
	s_waitcnt vmcnt(0)
	v_add_f64 v[105:106], v[115:116], -v[105:106]
	buffer_store_dword v106, off, s[0:3], 0 offset:204
	buffer_store_dword v105, off, s[0:3], 0 offset:200
	s_and_saveexec_b64 s[4:5], vcc
	s_cbranch_execz .LBB114_265
; %bb.264:
	buffer_load_dword v105, off, s[0:3], 0 offset:192
	buffer_load_dword v106, off, s[0:3], 0 offset:196
	s_waitcnt vmcnt(0)
	ds_write_b64 v103, v[105:106]
	buffer_store_dword v104, off, s[0:3], 0 offset:192
	buffer_store_dword v104, off, s[0:3], 0 offset:196
.LBB114_265:
	s_or_b64 exec, exec, s[4:5]
	s_waitcnt lgkmcnt(0)
	; wave barrier
	buffer_load_dword v113, off, s[0:3], 0 offset:200
	buffer_load_dword v114, off, s[0:3], 0 offset:204
	buffer_load_dword v115, off, s[0:3], 0 offset:208
	buffer_load_dword v116, off, s[0:3], 0 offset:212
	buffer_load_dword v117, off, s[0:3], 0 offset:216
	buffer_load_dword v118, off, s[0:3], 0 offset:220
	buffer_load_dword v119, off, s[0:3], 0 offset:224
	buffer_load_dword v120, off, s[0:3], 0 offset:228
	buffer_load_dword v121, off, s[0:3], 0 offset:232
	buffer_load_dword v122, off, s[0:3], 0 offset:236
	buffer_load_dword v123, off, s[0:3], 0 offset:240
	buffer_load_dword v124, off, s[0:3], 0 offset:244
	buffer_load_dword v125, off, s[0:3], 0 offset:248
	buffer_load_dword v126, off, s[0:3], 0 offset:252
	buffer_load_dword v128, off, s[0:3], 0 offset:260
	buffer_load_dword v129, off, s[0:3], 0 offset:280
	buffer_load_dword v131, off, s[0:3], 0 offset:272
	buffer_load_dword v133, off, s[0:3], 0 offset:264
	buffer_load_dword v127, off, s[0:3], 0 offset:256
	buffer_load_dword v134, off, s[0:3], 0 offset:268
	buffer_load_dword v132, off, s[0:3], 0 offset:276
	buffer_load_dword v130, off, s[0:3], 0 offset:284
	ds_read2_b64 v[105:108], v104 offset0:77 offset1:78
	ds_read2_b64 v[109:112], v104 offset0:79 offset1:80
	v_cmp_lt_u32_e32 vcc, 23, v0
	s_waitcnt vmcnt(20) lgkmcnt(1)
	v_fma_f64 v[105:106], v[113:114], v[105:106], 0
	s_waitcnt vmcnt(18)
	v_fma_f64 v[105:106], v[115:116], v[107:108], v[105:106]
	buffer_load_dword v114, off, s[0:3], 0 offset:292
	buffer_load_dword v115, off, s[0:3], 0 offset:312
	;; [unrolled: 1-line block ×7, first 2 shown]
	s_waitcnt vmcnt(23) lgkmcnt(0)
	v_fma_f64 v[105:106], v[117:118], v[109:110], v[105:106]
	s_waitcnt vmcnt(21)
	v_fma_f64 v[116:117], v[119:120], v[111:112], v[105:106]
	ds_read2_b64 v[105:108], v104 offset0:81 offset1:82
	ds_read2_b64 v[109:112], v104 offset0:83 offset1:84
	s_waitcnt vmcnt(19) lgkmcnt(1)
	v_fma_f64 v[105:106], v[121:122], v[105:106], v[116:117]
	buffer_load_dword v116, off, s[0:3], 0 offset:316
	s_waitcnt vmcnt(18)
	v_fma_f64 v[105:106], v[123:124], v[107:108], v[105:106]
	buffer_load_dword v118, off, s[0:3], 0 offset:324
	buffer_load_dword v119, off, s[0:3], 0 offset:344
	;; [unrolled: 1-line block ×8, first 2 shown]
	s_waitcnt vmcnt(24) lgkmcnt(0)
	v_fma_f64 v[105:106], v[125:126], v[109:110], v[105:106]
	s_waitcnt vmcnt(19)
	v_fma_f64 v[125:126], v[127:128], v[111:112], v[105:106]
	ds_read2_b64 v[105:108], v104 offset0:85 offset1:86
	ds_read2_b64 v[109:112], v104 offset0:87 offset1:88
	s_waitcnt vmcnt(18) lgkmcnt(1)
	v_fma_f64 v[105:106], v[133:134], v[105:106], v[125:126]
	s_waitcnt vmcnt(17)
	v_fma_f64 v[105:106], v[131:132], v[107:108], v[105:106]
	buffer_load_dword v126, off, s[0:3], 0 offset:356
	buffer_load_dword v127, off, s[0:3], 0 offset:376
	;; [unrolled: 1-line block ×8, first 2 shown]
	s_waitcnt vmcnt(24) lgkmcnt(0)
	v_fma_f64 v[105:106], v[129:130], v[109:110], v[105:106]
	s_waitcnt vmcnt(19)
	v_fma_f64 v[113:114], v[113:114], v[111:112], v[105:106]
	ds_read2_b64 v[105:108], v104 offset0:89 offset1:90
	ds_read2_b64 v[109:112], v104 offset0:91 offset1:92
	s_waitcnt vmcnt(18) lgkmcnt(1)
	v_fma_f64 v[105:106], v[137:138], v[105:106], v[113:114]
	s_waitcnt vmcnt(17)
	v_fma_f64 v[105:106], v[135:136], v[107:108], v[105:106]
	buffer_load_dword v114, off, s[0:3], 0 offset:388
	buffer_load_dword v129, off, s[0:3], 0 offset:400
	;; [unrolled: 1-line block ×6, first 2 shown]
	s_waitcnt vmcnt(22) lgkmcnt(0)
	v_fma_f64 v[105:106], v[115:116], v[109:110], v[105:106]
	s_waitcnt vmcnt(17)
	v_fma_f64 v[115:116], v[117:118], v[111:112], v[105:106]
	ds_read2_b64 v[105:108], v104 offset0:93 offset1:94
	buffer_load_dword v117, off, s[0:3], 0 offset:192
	buffer_load_dword v118, off, s[0:3], 0 offset:196
	ds_read2_b64 v[109:112], v104 offset0:95 offset1:96
	s_waitcnt vmcnt(18) lgkmcnt(1)
	v_fma_f64 v[105:106], v[123:124], v[105:106], v[115:116]
	s_waitcnt vmcnt(17)
	v_fma_f64 v[105:106], v[121:122], v[107:108], v[105:106]
	s_waitcnt vmcnt(16) lgkmcnt(0)
	v_fma_f64 v[105:106], v[119:120], v[109:110], v[105:106]
	s_waitcnt vmcnt(11)
	v_fma_f64 v[115:116], v[125:126], v[111:112], v[105:106]
	ds_read2_b64 v[105:108], v104 offset0:97 offset1:98
	ds_read2_b64 v[109:112], v104 offset0:99 offset1:100
	s_waitcnt vmcnt(10) lgkmcnt(1)
	v_fma_f64 v[105:106], v[133:134], v[105:106], v[115:116]
	s_waitcnt vmcnt(9)
	v_fma_f64 v[105:106], v[131:132], v[107:108], v[105:106]
	s_waitcnt vmcnt(8) lgkmcnt(0)
	v_fma_f64 v[105:106], v[127:128], v[109:110], v[105:106]
	s_waitcnt vmcnt(4)
	v_fma_f64 v[108:109], v[113:114], v[111:112], v[105:106]
	ds_read2_b64 v[104:107], v104 offset0:101 offset1:102
	s_waitcnt vmcnt(3) lgkmcnt(0)
	v_fma_f64 v[104:105], v[135:136], v[104:105], v[108:109]
	s_waitcnt vmcnt(2)
	v_fma_f64 v[104:105], v[129:130], v[106:107], v[104:105]
	s_waitcnt vmcnt(0)
	v_add_f64 v[104:105], v[117:118], -v[104:105]
	buffer_store_dword v105, off, s[0:3], 0 offset:196
	buffer_store_dword v104, off, s[0:3], 0 offset:192
	s_and_saveexec_b64 s[4:5], vcc
	s_cbranch_execz .LBB114_267
; %bb.266:
	buffer_load_dword v104, off, s[0:3], 0 offset:184
	buffer_load_dword v105, off, s[0:3], 0 offset:188
	v_mov_b32_e32 v106, 0
	buffer_store_dword v106, off, s[0:3], 0 offset:184
	buffer_store_dword v106, off, s[0:3], 0 offset:188
	s_waitcnt vmcnt(2)
	ds_write_b64 v103, v[104:105]
.LBB114_267:
	s_or_b64 exec, exec, s[4:5]
	s_waitcnt lgkmcnt(0)
	; wave barrier
	buffer_load_dword v113, off, s[0:3], 0 offset:192
	buffer_load_dword v114, off, s[0:3], 0 offset:196
	buffer_load_dword v115, off, s[0:3], 0 offset:200
	buffer_load_dword v116, off, s[0:3], 0 offset:204
	buffer_load_dword v117, off, s[0:3], 0 offset:208
	buffer_load_dword v118, off, s[0:3], 0 offset:212
	buffer_load_dword v119, off, s[0:3], 0 offset:216
	buffer_load_dword v120, off, s[0:3], 0 offset:220
	buffer_load_dword v121, off, s[0:3], 0 offset:224
	buffer_load_dword v122, off, s[0:3], 0 offset:228
	buffer_load_dword v123, off, s[0:3], 0 offset:232
	buffer_load_dword v124, off, s[0:3], 0 offset:236
	buffer_load_dword v125, off, s[0:3], 0 offset:240
	buffer_load_dword v126, off, s[0:3], 0 offset:244
	buffer_load_dword v128, off, s[0:3], 0 offset:252
	buffer_load_dword v129, off, s[0:3], 0 offset:272
	buffer_load_dword v131, off, s[0:3], 0 offset:264
	buffer_load_dword v133, off, s[0:3], 0 offset:256
	buffer_load_dword v127, off, s[0:3], 0 offset:248
	buffer_load_dword v134, off, s[0:3], 0 offset:260
	buffer_load_dword v132, off, s[0:3], 0 offset:268
	buffer_load_dword v130, off, s[0:3], 0 offset:276
	v_mov_b32_e32 v104, 0
	ds_read_b128 v[105:108], v104 offset:608
	ds_read_b128 v[109:112], v104 offset:624
	v_cmp_lt_u32_e32 vcc, 22, v0
	s_waitcnt vmcnt(20) lgkmcnt(1)
	v_fma_f64 v[105:106], v[113:114], v[105:106], 0
	s_waitcnt vmcnt(18)
	v_fma_f64 v[105:106], v[115:116], v[107:108], v[105:106]
	buffer_load_dword v114, off, s[0:3], 0 offset:284
	buffer_load_dword v115, off, s[0:3], 0 offset:304
	;; [unrolled: 1-line block ×7, first 2 shown]
	s_waitcnt vmcnt(23) lgkmcnt(0)
	v_fma_f64 v[105:106], v[117:118], v[109:110], v[105:106]
	s_waitcnt vmcnt(21)
	v_fma_f64 v[116:117], v[119:120], v[111:112], v[105:106]
	ds_read_b128 v[105:108], v104 offset:640
	ds_read_b128 v[109:112], v104 offset:656
	s_waitcnt vmcnt(19) lgkmcnt(1)
	v_fma_f64 v[105:106], v[121:122], v[105:106], v[116:117]
	buffer_load_dword v116, off, s[0:3], 0 offset:308
	s_waitcnt vmcnt(18)
	v_fma_f64 v[105:106], v[123:124], v[107:108], v[105:106]
	buffer_load_dword v118, off, s[0:3], 0 offset:316
	buffer_load_dword v119, off, s[0:3], 0 offset:336
	buffer_load_dword v121, off, s[0:3], 0 offset:328
	buffer_load_dword v123, off, s[0:3], 0 offset:320
	buffer_load_dword v117, off, s[0:3], 0 offset:312
	buffer_load_dword v124, off, s[0:3], 0 offset:324
	buffer_load_dword v122, off, s[0:3], 0 offset:332
	buffer_load_dword v120, off, s[0:3], 0 offset:340
	s_waitcnt vmcnt(24) lgkmcnt(0)
	v_fma_f64 v[105:106], v[125:126], v[109:110], v[105:106]
	s_waitcnt vmcnt(19)
	v_fma_f64 v[125:126], v[127:128], v[111:112], v[105:106]
	ds_read_b128 v[105:108], v104 offset:672
	ds_read_b128 v[109:112], v104 offset:688
	s_waitcnt vmcnt(18) lgkmcnt(1)
	v_fma_f64 v[105:106], v[133:134], v[105:106], v[125:126]
	s_waitcnt vmcnt(17)
	v_fma_f64 v[105:106], v[131:132], v[107:108], v[105:106]
	buffer_load_dword v126, off, s[0:3], 0 offset:348
	buffer_load_dword v127, off, s[0:3], 0 offset:368
	buffer_load_dword v131, off, s[0:3], 0 offset:360
	buffer_load_dword v133, off, s[0:3], 0 offset:352
	buffer_load_dword v125, off, s[0:3], 0 offset:344
	buffer_load_dword v134, off, s[0:3], 0 offset:356
	buffer_load_dword v132, off, s[0:3], 0 offset:364
	buffer_load_dword v128, off, s[0:3], 0 offset:372
	s_waitcnt vmcnt(24) lgkmcnt(0)
	v_fma_f64 v[105:106], v[129:130], v[109:110], v[105:106]
	s_waitcnt vmcnt(19)
	v_fma_f64 v[113:114], v[113:114], v[111:112], v[105:106]
	ds_read_b128 v[105:108], v104 offset:704
	ds_read_b128 v[109:112], v104 offset:720
	s_waitcnt vmcnt(18) lgkmcnt(1)
	v_fma_f64 v[105:106], v[137:138], v[105:106], v[113:114]
	;; [unrolled: 18-line block ×3, first 2 shown]
	buffer_load_dword v115, off, s[0:3], 0 offset:184
	buffer_load_dword v116, off, s[0:3], 0 offset:188
	s_waitcnt vmcnt(19)
	v_fma_f64 v[105:106], v[121:122], v[107:108], v[105:106]
	s_waitcnt vmcnt(18) lgkmcnt(0)
	v_fma_f64 v[105:106], v[119:120], v[109:110], v[105:106]
	s_waitcnt vmcnt(13)
	v_fma_f64 v[117:118], v[125:126], v[111:112], v[105:106]
	ds_read_b128 v[105:108], v104 offset:768
	ds_read_b128 v[109:112], v104 offset:784
	s_waitcnt vmcnt(12) lgkmcnt(1)
	v_fma_f64 v[105:106], v[133:134], v[105:106], v[117:118]
	s_waitcnt vmcnt(11)
	v_fma_f64 v[105:106], v[131:132], v[107:108], v[105:106]
	s_waitcnt vmcnt(10) lgkmcnt(0)
	v_fma_f64 v[105:106], v[127:128], v[109:110], v[105:106]
	s_waitcnt vmcnt(5)
	v_fma_f64 v[109:110], v[113:114], v[111:112], v[105:106]
	ds_read_b128 v[105:108], v104 offset:800
	ds_read_b64 v[111:112], v104 offset:816
	s_waitcnt vmcnt(4) lgkmcnt(1)
	v_fma_f64 v[105:106], v[137:138], v[105:106], v[109:110]
	s_waitcnt vmcnt(3)
	v_fma_f64 v[105:106], v[135:136], v[107:108], v[105:106]
	s_waitcnt vmcnt(2) lgkmcnt(0)
	v_fma_f64 v[105:106], v[129:130], v[111:112], v[105:106]
	s_waitcnt vmcnt(0)
	v_add_f64 v[105:106], v[115:116], -v[105:106]
	buffer_store_dword v106, off, s[0:3], 0 offset:188
	buffer_store_dword v105, off, s[0:3], 0 offset:184
	s_and_saveexec_b64 s[4:5], vcc
	s_cbranch_execz .LBB114_269
; %bb.268:
	buffer_load_dword v105, off, s[0:3], 0 offset:176
	buffer_load_dword v106, off, s[0:3], 0 offset:180
	s_waitcnt vmcnt(0)
	ds_write_b64 v103, v[105:106]
	buffer_store_dword v104, off, s[0:3], 0 offset:176
	buffer_store_dword v104, off, s[0:3], 0 offset:180
.LBB114_269:
	s_or_b64 exec, exec, s[4:5]
	s_waitcnt lgkmcnt(0)
	; wave barrier
	buffer_load_dword v113, off, s[0:3], 0 offset:184
	buffer_load_dword v114, off, s[0:3], 0 offset:188
	;; [unrolled: 1-line block ×22, first 2 shown]
	ds_read2_b64 v[105:108], v104 offset0:75 offset1:76
	ds_read2_b64 v[109:112], v104 offset0:77 offset1:78
	v_cmp_lt_u32_e32 vcc, 21, v0
	s_waitcnt vmcnt(20) lgkmcnt(1)
	v_fma_f64 v[105:106], v[113:114], v[105:106], 0
	s_waitcnt vmcnt(18)
	v_fma_f64 v[105:106], v[115:116], v[107:108], v[105:106]
	buffer_load_dword v114, off, s[0:3], 0 offset:276
	buffer_load_dword v115, off, s[0:3], 0 offset:296
	;; [unrolled: 1-line block ×7, first 2 shown]
	s_waitcnt vmcnt(23) lgkmcnt(0)
	v_fma_f64 v[105:106], v[117:118], v[109:110], v[105:106]
	s_waitcnt vmcnt(21)
	v_fma_f64 v[116:117], v[119:120], v[111:112], v[105:106]
	ds_read2_b64 v[105:108], v104 offset0:79 offset1:80
	ds_read2_b64 v[109:112], v104 offset0:81 offset1:82
	s_waitcnt vmcnt(19) lgkmcnt(1)
	v_fma_f64 v[105:106], v[121:122], v[105:106], v[116:117]
	buffer_load_dword v116, off, s[0:3], 0 offset:300
	s_waitcnt vmcnt(18)
	v_fma_f64 v[105:106], v[123:124], v[107:108], v[105:106]
	buffer_load_dword v118, off, s[0:3], 0 offset:308
	buffer_load_dword v119, off, s[0:3], 0 offset:328
	buffer_load_dword v121, off, s[0:3], 0 offset:320
	buffer_load_dword v123, off, s[0:3], 0 offset:312
	buffer_load_dword v117, off, s[0:3], 0 offset:304
	buffer_load_dword v124, off, s[0:3], 0 offset:316
	buffer_load_dword v122, off, s[0:3], 0 offset:324
	buffer_load_dword v120, off, s[0:3], 0 offset:332
	s_waitcnt vmcnt(24) lgkmcnt(0)
	v_fma_f64 v[105:106], v[125:126], v[109:110], v[105:106]
	s_waitcnt vmcnt(19)
	v_fma_f64 v[125:126], v[127:128], v[111:112], v[105:106]
	ds_read2_b64 v[105:108], v104 offset0:83 offset1:84
	ds_read2_b64 v[109:112], v104 offset0:85 offset1:86
	s_waitcnt vmcnt(18) lgkmcnt(1)
	v_fma_f64 v[105:106], v[133:134], v[105:106], v[125:126]
	s_waitcnt vmcnt(17)
	v_fma_f64 v[105:106], v[131:132], v[107:108], v[105:106]
	buffer_load_dword v126, off, s[0:3], 0 offset:340
	buffer_load_dword v127, off, s[0:3], 0 offset:360
	buffer_load_dword v131, off, s[0:3], 0 offset:352
	buffer_load_dword v133, off, s[0:3], 0 offset:344
	buffer_load_dword v125, off, s[0:3], 0 offset:336
	buffer_load_dword v134, off, s[0:3], 0 offset:348
	buffer_load_dword v132, off, s[0:3], 0 offset:356
	buffer_load_dword v128, off, s[0:3], 0 offset:364
	s_waitcnt vmcnt(24) lgkmcnt(0)
	v_fma_f64 v[105:106], v[129:130], v[109:110], v[105:106]
	s_waitcnt vmcnt(19)
	v_fma_f64 v[113:114], v[113:114], v[111:112], v[105:106]
	ds_read2_b64 v[105:108], v104 offset0:87 offset1:88
	ds_read2_b64 v[109:112], v104 offset0:89 offset1:90
	s_waitcnt vmcnt(18) lgkmcnt(1)
	v_fma_f64 v[105:106], v[137:138], v[105:106], v[113:114]
	;; [unrolled: 18-line block ×3, first 2 shown]
	buffer_load_dword v116, off, s[0:3], 0 offset:404
	buffer_load_dword v115, off, s[0:3], 0 offset:400
	buffer_load_dword v117, off, s[0:3], 0 offset:176
	buffer_load_dword v118, off, s[0:3], 0 offset:180
	s_waitcnt vmcnt(21)
	v_fma_f64 v[105:106], v[121:122], v[107:108], v[105:106]
	s_waitcnt vmcnt(20) lgkmcnt(0)
	v_fma_f64 v[105:106], v[119:120], v[109:110], v[105:106]
	s_waitcnt vmcnt(15)
	v_fma_f64 v[119:120], v[125:126], v[111:112], v[105:106]
	ds_read2_b64 v[105:108], v104 offset0:95 offset1:96
	ds_read2_b64 v[109:112], v104 offset0:97 offset1:98
	s_waitcnt vmcnt(14) lgkmcnt(1)
	v_fma_f64 v[105:106], v[133:134], v[105:106], v[119:120]
	s_waitcnt vmcnt(13)
	v_fma_f64 v[105:106], v[131:132], v[107:108], v[105:106]
	s_waitcnt vmcnt(12) lgkmcnt(0)
	v_fma_f64 v[105:106], v[127:128], v[109:110], v[105:106]
	s_waitcnt vmcnt(7)
	v_fma_f64 v[113:114], v[113:114], v[111:112], v[105:106]
	ds_read2_b64 v[105:108], v104 offset0:99 offset1:100
	ds_read2_b64 v[109:112], v104 offset0:101 offset1:102
	s_waitcnt vmcnt(6) lgkmcnt(1)
	v_fma_f64 v[104:105], v[137:138], v[105:106], v[113:114]
	s_waitcnt vmcnt(5)
	v_fma_f64 v[104:105], v[135:136], v[107:108], v[104:105]
	s_waitcnt vmcnt(4) lgkmcnt(0)
	v_fma_f64 v[104:105], v[129:130], v[109:110], v[104:105]
	s_waitcnt vmcnt(2)
	v_fma_f64 v[104:105], v[115:116], v[111:112], v[104:105]
	s_waitcnt vmcnt(0)
	v_add_f64 v[104:105], v[117:118], -v[104:105]
	buffer_store_dword v105, off, s[0:3], 0 offset:180
	buffer_store_dword v104, off, s[0:3], 0 offset:176
	s_and_saveexec_b64 s[4:5], vcc
	s_cbranch_execz .LBB114_271
; %bb.270:
	buffer_load_dword v104, off, s[0:3], 0 offset:168
	buffer_load_dword v105, off, s[0:3], 0 offset:172
	v_mov_b32_e32 v106, 0
	buffer_store_dword v106, off, s[0:3], 0 offset:168
	buffer_store_dword v106, off, s[0:3], 0 offset:172
	s_waitcnt vmcnt(2)
	ds_write_b64 v103, v[104:105]
.LBB114_271:
	s_or_b64 exec, exec, s[4:5]
	s_waitcnt lgkmcnt(0)
	; wave barrier
	buffer_load_dword v113, off, s[0:3], 0 offset:176
	buffer_load_dword v114, off, s[0:3], 0 offset:180
	;; [unrolled: 1-line block ×22, first 2 shown]
	v_mov_b32_e32 v104, 0
	ds_read_b128 v[105:108], v104 offset:592
	ds_read_b128 v[109:112], v104 offset:608
	v_cmp_lt_u32_e32 vcc, 20, v0
	s_waitcnt vmcnt(20) lgkmcnt(1)
	v_fma_f64 v[105:106], v[113:114], v[105:106], 0
	s_waitcnt vmcnt(18)
	v_fma_f64 v[105:106], v[115:116], v[107:108], v[105:106]
	buffer_load_dword v114, off, s[0:3], 0 offset:268
	buffer_load_dword v115, off, s[0:3], 0 offset:288
	;; [unrolled: 1-line block ×7, first 2 shown]
	s_waitcnt vmcnt(23) lgkmcnt(0)
	v_fma_f64 v[105:106], v[117:118], v[109:110], v[105:106]
	s_waitcnt vmcnt(21)
	v_fma_f64 v[116:117], v[119:120], v[111:112], v[105:106]
	ds_read_b128 v[105:108], v104 offset:624
	ds_read_b128 v[109:112], v104 offset:640
	s_waitcnt vmcnt(19) lgkmcnt(1)
	v_fma_f64 v[105:106], v[121:122], v[105:106], v[116:117]
	buffer_load_dword v116, off, s[0:3], 0 offset:292
	s_waitcnt vmcnt(18)
	v_fma_f64 v[105:106], v[123:124], v[107:108], v[105:106]
	buffer_load_dword v118, off, s[0:3], 0 offset:300
	buffer_load_dword v119, off, s[0:3], 0 offset:320
	;; [unrolled: 1-line block ×7, first 2 shown]
	s_waitcnt vmcnt(23) lgkmcnt(0)
	v_fma_f64 v[105:106], v[125:126], v[109:110], v[105:106]
	s_waitcnt vmcnt(18)
	v_fma_f64 v[125:126], v[127:128], v[111:112], v[105:106]
	ds_read_b128 v[105:108], v104 offset:656
	ds_read_b128 v[109:112], v104 offset:672
	buffer_load_dword v120, off, s[0:3], 0 offset:324
	s_waitcnt vmcnt(18) lgkmcnt(1)
	v_fma_f64 v[105:106], v[133:134], v[105:106], v[125:126]
	s_waitcnt vmcnt(17)
	v_fma_f64 v[105:106], v[131:132], v[107:108], v[105:106]
	buffer_load_dword v126, off, s[0:3], 0 offset:332
	buffer_load_dword v127, off, s[0:3], 0 offset:352
	;; [unrolled: 1-line block ×8, first 2 shown]
	s_waitcnt vmcnt(24) lgkmcnt(0)
	v_fma_f64 v[105:106], v[129:130], v[109:110], v[105:106]
	s_waitcnt vmcnt(19)
	v_fma_f64 v[113:114], v[113:114], v[111:112], v[105:106]
	ds_read_b128 v[105:108], v104 offset:688
	ds_read_b128 v[109:112], v104 offset:704
	s_waitcnt vmcnt(18) lgkmcnt(1)
	v_fma_f64 v[105:106], v[137:138], v[105:106], v[113:114]
	s_waitcnt vmcnt(17)
	v_fma_f64 v[105:106], v[135:136], v[107:108], v[105:106]
	buffer_load_dword v114, off, s[0:3], 0 offset:364
	buffer_load_dword v129, off, s[0:3], 0 offset:384
	;; [unrolled: 1-line block ×7, first 2 shown]
	s_waitcnt vmcnt(23) lgkmcnt(0)
	v_fma_f64 v[105:106], v[115:116], v[109:110], v[105:106]
	s_waitcnt vmcnt(18)
	v_fma_f64 v[115:116], v[117:118], v[111:112], v[105:106]
	ds_read_b128 v[105:108], v104 offset:720
	ds_read_b128 v[109:112], v104 offset:736
	buffer_load_dword v130, off, s[0:3], 0 offset:388
	s_waitcnt vmcnt(18) lgkmcnt(1)
	v_fma_f64 v[105:106], v[123:124], v[105:106], v[115:116]
	buffer_load_dword v116, off, s[0:3], 0 offset:396
	buffer_load_dword v117, off, s[0:3], 0 offset:400
	;; [unrolled: 1-line block ×4, first 2 shown]
	s_waitcnt vmcnt(21)
	v_fma_f64 v[105:106], v[121:122], v[107:108], v[105:106]
	s_waitcnt vmcnt(20) lgkmcnt(0)
	v_fma_f64 v[105:106], v[119:120], v[109:110], v[105:106]
	buffer_load_dword v119, off, s[0:3], 0 offset:168
	buffer_load_dword v120, off, s[0:3], 0 offset:172
	s_waitcnt vmcnt(17)
	v_fma_f64 v[121:122], v[125:126], v[111:112], v[105:106]
	ds_read_b128 v[105:108], v104 offset:752
	ds_read_b128 v[109:112], v104 offset:768
	s_waitcnt vmcnt(16) lgkmcnt(1)
	v_fma_f64 v[105:106], v[133:134], v[105:106], v[121:122]
	s_waitcnt vmcnt(15)
	v_fma_f64 v[105:106], v[131:132], v[107:108], v[105:106]
	s_waitcnt vmcnt(14) lgkmcnt(0)
	v_fma_f64 v[105:106], v[127:128], v[109:110], v[105:106]
	s_waitcnt vmcnt(9)
	v_fma_f64 v[113:114], v[113:114], v[111:112], v[105:106]
	ds_read_b128 v[105:108], v104 offset:784
	ds_read_b128 v[109:112], v104 offset:800
	s_waitcnt vmcnt(8) lgkmcnt(1)
	v_fma_f64 v[105:106], v[137:138], v[105:106], v[113:114]
	s_waitcnt vmcnt(7)
	v_fma_f64 v[105:106], v[135:136], v[107:108], v[105:106]
	ds_read_b64 v[107:108], v104 offset:816
	s_waitcnt vmcnt(6) lgkmcnt(1)
	v_fma_f64 v[105:106], v[129:130], v[109:110], v[105:106]
	s_waitcnt vmcnt(3)
	v_fma_f64 v[105:106], v[115:116], v[111:112], v[105:106]
	s_waitcnt vmcnt(2) lgkmcnt(0)
	v_fma_f64 v[105:106], v[117:118], v[107:108], v[105:106]
	s_waitcnt vmcnt(0)
	v_add_f64 v[105:106], v[119:120], -v[105:106]
	buffer_store_dword v106, off, s[0:3], 0 offset:172
	buffer_store_dword v105, off, s[0:3], 0 offset:168
	s_and_saveexec_b64 s[4:5], vcc
	s_cbranch_execz .LBB114_273
; %bb.272:
	buffer_load_dword v105, off, s[0:3], 0 offset:160
	buffer_load_dword v106, off, s[0:3], 0 offset:164
	s_waitcnt vmcnt(0)
	ds_write_b64 v103, v[105:106]
	buffer_store_dword v104, off, s[0:3], 0 offset:160
	buffer_store_dword v104, off, s[0:3], 0 offset:164
.LBB114_273:
	s_or_b64 exec, exec, s[4:5]
	s_waitcnt lgkmcnt(0)
	; wave barrier
	buffer_load_dword v113, off, s[0:3], 0 offset:168
	buffer_load_dword v114, off, s[0:3], 0 offset:172
	;; [unrolled: 1-line block ×22, first 2 shown]
	ds_read2_b64 v[105:108], v104 offset0:73 offset1:74
	ds_read2_b64 v[109:112], v104 offset0:75 offset1:76
	v_cmp_lt_u32_e32 vcc, 19, v0
	s_waitcnt vmcnt(20) lgkmcnt(1)
	v_fma_f64 v[105:106], v[113:114], v[105:106], 0
	s_waitcnt vmcnt(18)
	v_fma_f64 v[105:106], v[115:116], v[107:108], v[105:106]
	buffer_load_dword v114, off, s[0:3], 0 offset:260
	buffer_load_dword v115, off, s[0:3], 0 offset:280
	;; [unrolled: 1-line block ×7, first 2 shown]
	s_waitcnt vmcnt(23) lgkmcnt(0)
	v_fma_f64 v[105:106], v[117:118], v[109:110], v[105:106]
	s_waitcnt vmcnt(21)
	v_fma_f64 v[116:117], v[119:120], v[111:112], v[105:106]
	ds_read2_b64 v[105:108], v104 offset0:77 offset1:78
	ds_read2_b64 v[109:112], v104 offset0:79 offset1:80
	s_waitcnt vmcnt(19) lgkmcnt(1)
	v_fma_f64 v[105:106], v[121:122], v[105:106], v[116:117]
	buffer_load_dword v116, off, s[0:3], 0 offset:284
	s_waitcnt vmcnt(18)
	v_fma_f64 v[105:106], v[123:124], v[107:108], v[105:106]
	buffer_load_dword v118, off, s[0:3], 0 offset:292
	buffer_load_dword v119, off, s[0:3], 0 offset:312
	;; [unrolled: 1-line block ×7, first 2 shown]
	s_waitcnt vmcnt(23) lgkmcnt(0)
	v_fma_f64 v[105:106], v[125:126], v[109:110], v[105:106]
	s_waitcnt vmcnt(18)
	v_fma_f64 v[125:126], v[127:128], v[111:112], v[105:106]
	ds_read2_b64 v[105:108], v104 offset0:81 offset1:82
	ds_read2_b64 v[109:112], v104 offset0:83 offset1:84
	buffer_load_dword v120, off, s[0:3], 0 offset:316
	s_waitcnt vmcnt(18) lgkmcnt(1)
	v_fma_f64 v[105:106], v[133:134], v[105:106], v[125:126]
	s_waitcnt vmcnt(17)
	v_fma_f64 v[105:106], v[131:132], v[107:108], v[105:106]
	buffer_load_dword v126, off, s[0:3], 0 offset:324
	buffer_load_dword v127, off, s[0:3], 0 offset:344
	;; [unrolled: 1-line block ×8, first 2 shown]
	s_waitcnt vmcnt(24) lgkmcnt(0)
	v_fma_f64 v[105:106], v[129:130], v[109:110], v[105:106]
	s_waitcnt vmcnt(19)
	v_fma_f64 v[113:114], v[113:114], v[111:112], v[105:106]
	ds_read2_b64 v[105:108], v104 offset0:85 offset1:86
	ds_read2_b64 v[109:112], v104 offset0:87 offset1:88
	s_waitcnt vmcnt(18) lgkmcnt(1)
	v_fma_f64 v[105:106], v[137:138], v[105:106], v[113:114]
	s_waitcnt vmcnt(17)
	v_fma_f64 v[105:106], v[135:136], v[107:108], v[105:106]
	buffer_load_dword v114, off, s[0:3], 0 offset:356
	buffer_load_dword v129, off, s[0:3], 0 offset:376
	buffer_load_dword v135, off, s[0:3], 0 offset:368
	buffer_load_dword v137, off, s[0:3], 0 offset:360
	buffer_load_dword v113, off, s[0:3], 0 offset:352
	buffer_load_dword v138, off, s[0:3], 0 offset:364
	buffer_load_dword v136, off, s[0:3], 0 offset:372
	buffer_load_dword v130, off, s[0:3], 0 offset:380
	s_waitcnt vmcnt(24) lgkmcnt(0)
	v_fma_f64 v[105:106], v[115:116], v[109:110], v[105:106]
	s_waitcnt vmcnt(19)
	v_fma_f64 v[115:116], v[117:118], v[111:112], v[105:106]
	ds_read2_b64 v[105:108], v104 offset0:89 offset1:90
	ds_read2_b64 v[109:112], v104 offset0:91 offset1:92
	s_waitcnt vmcnt(18) lgkmcnt(1)
	v_fma_f64 v[105:106], v[123:124], v[105:106], v[115:116]
	s_waitcnt vmcnt(17)
	v_fma_f64 v[105:106], v[121:122], v[107:108], v[105:106]
	buffer_load_dword v116, off, s[0:3], 0 offset:388
	buffer_load_dword v117, off, s[0:3], 0 offset:400
	buffer_load_dword v121, off, s[0:3], 0 offset:392
	buffer_load_dword v115, off, s[0:3], 0 offset:384
	buffer_load_dword v122, off, s[0:3], 0 offset:396
	buffer_load_dword v118, off, s[0:3], 0 offset:404
	s_waitcnt vmcnt(22) lgkmcnt(0)
	v_fma_f64 v[105:106], v[119:120], v[109:110], v[105:106]
	s_waitcnt vmcnt(17)
	v_fma_f64 v[119:120], v[125:126], v[111:112], v[105:106]
	ds_read2_b64 v[105:108], v104 offset0:93 offset1:94
	buffer_load_dword v123, off, s[0:3], 0 offset:160
	buffer_load_dword v124, off, s[0:3], 0 offset:164
	ds_read2_b64 v[109:112], v104 offset0:95 offset1:96
	s_waitcnt vmcnt(18) lgkmcnt(1)
	v_fma_f64 v[105:106], v[133:134], v[105:106], v[119:120]
	s_waitcnt vmcnt(17)
	v_fma_f64 v[105:106], v[131:132], v[107:108], v[105:106]
	s_waitcnt vmcnt(16) lgkmcnt(0)
	v_fma_f64 v[105:106], v[127:128], v[109:110], v[105:106]
	s_waitcnt vmcnt(11)
	v_fma_f64 v[113:114], v[113:114], v[111:112], v[105:106]
	ds_read2_b64 v[105:108], v104 offset0:97 offset1:98
	ds_read2_b64 v[109:112], v104 offset0:99 offset1:100
	s_waitcnt vmcnt(10) lgkmcnt(1)
	v_fma_f64 v[105:106], v[137:138], v[105:106], v[113:114]
	s_waitcnt vmcnt(9)
	v_fma_f64 v[105:106], v[135:136], v[107:108], v[105:106]
	s_waitcnt vmcnt(8) lgkmcnt(0)
	v_fma_f64 v[105:106], v[129:130], v[109:110], v[105:106]
	s_waitcnt vmcnt(4)
	v_fma_f64 v[108:109], v[115:116], v[111:112], v[105:106]
	ds_read2_b64 v[104:107], v104 offset0:101 offset1:102
	s_waitcnt vmcnt(3) lgkmcnt(0)
	v_fma_f64 v[104:105], v[121:122], v[104:105], v[108:109]
	s_waitcnt vmcnt(2)
	v_fma_f64 v[104:105], v[117:118], v[106:107], v[104:105]
	s_waitcnt vmcnt(0)
	v_add_f64 v[104:105], v[123:124], -v[104:105]
	buffer_store_dword v105, off, s[0:3], 0 offset:164
	buffer_store_dword v104, off, s[0:3], 0 offset:160
	s_and_saveexec_b64 s[4:5], vcc
	s_cbranch_execz .LBB114_275
; %bb.274:
	buffer_load_dword v104, off, s[0:3], 0 offset:152
	buffer_load_dword v105, off, s[0:3], 0 offset:156
	v_mov_b32_e32 v106, 0
	buffer_store_dword v106, off, s[0:3], 0 offset:152
	buffer_store_dword v106, off, s[0:3], 0 offset:156
	s_waitcnt vmcnt(2)
	ds_write_b64 v103, v[104:105]
.LBB114_275:
	s_or_b64 exec, exec, s[4:5]
	s_waitcnt lgkmcnt(0)
	; wave barrier
	buffer_load_dword v113, off, s[0:3], 0 offset:160
	buffer_load_dword v114, off, s[0:3], 0 offset:164
	buffer_load_dword v115, off, s[0:3], 0 offset:168
	buffer_load_dword v116, off, s[0:3], 0 offset:172
	buffer_load_dword v117, off, s[0:3], 0 offset:176
	buffer_load_dword v118, off, s[0:3], 0 offset:180
	buffer_load_dword v119, off, s[0:3], 0 offset:184
	buffer_load_dword v120, off, s[0:3], 0 offset:188
	buffer_load_dword v121, off, s[0:3], 0 offset:192
	buffer_load_dword v122, off, s[0:3], 0 offset:196
	buffer_load_dword v123, off, s[0:3], 0 offset:200
	buffer_load_dword v124, off, s[0:3], 0 offset:204
	buffer_load_dword v125, off, s[0:3], 0 offset:208
	buffer_load_dword v126, off, s[0:3], 0 offset:212
	buffer_load_dword v128, off, s[0:3], 0 offset:220
	buffer_load_dword v129, off, s[0:3], 0 offset:240
	buffer_load_dword v131, off, s[0:3], 0 offset:232
	buffer_load_dword v133, off, s[0:3], 0 offset:224
	buffer_load_dword v127, off, s[0:3], 0 offset:216
	buffer_load_dword v134, off, s[0:3], 0 offset:228
	buffer_load_dword v132, off, s[0:3], 0 offset:236
	buffer_load_dword v130, off, s[0:3], 0 offset:244
	v_mov_b32_e32 v104, 0
	ds_read_b128 v[105:108], v104 offset:576
	ds_read_b128 v[109:112], v104 offset:592
	v_cmp_lt_u32_e32 vcc, 18, v0
	s_waitcnt vmcnt(20) lgkmcnt(1)
	v_fma_f64 v[105:106], v[113:114], v[105:106], 0
	s_waitcnt vmcnt(18)
	v_fma_f64 v[105:106], v[115:116], v[107:108], v[105:106]
	buffer_load_dword v114, off, s[0:3], 0 offset:252
	buffer_load_dword v115, off, s[0:3], 0 offset:272
	;; [unrolled: 1-line block ×7, first 2 shown]
	s_waitcnt vmcnt(23) lgkmcnt(0)
	v_fma_f64 v[105:106], v[117:118], v[109:110], v[105:106]
	s_waitcnt vmcnt(21)
	v_fma_f64 v[116:117], v[119:120], v[111:112], v[105:106]
	ds_read_b128 v[105:108], v104 offset:608
	ds_read_b128 v[109:112], v104 offset:624
	s_waitcnt vmcnt(19) lgkmcnt(1)
	v_fma_f64 v[105:106], v[121:122], v[105:106], v[116:117]
	buffer_load_dword v116, off, s[0:3], 0 offset:276
	s_waitcnt vmcnt(18)
	v_fma_f64 v[105:106], v[123:124], v[107:108], v[105:106]
	buffer_load_dword v118, off, s[0:3], 0 offset:284
	buffer_load_dword v119, off, s[0:3], 0 offset:304
	;; [unrolled: 1-line block ×7, first 2 shown]
	s_waitcnt vmcnt(23) lgkmcnt(0)
	v_fma_f64 v[105:106], v[125:126], v[109:110], v[105:106]
	s_waitcnt vmcnt(18)
	v_fma_f64 v[125:126], v[127:128], v[111:112], v[105:106]
	ds_read_b128 v[105:108], v104 offset:640
	ds_read_b128 v[109:112], v104 offset:656
	buffer_load_dword v120, off, s[0:3], 0 offset:308
	s_waitcnt vmcnt(18) lgkmcnt(1)
	v_fma_f64 v[105:106], v[133:134], v[105:106], v[125:126]
	s_waitcnt vmcnt(17)
	v_fma_f64 v[105:106], v[131:132], v[107:108], v[105:106]
	buffer_load_dword v126, off, s[0:3], 0 offset:316
	buffer_load_dword v127, off, s[0:3], 0 offset:336
	buffer_load_dword v131, off, s[0:3], 0 offset:328
	buffer_load_dword v133, off, s[0:3], 0 offset:320
	buffer_load_dword v125, off, s[0:3], 0 offset:312
	buffer_load_dword v134, off, s[0:3], 0 offset:324
	buffer_load_dword v132, off, s[0:3], 0 offset:332
	buffer_load_dword v128, off, s[0:3], 0 offset:340
	s_waitcnt vmcnt(24) lgkmcnt(0)
	v_fma_f64 v[105:106], v[129:130], v[109:110], v[105:106]
	s_waitcnt vmcnt(19)
	v_fma_f64 v[113:114], v[113:114], v[111:112], v[105:106]
	ds_read_b128 v[105:108], v104 offset:672
	ds_read_b128 v[109:112], v104 offset:688
	s_waitcnt vmcnt(18) lgkmcnt(1)
	v_fma_f64 v[105:106], v[137:138], v[105:106], v[113:114]
	s_waitcnt vmcnt(17)
	v_fma_f64 v[105:106], v[135:136], v[107:108], v[105:106]
	buffer_load_dword v114, off, s[0:3], 0 offset:348
	buffer_load_dword v129, off, s[0:3], 0 offset:368
	buffer_load_dword v135, off, s[0:3], 0 offset:360
	buffer_load_dword v137, off, s[0:3], 0 offset:352
	buffer_load_dword v113, off, s[0:3], 0 offset:344
	buffer_load_dword v138, off, s[0:3], 0 offset:356
	buffer_load_dword v136, off, s[0:3], 0 offset:364
	buffer_load_dword v130, off, s[0:3], 0 offset:372
	s_waitcnt vmcnt(24) lgkmcnt(0)
	v_fma_f64 v[105:106], v[115:116], v[109:110], v[105:106]
	s_waitcnt vmcnt(19)
	v_fma_f64 v[115:116], v[117:118], v[111:112], v[105:106]
	ds_read_b128 v[105:108], v104 offset:704
	ds_read_b128 v[109:112], v104 offset:720
	s_waitcnt vmcnt(18) lgkmcnt(1)
	v_fma_f64 v[105:106], v[123:124], v[105:106], v[115:116]
	s_waitcnt vmcnt(17)
	v_fma_f64 v[105:106], v[121:122], v[107:108], v[105:106]
	buffer_load_dword v116, off, s[0:3], 0 offset:380
	buffer_load_dword v117, off, s[0:3], 0 offset:400
	buffer_load_dword v121, off, s[0:3], 0 offset:392
	buffer_load_dword v123, off, s[0:3], 0 offset:384
	buffer_load_dword v115, off, s[0:3], 0 offset:376
	buffer_load_dword v124, off, s[0:3], 0 offset:388
	buffer_load_dword v122, off, s[0:3], 0 offset:396
	buffer_load_dword v118, off, s[0:3], 0 offset:404
	s_waitcnt vmcnt(24) lgkmcnt(0)
	v_fma_f64 v[105:106], v[119:120], v[109:110], v[105:106]
	s_waitcnt vmcnt(19)
	v_fma_f64 v[119:120], v[125:126], v[111:112], v[105:106]
	ds_read_b128 v[105:108], v104 offset:736
	ds_read_b128 v[109:112], v104 offset:752
	s_waitcnt vmcnt(18) lgkmcnt(1)
	v_fma_f64 v[105:106], v[133:134], v[105:106], v[119:120]
	buffer_load_dword v119, off, s[0:3], 0 offset:152
	buffer_load_dword v120, off, s[0:3], 0 offset:156
	s_waitcnt vmcnt(19)
	v_fma_f64 v[105:106], v[131:132], v[107:108], v[105:106]
	s_waitcnt vmcnt(18) lgkmcnt(0)
	v_fma_f64 v[105:106], v[127:128], v[109:110], v[105:106]
	s_waitcnt vmcnt(13)
	v_fma_f64 v[113:114], v[113:114], v[111:112], v[105:106]
	ds_read_b128 v[105:108], v104 offset:768
	ds_read_b128 v[109:112], v104 offset:784
	s_waitcnt vmcnt(12) lgkmcnt(1)
	v_fma_f64 v[105:106], v[137:138], v[105:106], v[113:114]
	s_waitcnt vmcnt(11)
	v_fma_f64 v[105:106], v[135:136], v[107:108], v[105:106]
	s_waitcnt vmcnt(10) lgkmcnt(0)
	v_fma_f64 v[105:106], v[129:130], v[109:110], v[105:106]
	s_waitcnt vmcnt(5)
	v_fma_f64 v[109:110], v[115:116], v[111:112], v[105:106]
	ds_read_b128 v[105:108], v104 offset:800
	ds_read_b64 v[111:112], v104 offset:816
	s_waitcnt vmcnt(4) lgkmcnt(1)
	v_fma_f64 v[105:106], v[123:124], v[105:106], v[109:110]
	s_waitcnt vmcnt(3)
	v_fma_f64 v[105:106], v[121:122], v[107:108], v[105:106]
	s_waitcnt vmcnt(2) lgkmcnt(0)
	v_fma_f64 v[105:106], v[117:118], v[111:112], v[105:106]
	s_waitcnt vmcnt(0)
	v_add_f64 v[105:106], v[119:120], -v[105:106]
	buffer_store_dword v106, off, s[0:3], 0 offset:156
	buffer_store_dword v105, off, s[0:3], 0 offset:152
	s_and_saveexec_b64 s[4:5], vcc
	s_cbranch_execz .LBB114_277
; %bb.276:
	buffer_load_dword v105, off, s[0:3], 0 offset:144
	buffer_load_dword v106, off, s[0:3], 0 offset:148
	s_waitcnt vmcnt(0)
	ds_write_b64 v103, v[105:106]
	buffer_store_dword v104, off, s[0:3], 0 offset:144
	buffer_store_dword v104, off, s[0:3], 0 offset:148
.LBB114_277:
	s_or_b64 exec, exec, s[4:5]
	s_waitcnt lgkmcnt(0)
	; wave barrier
	buffer_load_dword v113, off, s[0:3], 0 offset:152
	buffer_load_dword v114, off, s[0:3], 0 offset:156
	;; [unrolled: 1-line block ×22, first 2 shown]
	ds_read2_b64 v[105:108], v104 offset0:71 offset1:72
	ds_read2_b64 v[109:112], v104 offset0:73 offset1:74
	v_cmp_lt_u32_e32 vcc, 17, v0
	s_waitcnt vmcnt(20) lgkmcnt(1)
	v_fma_f64 v[105:106], v[113:114], v[105:106], 0
	s_waitcnt vmcnt(18)
	v_fma_f64 v[105:106], v[115:116], v[107:108], v[105:106]
	buffer_load_dword v114, off, s[0:3], 0 offset:244
	buffer_load_dword v115, off, s[0:3], 0 offset:264
	;; [unrolled: 1-line block ×7, first 2 shown]
	s_waitcnt vmcnt(23) lgkmcnt(0)
	v_fma_f64 v[105:106], v[117:118], v[109:110], v[105:106]
	s_waitcnt vmcnt(21)
	v_fma_f64 v[116:117], v[119:120], v[111:112], v[105:106]
	ds_read2_b64 v[105:108], v104 offset0:75 offset1:76
	ds_read2_b64 v[109:112], v104 offset0:77 offset1:78
	s_waitcnt vmcnt(19) lgkmcnt(1)
	v_fma_f64 v[105:106], v[121:122], v[105:106], v[116:117]
	buffer_load_dword v116, off, s[0:3], 0 offset:268
	s_waitcnt vmcnt(18)
	v_fma_f64 v[105:106], v[123:124], v[107:108], v[105:106]
	buffer_load_dword v118, off, s[0:3], 0 offset:276
	buffer_load_dword v119, off, s[0:3], 0 offset:296
	;; [unrolled: 1-line block ×7, first 2 shown]
	s_waitcnt vmcnt(23) lgkmcnt(0)
	v_fma_f64 v[105:106], v[125:126], v[109:110], v[105:106]
	s_waitcnt vmcnt(18)
	v_fma_f64 v[125:126], v[127:128], v[111:112], v[105:106]
	ds_read2_b64 v[105:108], v104 offset0:79 offset1:80
	ds_read2_b64 v[109:112], v104 offset0:81 offset1:82
	buffer_load_dword v120, off, s[0:3], 0 offset:300
	s_waitcnt vmcnt(18) lgkmcnt(1)
	v_fma_f64 v[105:106], v[133:134], v[105:106], v[125:126]
	s_waitcnt vmcnt(17)
	v_fma_f64 v[105:106], v[131:132], v[107:108], v[105:106]
	buffer_load_dword v126, off, s[0:3], 0 offset:308
	buffer_load_dword v127, off, s[0:3], 0 offset:328
	buffer_load_dword v131, off, s[0:3], 0 offset:320
	buffer_load_dword v133, off, s[0:3], 0 offset:312
	buffer_load_dword v125, off, s[0:3], 0 offset:304
	buffer_load_dword v134, off, s[0:3], 0 offset:316
	buffer_load_dword v132, off, s[0:3], 0 offset:324
	buffer_load_dword v128, off, s[0:3], 0 offset:332
	s_waitcnt vmcnt(24) lgkmcnt(0)
	v_fma_f64 v[105:106], v[129:130], v[109:110], v[105:106]
	s_waitcnt vmcnt(19)
	v_fma_f64 v[113:114], v[113:114], v[111:112], v[105:106]
	ds_read2_b64 v[105:108], v104 offset0:83 offset1:84
	ds_read2_b64 v[109:112], v104 offset0:85 offset1:86
	s_waitcnt vmcnt(18) lgkmcnt(1)
	v_fma_f64 v[105:106], v[137:138], v[105:106], v[113:114]
	s_waitcnt vmcnt(17)
	v_fma_f64 v[105:106], v[135:136], v[107:108], v[105:106]
	buffer_load_dword v114, off, s[0:3], 0 offset:340
	buffer_load_dword v129, off, s[0:3], 0 offset:360
	buffer_load_dword v135, off, s[0:3], 0 offset:352
	buffer_load_dword v137, off, s[0:3], 0 offset:344
	buffer_load_dword v113, off, s[0:3], 0 offset:336
	buffer_load_dword v138, off, s[0:3], 0 offset:348
	buffer_load_dword v136, off, s[0:3], 0 offset:356
	buffer_load_dword v130, off, s[0:3], 0 offset:364
	s_waitcnt vmcnt(24) lgkmcnt(0)
	v_fma_f64 v[105:106], v[115:116], v[109:110], v[105:106]
	s_waitcnt vmcnt(19)
	v_fma_f64 v[115:116], v[117:118], v[111:112], v[105:106]
	ds_read2_b64 v[105:108], v104 offset0:87 offset1:88
	ds_read2_b64 v[109:112], v104 offset0:89 offset1:90
	s_waitcnt vmcnt(18) lgkmcnt(1)
	v_fma_f64 v[105:106], v[123:124], v[105:106], v[115:116]
	s_waitcnt vmcnt(17)
	v_fma_f64 v[105:106], v[121:122], v[107:108], v[105:106]
	buffer_load_dword v116, off, s[0:3], 0 offset:372
	buffer_load_dword v117, off, s[0:3], 0 offset:392
	buffer_load_dword v121, off, s[0:3], 0 offset:384
	buffer_load_dword v123, off, s[0:3], 0 offset:376
	buffer_load_dword v115, off, s[0:3], 0 offset:368
	buffer_load_dword v124, off, s[0:3], 0 offset:380
	buffer_load_dword v122, off, s[0:3], 0 offset:388
	buffer_load_dword v118, off, s[0:3], 0 offset:396
	s_waitcnt vmcnt(24) lgkmcnt(0)
	v_fma_f64 v[105:106], v[119:120], v[109:110], v[105:106]
	s_waitcnt vmcnt(19)
	v_fma_f64 v[119:120], v[125:126], v[111:112], v[105:106]
	ds_read2_b64 v[105:108], v104 offset0:91 offset1:92
	ds_read2_b64 v[109:112], v104 offset0:93 offset1:94
	s_waitcnt vmcnt(18) lgkmcnt(1)
	v_fma_f64 v[105:106], v[133:134], v[105:106], v[119:120]
	buffer_load_dword v120, off, s[0:3], 0 offset:404
	buffer_load_dword v119, off, s[0:3], 0 offset:400
	;; [unrolled: 1-line block ×4, first 2 shown]
	s_waitcnt vmcnt(21)
	v_fma_f64 v[105:106], v[131:132], v[107:108], v[105:106]
	s_waitcnt vmcnt(20) lgkmcnt(0)
	v_fma_f64 v[105:106], v[127:128], v[109:110], v[105:106]
	s_waitcnt vmcnt(15)
	v_fma_f64 v[113:114], v[113:114], v[111:112], v[105:106]
	ds_read2_b64 v[105:108], v104 offset0:95 offset1:96
	ds_read2_b64 v[109:112], v104 offset0:97 offset1:98
	s_waitcnt vmcnt(14) lgkmcnt(1)
	v_fma_f64 v[105:106], v[137:138], v[105:106], v[113:114]
	s_waitcnt vmcnt(13)
	v_fma_f64 v[105:106], v[135:136], v[107:108], v[105:106]
	s_waitcnt vmcnt(12) lgkmcnt(0)
	v_fma_f64 v[105:106], v[129:130], v[109:110], v[105:106]
	s_waitcnt vmcnt(7)
	v_fma_f64 v[113:114], v[115:116], v[111:112], v[105:106]
	ds_read2_b64 v[105:108], v104 offset0:99 offset1:100
	ds_read2_b64 v[109:112], v104 offset0:101 offset1:102
	s_waitcnt vmcnt(6) lgkmcnt(1)
	v_fma_f64 v[104:105], v[123:124], v[105:106], v[113:114]
	s_waitcnt vmcnt(5)
	v_fma_f64 v[104:105], v[121:122], v[107:108], v[104:105]
	s_waitcnt vmcnt(4) lgkmcnt(0)
	v_fma_f64 v[104:105], v[117:118], v[109:110], v[104:105]
	s_waitcnt vmcnt(2)
	v_fma_f64 v[104:105], v[119:120], v[111:112], v[104:105]
	s_waitcnt vmcnt(0)
	v_add_f64 v[104:105], v[125:126], -v[104:105]
	buffer_store_dword v105, off, s[0:3], 0 offset:148
	buffer_store_dword v104, off, s[0:3], 0 offset:144
	s_and_saveexec_b64 s[4:5], vcc
	s_cbranch_execz .LBB114_279
; %bb.278:
	buffer_load_dword v104, off, s[0:3], 0 offset:136
	buffer_load_dword v105, off, s[0:3], 0 offset:140
	v_mov_b32_e32 v106, 0
	buffer_store_dword v106, off, s[0:3], 0 offset:136
	buffer_store_dword v106, off, s[0:3], 0 offset:140
	s_waitcnt vmcnt(2)
	ds_write_b64 v103, v[104:105]
.LBB114_279:
	s_or_b64 exec, exec, s[4:5]
	s_waitcnt lgkmcnt(0)
	; wave barrier
	buffer_load_dword v113, off, s[0:3], 0 offset:144
	buffer_load_dword v114, off, s[0:3], 0 offset:148
	;; [unrolled: 1-line block ×21, first 2 shown]
	v_mov_b32_e32 v104, 0
	ds_read_b128 v[105:108], v104 offset:560
	ds_read_b128 v[109:112], v104 offset:576
	buffer_load_dword v130, off, s[0:3], 0 offset:228
	v_cmp_lt_u32_e32 vcc, 16, v0
	s_waitcnt vmcnt(20) lgkmcnt(1)
	v_fma_f64 v[105:106], v[113:114], v[105:106], 0
	s_waitcnt vmcnt(18)
	v_fma_f64 v[105:106], v[115:116], v[107:108], v[105:106]
	buffer_load_dword v114, off, s[0:3], 0 offset:236
	buffer_load_dword v115, off, s[0:3], 0 offset:256
	;; [unrolled: 1-line block ×7, first 2 shown]
	s_waitcnt vmcnt(23) lgkmcnt(0)
	v_fma_f64 v[105:106], v[117:118], v[109:110], v[105:106]
	s_waitcnt vmcnt(21)
	v_fma_f64 v[116:117], v[119:120], v[111:112], v[105:106]
	ds_read_b128 v[105:108], v104 offset:592
	ds_read_b128 v[109:112], v104 offset:608
	s_waitcnt vmcnt(19) lgkmcnt(1)
	v_fma_f64 v[105:106], v[121:122], v[105:106], v[116:117]
	buffer_load_dword v116, off, s[0:3], 0 offset:260
	s_waitcnt vmcnt(18)
	v_fma_f64 v[105:106], v[123:124], v[107:108], v[105:106]
	buffer_load_dword v118, off, s[0:3], 0 offset:268
	buffer_load_dword v119, off, s[0:3], 0 offset:288
	;; [unrolled: 1-line block ×7, first 2 shown]
	s_waitcnt vmcnt(23) lgkmcnt(0)
	v_fma_f64 v[105:106], v[125:126], v[109:110], v[105:106]
	s_waitcnt vmcnt(18)
	v_fma_f64 v[125:126], v[127:128], v[111:112], v[105:106]
	ds_read_b128 v[105:108], v104 offset:624
	ds_read_b128 v[109:112], v104 offset:640
	buffer_load_dword v120, off, s[0:3], 0 offset:292
	s_waitcnt vmcnt(18) lgkmcnt(1)
	v_fma_f64 v[105:106], v[133:134], v[105:106], v[125:126]
	s_waitcnt vmcnt(17)
	v_fma_f64 v[105:106], v[131:132], v[107:108], v[105:106]
	buffer_load_dword v126, off, s[0:3], 0 offset:300
	buffer_load_dword v127, off, s[0:3], 0 offset:320
	;; [unrolled: 1-line block ×7, first 2 shown]
	s_waitcnt vmcnt(23) lgkmcnt(0)
	v_fma_f64 v[105:106], v[129:130], v[109:110], v[105:106]
	s_waitcnt vmcnt(18)
	v_fma_f64 v[113:114], v[113:114], v[111:112], v[105:106]
	ds_read_b128 v[105:108], v104 offset:656
	ds_read_b128 v[109:112], v104 offset:672
	buffer_load_dword v128, off, s[0:3], 0 offset:324
	s_waitcnt vmcnt(18) lgkmcnt(1)
	v_fma_f64 v[105:106], v[137:138], v[105:106], v[113:114]
	s_waitcnt vmcnt(17)
	v_fma_f64 v[105:106], v[135:136], v[107:108], v[105:106]
	buffer_load_dword v114, off, s[0:3], 0 offset:332
	buffer_load_dword v129, off, s[0:3], 0 offset:352
	;; [unrolled: 1-line block ×8, first 2 shown]
	s_waitcnt vmcnt(24) lgkmcnt(0)
	v_fma_f64 v[105:106], v[115:116], v[109:110], v[105:106]
	s_waitcnt vmcnt(19)
	v_fma_f64 v[115:116], v[117:118], v[111:112], v[105:106]
	ds_read_b128 v[105:108], v104 offset:688
	ds_read_b128 v[109:112], v104 offset:704
	s_waitcnt vmcnt(18) lgkmcnt(1)
	v_fma_f64 v[105:106], v[123:124], v[105:106], v[115:116]
	s_waitcnt vmcnt(17)
	v_fma_f64 v[105:106], v[121:122], v[107:108], v[105:106]
	buffer_load_dword v116, off, s[0:3], 0 offset:364
	buffer_load_dword v117, off, s[0:3], 0 offset:384
	buffer_load_dword v121, off, s[0:3], 0 offset:376
	buffer_load_dword v123, off, s[0:3], 0 offset:368
	buffer_load_dword v115, off, s[0:3], 0 offset:360
	buffer_load_dword v124, off, s[0:3], 0 offset:372
	buffer_load_dword v122, off, s[0:3], 0 offset:380
	s_waitcnt vmcnt(23) lgkmcnt(0)
	v_fma_f64 v[105:106], v[119:120], v[109:110], v[105:106]
	s_waitcnt vmcnt(18)
	v_fma_f64 v[118:119], v[125:126], v[111:112], v[105:106]
	ds_read_b128 v[105:108], v104 offset:720
	ds_read_b128 v[109:112], v104 offset:736
	s_waitcnt vmcnt(17) lgkmcnt(1)
	v_fma_f64 v[105:106], v[133:134], v[105:106], v[118:119]
	buffer_load_dword v118, off, s[0:3], 0 offset:388
	buffer_load_dword v120, off, s[0:3], 0 offset:396
	buffer_load_dword v125, off, s[0:3], 0 offset:400
	buffer_load_dword v119, off, s[0:3], 0 offset:392
	buffer_load_dword v126, off, s[0:3], 0 offset:404
	s_waitcnt vmcnt(21)
	v_fma_f64 v[105:106], v[131:132], v[107:108], v[105:106]
	s_waitcnt vmcnt(20) lgkmcnt(0)
	v_fma_f64 v[105:106], v[127:128], v[109:110], v[105:106]
	buffer_load_dword v127, off, s[0:3], 0 offset:136
	buffer_load_dword v128, off, s[0:3], 0 offset:140
	s_waitcnt vmcnt(17)
	v_fma_f64 v[113:114], v[113:114], v[111:112], v[105:106]
	ds_read_b128 v[105:108], v104 offset:752
	ds_read_b128 v[109:112], v104 offset:768
	s_waitcnt vmcnt(16) lgkmcnt(1)
	v_fma_f64 v[105:106], v[137:138], v[105:106], v[113:114]
	s_waitcnt vmcnt(15)
	v_fma_f64 v[105:106], v[135:136], v[107:108], v[105:106]
	s_waitcnt vmcnt(14) lgkmcnt(0)
	v_fma_f64 v[105:106], v[129:130], v[109:110], v[105:106]
	s_waitcnt vmcnt(9)
	v_fma_f64 v[113:114], v[115:116], v[111:112], v[105:106]
	ds_read_b128 v[105:108], v104 offset:784
	ds_read_b128 v[109:112], v104 offset:800
	s_waitcnt vmcnt(8) lgkmcnt(1)
	v_fma_f64 v[105:106], v[123:124], v[105:106], v[113:114]
	s_waitcnt vmcnt(7)
	v_fma_f64 v[105:106], v[121:122], v[107:108], v[105:106]
	ds_read_b64 v[107:108], v104 offset:816
	s_waitcnt vmcnt(6) lgkmcnt(1)
	v_fma_f64 v[105:106], v[117:118], v[109:110], v[105:106]
	s_waitcnt vmcnt(3)
	v_fma_f64 v[105:106], v[119:120], v[111:112], v[105:106]
	s_waitcnt vmcnt(2) lgkmcnt(0)
	v_fma_f64 v[105:106], v[125:126], v[107:108], v[105:106]
	s_waitcnt vmcnt(0)
	v_add_f64 v[105:106], v[127:128], -v[105:106]
	buffer_store_dword v106, off, s[0:3], 0 offset:140
	buffer_store_dword v105, off, s[0:3], 0 offset:136
	s_and_saveexec_b64 s[4:5], vcc
	s_cbranch_execz .LBB114_281
; %bb.280:
	buffer_load_dword v105, off, s[0:3], 0 offset:128
	buffer_load_dword v106, off, s[0:3], 0 offset:132
	s_waitcnt vmcnt(0)
	ds_write_b64 v103, v[105:106]
	buffer_store_dword v104, off, s[0:3], 0 offset:128
	buffer_store_dword v104, off, s[0:3], 0 offset:132
.LBB114_281:
	s_or_b64 exec, exec, s[4:5]
	s_waitcnt lgkmcnt(0)
	; wave barrier
	buffer_load_dword v113, off, s[0:3], 0 offset:136
	buffer_load_dword v114, off, s[0:3], 0 offset:140
	;; [unrolled: 1-line block ×21, first 2 shown]
	ds_read2_b64 v[105:108], v104 offset0:69 offset1:70
	ds_read2_b64 v[109:112], v104 offset0:71 offset1:72
	buffer_load_dword v130, off, s[0:3], 0 offset:220
	v_cmp_lt_u32_e32 vcc, 15, v0
	s_waitcnt vmcnt(20) lgkmcnt(1)
	v_fma_f64 v[105:106], v[113:114], v[105:106], 0
	s_waitcnt vmcnt(18)
	v_fma_f64 v[105:106], v[115:116], v[107:108], v[105:106]
	buffer_load_dword v114, off, s[0:3], 0 offset:228
	buffer_load_dword v115, off, s[0:3], 0 offset:248
	;; [unrolled: 1-line block ×7, first 2 shown]
	s_waitcnt vmcnt(23) lgkmcnt(0)
	v_fma_f64 v[105:106], v[117:118], v[109:110], v[105:106]
	s_waitcnt vmcnt(21)
	v_fma_f64 v[116:117], v[119:120], v[111:112], v[105:106]
	ds_read2_b64 v[105:108], v104 offset0:73 offset1:74
	ds_read2_b64 v[109:112], v104 offset0:75 offset1:76
	s_waitcnt vmcnt(19) lgkmcnt(1)
	v_fma_f64 v[105:106], v[121:122], v[105:106], v[116:117]
	buffer_load_dword v116, off, s[0:3], 0 offset:252
	s_waitcnt vmcnt(18)
	v_fma_f64 v[105:106], v[123:124], v[107:108], v[105:106]
	buffer_load_dword v118, off, s[0:3], 0 offset:260
	buffer_load_dword v119, off, s[0:3], 0 offset:280
	;; [unrolled: 1-line block ×8, first 2 shown]
	s_waitcnt vmcnt(24) lgkmcnt(0)
	v_fma_f64 v[105:106], v[125:126], v[109:110], v[105:106]
	s_waitcnt vmcnt(19)
	v_fma_f64 v[125:126], v[127:128], v[111:112], v[105:106]
	ds_read2_b64 v[105:108], v104 offset0:77 offset1:78
	ds_read2_b64 v[109:112], v104 offset0:79 offset1:80
	s_waitcnt vmcnt(18) lgkmcnt(1)
	v_fma_f64 v[105:106], v[133:134], v[105:106], v[125:126]
	s_waitcnt vmcnt(17)
	v_fma_f64 v[105:106], v[131:132], v[107:108], v[105:106]
	buffer_load_dword v126, off, s[0:3], 0 offset:292
	buffer_load_dword v127, off, s[0:3], 0 offset:312
	;; [unrolled: 1-line block ×7, first 2 shown]
	s_waitcnt vmcnt(23) lgkmcnt(0)
	v_fma_f64 v[105:106], v[129:130], v[109:110], v[105:106]
	s_waitcnt vmcnt(18)
	v_fma_f64 v[113:114], v[113:114], v[111:112], v[105:106]
	ds_read2_b64 v[105:108], v104 offset0:81 offset1:82
	ds_read2_b64 v[109:112], v104 offset0:83 offset1:84
	buffer_load_dword v128, off, s[0:3], 0 offset:316
	s_waitcnt vmcnt(18) lgkmcnt(1)
	v_fma_f64 v[105:106], v[137:138], v[105:106], v[113:114]
	s_waitcnt vmcnt(17)
	v_fma_f64 v[105:106], v[135:136], v[107:108], v[105:106]
	buffer_load_dword v114, off, s[0:3], 0 offset:324
	buffer_load_dword v129, off, s[0:3], 0 offset:344
	;; [unrolled: 1-line block ×8, first 2 shown]
	s_waitcnt vmcnt(24) lgkmcnt(0)
	v_fma_f64 v[105:106], v[115:116], v[109:110], v[105:106]
	s_waitcnt vmcnt(19)
	v_fma_f64 v[115:116], v[117:118], v[111:112], v[105:106]
	ds_read2_b64 v[105:108], v104 offset0:85 offset1:86
	ds_read2_b64 v[109:112], v104 offset0:87 offset1:88
	s_waitcnt vmcnt(18) lgkmcnt(1)
	v_fma_f64 v[105:106], v[123:124], v[105:106], v[115:116]
	s_waitcnt vmcnt(17)
	v_fma_f64 v[105:106], v[121:122], v[107:108], v[105:106]
	buffer_load_dword v116, off, s[0:3], 0 offset:356
	buffer_load_dword v117, off, s[0:3], 0 offset:376
	;; [unrolled: 1-line block ×7, first 2 shown]
	s_waitcnt vmcnt(23) lgkmcnt(0)
	v_fma_f64 v[105:106], v[119:120], v[109:110], v[105:106]
	s_waitcnt vmcnt(18)
	v_fma_f64 v[118:119], v[125:126], v[111:112], v[105:106]
	ds_read2_b64 v[105:108], v104 offset0:89 offset1:90
	ds_read2_b64 v[109:112], v104 offset0:91 offset1:92
	s_waitcnt vmcnt(17) lgkmcnt(1)
	v_fma_f64 v[105:106], v[133:134], v[105:106], v[118:119]
	buffer_load_dword v118, off, s[0:3], 0 offset:380
	s_waitcnt vmcnt(17)
	v_fma_f64 v[105:106], v[131:132], v[107:108], v[105:106]
	buffer_load_dword v120, off, s[0:3], 0 offset:388
	buffer_load_dword v125, off, s[0:3], 0 offset:400
	;; [unrolled: 1-line block ×6, first 2 shown]
	s_waitcnt vmcnt(22) lgkmcnt(0)
	v_fma_f64 v[105:106], v[127:128], v[109:110], v[105:106]
	s_waitcnt vmcnt(17)
	v_fma_f64 v[113:114], v[113:114], v[111:112], v[105:106]
	ds_read2_b64 v[105:108], v104 offset0:93 offset1:94
	buffer_load_dword v127, off, s[0:3], 0 offset:128
	buffer_load_dword v128, off, s[0:3], 0 offset:132
	ds_read2_b64 v[109:112], v104 offset0:95 offset1:96
	s_waitcnt vmcnt(18) lgkmcnt(1)
	v_fma_f64 v[105:106], v[137:138], v[105:106], v[113:114]
	s_waitcnt vmcnt(17)
	v_fma_f64 v[105:106], v[135:136], v[107:108], v[105:106]
	s_waitcnt vmcnt(16) lgkmcnt(0)
	v_fma_f64 v[105:106], v[129:130], v[109:110], v[105:106]
	s_waitcnt vmcnt(11)
	v_fma_f64 v[113:114], v[115:116], v[111:112], v[105:106]
	ds_read2_b64 v[105:108], v104 offset0:97 offset1:98
	ds_read2_b64 v[109:112], v104 offset0:99 offset1:100
	s_waitcnt vmcnt(10) lgkmcnt(1)
	v_fma_f64 v[105:106], v[123:124], v[105:106], v[113:114]
	s_waitcnt vmcnt(9)
	v_fma_f64 v[105:106], v[121:122], v[107:108], v[105:106]
	s_waitcnt vmcnt(8) lgkmcnt(0)
	v_fma_f64 v[105:106], v[117:118], v[109:110], v[105:106]
	s_waitcnt vmcnt(4)
	v_fma_f64 v[108:109], v[119:120], v[111:112], v[105:106]
	ds_read2_b64 v[104:107], v104 offset0:101 offset1:102
	s_waitcnt vmcnt(3) lgkmcnt(0)
	v_fma_f64 v[104:105], v[131:132], v[104:105], v[108:109]
	s_waitcnt vmcnt(2)
	v_fma_f64 v[104:105], v[125:126], v[106:107], v[104:105]
	s_waitcnt vmcnt(0)
	v_add_f64 v[104:105], v[127:128], -v[104:105]
	buffer_store_dword v105, off, s[0:3], 0 offset:132
	buffer_store_dword v104, off, s[0:3], 0 offset:128
	s_and_saveexec_b64 s[4:5], vcc
	s_cbranch_execz .LBB114_283
; %bb.282:
	buffer_load_dword v104, off, s[0:3], 0 offset:120
	buffer_load_dword v105, off, s[0:3], 0 offset:124
	v_mov_b32_e32 v106, 0
	buffer_store_dword v106, off, s[0:3], 0 offset:120
	buffer_store_dword v106, off, s[0:3], 0 offset:124
	s_waitcnt vmcnt(2)
	ds_write_b64 v103, v[104:105]
.LBB114_283:
	s_or_b64 exec, exec, s[4:5]
	s_waitcnt lgkmcnt(0)
	; wave barrier
	buffer_load_dword v113, off, s[0:3], 0 offset:128
	buffer_load_dword v114, off, s[0:3], 0 offset:132
	buffer_load_dword v115, off, s[0:3], 0 offset:136
	buffer_load_dword v116, off, s[0:3], 0 offset:140
	buffer_load_dword v117, off, s[0:3], 0 offset:144
	buffer_load_dword v118, off, s[0:3], 0 offset:148
	buffer_load_dword v119, off, s[0:3], 0 offset:152
	buffer_load_dword v120, off, s[0:3], 0 offset:156
	buffer_load_dword v121, off, s[0:3], 0 offset:160
	buffer_load_dword v122, off, s[0:3], 0 offset:164
	buffer_load_dword v123, off, s[0:3], 0 offset:168
	buffer_load_dword v124, off, s[0:3], 0 offset:172
	buffer_load_dword v125, off, s[0:3], 0 offset:176
	buffer_load_dword v126, off, s[0:3], 0 offset:180
	buffer_load_dword v128, off, s[0:3], 0 offset:188
	buffer_load_dword v129, off, s[0:3], 0 offset:208
	buffer_load_dword v131, off, s[0:3], 0 offset:200
	buffer_load_dword v133, off, s[0:3], 0 offset:192
	buffer_load_dword v127, off, s[0:3], 0 offset:184
	buffer_load_dword v134, off, s[0:3], 0 offset:196
	buffer_load_dword v132, off, s[0:3], 0 offset:204
	v_mov_b32_e32 v104, 0
	ds_read_b128 v[105:108], v104 offset:544
	ds_read_b128 v[109:112], v104 offset:560
	buffer_load_dword v130, off, s[0:3], 0 offset:212
	v_cmp_lt_u32_e32 vcc, 14, v0
	s_waitcnt vmcnt(20) lgkmcnt(1)
	v_fma_f64 v[105:106], v[113:114], v[105:106], 0
	s_waitcnt vmcnt(18)
	v_fma_f64 v[105:106], v[115:116], v[107:108], v[105:106]
	buffer_load_dword v114, off, s[0:3], 0 offset:220
	buffer_load_dword v115, off, s[0:3], 0 offset:240
	;; [unrolled: 1-line block ×7, first 2 shown]
	s_waitcnt vmcnt(23) lgkmcnt(0)
	v_fma_f64 v[105:106], v[117:118], v[109:110], v[105:106]
	s_waitcnt vmcnt(21)
	v_fma_f64 v[116:117], v[119:120], v[111:112], v[105:106]
	ds_read_b128 v[105:108], v104 offset:576
	ds_read_b128 v[109:112], v104 offset:592
	s_waitcnt vmcnt(19) lgkmcnt(1)
	v_fma_f64 v[105:106], v[121:122], v[105:106], v[116:117]
	buffer_load_dword v116, off, s[0:3], 0 offset:244
	s_waitcnt vmcnt(18)
	v_fma_f64 v[105:106], v[123:124], v[107:108], v[105:106]
	buffer_load_dword v118, off, s[0:3], 0 offset:252
	buffer_load_dword v119, off, s[0:3], 0 offset:272
	;; [unrolled: 1-line block ×8, first 2 shown]
	s_waitcnt vmcnt(24) lgkmcnt(0)
	v_fma_f64 v[105:106], v[125:126], v[109:110], v[105:106]
	s_waitcnt vmcnt(19)
	v_fma_f64 v[125:126], v[127:128], v[111:112], v[105:106]
	ds_read_b128 v[105:108], v104 offset:608
	ds_read_b128 v[109:112], v104 offset:624
	s_waitcnt vmcnt(18) lgkmcnt(1)
	v_fma_f64 v[105:106], v[133:134], v[105:106], v[125:126]
	s_waitcnt vmcnt(17)
	v_fma_f64 v[105:106], v[131:132], v[107:108], v[105:106]
	buffer_load_dword v126, off, s[0:3], 0 offset:284
	buffer_load_dword v127, off, s[0:3], 0 offset:304
	;; [unrolled: 1-line block ×7, first 2 shown]
	s_waitcnt vmcnt(23) lgkmcnt(0)
	v_fma_f64 v[105:106], v[129:130], v[109:110], v[105:106]
	s_waitcnt vmcnt(18)
	v_fma_f64 v[113:114], v[113:114], v[111:112], v[105:106]
	ds_read_b128 v[105:108], v104 offset:640
	ds_read_b128 v[109:112], v104 offset:656
	buffer_load_dword v128, off, s[0:3], 0 offset:308
	s_waitcnt vmcnt(18) lgkmcnt(1)
	v_fma_f64 v[105:106], v[137:138], v[105:106], v[113:114]
	s_waitcnt vmcnt(17)
	v_fma_f64 v[105:106], v[135:136], v[107:108], v[105:106]
	buffer_load_dword v114, off, s[0:3], 0 offset:316
	buffer_load_dword v129, off, s[0:3], 0 offset:336
	;; [unrolled: 1-line block ×8, first 2 shown]
	s_waitcnt vmcnt(24) lgkmcnt(0)
	v_fma_f64 v[105:106], v[115:116], v[109:110], v[105:106]
	s_waitcnt vmcnt(19)
	v_fma_f64 v[115:116], v[117:118], v[111:112], v[105:106]
	ds_read_b128 v[105:108], v104 offset:672
	ds_read_b128 v[109:112], v104 offset:688
	s_waitcnt vmcnt(18) lgkmcnt(1)
	v_fma_f64 v[105:106], v[123:124], v[105:106], v[115:116]
	s_waitcnt vmcnt(17)
	v_fma_f64 v[105:106], v[121:122], v[107:108], v[105:106]
	buffer_load_dword v116, off, s[0:3], 0 offset:348
	buffer_load_dword v117, off, s[0:3], 0 offset:368
	;; [unrolled: 1-line block ×7, first 2 shown]
	s_waitcnt vmcnt(23) lgkmcnt(0)
	v_fma_f64 v[105:106], v[119:120], v[109:110], v[105:106]
	s_waitcnt vmcnt(18)
	v_fma_f64 v[118:119], v[125:126], v[111:112], v[105:106]
	ds_read_b128 v[105:108], v104 offset:704
	ds_read_b128 v[109:112], v104 offset:720
	s_waitcnt vmcnt(17) lgkmcnt(1)
	v_fma_f64 v[105:106], v[133:134], v[105:106], v[118:119]
	buffer_load_dword v118, off, s[0:3], 0 offset:372
	s_waitcnt vmcnt(17)
	v_fma_f64 v[105:106], v[131:132], v[107:108], v[105:106]
	buffer_load_dword v120, off, s[0:3], 0 offset:380
	buffer_load_dword v125, off, s[0:3], 0 offset:400
	;; [unrolled: 1-line block ×8, first 2 shown]
	s_waitcnt vmcnt(24) lgkmcnt(0)
	v_fma_f64 v[105:106], v[127:128], v[109:110], v[105:106]
	s_waitcnt vmcnt(19)
	v_fma_f64 v[113:114], v[113:114], v[111:112], v[105:106]
	ds_read_b128 v[105:108], v104 offset:736
	ds_read_b128 v[109:112], v104 offset:752
	s_waitcnt vmcnt(18) lgkmcnt(1)
	v_fma_f64 v[105:106], v[137:138], v[105:106], v[113:114]
	buffer_load_dword v113, off, s[0:3], 0 offset:120
	buffer_load_dword v114, off, s[0:3], 0 offset:124
	s_waitcnt vmcnt(19)
	v_fma_f64 v[105:106], v[135:136], v[107:108], v[105:106]
	s_waitcnt vmcnt(18) lgkmcnt(0)
	v_fma_f64 v[105:106], v[129:130], v[109:110], v[105:106]
	s_waitcnt vmcnt(13)
	v_fma_f64 v[115:116], v[115:116], v[111:112], v[105:106]
	ds_read_b128 v[105:108], v104 offset:768
	ds_read_b128 v[109:112], v104 offset:784
	s_waitcnt vmcnt(12) lgkmcnt(1)
	v_fma_f64 v[105:106], v[123:124], v[105:106], v[115:116]
	s_waitcnt vmcnt(11)
	v_fma_f64 v[105:106], v[121:122], v[107:108], v[105:106]
	s_waitcnt vmcnt(10) lgkmcnt(0)
	v_fma_f64 v[105:106], v[117:118], v[109:110], v[105:106]
	s_waitcnt vmcnt(5)
	v_fma_f64 v[109:110], v[119:120], v[111:112], v[105:106]
	ds_read_b128 v[105:108], v104 offset:800
	ds_read_b64 v[111:112], v104 offset:816
	s_waitcnt vmcnt(4) lgkmcnt(1)
	v_fma_f64 v[105:106], v[133:134], v[105:106], v[109:110]
	s_waitcnt vmcnt(3)
	v_fma_f64 v[105:106], v[131:132], v[107:108], v[105:106]
	s_waitcnt vmcnt(2) lgkmcnt(0)
	v_fma_f64 v[105:106], v[125:126], v[111:112], v[105:106]
	s_waitcnt vmcnt(0)
	v_add_f64 v[105:106], v[113:114], -v[105:106]
	buffer_store_dword v106, off, s[0:3], 0 offset:124
	buffer_store_dword v105, off, s[0:3], 0 offset:120
	s_and_saveexec_b64 s[4:5], vcc
	s_cbranch_execz .LBB114_285
; %bb.284:
	buffer_load_dword v105, off, s[0:3], 0 offset:112
	buffer_load_dword v106, off, s[0:3], 0 offset:116
	s_waitcnt vmcnt(0)
	ds_write_b64 v103, v[105:106]
	buffer_store_dword v104, off, s[0:3], 0 offset:112
	buffer_store_dword v104, off, s[0:3], 0 offset:116
.LBB114_285:
	s_or_b64 exec, exec, s[4:5]
	s_waitcnt lgkmcnt(0)
	; wave barrier
	buffer_load_dword v113, off, s[0:3], 0 offset:120
	buffer_load_dword v114, off, s[0:3], 0 offset:124
	buffer_load_dword v115, off, s[0:3], 0 offset:128
	buffer_load_dword v116, off, s[0:3], 0 offset:132
	buffer_load_dword v117, off, s[0:3], 0 offset:136
	buffer_load_dword v118, off, s[0:3], 0 offset:140
	buffer_load_dword v119, off, s[0:3], 0 offset:144
	buffer_load_dword v120, off, s[0:3], 0 offset:148
	buffer_load_dword v121, off, s[0:3], 0 offset:152
	buffer_load_dword v122, off, s[0:3], 0 offset:156
	buffer_load_dword v123, off, s[0:3], 0 offset:160
	buffer_load_dword v124, off, s[0:3], 0 offset:164
	buffer_load_dword v125, off, s[0:3], 0 offset:168
	buffer_load_dword v126, off, s[0:3], 0 offset:172
	buffer_load_dword v128, off, s[0:3], 0 offset:180
	buffer_load_dword v129, off, s[0:3], 0 offset:200
	buffer_load_dword v131, off, s[0:3], 0 offset:192
	buffer_load_dword v133, off, s[0:3], 0 offset:184
	buffer_load_dword v127, off, s[0:3], 0 offset:176
	buffer_load_dword v134, off, s[0:3], 0 offset:188
	buffer_load_dword v132, off, s[0:3], 0 offset:196
	ds_read2_b64 v[105:108], v104 offset0:67 offset1:68
	ds_read2_b64 v[109:112], v104 offset0:69 offset1:70
	buffer_load_dword v130, off, s[0:3], 0 offset:204
	v_cmp_lt_u32_e32 vcc, 13, v0
	s_waitcnt vmcnt(20) lgkmcnt(1)
	v_fma_f64 v[105:106], v[113:114], v[105:106], 0
	s_waitcnt vmcnt(18)
	v_fma_f64 v[105:106], v[115:116], v[107:108], v[105:106]
	buffer_load_dword v114, off, s[0:3], 0 offset:212
	buffer_load_dword v115, off, s[0:3], 0 offset:232
	;; [unrolled: 1-line block ×7, first 2 shown]
	s_waitcnt vmcnt(23) lgkmcnt(0)
	v_fma_f64 v[105:106], v[117:118], v[109:110], v[105:106]
	s_waitcnt vmcnt(21)
	v_fma_f64 v[116:117], v[119:120], v[111:112], v[105:106]
	ds_read2_b64 v[105:108], v104 offset0:71 offset1:72
	ds_read2_b64 v[109:112], v104 offset0:73 offset1:74
	s_waitcnt vmcnt(19) lgkmcnt(1)
	v_fma_f64 v[105:106], v[121:122], v[105:106], v[116:117]
	buffer_load_dword v116, off, s[0:3], 0 offset:236
	s_waitcnt vmcnt(18)
	v_fma_f64 v[105:106], v[123:124], v[107:108], v[105:106]
	buffer_load_dword v118, off, s[0:3], 0 offset:244
	buffer_load_dword v119, off, s[0:3], 0 offset:264
	;; [unrolled: 1-line block ×8, first 2 shown]
	s_waitcnt vmcnt(24) lgkmcnt(0)
	v_fma_f64 v[105:106], v[125:126], v[109:110], v[105:106]
	s_waitcnt vmcnt(19)
	v_fma_f64 v[125:126], v[127:128], v[111:112], v[105:106]
	ds_read2_b64 v[105:108], v104 offset0:75 offset1:76
	ds_read2_b64 v[109:112], v104 offset0:77 offset1:78
	s_waitcnt vmcnt(18) lgkmcnt(1)
	v_fma_f64 v[105:106], v[133:134], v[105:106], v[125:126]
	s_waitcnt vmcnt(17)
	v_fma_f64 v[105:106], v[131:132], v[107:108], v[105:106]
	buffer_load_dword v126, off, s[0:3], 0 offset:276
	buffer_load_dword v127, off, s[0:3], 0 offset:296
	;; [unrolled: 1-line block ×7, first 2 shown]
	s_waitcnt vmcnt(23) lgkmcnt(0)
	v_fma_f64 v[105:106], v[129:130], v[109:110], v[105:106]
	s_waitcnt vmcnt(18)
	v_fma_f64 v[113:114], v[113:114], v[111:112], v[105:106]
	ds_read2_b64 v[105:108], v104 offset0:79 offset1:80
	ds_read2_b64 v[109:112], v104 offset0:81 offset1:82
	buffer_load_dword v128, off, s[0:3], 0 offset:300
	s_waitcnt vmcnt(18) lgkmcnt(1)
	v_fma_f64 v[105:106], v[137:138], v[105:106], v[113:114]
	s_waitcnt vmcnt(17)
	v_fma_f64 v[105:106], v[135:136], v[107:108], v[105:106]
	buffer_load_dword v114, off, s[0:3], 0 offset:308
	buffer_load_dword v129, off, s[0:3], 0 offset:328
	;; [unrolled: 1-line block ×8, first 2 shown]
	s_waitcnt vmcnt(24) lgkmcnt(0)
	v_fma_f64 v[105:106], v[115:116], v[109:110], v[105:106]
	s_waitcnt vmcnt(19)
	v_fma_f64 v[115:116], v[117:118], v[111:112], v[105:106]
	ds_read2_b64 v[105:108], v104 offset0:83 offset1:84
	ds_read2_b64 v[109:112], v104 offset0:85 offset1:86
	s_waitcnt vmcnt(18) lgkmcnt(1)
	v_fma_f64 v[105:106], v[123:124], v[105:106], v[115:116]
	s_waitcnt vmcnt(17)
	v_fma_f64 v[105:106], v[121:122], v[107:108], v[105:106]
	buffer_load_dword v116, off, s[0:3], 0 offset:340
	buffer_load_dword v117, off, s[0:3], 0 offset:360
	;; [unrolled: 1-line block ×7, first 2 shown]
	s_waitcnt vmcnt(23) lgkmcnt(0)
	v_fma_f64 v[105:106], v[119:120], v[109:110], v[105:106]
	s_waitcnt vmcnt(18)
	v_fma_f64 v[118:119], v[125:126], v[111:112], v[105:106]
	ds_read2_b64 v[105:108], v104 offset0:87 offset1:88
	ds_read2_b64 v[109:112], v104 offset0:89 offset1:90
	s_waitcnt vmcnt(17) lgkmcnt(1)
	v_fma_f64 v[105:106], v[133:134], v[105:106], v[118:119]
	buffer_load_dword v118, off, s[0:3], 0 offset:364
	s_waitcnt vmcnt(17)
	v_fma_f64 v[105:106], v[131:132], v[107:108], v[105:106]
	buffer_load_dword v120, off, s[0:3], 0 offset:372
	buffer_load_dword v125, off, s[0:3], 0 offset:392
	buffer_load_dword v131, off, s[0:3], 0 offset:384
	buffer_load_dword v133, off, s[0:3], 0 offset:376
	buffer_load_dword v119, off, s[0:3], 0 offset:368
	buffer_load_dword v134, off, s[0:3], 0 offset:380
	buffer_load_dword v132, off, s[0:3], 0 offset:388
	buffer_load_dword v126, off, s[0:3], 0 offset:396
	s_waitcnt vmcnt(24) lgkmcnt(0)
	v_fma_f64 v[105:106], v[127:128], v[109:110], v[105:106]
	s_waitcnt vmcnt(19)
	v_fma_f64 v[113:114], v[113:114], v[111:112], v[105:106]
	ds_read2_b64 v[105:108], v104 offset0:91 offset1:92
	ds_read2_b64 v[109:112], v104 offset0:93 offset1:94
	s_waitcnt vmcnt(18) lgkmcnt(1)
	v_fma_f64 v[105:106], v[137:138], v[105:106], v[113:114]
	buffer_load_dword v114, off, s[0:3], 0 offset:404
	buffer_load_dword v113, off, s[0:3], 0 offset:400
	;; [unrolled: 1-line block ×4, first 2 shown]
	s_waitcnt vmcnt(21)
	v_fma_f64 v[105:106], v[135:136], v[107:108], v[105:106]
	s_waitcnt vmcnt(20) lgkmcnt(0)
	v_fma_f64 v[105:106], v[129:130], v[109:110], v[105:106]
	s_waitcnt vmcnt(15)
	v_fma_f64 v[115:116], v[115:116], v[111:112], v[105:106]
	ds_read2_b64 v[105:108], v104 offset0:95 offset1:96
	ds_read2_b64 v[109:112], v104 offset0:97 offset1:98
	s_waitcnt vmcnt(14) lgkmcnt(1)
	v_fma_f64 v[105:106], v[123:124], v[105:106], v[115:116]
	s_waitcnt vmcnt(13)
	v_fma_f64 v[105:106], v[121:122], v[107:108], v[105:106]
	s_waitcnt vmcnt(12) lgkmcnt(0)
	v_fma_f64 v[105:106], v[117:118], v[109:110], v[105:106]
	s_waitcnt vmcnt(7)
	v_fma_f64 v[115:116], v[119:120], v[111:112], v[105:106]
	ds_read2_b64 v[105:108], v104 offset0:99 offset1:100
	ds_read2_b64 v[109:112], v104 offset0:101 offset1:102
	s_waitcnt vmcnt(6) lgkmcnt(1)
	v_fma_f64 v[104:105], v[133:134], v[105:106], v[115:116]
	s_waitcnt vmcnt(5)
	v_fma_f64 v[104:105], v[131:132], v[107:108], v[104:105]
	s_waitcnt vmcnt(4) lgkmcnt(0)
	v_fma_f64 v[104:105], v[125:126], v[109:110], v[104:105]
	s_waitcnt vmcnt(2)
	v_fma_f64 v[104:105], v[113:114], v[111:112], v[104:105]
	s_waitcnt vmcnt(0)
	v_add_f64 v[104:105], v[127:128], -v[104:105]
	buffer_store_dword v105, off, s[0:3], 0 offset:116
	buffer_store_dword v104, off, s[0:3], 0 offset:112
	s_and_saveexec_b64 s[4:5], vcc
	s_cbranch_execz .LBB114_287
; %bb.286:
	buffer_load_dword v104, off, s[0:3], 0 offset:104
	buffer_load_dword v105, off, s[0:3], 0 offset:108
	v_mov_b32_e32 v106, 0
	buffer_store_dword v106, off, s[0:3], 0 offset:104
	buffer_store_dword v106, off, s[0:3], 0 offset:108
	s_waitcnt vmcnt(2)
	ds_write_b64 v103, v[104:105]
.LBB114_287:
	s_or_b64 exec, exec, s[4:5]
	s_waitcnt lgkmcnt(0)
	; wave barrier
	buffer_load_dword v113, off, s[0:3], 0 offset:112
	buffer_load_dword v114, off, s[0:3], 0 offset:116
	;; [unrolled: 1-line block ×21, first 2 shown]
	v_mov_b32_e32 v104, 0
	ds_read_b128 v[105:108], v104 offset:528
	ds_read_b128 v[109:112], v104 offset:544
	buffer_load_dword v130, off, s[0:3], 0 offset:196
	v_cmp_lt_u32_e32 vcc, 12, v0
	s_waitcnt vmcnt(20) lgkmcnt(1)
	v_fma_f64 v[105:106], v[113:114], v[105:106], 0
	s_waitcnt vmcnt(18)
	v_fma_f64 v[105:106], v[115:116], v[107:108], v[105:106]
	buffer_load_dword v114, off, s[0:3], 0 offset:204
	buffer_load_dword v115, off, s[0:3], 0 offset:224
	;; [unrolled: 1-line block ×7, first 2 shown]
	s_waitcnt vmcnt(23) lgkmcnt(0)
	v_fma_f64 v[105:106], v[117:118], v[109:110], v[105:106]
	s_waitcnt vmcnt(21)
	v_fma_f64 v[116:117], v[119:120], v[111:112], v[105:106]
	ds_read_b128 v[105:108], v104 offset:560
	ds_read_b128 v[109:112], v104 offset:576
	s_waitcnt vmcnt(19) lgkmcnt(1)
	v_fma_f64 v[105:106], v[121:122], v[105:106], v[116:117]
	buffer_load_dword v116, off, s[0:3], 0 offset:228
	s_waitcnt vmcnt(18)
	v_fma_f64 v[105:106], v[123:124], v[107:108], v[105:106]
	buffer_load_dword v118, off, s[0:3], 0 offset:236
	buffer_load_dword v119, off, s[0:3], 0 offset:256
	buffer_load_dword v121, off, s[0:3], 0 offset:248
	buffer_load_dword v123, off, s[0:3], 0 offset:240
	buffer_load_dword v117, off, s[0:3], 0 offset:232
	buffer_load_dword v124, off, s[0:3], 0 offset:244
	buffer_load_dword v122, off, s[0:3], 0 offset:252
	buffer_load_dword v120, off, s[0:3], 0 offset:260
	s_waitcnt vmcnt(24) lgkmcnt(0)
	v_fma_f64 v[105:106], v[125:126], v[109:110], v[105:106]
	s_waitcnt vmcnt(19)
	v_fma_f64 v[125:126], v[127:128], v[111:112], v[105:106]
	ds_read_b128 v[105:108], v104 offset:592
	ds_read_b128 v[109:112], v104 offset:608
	s_waitcnt vmcnt(18) lgkmcnt(1)
	v_fma_f64 v[105:106], v[133:134], v[105:106], v[125:126]
	s_waitcnt vmcnt(17)
	v_fma_f64 v[105:106], v[131:132], v[107:108], v[105:106]
	buffer_load_dword v126, off, s[0:3], 0 offset:268
	buffer_load_dword v127, off, s[0:3], 0 offset:288
	buffer_load_dword v131, off, s[0:3], 0 offset:280
	buffer_load_dword v133, off, s[0:3], 0 offset:272
	buffer_load_dword v125, off, s[0:3], 0 offset:264
	buffer_load_dword v134, off, s[0:3], 0 offset:276
	buffer_load_dword v132, off, s[0:3], 0 offset:284
	s_waitcnt vmcnt(23) lgkmcnt(0)
	v_fma_f64 v[105:106], v[129:130], v[109:110], v[105:106]
	s_waitcnt vmcnt(18)
	v_fma_f64 v[113:114], v[113:114], v[111:112], v[105:106]
	ds_read_b128 v[105:108], v104 offset:624
	ds_read_b128 v[109:112], v104 offset:640
	buffer_load_dword v128, off, s[0:3], 0 offset:292
	s_waitcnt vmcnt(18) lgkmcnt(1)
	v_fma_f64 v[105:106], v[137:138], v[105:106], v[113:114]
	s_waitcnt vmcnt(17)
	v_fma_f64 v[105:106], v[135:136], v[107:108], v[105:106]
	buffer_load_dword v114, off, s[0:3], 0 offset:300
	buffer_load_dword v129, off, s[0:3], 0 offset:320
	;; [unrolled: 1-line block ×7, first 2 shown]
	s_waitcnt vmcnt(23) lgkmcnt(0)
	v_fma_f64 v[105:106], v[115:116], v[109:110], v[105:106]
	s_waitcnt vmcnt(18)
	v_fma_f64 v[115:116], v[117:118], v[111:112], v[105:106]
	ds_read_b128 v[105:108], v104 offset:656
	ds_read_b128 v[109:112], v104 offset:672
	buffer_load_dword v130, off, s[0:3], 0 offset:324
	s_waitcnt vmcnt(18) lgkmcnt(1)
	v_fma_f64 v[105:106], v[123:124], v[105:106], v[115:116]
	s_waitcnt vmcnt(17)
	v_fma_f64 v[105:106], v[121:122], v[107:108], v[105:106]
	buffer_load_dword v116, off, s[0:3], 0 offset:332
	buffer_load_dword v117, off, s[0:3], 0 offset:352
	;; [unrolled: 1-line block ×7, first 2 shown]
	s_waitcnt vmcnt(23) lgkmcnt(0)
	v_fma_f64 v[105:106], v[119:120], v[109:110], v[105:106]
	s_waitcnt vmcnt(18)
	v_fma_f64 v[118:119], v[125:126], v[111:112], v[105:106]
	ds_read_b128 v[105:108], v104 offset:688
	ds_read_b128 v[109:112], v104 offset:704
	s_waitcnt vmcnt(17) lgkmcnt(1)
	v_fma_f64 v[105:106], v[133:134], v[105:106], v[118:119]
	buffer_load_dword v118, off, s[0:3], 0 offset:356
	s_waitcnt vmcnt(17)
	v_fma_f64 v[105:106], v[131:132], v[107:108], v[105:106]
	buffer_load_dword v120, off, s[0:3], 0 offset:364
	buffer_load_dword v125, off, s[0:3], 0 offset:384
	;; [unrolled: 1-line block ×7, first 2 shown]
	s_waitcnt vmcnt(23) lgkmcnt(0)
	v_fma_f64 v[105:106], v[127:128], v[109:110], v[105:106]
	s_waitcnt vmcnt(18)
	v_fma_f64 v[113:114], v[113:114], v[111:112], v[105:106]
	ds_read_b128 v[105:108], v104 offset:720
	ds_read_b128 v[109:112], v104 offset:736
	buffer_load_dword v126, off, s[0:3], 0 offset:388
	s_waitcnt vmcnt(18) lgkmcnt(1)
	v_fma_f64 v[105:106], v[137:138], v[105:106], v[113:114]
	buffer_load_dword v114, off, s[0:3], 0 offset:396
	buffer_load_dword v127, off, s[0:3], 0 offset:400
	;; [unrolled: 1-line block ×4, first 2 shown]
	s_waitcnt vmcnt(21)
	v_fma_f64 v[105:106], v[135:136], v[107:108], v[105:106]
	s_waitcnt vmcnt(20) lgkmcnt(0)
	v_fma_f64 v[105:106], v[129:130], v[109:110], v[105:106]
	buffer_load_dword v129, off, s[0:3], 0 offset:104
	buffer_load_dword v130, off, s[0:3], 0 offset:108
	s_waitcnt vmcnt(17)
	v_fma_f64 v[115:116], v[115:116], v[111:112], v[105:106]
	ds_read_b128 v[105:108], v104 offset:752
	ds_read_b128 v[109:112], v104 offset:768
	s_waitcnt vmcnt(16) lgkmcnt(1)
	v_fma_f64 v[105:106], v[123:124], v[105:106], v[115:116]
	s_waitcnt vmcnt(15)
	v_fma_f64 v[105:106], v[121:122], v[107:108], v[105:106]
	s_waitcnt vmcnt(14) lgkmcnt(0)
	v_fma_f64 v[105:106], v[117:118], v[109:110], v[105:106]
	s_waitcnt vmcnt(9)
	v_fma_f64 v[115:116], v[119:120], v[111:112], v[105:106]
	ds_read_b128 v[105:108], v104 offset:784
	ds_read_b128 v[109:112], v104 offset:800
	s_waitcnt vmcnt(8) lgkmcnt(1)
	v_fma_f64 v[105:106], v[133:134], v[105:106], v[115:116]
	s_waitcnt vmcnt(7)
	v_fma_f64 v[105:106], v[131:132], v[107:108], v[105:106]
	ds_read_b64 v[107:108], v104 offset:816
	s_waitcnt vmcnt(6) lgkmcnt(1)
	v_fma_f64 v[105:106], v[125:126], v[109:110], v[105:106]
	s_waitcnt vmcnt(3)
	v_fma_f64 v[105:106], v[113:114], v[111:112], v[105:106]
	s_waitcnt vmcnt(2) lgkmcnt(0)
	v_fma_f64 v[105:106], v[127:128], v[107:108], v[105:106]
	s_waitcnt vmcnt(0)
	v_add_f64 v[105:106], v[129:130], -v[105:106]
	buffer_store_dword v106, off, s[0:3], 0 offset:108
	buffer_store_dword v105, off, s[0:3], 0 offset:104
	s_and_saveexec_b64 s[4:5], vcc
	s_cbranch_execz .LBB114_289
; %bb.288:
	buffer_load_dword v105, off, s[0:3], 0 offset:96
	buffer_load_dword v106, off, s[0:3], 0 offset:100
	s_waitcnt vmcnt(0)
	ds_write_b64 v103, v[105:106]
	buffer_store_dword v104, off, s[0:3], 0 offset:96
	buffer_store_dword v104, off, s[0:3], 0 offset:100
.LBB114_289:
	s_or_b64 exec, exec, s[4:5]
	s_waitcnt lgkmcnt(0)
	; wave barrier
	buffer_load_dword v113, off, s[0:3], 0 offset:104
	buffer_load_dword v114, off, s[0:3], 0 offset:108
	buffer_load_dword v115, off, s[0:3], 0 offset:112
	buffer_load_dword v116, off, s[0:3], 0 offset:116
	buffer_load_dword v117, off, s[0:3], 0 offset:120
	buffer_load_dword v118, off, s[0:3], 0 offset:124
	buffer_load_dword v119, off, s[0:3], 0 offset:128
	buffer_load_dword v120, off, s[0:3], 0 offset:132
	buffer_load_dword v121, off, s[0:3], 0 offset:136
	buffer_load_dword v122, off, s[0:3], 0 offset:140
	buffer_load_dword v123, off, s[0:3], 0 offset:144
	buffer_load_dword v124, off, s[0:3], 0 offset:148
	buffer_load_dword v125, off, s[0:3], 0 offset:152
	buffer_load_dword v126, off, s[0:3], 0 offset:156
	buffer_load_dword v128, off, s[0:3], 0 offset:164
	buffer_load_dword v129, off, s[0:3], 0 offset:184
	buffer_load_dword v131, off, s[0:3], 0 offset:176
	buffer_load_dword v133, off, s[0:3], 0 offset:168
	buffer_load_dword v127, off, s[0:3], 0 offset:160
	buffer_load_dword v134, off, s[0:3], 0 offset:172
	buffer_load_dword v132, off, s[0:3], 0 offset:180
	buffer_load_dword v130, off, s[0:3], 0 offset:188
	ds_read2_b64 v[105:108], v104 offset0:65 offset1:66
	ds_read2_b64 v[109:112], v104 offset0:67 offset1:68
	v_cmp_lt_u32_e32 vcc, 11, v0
	s_waitcnt vmcnt(20) lgkmcnt(1)
	v_fma_f64 v[105:106], v[113:114], v[105:106], 0
	s_waitcnt vmcnt(18)
	v_fma_f64 v[105:106], v[115:116], v[107:108], v[105:106]
	buffer_load_dword v114, off, s[0:3], 0 offset:196
	buffer_load_dword v115, off, s[0:3], 0 offset:216
	;; [unrolled: 1-line block ×7, first 2 shown]
	s_waitcnt vmcnt(23) lgkmcnt(0)
	v_fma_f64 v[105:106], v[117:118], v[109:110], v[105:106]
	s_waitcnt vmcnt(21)
	v_fma_f64 v[116:117], v[119:120], v[111:112], v[105:106]
	ds_read2_b64 v[105:108], v104 offset0:69 offset1:70
	ds_read2_b64 v[109:112], v104 offset0:71 offset1:72
	s_waitcnt vmcnt(19) lgkmcnt(1)
	v_fma_f64 v[105:106], v[121:122], v[105:106], v[116:117]
	buffer_load_dword v116, off, s[0:3], 0 offset:220
	s_waitcnt vmcnt(18)
	v_fma_f64 v[105:106], v[123:124], v[107:108], v[105:106]
	buffer_load_dword v118, off, s[0:3], 0 offset:228
	buffer_load_dword v119, off, s[0:3], 0 offset:248
	;; [unrolled: 1-line block ×8, first 2 shown]
	s_waitcnt vmcnt(24) lgkmcnt(0)
	v_fma_f64 v[105:106], v[125:126], v[109:110], v[105:106]
	s_waitcnt vmcnt(19)
	v_fma_f64 v[125:126], v[127:128], v[111:112], v[105:106]
	ds_read2_b64 v[105:108], v104 offset0:73 offset1:74
	ds_read2_b64 v[109:112], v104 offset0:75 offset1:76
	s_waitcnt vmcnt(18) lgkmcnt(1)
	v_fma_f64 v[105:106], v[133:134], v[105:106], v[125:126]
	s_waitcnt vmcnt(17)
	v_fma_f64 v[105:106], v[131:132], v[107:108], v[105:106]
	buffer_load_dword v126, off, s[0:3], 0 offset:260
	buffer_load_dword v127, off, s[0:3], 0 offset:280
	;; [unrolled: 1-line block ×8, first 2 shown]
	s_waitcnt vmcnt(24) lgkmcnt(0)
	v_fma_f64 v[105:106], v[129:130], v[109:110], v[105:106]
	s_waitcnt vmcnt(19)
	v_fma_f64 v[113:114], v[113:114], v[111:112], v[105:106]
	ds_read2_b64 v[105:108], v104 offset0:77 offset1:78
	ds_read2_b64 v[109:112], v104 offset0:79 offset1:80
	s_waitcnt vmcnt(18) lgkmcnt(1)
	v_fma_f64 v[105:106], v[137:138], v[105:106], v[113:114]
	s_waitcnt vmcnt(17)
	v_fma_f64 v[105:106], v[135:136], v[107:108], v[105:106]
	buffer_load_dword v114, off, s[0:3], 0 offset:292
	buffer_load_dword v129, off, s[0:3], 0 offset:312
	buffer_load_dword v135, off, s[0:3], 0 offset:304
	buffer_load_dword v137, off, s[0:3], 0 offset:296
	buffer_load_dword v113, off, s[0:3], 0 offset:288
	buffer_load_dword v138, off, s[0:3], 0 offset:300
	buffer_load_dword v136, off, s[0:3], 0 offset:308
	s_waitcnt vmcnt(23) lgkmcnt(0)
	v_fma_f64 v[105:106], v[115:116], v[109:110], v[105:106]
	s_waitcnt vmcnt(18)
	v_fma_f64 v[115:116], v[117:118], v[111:112], v[105:106]
	ds_read2_b64 v[105:108], v104 offset0:81 offset1:82
	ds_read2_b64 v[109:112], v104 offset0:83 offset1:84
	buffer_load_dword v130, off, s[0:3], 0 offset:316
	s_waitcnt vmcnt(18) lgkmcnt(1)
	v_fma_f64 v[105:106], v[123:124], v[105:106], v[115:116]
	s_waitcnt vmcnt(17)
	v_fma_f64 v[105:106], v[121:122], v[107:108], v[105:106]
	buffer_load_dword v116, off, s[0:3], 0 offset:324
	buffer_load_dword v117, off, s[0:3], 0 offset:344
	;; [unrolled: 1-line block ×7, first 2 shown]
	s_waitcnt vmcnt(23) lgkmcnt(0)
	v_fma_f64 v[105:106], v[119:120], v[109:110], v[105:106]
	s_waitcnt vmcnt(18)
	v_fma_f64 v[118:119], v[125:126], v[111:112], v[105:106]
	ds_read2_b64 v[105:108], v104 offset0:85 offset1:86
	ds_read2_b64 v[109:112], v104 offset0:87 offset1:88
	s_waitcnt vmcnt(17) lgkmcnt(1)
	v_fma_f64 v[105:106], v[133:134], v[105:106], v[118:119]
	buffer_load_dword v118, off, s[0:3], 0 offset:348
	s_waitcnt vmcnt(17)
	v_fma_f64 v[105:106], v[131:132], v[107:108], v[105:106]
	buffer_load_dword v120, off, s[0:3], 0 offset:356
	buffer_load_dword v125, off, s[0:3], 0 offset:376
	;; [unrolled: 1-line block ×8, first 2 shown]
	s_waitcnt vmcnt(24) lgkmcnt(0)
	v_fma_f64 v[105:106], v[127:128], v[109:110], v[105:106]
	s_waitcnt vmcnt(19)
	v_fma_f64 v[113:114], v[113:114], v[111:112], v[105:106]
	ds_read2_b64 v[105:108], v104 offset0:89 offset1:90
	ds_read2_b64 v[109:112], v104 offset0:91 offset1:92
	s_waitcnt vmcnt(18) lgkmcnt(1)
	v_fma_f64 v[105:106], v[137:138], v[105:106], v[113:114]
	s_waitcnt vmcnt(17)
	v_fma_f64 v[105:106], v[135:136], v[107:108], v[105:106]
	buffer_load_dword v114, off, s[0:3], 0 offset:388
	buffer_load_dword v127, off, s[0:3], 0 offset:400
	;; [unrolled: 1-line block ×6, first 2 shown]
	s_waitcnt vmcnt(22) lgkmcnt(0)
	v_fma_f64 v[105:106], v[129:130], v[109:110], v[105:106]
	s_waitcnt vmcnt(17)
	v_fma_f64 v[115:116], v[115:116], v[111:112], v[105:106]
	ds_read2_b64 v[105:108], v104 offset0:93 offset1:94
	buffer_load_dword v129, off, s[0:3], 0 offset:96
	buffer_load_dword v130, off, s[0:3], 0 offset:100
	ds_read2_b64 v[109:112], v104 offset0:95 offset1:96
	s_waitcnt vmcnt(18) lgkmcnt(1)
	v_fma_f64 v[105:106], v[123:124], v[105:106], v[115:116]
	s_waitcnt vmcnt(17)
	v_fma_f64 v[105:106], v[121:122], v[107:108], v[105:106]
	s_waitcnt vmcnt(16) lgkmcnt(0)
	v_fma_f64 v[105:106], v[117:118], v[109:110], v[105:106]
	s_waitcnt vmcnt(11)
	v_fma_f64 v[115:116], v[119:120], v[111:112], v[105:106]
	ds_read2_b64 v[105:108], v104 offset0:97 offset1:98
	ds_read2_b64 v[109:112], v104 offset0:99 offset1:100
	s_waitcnt vmcnt(10) lgkmcnt(1)
	v_fma_f64 v[105:106], v[133:134], v[105:106], v[115:116]
	s_waitcnt vmcnt(9)
	v_fma_f64 v[105:106], v[131:132], v[107:108], v[105:106]
	s_waitcnt vmcnt(8) lgkmcnt(0)
	v_fma_f64 v[105:106], v[125:126], v[109:110], v[105:106]
	s_waitcnt vmcnt(4)
	v_fma_f64 v[108:109], v[113:114], v[111:112], v[105:106]
	ds_read2_b64 v[104:107], v104 offset0:101 offset1:102
	s_waitcnt vmcnt(3) lgkmcnt(0)
	v_fma_f64 v[104:105], v[135:136], v[104:105], v[108:109]
	s_waitcnt vmcnt(2)
	v_fma_f64 v[104:105], v[127:128], v[106:107], v[104:105]
	s_waitcnt vmcnt(0)
	v_add_f64 v[104:105], v[129:130], -v[104:105]
	buffer_store_dword v105, off, s[0:3], 0 offset:100
	buffer_store_dword v104, off, s[0:3], 0 offset:96
	s_and_saveexec_b64 s[4:5], vcc
	s_cbranch_execz .LBB114_291
; %bb.290:
	buffer_load_dword v104, off, s[0:3], 0 offset:88
	buffer_load_dword v105, off, s[0:3], 0 offset:92
	v_mov_b32_e32 v106, 0
	buffer_store_dword v106, off, s[0:3], 0 offset:88
	buffer_store_dword v106, off, s[0:3], 0 offset:92
	s_waitcnt vmcnt(2)
	ds_write_b64 v103, v[104:105]
.LBB114_291:
	s_or_b64 exec, exec, s[4:5]
	s_waitcnt lgkmcnt(0)
	; wave barrier
	buffer_load_dword v113, off, s[0:3], 0 offset:96
	buffer_load_dword v114, off, s[0:3], 0 offset:100
	;; [unrolled: 1-line block ×22, first 2 shown]
	v_mov_b32_e32 v104, 0
	ds_read_b128 v[105:108], v104 offset:512
	ds_read_b128 v[109:112], v104 offset:528
	v_cmp_lt_u32_e32 vcc, 10, v0
	s_waitcnt vmcnt(20) lgkmcnt(1)
	v_fma_f64 v[105:106], v[113:114], v[105:106], 0
	s_waitcnt vmcnt(18)
	v_fma_f64 v[105:106], v[115:116], v[107:108], v[105:106]
	buffer_load_dword v114, off, s[0:3], 0 offset:188
	buffer_load_dword v115, off, s[0:3], 0 offset:208
	buffer_load_dword v135, off, s[0:3], 0 offset:200
	buffer_load_dword v137, off, s[0:3], 0 offset:192
	buffer_load_dword v113, off, s[0:3], 0 offset:184
	buffer_load_dword v138, off, s[0:3], 0 offset:196
	buffer_load_dword v136, off, s[0:3], 0 offset:204
	s_waitcnt vmcnt(23) lgkmcnt(0)
	v_fma_f64 v[105:106], v[117:118], v[109:110], v[105:106]
	s_waitcnt vmcnt(21)
	v_fma_f64 v[116:117], v[119:120], v[111:112], v[105:106]
	ds_read_b128 v[105:108], v104 offset:544
	ds_read_b128 v[109:112], v104 offset:560
	s_waitcnt vmcnt(19) lgkmcnt(1)
	v_fma_f64 v[105:106], v[121:122], v[105:106], v[116:117]
	buffer_load_dword v116, off, s[0:3], 0 offset:212
	s_waitcnt vmcnt(18)
	v_fma_f64 v[105:106], v[123:124], v[107:108], v[105:106]
	buffer_load_dword v118, off, s[0:3], 0 offset:220
	buffer_load_dword v119, off, s[0:3], 0 offset:240
	buffer_load_dword v121, off, s[0:3], 0 offset:232
	buffer_load_dword v123, off, s[0:3], 0 offset:224
	buffer_load_dword v117, off, s[0:3], 0 offset:216
	buffer_load_dword v124, off, s[0:3], 0 offset:228
	buffer_load_dword v122, off, s[0:3], 0 offset:236
	buffer_load_dword v120, off, s[0:3], 0 offset:244
	s_waitcnt vmcnt(24) lgkmcnt(0)
	v_fma_f64 v[105:106], v[125:126], v[109:110], v[105:106]
	s_waitcnt vmcnt(19)
	v_fma_f64 v[125:126], v[127:128], v[111:112], v[105:106]
	ds_read_b128 v[105:108], v104 offset:576
	ds_read_b128 v[109:112], v104 offset:592
	s_waitcnt vmcnt(18) lgkmcnt(1)
	v_fma_f64 v[105:106], v[133:134], v[105:106], v[125:126]
	s_waitcnt vmcnt(17)
	v_fma_f64 v[105:106], v[131:132], v[107:108], v[105:106]
	buffer_load_dword v126, off, s[0:3], 0 offset:252
	buffer_load_dword v127, off, s[0:3], 0 offset:272
	;; [unrolled: 1-line block ×8, first 2 shown]
	s_waitcnt vmcnt(24) lgkmcnt(0)
	v_fma_f64 v[105:106], v[129:130], v[109:110], v[105:106]
	s_waitcnt vmcnt(19)
	v_fma_f64 v[113:114], v[113:114], v[111:112], v[105:106]
	ds_read_b128 v[105:108], v104 offset:608
	ds_read_b128 v[109:112], v104 offset:624
	s_waitcnt vmcnt(18) lgkmcnt(1)
	v_fma_f64 v[105:106], v[137:138], v[105:106], v[113:114]
	s_waitcnt vmcnt(17)
	v_fma_f64 v[105:106], v[135:136], v[107:108], v[105:106]
	buffer_load_dword v114, off, s[0:3], 0 offset:284
	buffer_load_dword v129, off, s[0:3], 0 offset:304
	;; [unrolled: 1-line block ×7, first 2 shown]
	s_waitcnt vmcnt(23) lgkmcnt(0)
	v_fma_f64 v[105:106], v[115:116], v[109:110], v[105:106]
	s_waitcnt vmcnt(18)
	v_fma_f64 v[115:116], v[117:118], v[111:112], v[105:106]
	ds_read_b128 v[105:108], v104 offset:640
	ds_read_b128 v[109:112], v104 offset:656
	buffer_load_dword v130, off, s[0:3], 0 offset:308
	s_waitcnt vmcnt(18) lgkmcnt(1)
	v_fma_f64 v[105:106], v[123:124], v[105:106], v[115:116]
	s_waitcnt vmcnt(17)
	v_fma_f64 v[105:106], v[121:122], v[107:108], v[105:106]
	buffer_load_dword v116, off, s[0:3], 0 offset:316
	buffer_load_dword v117, off, s[0:3], 0 offset:336
	;; [unrolled: 1-line block ×7, first 2 shown]
	s_waitcnt vmcnt(23) lgkmcnt(0)
	v_fma_f64 v[105:106], v[119:120], v[109:110], v[105:106]
	s_waitcnt vmcnt(18)
	v_fma_f64 v[118:119], v[125:126], v[111:112], v[105:106]
	ds_read_b128 v[105:108], v104 offset:672
	ds_read_b128 v[109:112], v104 offset:688
	s_waitcnt vmcnt(17) lgkmcnt(1)
	v_fma_f64 v[105:106], v[133:134], v[105:106], v[118:119]
	buffer_load_dword v118, off, s[0:3], 0 offset:340
	s_waitcnt vmcnt(17)
	v_fma_f64 v[105:106], v[131:132], v[107:108], v[105:106]
	buffer_load_dword v120, off, s[0:3], 0 offset:348
	buffer_load_dword v125, off, s[0:3], 0 offset:368
	;; [unrolled: 1-line block ×8, first 2 shown]
	s_waitcnt vmcnt(24) lgkmcnt(0)
	v_fma_f64 v[105:106], v[127:128], v[109:110], v[105:106]
	s_waitcnt vmcnt(19)
	v_fma_f64 v[113:114], v[113:114], v[111:112], v[105:106]
	ds_read_b128 v[105:108], v104 offset:704
	ds_read_b128 v[109:112], v104 offset:720
	s_waitcnt vmcnt(18) lgkmcnt(1)
	v_fma_f64 v[105:106], v[137:138], v[105:106], v[113:114]
	s_waitcnt vmcnt(17)
	v_fma_f64 v[105:106], v[135:136], v[107:108], v[105:106]
	buffer_load_dword v114, off, s[0:3], 0 offset:380
	buffer_load_dword v127, off, s[0:3], 0 offset:400
	;; [unrolled: 1-line block ×8, first 2 shown]
	s_waitcnt vmcnt(24) lgkmcnt(0)
	v_fma_f64 v[105:106], v[129:130], v[109:110], v[105:106]
	s_waitcnt vmcnt(19)
	v_fma_f64 v[115:116], v[115:116], v[111:112], v[105:106]
	ds_read_b128 v[105:108], v104 offset:736
	ds_read_b128 v[109:112], v104 offset:752
	s_waitcnt vmcnt(18) lgkmcnt(1)
	v_fma_f64 v[105:106], v[123:124], v[105:106], v[115:116]
	buffer_load_dword v115, off, s[0:3], 0 offset:88
	buffer_load_dword v116, off, s[0:3], 0 offset:92
	s_waitcnt vmcnt(19)
	v_fma_f64 v[105:106], v[121:122], v[107:108], v[105:106]
	s_waitcnt vmcnt(18) lgkmcnt(0)
	v_fma_f64 v[105:106], v[117:118], v[109:110], v[105:106]
	s_waitcnt vmcnt(13)
	v_fma_f64 v[117:118], v[119:120], v[111:112], v[105:106]
	ds_read_b128 v[105:108], v104 offset:768
	ds_read_b128 v[109:112], v104 offset:784
	s_waitcnt vmcnt(12) lgkmcnt(1)
	v_fma_f64 v[105:106], v[133:134], v[105:106], v[117:118]
	s_waitcnt vmcnt(11)
	v_fma_f64 v[105:106], v[131:132], v[107:108], v[105:106]
	s_waitcnt vmcnt(10) lgkmcnt(0)
	v_fma_f64 v[105:106], v[125:126], v[109:110], v[105:106]
	s_waitcnt vmcnt(5)
	v_fma_f64 v[109:110], v[113:114], v[111:112], v[105:106]
	ds_read_b128 v[105:108], v104 offset:800
	ds_read_b64 v[111:112], v104 offset:816
	s_waitcnt vmcnt(4) lgkmcnt(1)
	v_fma_f64 v[105:106], v[137:138], v[105:106], v[109:110]
	s_waitcnt vmcnt(3)
	v_fma_f64 v[105:106], v[135:136], v[107:108], v[105:106]
	s_waitcnt vmcnt(2) lgkmcnt(0)
	v_fma_f64 v[105:106], v[127:128], v[111:112], v[105:106]
	s_waitcnt vmcnt(0)
	v_add_f64 v[105:106], v[115:116], -v[105:106]
	buffer_store_dword v106, off, s[0:3], 0 offset:92
	buffer_store_dword v105, off, s[0:3], 0 offset:88
	s_and_saveexec_b64 s[4:5], vcc
	s_cbranch_execz .LBB114_293
; %bb.292:
	buffer_load_dword v105, off, s[0:3], 0 offset:80
	buffer_load_dword v106, off, s[0:3], 0 offset:84
	s_waitcnt vmcnt(0)
	ds_write_b64 v103, v[105:106]
	buffer_store_dword v104, off, s[0:3], 0 offset:80
	buffer_store_dword v104, off, s[0:3], 0 offset:84
.LBB114_293:
	s_or_b64 exec, exec, s[4:5]
	s_waitcnt lgkmcnt(0)
	; wave barrier
	buffer_load_dword v113, off, s[0:3], 0 offset:88
	buffer_load_dword v114, off, s[0:3], 0 offset:92
	;; [unrolled: 1-line block ×22, first 2 shown]
	ds_read2_b64 v[105:108], v104 offset0:63 offset1:64
	ds_read2_b64 v[109:112], v104 offset0:65 offset1:66
	v_cmp_lt_u32_e32 vcc, 9, v0
	s_waitcnt vmcnt(20) lgkmcnt(1)
	v_fma_f64 v[105:106], v[113:114], v[105:106], 0
	s_waitcnt vmcnt(18)
	v_fma_f64 v[105:106], v[115:116], v[107:108], v[105:106]
	buffer_load_dword v114, off, s[0:3], 0 offset:180
	buffer_load_dword v115, off, s[0:3], 0 offset:200
	;; [unrolled: 1-line block ×7, first 2 shown]
	s_waitcnt vmcnt(23) lgkmcnt(0)
	v_fma_f64 v[105:106], v[117:118], v[109:110], v[105:106]
	s_waitcnt vmcnt(21)
	v_fma_f64 v[116:117], v[119:120], v[111:112], v[105:106]
	ds_read2_b64 v[105:108], v104 offset0:67 offset1:68
	ds_read2_b64 v[109:112], v104 offset0:69 offset1:70
	s_waitcnt vmcnt(19) lgkmcnt(1)
	v_fma_f64 v[105:106], v[121:122], v[105:106], v[116:117]
	buffer_load_dword v116, off, s[0:3], 0 offset:204
	s_waitcnt vmcnt(18)
	v_fma_f64 v[105:106], v[123:124], v[107:108], v[105:106]
	buffer_load_dword v118, off, s[0:3], 0 offset:212
	buffer_load_dword v119, off, s[0:3], 0 offset:232
	;; [unrolled: 1-line block ×8, first 2 shown]
	s_waitcnt vmcnt(24) lgkmcnt(0)
	v_fma_f64 v[105:106], v[125:126], v[109:110], v[105:106]
	s_waitcnt vmcnt(19)
	v_fma_f64 v[125:126], v[127:128], v[111:112], v[105:106]
	ds_read2_b64 v[105:108], v104 offset0:71 offset1:72
	ds_read2_b64 v[109:112], v104 offset0:73 offset1:74
	s_waitcnt vmcnt(18) lgkmcnt(1)
	v_fma_f64 v[105:106], v[133:134], v[105:106], v[125:126]
	s_waitcnt vmcnt(17)
	v_fma_f64 v[105:106], v[131:132], v[107:108], v[105:106]
	buffer_load_dword v126, off, s[0:3], 0 offset:244
	buffer_load_dword v127, off, s[0:3], 0 offset:264
	;; [unrolled: 1-line block ×8, first 2 shown]
	s_waitcnt vmcnt(24) lgkmcnt(0)
	v_fma_f64 v[105:106], v[129:130], v[109:110], v[105:106]
	s_waitcnt vmcnt(19)
	v_fma_f64 v[113:114], v[113:114], v[111:112], v[105:106]
	ds_read2_b64 v[105:108], v104 offset0:75 offset1:76
	ds_read2_b64 v[109:112], v104 offset0:77 offset1:78
	s_waitcnt vmcnt(18) lgkmcnt(1)
	v_fma_f64 v[105:106], v[137:138], v[105:106], v[113:114]
	s_waitcnt vmcnt(17)
	v_fma_f64 v[105:106], v[135:136], v[107:108], v[105:106]
	buffer_load_dword v114, off, s[0:3], 0 offset:276
	buffer_load_dword v129, off, s[0:3], 0 offset:296
	;; [unrolled: 1-line block ×7, first 2 shown]
	s_waitcnt vmcnt(23) lgkmcnt(0)
	v_fma_f64 v[105:106], v[115:116], v[109:110], v[105:106]
	s_waitcnt vmcnt(18)
	v_fma_f64 v[115:116], v[117:118], v[111:112], v[105:106]
	ds_read2_b64 v[105:108], v104 offset0:79 offset1:80
	ds_read2_b64 v[109:112], v104 offset0:81 offset1:82
	buffer_load_dword v130, off, s[0:3], 0 offset:300
	s_waitcnt vmcnt(18) lgkmcnt(1)
	v_fma_f64 v[105:106], v[123:124], v[105:106], v[115:116]
	s_waitcnt vmcnt(17)
	v_fma_f64 v[105:106], v[121:122], v[107:108], v[105:106]
	buffer_load_dword v116, off, s[0:3], 0 offset:308
	buffer_load_dword v117, off, s[0:3], 0 offset:328
	buffer_load_dword v121, off, s[0:3], 0 offset:320
	buffer_load_dword v123, off, s[0:3], 0 offset:312
	buffer_load_dword v115, off, s[0:3], 0 offset:304
	buffer_load_dword v124, off, s[0:3], 0 offset:316
	buffer_load_dword v122, off, s[0:3], 0 offset:324
	s_waitcnt vmcnt(23) lgkmcnt(0)
	v_fma_f64 v[105:106], v[119:120], v[109:110], v[105:106]
	s_waitcnt vmcnt(18)
	v_fma_f64 v[118:119], v[125:126], v[111:112], v[105:106]
	ds_read2_b64 v[105:108], v104 offset0:83 offset1:84
	ds_read2_b64 v[109:112], v104 offset0:85 offset1:86
	s_waitcnt vmcnt(17) lgkmcnt(1)
	v_fma_f64 v[105:106], v[133:134], v[105:106], v[118:119]
	buffer_load_dword v118, off, s[0:3], 0 offset:332
	s_waitcnt vmcnt(17)
	v_fma_f64 v[105:106], v[131:132], v[107:108], v[105:106]
	buffer_load_dword v120, off, s[0:3], 0 offset:340
	buffer_load_dword v125, off, s[0:3], 0 offset:360
	;; [unrolled: 1-line block ×8, first 2 shown]
	s_waitcnt vmcnt(24) lgkmcnt(0)
	v_fma_f64 v[105:106], v[127:128], v[109:110], v[105:106]
	s_waitcnt vmcnt(19)
	v_fma_f64 v[113:114], v[113:114], v[111:112], v[105:106]
	ds_read2_b64 v[105:108], v104 offset0:87 offset1:88
	ds_read2_b64 v[109:112], v104 offset0:89 offset1:90
	s_waitcnt vmcnt(18) lgkmcnt(1)
	v_fma_f64 v[105:106], v[137:138], v[105:106], v[113:114]
	s_waitcnt vmcnt(17)
	v_fma_f64 v[105:106], v[135:136], v[107:108], v[105:106]
	buffer_load_dword v114, off, s[0:3], 0 offset:372
	buffer_load_dword v127, off, s[0:3], 0 offset:392
	;; [unrolled: 1-line block ×8, first 2 shown]
	s_waitcnt vmcnt(24) lgkmcnt(0)
	v_fma_f64 v[105:106], v[129:130], v[109:110], v[105:106]
	s_waitcnt vmcnt(19)
	v_fma_f64 v[115:116], v[115:116], v[111:112], v[105:106]
	ds_read2_b64 v[105:108], v104 offset0:91 offset1:92
	ds_read2_b64 v[109:112], v104 offset0:93 offset1:94
	s_waitcnt vmcnt(18) lgkmcnt(1)
	v_fma_f64 v[105:106], v[123:124], v[105:106], v[115:116]
	buffer_load_dword v116, off, s[0:3], 0 offset:404
	buffer_load_dword v115, off, s[0:3], 0 offset:400
	s_waitcnt vmcnt(19)
	v_fma_f64 v[105:106], v[121:122], v[107:108], v[105:106]
	buffer_load_dword v121, off, s[0:3], 0 offset:80
	buffer_load_dword v122, off, s[0:3], 0 offset:84
	s_waitcnt vmcnt(20) lgkmcnt(0)
	v_fma_f64 v[105:106], v[117:118], v[109:110], v[105:106]
	s_waitcnt vmcnt(15)
	v_fma_f64 v[117:118], v[119:120], v[111:112], v[105:106]
	ds_read2_b64 v[105:108], v104 offset0:95 offset1:96
	ds_read2_b64 v[109:112], v104 offset0:97 offset1:98
	s_waitcnt vmcnt(14) lgkmcnt(1)
	v_fma_f64 v[105:106], v[133:134], v[105:106], v[117:118]
	s_waitcnt vmcnt(13)
	v_fma_f64 v[105:106], v[131:132], v[107:108], v[105:106]
	s_waitcnt vmcnt(12) lgkmcnt(0)
	v_fma_f64 v[105:106], v[125:126], v[109:110], v[105:106]
	s_waitcnt vmcnt(7)
	v_fma_f64 v[113:114], v[113:114], v[111:112], v[105:106]
	ds_read2_b64 v[105:108], v104 offset0:99 offset1:100
	ds_read2_b64 v[109:112], v104 offset0:101 offset1:102
	s_waitcnt vmcnt(6) lgkmcnt(1)
	v_fma_f64 v[104:105], v[137:138], v[105:106], v[113:114]
	s_waitcnt vmcnt(5)
	v_fma_f64 v[104:105], v[135:136], v[107:108], v[104:105]
	s_waitcnt vmcnt(4) lgkmcnt(0)
	v_fma_f64 v[104:105], v[127:128], v[109:110], v[104:105]
	s_waitcnt vmcnt(2)
	v_fma_f64 v[104:105], v[115:116], v[111:112], v[104:105]
	s_waitcnt vmcnt(0)
	v_add_f64 v[104:105], v[121:122], -v[104:105]
	buffer_store_dword v105, off, s[0:3], 0 offset:84
	buffer_store_dword v104, off, s[0:3], 0 offset:80
	s_and_saveexec_b64 s[4:5], vcc
	s_cbranch_execz .LBB114_295
; %bb.294:
	buffer_load_dword v104, off, s[0:3], 0 offset:72
	buffer_load_dword v105, off, s[0:3], 0 offset:76
	v_mov_b32_e32 v106, 0
	buffer_store_dword v106, off, s[0:3], 0 offset:72
	buffer_store_dword v106, off, s[0:3], 0 offset:76
	s_waitcnt vmcnt(2)
	ds_write_b64 v103, v[104:105]
.LBB114_295:
	s_or_b64 exec, exec, s[4:5]
	s_waitcnt lgkmcnt(0)
	; wave barrier
	buffer_load_dword v113, off, s[0:3], 0 offset:80
	buffer_load_dword v114, off, s[0:3], 0 offset:84
	;; [unrolled: 1-line block ×22, first 2 shown]
	v_mov_b32_e32 v104, 0
	ds_read_b128 v[105:108], v104 offset:496
	ds_read_b128 v[109:112], v104 offset:512
	v_cmp_lt_u32_e32 vcc, 8, v0
	s_waitcnt vmcnt(20) lgkmcnt(1)
	v_fma_f64 v[105:106], v[113:114], v[105:106], 0
	s_waitcnt vmcnt(18)
	v_fma_f64 v[105:106], v[115:116], v[107:108], v[105:106]
	buffer_load_dword v114, off, s[0:3], 0 offset:172
	buffer_load_dword v115, off, s[0:3], 0 offset:192
	;; [unrolled: 1-line block ×7, first 2 shown]
	s_waitcnt vmcnt(23) lgkmcnt(0)
	v_fma_f64 v[105:106], v[117:118], v[109:110], v[105:106]
	s_waitcnt vmcnt(21)
	v_fma_f64 v[116:117], v[119:120], v[111:112], v[105:106]
	ds_read_b128 v[105:108], v104 offset:528
	ds_read_b128 v[109:112], v104 offset:544
	s_waitcnt vmcnt(19) lgkmcnt(1)
	v_fma_f64 v[105:106], v[121:122], v[105:106], v[116:117]
	buffer_load_dword v116, off, s[0:3], 0 offset:196
	s_waitcnt vmcnt(18)
	v_fma_f64 v[105:106], v[123:124], v[107:108], v[105:106]
	buffer_load_dword v118, off, s[0:3], 0 offset:204
	buffer_load_dword v119, off, s[0:3], 0 offset:224
	;; [unrolled: 1-line block ×7, first 2 shown]
	s_waitcnt vmcnt(23) lgkmcnt(0)
	v_fma_f64 v[105:106], v[125:126], v[109:110], v[105:106]
	s_waitcnt vmcnt(18)
	v_fma_f64 v[125:126], v[127:128], v[111:112], v[105:106]
	ds_read_b128 v[105:108], v104 offset:560
	ds_read_b128 v[109:112], v104 offset:576
	buffer_load_dword v120, off, s[0:3], 0 offset:228
	s_waitcnt vmcnt(18) lgkmcnt(1)
	v_fma_f64 v[105:106], v[133:134], v[105:106], v[125:126]
	s_waitcnt vmcnt(17)
	v_fma_f64 v[105:106], v[131:132], v[107:108], v[105:106]
	buffer_load_dword v126, off, s[0:3], 0 offset:236
	buffer_load_dword v127, off, s[0:3], 0 offset:256
	;; [unrolled: 1-line block ×8, first 2 shown]
	s_waitcnt vmcnt(24) lgkmcnt(0)
	v_fma_f64 v[105:106], v[129:130], v[109:110], v[105:106]
	s_waitcnt vmcnt(19)
	v_fma_f64 v[113:114], v[113:114], v[111:112], v[105:106]
	ds_read_b128 v[105:108], v104 offset:592
	ds_read_b128 v[109:112], v104 offset:608
	s_waitcnt vmcnt(18) lgkmcnt(1)
	v_fma_f64 v[105:106], v[137:138], v[105:106], v[113:114]
	s_waitcnt vmcnt(17)
	v_fma_f64 v[105:106], v[135:136], v[107:108], v[105:106]
	buffer_load_dword v114, off, s[0:3], 0 offset:268
	buffer_load_dword v129, off, s[0:3], 0 offset:288
	buffer_load_dword v135, off, s[0:3], 0 offset:280
	buffer_load_dword v137, off, s[0:3], 0 offset:272
	buffer_load_dword v113, off, s[0:3], 0 offset:264
	buffer_load_dword v138, off, s[0:3], 0 offset:276
	buffer_load_dword v136, off, s[0:3], 0 offset:284
	s_waitcnt vmcnt(23) lgkmcnt(0)
	v_fma_f64 v[105:106], v[115:116], v[109:110], v[105:106]
	s_waitcnt vmcnt(18)
	v_fma_f64 v[115:116], v[117:118], v[111:112], v[105:106]
	ds_read_b128 v[105:108], v104 offset:624
	ds_read_b128 v[109:112], v104 offset:640
	buffer_load_dword v130, off, s[0:3], 0 offset:292
	s_waitcnt vmcnt(18) lgkmcnt(1)
	v_fma_f64 v[105:106], v[123:124], v[105:106], v[115:116]
	s_waitcnt vmcnt(17)
	v_fma_f64 v[105:106], v[121:122], v[107:108], v[105:106]
	buffer_load_dword v116, off, s[0:3], 0 offset:300
	buffer_load_dword v117, off, s[0:3], 0 offset:320
	;; [unrolled: 1-line block ×7, first 2 shown]
	s_waitcnt vmcnt(23) lgkmcnt(0)
	v_fma_f64 v[105:106], v[119:120], v[109:110], v[105:106]
	s_waitcnt vmcnt(18)
	v_fma_f64 v[118:119], v[125:126], v[111:112], v[105:106]
	ds_read_b128 v[105:108], v104 offset:656
	ds_read_b128 v[109:112], v104 offset:672
	s_waitcnt vmcnt(17) lgkmcnt(1)
	v_fma_f64 v[105:106], v[133:134], v[105:106], v[118:119]
	buffer_load_dword v118, off, s[0:3], 0 offset:324
	s_waitcnt vmcnt(17)
	v_fma_f64 v[105:106], v[131:132], v[107:108], v[105:106]
	buffer_load_dword v120, off, s[0:3], 0 offset:332
	buffer_load_dword v125, off, s[0:3], 0 offset:352
	;; [unrolled: 1-line block ×8, first 2 shown]
	s_waitcnt vmcnt(24) lgkmcnt(0)
	v_fma_f64 v[105:106], v[127:128], v[109:110], v[105:106]
	s_waitcnt vmcnt(19)
	v_fma_f64 v[113:114], v[113:114], v[111:112], v[105:106]
	ds_read_b128 v[105:108], v104 offset:688
	ds_read_b128 v[109:112], v104 offset:704
	s_waitcnt vmcnt(18) lgkmcnt(1)
	v_fma_f64 v[105:106], v[137:138], v[105:106], v[113:114]
	s_waitcnt vmcnt(17)
	v_fma_f64 v[105:106], v[135:136], v[107:108], v[105:106]
	buffer_load_dword v114, off, s[0:3], 0 offset:364
	buffer_load_dword v127, off, s[0:3], 0 offset:384
	;; [unrolled: 1-line block ×7, first 2 shown]
	s_waitcnt vmcnt(23) lgkmcnt(0)
	v_fma_f64 v[105:106], v[129:130], v[109:110], v[105:106]
	s_waitcnt vmcnt(18)
	v_fma_f64 v[115:116], v[115:116], v[111:112], v[105:106]
	ds_read_b128 v[105:108], v104 offset:720
	ds_read_b128 v[109:112], v104 offset:736
	buffer_load_dword v128, off, s[0:3], 0 offset:388
	s_waitcnt vmcnt(18) lgkmcnt(1)
	v_fma_f64 v[105:106], v[123:124], v[105:106], v[115:116]
	s_waitcnt vmcnt(17)
	v_fma_f64 v[105:106], v[121:122], v[107:108], v[105:106]
	buffer_load_dword v116, off, s[0:3], 0 offset:396
	buffer_load_dword v121, off, s[0:3], 0 offset:400
	;; [unrolled: 1-line block ×4, first 2 shown]
	s_waitcnt vmcnt(20) lgkmcnt(0)
	v_fma_f64 v[105:106], v[117:118], v[109:110], v[105:106]
	buffer_load_dword v117, off, s[0:3], 0 offset:72
	buffer_load_dword v118, off, s[0:3], 0 offset:76
	s_waitcnt vmcnt(17)
	v_fma_f64 v[119:120], v[119:120], v[111:112], v[105:106]
	ds_read_b128 v[105:108], v104 offset:752
	ds_read_b128 v[109:112], v104 offset:768
	s_waitcnt vmcnt(16) lgkmcnt(1)
	v_fma_f64 v[105:106], v[133:134], v[105:106], v[119:120]
	s_waitcnt vmcnt(15)
	v_fma_f64 v[105:106], v[131:132], v[107:108], v[105:106]
	s_waitcnt vmcnt(14) lgkmcnt(0)
	v_fma_f64 v[105:106], v[125:126], v[109:110], v[105:106]
	s_waitcnt vmcnt(9)
	v_fma_f64 v[113:114], v[113:114], v[111:112], v[105:106]
	ds_read_b128 v[105:108], v104 offset:784
	ds_read_b128 v[109:112], v104 offset:800
	s_waitcnt vmcnt(8) lgkmcnt(1)
	v_fma_f64 v[105:106], v[137:138], v[105:106], v[113:114]
	s_waitcnt vmcnt(7)
	v_fma_f64 v[105:106], v[135:136], v[107:108], v[105:106]
	ds_read_b64 v[107:108], v104 offset:816
	s_waitcnt vmcnt(6) lgkmcnt(1)
	v_fma_f64 v[105:106], v[127:128], v[109:110], v[105:106]
	s_waitcnt vmcnt(3)
	v_fma_f64 v[105:106], v[115:116], v[111:112], v[105:106]
	s_waitcnt vmcnt(2) lgkmcnt(0)
	v_fma_f64 v[105:106], v[121:122], v[107:108], v[105:106]
	s_waitcnt vmcnt(0)
	v_add_f64 v[105:106], v[117:118], -v[105:106]
	buffer_store_dword v106, off, s[0:3], 0 offset:76
	buffer_store_dword v105, off, s[0:3], 0 offset:72
	s_and_saveexec_b64 s[4:5], vcc
	s_cbranch_execz .LBB114_297
; %bb.296:
	buffer_load_dword v105, off, s[0:3], 0 offset:64
	buffer_load_dword v106, off, s[0:3], 0 offset:68
	s_waitcnt vmcnt(0)
	ds_write_b64 v103, v[105:106]
	buffer_store_dword v104, off, s[0:3], 0 offset:64
	buffer_store_dword v104, off, s[0:3], 0 offset:68
.LBB114_297:
	s_or_b64 exec, exec, s[4:5]
	s_waitcnt lgkmcnt(0)
	; wave barrier
	buffer_load_dword v113, off, s[0:3], 0 offset:72
	buffer_load_dword v114, off, s[0:3], 0 offset:76
	;; [unrolled: 1-line block ×22, first 2 shown]
	ds_read2_b64 v[105:108], v104 offset0:61 offset1:62
	ds_read2_b64 v[109:112], v104 offset0:63 offset1:64
	v_cmp_lt_u32_e32 vcc, 7, v0
	s_waitcnt vmcnt(20) lgkmcnt(1)
	v_fma_f64 v[105:106], v[113:114], v[105:106], 0
	s_waitcnt vmcnt(18)
	v_fma_f64 v[105:106], v[115:116], v[107:108], v[105:106]
	buffer_load_dword v114, off, s[0:3], 0 offset:164
	buffer_load_dword v115, off, s[0:3], 0 offset:184
	;; [unrolled: 1-line block ×7, first 2 shown]
	s_waitcnt vmcnt(23) lgkmcnt(0)
	v_fma_f64 v[105:106], v[117:118], v[109:110], v[105:106]
	s_waitcnt vmcnt(21)
	v_fma_f64 v[116:117], v[119:120], v[111:112], v[105:106]
	ds_read2_b64 v[105:108], v104 offset0:65 offset1:66
	ds_read2_b64 v[109:112], v104 offset0:67 offset1:68
	s_waitcnt vmcnt(19) lgkmcnt(1)
	v_fma_f64 v[105:106], v[121:122], v[105:106], v[116:117]
	buffer_load_dword v116, off, s[0:3], 0 offset:188
	s_waitcnt vmcnt(18)
	v_fma_f64 v[105:106], v[123:124], v[107:108], v[105:106]
	buffer_load_dword v118, off, s[0:3], 0 offset:196
	buffer_load_dword v119, off, s[0:3], 0 offset:216
	;; [unrolled: 1-line block ×7, first 2 shown]
	s_waitcnt vmcnt(23) lgkmcnt(0)
	v_fma_f64 v[105:106], v[125:126], v[109:110], v[105:106]
	s_waitcnt vmcnt(18)
	v_fma_f64 v[125:126], v[127:128], v[111:112], v[105:106]
	ds_read2_b64 v[105:108], v104 offset0:69 offset1:70
	ds_read2_b64 v[109:112], v104 offset0:71 offset1:72
	buffer_load_dword v120, off, s[0:3], 0 offset:220
	s_waitcnt vmcnt(18) lgkmcnt(1)
	v_fma_f64 v[105:106], v[133:134], v[105:106], v[125:126]
	s_waitcnt vmcnt(17)
	v_fma_f64 v[105:106], v[131:132], v[107:108], v[105:106]
	buffer_load_dword v126, off, s[0:3], 0 offset:228
	buffer_load_dword v127, off, s[0:3], 0 offset:248
	;; [unrolled: 1-line block ×8, first 2 shown]
	s_waitcnt vmcnt(24) lgkmcnt(0)
	v_fma_f64 v[105:106], v[129:130], v[109:110], v[105:106]
	s_waitcnt vmcnt(19)
	v_fma_f64 v[113:114], v[113:114], v[111:112], v[105:106]
	ds_read2_b64 v[105:108], v104 offset0:73 offset1:74
	ds_read2_b64 v[109:112], v104 offset0:75 offset1:76
	s_waitcnt vmcnt(18) lgkmcnt(1)
	v_fma_f64 v[105:106], v[137:138], v[105:106], v[113:114]
	s_waitcnt vmcnt(17)
	v_fma_f64 v[105:106], v[135:136], v[107:108], v[105:106]
	buffer_load_dword v114, off, s[0:3], 0 offset:260
	buffer_load_dword v129, off, s[0:3], 0 offset:280
	;; [unrolled: 1-line block ×8, first 2 shown]
	s_waitcnt vmcnt(24) lgkmcnt(0)
	v_fma_f64 v[105:106], v[115:116], v[109:110], v[105:106]
	s_waitcnt vmcnt(19)
	v_fma_f64 v[115:116], v[117:118], v[111:112], v[105:106]
	ds_read2_b64 v[105:108], v104 offset0:77 offset1:78
	ds_read2_b64 v[109:112], v104 offset0:79 offset1:80
	s_waitcnt vmcnt(18) lgkmcnt(1)
	v_fma_f64 v[105:106], v[123:124], v[105:106], v[115:116]
	s_waitcnt vmcnt(17)
	v_fma_f64 v[105:106], v[121:122], v[107:108], v[105:106]
	buffer_load_dword v116, off, s[0:3], 0 offset:292
	buffer_load_dword v117, off, s[0:3], 0 offset:312
	;; [unrolled: 1-line block ×7, first 2 shown]
	s_waitcnt vmcnt(23) lgkmcnt(0)
	v_fma_f64 v[105:106], v[119:120], v[109:110], v[105:106]
	s_waitcnt vmcnt(18)
	v_fma_f64 v[118:119], v[125:126], v[111:112], v[105:106]
	ds_read2_b64 v[105:108], v104 offset0:81 offset1:82
	ds_read2_b64 v[109:112], v104 offset0:83 offset1:84
	s_waitcnt vmcnt(17) lgkmcnt(1)
	v_fma_f64 v[105:106], v[133:134], v[105:106], v[118:119]
	buffer_load_dword v118, off, s[0:3], 0 offset:316
	s_waitcnt vmcnt(17)
	v_fma_f64 v[105:106], v[131:132], v[107:108], v[105:106]
	buffer_load_dword v120, off, s[0:3], 0 offset:324
	buffer_load_dword v125, off, s[0:3], 0 offset:344
	;; [unrolled: 1-line block ×8, first 2 shown]
	s_waitcnt vmcnt(24) lgkmcnt(0)
	v_fma_f64 v[105:106], v[127:128], v[109:110], v[105:106]
	s_waitcnt vmcnt(19)
	v_fma_f64 v[113:114], v[113:114], v[111:112], v[105:106]
	ds_read2_b64 v[105:108], v104 offset0:85 offset1:86
	ds_read2_b64 v[109:112], v104 offset0:87 offset1:88
	s_waitcnt vmcnt(18) lgkmcnt(1)
	v_fma_f64 v[105:106], v[137:138], v[105:106], v[113:114]
	s_waitcnt vmcnt(17)
	v_fma_f64 v[105:106], v[135:136], v[107:108], v[105:106]
	buffer_load_dword v114, off, s[0:3], 0 offset:356
	buffer_load_dword v127, off, s[0:3], 0 offset:376
	;; [unrolled: 1-line block ×8, first 2 shown]
	s_waitcnt vmcnt(24) lgkmcnt(0)
	v_fma_f64 v[105:106], v[129:130], v[109:110], v[105:106]
	s_waitcnt vmcnt(19)
	v_fma_f64 v[115:116], v[115:116], v[111:112], v[105:106]
	ds_read2_b64 v[105:108], v104 offset0:89 offset1:90
	ds_read2_b64 v[109:112], v104 offset0:91 offset1:92
	s_waitcnt vmcnt(18) lgkmcnt(1)
	v_fma_f64 v[105:106], v[123:124], v[105:106], v[115:116]
	s_waitcnt vmcnt(17)
	v_fma_f64 v[105:106], v[121:122], v[107:108], v[105:106]
	buffer_load_dword v116, off, s[0:3], 0 offset:388
	buffer_load_dword v121, off, s[0:3], 0 offset:400
	;; [unrolled: 1-line block ×6, first 2 shown]
	s_waitcnt vmcnt(22) lgkmcnt(0)
	v_fma_f64 v[105:106], v[117:118], v[109:110], v[105:106]
	s_waitcnt vmcnt(17)
	v_fma_f64 v[117:118], v[119:120], v[111:112], v[105:106]
	ds_read2_b64 v[105:108], v104 offset0:93 offset1:94
	buffer_load_dword v119, off, s[0:3], 0 offset:64
	buffer_load_dword v120, off, s[0:3], 0 offset:68
	ds_read2_b64 v[109:112], v104 offset0:95 offset1:96
	s_waitcnt vmcnt(18) lgkmcnt(1)
	v_fma_f64 v[105:106], v[133:134], v[105:106], v[117:118]
	s_waitcnt vmcnt(17)
	v_fma_f64 v[105:106], v[131:132], v[107:108], v[105:106]
	s_waitcnt vmcnt(16) lgkmcnt(0)
	v_fma_f64 v[105:106], v[125:126], v[109:110], v[105:106]
	s_waitcnt vmcnt(11)
	v_fma_f64 v[113:114], v[113:114], v[111:112], v[105:106]
	ds_read2_b64 v[105:108], v104 offset0:97 offset1:98
	ds_read2_b64 v[109:112], v104 offset0:99 offset1:100
	s_waitcnt vmcnt(10) lgkmcnt(1)
	v_fma_f64 v[105:106], v[137:138], v[105:106], v[113:114]
	s_waitcnt vmcnt(9)
	v_fma_f64 v[105:106], v[135:136], v[107:108], v[105:106]
	s_waitcnt vmcnt(8) lgkmcnt(0)
	v_fma_f64 v[105:106], v[127:128], v[109:110], v[105:106]
	s_waitcnt vmcnt(4)
	v_fma_f64 v[108:109], v[115:116], v[111:112], v[105:106]
	ds_read2_b64 v[104:107], v104 offset0:101 offset1:102
	s_waitcnt vmcnt(3) lgkmcnt(0)
	v_fma_f64 v[104:105], v[123:124], v[104:105], v[108:109]
	s_waitcnt vmcnt(2)
	v_fma_f64 v[104:105], v[121:122], v[106:107], v[104:105]
	s_waitcnt vmcnt(0)
	v_add_f64 v[104:105], v[119:120], -v[104:105]
	buffer_store_dword v105, off, s[0:3], 0 offset:68
	buffer_store_dword v104, off, s[0:3], 0 offset:64
	s_and_saveexec_b64 s[4:5], vcc
	s_cbranch_execz .LBB114_299
; %bb.298:
	buffer_load_dword v104, off, s[0:3], 0 offset:56
	buffer_load_dword v105, off, s[0:3], 0 offset:60
	v_mov_b32_e32 v106, 0
	buffer_store_dword v106, off, s[0:3], 0 offset:56
	buffer_store_dword v106, off, s[0:3], 0 offset:60
	s_waitcnt vmcnt(2)
	ds_write_b64 v103, v[104:105]
.LBB114_299:
	s_or_b64 exec, exec, s[4:5]
	s_waitcnt lgkmcnt(0)
	; wave barrier
	buffer_load_dword v113, off, s[0:3], 0 offset:64
	buffer_load_dword v114, off, s[0:3], 0 offset:68
	;; [unrolled: 1-line block ×22, first 2 shown]
	v_mov_b32_e32 v104, 0
	ds_read_b128 v[105:108], v104 offset:480
	ds_read_b128 v[109:112], v104 offset:496
	v_cmp_lt_u32_e32 vcc, 6, v0
	s_waitcnt vmcnt(20) lgkmcnt(1)
	v_fma_f64 v[105:106], v[113:114], v[105:106], 0
	s_waitcnt vmcnt(18)
	v_fma_f64 v[105:106], v[115:116], v[107:108], v[105:106]
	buffer_load_dword v114, off, s[0:3], 0 offset:156
	buffer_load_dword v115, off, s[0:3], 0 offset:176
	;; [unrolled: 1-line block ×7, first 2 shown]
	s_waitcnt vmcnt(23) lgkmcnt(0)
	v_fma_f64 v[105:106], v[117:118], v[109:110], v[105:106]
	s_waitcnt vmcnt(21)
	v_fma_f64 v[116:117], v[119:120], v[111:112], v[105:106]
	ds_read_b128 v[105:108], v104 offset:512
	ds_read_b128 v[109:112], v104 offset:528
	s_waitcnt vmcnt(19) lgkmcnt(1)
	v_fma_f64 v[105:106], v[121:122], v[105:106], v[116:117]
	buffer_load_dword v116, off, s[0:3], 0 offset:180
	s_waitcnt vmcnt(18)
	v_fma_f64 v[105:106], v[123:124], v[107:108], v[105:106]
	buffer_load_dword v118, off, s[0:3], 0 offset:188
	buffer_load_dword v119, off, s[0:3], 0 offset:208
	;; [unrolled: 1-line block ×7, first 2 shown]
	s_waitcnt vmcnt(23) lgkmcnt(0)
	v_fma_f64 v[105:106], v[125:126], v[109:110], v[105:106]
	s_waitcnt vmcnt(18)
	v_fma_f64 v[125:126], v[127:128], v[111:112], v[105:106]
	ds_read_b128 v[105:108], v104 offset:544
	ds_read_b128 v[109:112], v104 offset:560
	buffer_load_dword v120, off, s[0:3], 0 offset:212
	s_waitcnt vmcnt(18) lgkmcnt(1)
	v_fma_f64 v[105:106], v[133:134], v[105:106], v[125:126]
	s_waitcnt vmcnt(17)
	v_fma_f64 v[105:106], v[131:132], v[107:108], v[105:106]
	buffer_load_dword v126, off, s[0:3], 0 offset:220
	buffer_load_dword v127, off, s[0:3], 0 offset:240
	buffer_load_dword v131, off, s[0:3], 0 offset:232
	buffer_load_dword v133, off, s[0:3], 0 offset:224
	buffer_load_dword v125, off, s[0:3], 0 offset:216
	buffer_load_dword v134, off, s[0:3], 0 offset:228
	buffer_load_dword v132, off, s[0:3], 0 offset:236
	buffer_load_dword v128, off, s[0:3], 0 offset:244
	s_waitcnt vmcnt(24) lgkmcnt(0)
	v_fma_f64 v[105:106], v[129:130], v[109:110], v[105:106]
	s_waitcnt vmcnt(19)
	v_fma_f64 v[113:114], v[113:114], v[111:112], v[105:106]
	ds_read_b128 v[105:108], v104 offset:576
	ds_read_b128 v[109:112], v104 offset:592
	s_waitcnt vmcnt(18) lgkmcnt(1)
	v_fma_f64 v[105:106], v[137:138], v[105:106], v[113:114]
	s_waitcnt vmcnt(17)
	v_fma_f64 v[105:106], v[135:136], v[107:108], v[105:106]
	buffer_load_dword v114, off, s[0:3], 0 offset:252
	buffer_load_dword v129, off, s[0:3], 0 offset:272
	;; [unrolled: 1-line block ×8, first 2 shown]
	s_waitcnt vmcnt(24) lgkmcnt(0)
	v_fma_f64 v[105:106], v[115:116], v[109:110], v[105:106]
	s_waitcnt vmcnt(19)
	v_fma_f64 v[115:116], v[117:118], v[111:112], v[105:106]
	ds_read_b128 v[105:108], v104 offset:608
	ds_read_b128 v[109:112], v104 offset:624
	s_waitcnt vmcnt(18) lgkmcnt(1)
	v_fma_f64 v[105:106], v[123:124], v[105:106], v[115:116]
	s_waitcnt vmcnt(17)
	v_fma_f64 v[105:106], v[121:122], v[107:108], v[105:106]
	buffer_load_dword v116, off, s[0:3], 0 offset:284
	buffer_load_dword v117, off, s[0:3], 0 offset:304
	;; [unrolled: 1-line block ×7, first 2 shown]
	s_waitcnt vmcnt(23) lgkmcnt(0)
	v_fma_f64 v[105:106], v[119:120], v[109:110], v[105:106]
	s_waitcnt vmcnt(18)
	v_fma_f64 v[118:119], v[125:126], v[111:112], v[105:106]
	ds_read_b128 v[105:108], v104 offset:640
	ds_read_b128 v[109:112], v104 offset:656
	s_waitcnt vmcnt(17) lgkmcnt(1)
	v_fma_f64 v[105:106], v[133:134], v[105:106], v[118:119]
	buffer_load_dword v118, off, s[0:3], 0 offset:308
	s_waitcnt vmcnt(17)
	v_fma_f64 v[105:106], v[131:132], v[107:108], v[105:106]
	buffer_load_dword v120, off, s[0:3], 0 offset:316
	buffer_load_dword v125, off, s[0:3], 0 offset:336
	buffer_load_dword v131, off, s[0:3], 0 offset:328
	buffer_load_dword v133, off, s[0:3], 0 offset:320
	buffer_load_dword v119, off, s[0:3], 0 offset:312
	buffer_load_dword v134, off, s[0:3], 0 offset:324
	buffer_load_dword v132, off, s[0:3], 0 offset:332
	buffer_load_dword v126, off, s[0:3], 0 offset:340
	s_waitcnt vmcnt(24) lgkmcnt(0)
	v_fma_f64 v[105:106], v[127:128], v[109:110], v[105:106]
	s_waitcnt vmcnt(19)
	v_fma_f64 v[113:114], v[113:114], v[111:112], v[105:106]
	ds_read_b128 v[105:108], v104 offset:672
	ds_read_b128 v[109:112], v104 offset:688
	s_waitcnt vmcnt(18) lgkmcnt(1)
	v_fma_f64 v[105:106], v[137:138], v[105:106], v[113:114]
	s_waitcnt vmcnt(17)
	v_fma_f64 v[105:106], v[135:136], v[107:108], v[105:106]
	buffer_load_dword v114, off, s[0:3], 0 offset:348
	buffer_load_dword v127, off, s[0:3], 0 offset:368
	buffer_load_dword v135, off, s[0:3], 0 offset:360
	buffer_load_dword v137, off, s[0:3], 0 offset:352
	buffer_load_dword v113, off, s[0:3], 0 offset:344
	buffer_load_dword v138, off, s[0:3], 0 offset:356
	buffer_load_dword v136, off, s[0:3], 0 offset:364
	buffer_load_dword v128, off, s[0:3], 0 offset:372
	s_waitcnt vmcnt(24) lgkmcnt(0)
	v_fma_f64 v[105:106], v[129:130], v[109:110], v[105:106]
	s_waitcnt vmcnt(19)
	v_fma_f64 v[115:116], v[115:116], v[111:112], v[105:106]
	ds_read_b128 v[105:108], v104 offset:704
	ds_read_b128 v[109:112], v104 offset:720
	s_waitcnt vmcnt(18) lgkmcnt(1)
	v_fma_f64 v[105:106], v[123:124], v[105:106], v[115:116]
	;; [unrolled: 18-line block ×3, first 2 shown]
	buffer_load_dword v117, off, s[0:3], 0 offset:56
	buffer_load_dword v118, off, s[0:3], 0 offset:60
	s_waitcnt vmcnt(19)
	v_fma_f64 v[105:106], v[131:132], v[107:108], v[105:106]
	s_waitcnt vmcnt(18) lgkmcnt(0)
	v_fma_f64 v[105:106], v[125:126], v[109:110], v[105:106]
	s_waitcnt vmcnt(13)
	v_fma_f64 v[113:114], v[113:114], v[111:112], v[105:106]
	ds_read_b128 v[105:108], v104 offset:768
	ds_read_b128 v[109:112], v104 offset:784
	s_waitcnt vmcnt(12) lgkmcnt(1)
	v_fma_f64 v[105:106], v[137:138], v[105:106], v[113:114]
	s_waitcnt vmcnt(11)
	v_fma_f64 v[105:106], v[135:136], v[107:108], v[105:106]
	s_waitcnt vmcnt(10) lgkmcnt(0)
	v_fma_f64 v[105:106], v[127:128], v[109:110], v[105:106]
	s_waitcnt vmcnt(5)
	v_fma_f64 v[109:110], v[115:116], v[111:112], v[105:106]
	ds_read_b128 v[105:108], v104 offset:800
	ds_read_b64 v[111:112], v104 offset:816
	s_waitcnt vmcnt(4) lgkmcnt(1)
	v_fma_f64 v[105:106], v[129:130], v[105:106], v[109:110]
	s_waitcnt vmcnt(3)
	v_fma_f64 v[105:106], v[123:124], v[107:108], v[105:106]
	s_waitcnt vmcnt(2) lgkmcnt(0)
	v_fma_f64 v[105:106], v[121:122], v[111:112], v[105:106]
	s_waitcnt vmcnt(0)
	v_add_f64 v[105:106], v[117:118], -v[105:106]
	buffer_store_dword v106, off, s[0:3], 0 offset:60
	buffer_store_dword v105, off, s[0:3], 0 offset:56
	s_and_saveexec_b64 s[4:5], vcc
	s_cbranch_execz .LBB114_301
; %bb.300:
	buffer_load_dword v105, off, s[0:3], 0 offset:48
	buffer_load_dword v106, off, s[0:3], 0 offset:52
	s_waitcnt vmcnt(0)
	ds_write_b64 v103, v[105:106]
	buffer_store_dword v104, off, s[0:3], 0 offset:48
	buffer_store_dword v104, off, s[0:3], 0 offset:52
.LBB114_301:
	s_or_b64 exec, exec, s[4:5]
	s_waitcnt lgkmcnt(0)
	; wave barrier
	buffer_load_dword v113, off, s[0:3], 0 offset:56
	buffer_load_dword v114, off, s[0:3], 0 offset:60
	;; [unrolled: 1-line block ×22, first 2 shown]
	ds_read2_b64 v[105:108], v104 offset0:59 offset1:60
	ds_read2_b64 v[109:112], v104 offset0:61 offset1:62
	v_cmp_lt_u32_e32 vcc, 5, v0
	s_waitcnt vmcnt(20) lgkmcnt(1)
	v_fma_f64 v[105:106], v[113:114], v[105:106], 0
	s_waitcnt vmcnt(18)
	v_fma_f64 v[105:106], v[115:116], v[107:108], v[105:106]
	buffer_load_dword v114, off, s[0:3], 0 offset:148
	buffer_load_dword v115, off, s[0:3], 0 offset:168
	;; [unrolled: 1-line block ×7, first 2 shown]
	s_waitcnt vmcnt(23) lgkmcnt(0)
	v_fma_f64 v[105:106], v[117:118], v[109:110], v[105:106]
	s_waitcnt vmcnt(21)
	v_fma_f64 v[116:117], v[119:120], v[111:112], v[105:106]
	ds_read2_b64 v[105:108], v104 offset0:63 offset1:64
	ds_read2_b64 v[109:112], v104 offset0:65 offset1:66
	s_waitcnt vmcnt(19) lgkmcnt(1)
	v_fma_f64 v[105:106], v[121:122], v[105:106], v[116:117]
	buffer_load_dword v116, off, s[0:3], 0 offset:172
	s_waitcnt vmcnt(18)
	v_fma_f64 v[105:106], v[123:124], v[107:108], v[105:106]
	buffer_load_dword v118, off, s[0:3], 0 offset:180
	buffer_load_dword v119, off, s[0:3], 0 offset:200
	;; [unrolled: 1-line block ×7, first 2 shown]
	s_waitcnt vmcnt(23) lgkmcnt(0)
	v_fma_f64 v[105:106], v[125:126], v[109:110], v[105:106]
	s_waitcnt vmcnt(18)
	v_fma_f64 v[125:126], v[127:128], v[111:112], v[105:106]
	ds_read2_b64 v[105:108], v104 offset0:67 offset1:68
	ds_read2_b64 v[109:112], v104 offset0:69 offset1:70
	buffer_load_dword v120, off, s[0:3], 0 offset:204
	s_waitcnt vmcnt(18) lgkmcnt(1)
	v_fma_f64 v[105:106], v[133:134], v[105:106], v[125:126]
	s_waitcnt vmcnt(17)
	v_fma_f64 v[105:106], v[131:132], v[107:108], v[105:106]
	buffer_load_dword v126, off, s[0:3], 0 offset:212
	buffer_load_dword v127, off, s[0:3], 0 offset:232
	;; [unrolled: 1-line block ×8, first 2 shown]
	s_waitcnt vmcnt(24) lgkmcnt(0)
	v_fma_f64 v[105:106], v[129:130], v[109:110], v[105:106]
	s_waitcnt vmcnt(19)
	v_fma_f64 v[113:114], v[113:114], v[111:112], v[105:106]
	ds_read2_b64 v[105:108], v104 offset0:71 offset1:72
	ds_read2_b64 v[109:112], v104 offset0:73 offset1:74
	s_waitcnt vmcnt(18) lgkmcnt(1)
	v_fma_f64 v[105:106], v[137:138], v[105:106], v[113:114]
	s_waitcnt vmcnt(17)
	v_fma_f64 v[105:106], v[135:136], v[107:108], v[105:106]
	buffer_load_dword v114, off, s[0:3], 0 offset:244
	buffer_load_dword v129, off, s[0:3], 0 offset:264
	;; [unrolled: 1-line block ×8, first 2 shown]
	s_waitcnt vmcnt(24) lgkmcnt(0)
	v_fma_f64 v[105:106], v[115:116], v[109:110], v[105:106]
	s_waitcnt vmcnt(19)
	v_fma_f64 v[115:116], v[117:118], v[111:112], v[105:106]
	ds_read2_b64 v[105:108], v104 offset0:75 offset1:76
	ds_read2_b64 v[109:112], v104 offset0:77 offset1:78
	s_waitcnt vmcnt(18) lgkmcnt(1)
	v_fma_f64 v[105:106], v[123:124], v[105:106], v[115:116]
	s_waitcnt vmcnt(17)
	v_fma_f64 v[105:106], v[121:122], v[107:108], v[105:106]
	buffer_load_dword v116, off, s[0:3], 0 offset:276
	buffer_load_dword v117, off, s[0:3], 0 offset:296
	;; [unrolled: 1-line block ×7, first 2 shown]
	s_waitcnt vmcnt(23) lgkmcnt(0)
	v_fma_f64 v[105:106], v[119:120], v[109:110], v[105:106]
	s_waitcnt vmcnt(18)
	v_fma_f64 v[118:119], v[125:126], v[111:112], v[105:106]
	ds_read2_b64 v[105:108], v104 offset0:79 offset1:80
	ds_read2_b64 v[109:112], v104 offset0:81 offset1:82
	s_waitcnt vmcnt(17) lgkmcnt(1)
	v_fma_f64 v[105:106], v[133:134], v[105:106], v[118:119]
	buffer_load_dword v118, off, s[0:3], 0 offset:300
	s_waitcnt vmcnt(17)
	v_fma_f64 v[105:106], v[131:132], v[107:108], v[105:106]
	buffer_load_dword v120, off, s[0:3], 0 offset:308
	buffer_load_dword v125, off, s[0:3], 0 offset:328
	buffer_load_dword v131, off, s[0:3], 0 offset:320
	buffer_load_dword v133, off, s[0:3], 0 offset:312
	buffer_load_dword v119, off, s[0:3], 0 offset:304
	buffer_load_dword v134, off, s[0:3], 0 offset:316
	buffer_load_dword v132, off, s[0:3], 0 offset:324
	buffer_load_dword v126, off, s[0:3], 0 offset:332
	s_waitcnt vmcnt(24) lgkmcnt(0)
	v_fma_f64 v[105:106], v[127:128], v[109:110], v[105:106]
	s_waitcnt vmcnt(19)
	v_fma_f64 v[113:114], v[113:114], v[111:112], v[105:106]
	ds_read2_b64 v[105:108], v104 offset0:83 offset1:84
	ds_read2_b64 v[109:112], v104 offset0:85 offset1:86
	s_waitcnt vmcnt(18) lgkmcnt(1)
	v_fma_f64 v[105:106], v[137:138], v[105:106], v[113:114]
	s_waitcnt vmcnt(17)
	v_fma_f64 v[105:106], v[135:136], v[107:108], v[105:106]
	buffer_load_dword v114, off, s[0:3], 0 offset:340
	buffer_load_dword v127, off, s[0:3], 0 offset:360
	buffer_load_dword v135, off, s[0:3], 0 offset:352
	buffer_load_dword v137, off, s[0:3], 0 offset:344
	buffer_load_dword v113, off, s[0:3], 0 offset:336
	buffer_load_dword v138, off, s[0:3], 0 offset:348
	buffer_load_dword v136, off, s[0:3], 0 offset:356
	buffer_load_dword v128, off, s[0:3], 0 offset:364
	s_waitcnt vmcnt(24) lgkmcnt(0)
	v_fma_f64 v[105:106], v[129:130], v[109:110], v[105:106]
	s_waitcnt vmcnt(19)
	v_fma_f64 v[115:116], v[115:116], v[111:112], v[105:106]
	ds_read2_b64 v[105:108], v104 offset0:87 offset1:88
	ds_read2_b64 v[109:112], v104 offset0:89 offset1:90
	s_waitcnt vmcnt(18) lgkmcnt(1)
	v_fma_f64 v[105:106], v[123:124], v[105:106], v[115:116]
	;; [unrolled: 18-line block ×3, first 2 shown]
	buffer_load_dword v118, off, s[0:3], 0 offset:404
	buffer_load_dword v117, off, s[0:3], 0 offset:400
	;; [unrolled: 1-line block ×4, first 2 shown]
	s_waitcnt vmcnt(21)
	v_fma_f64 v[105:106], v[131:132], v[107:108], v[105:106]
	s_waitcnt vmcnt(20) lgkmcnt(0)
	v_fma_f64 v[105:106], v[125:126], v[109:110], v[105:106]
	s_waitcnt vmcnt(15)
	v_fma_f64 v[113:114], v[113:114], v[111:112], v[105:106]
	ds_read2_b64 v[105:108], v104 offset0:95 offset1:96
	ds_read2_b64 v[109:112], v104 offset0:97 offset1:98
	s_waitcnt vmcnt(14) lgkmcnt(1)
	v_fma_f64 v[105:106], v[137:138], v[105:106], v[113:114]
	s_waitcnt vmcnt(13)
	v_fma_f64 v[105:106], v[135:136], v[107:108], v[105:106]
	s_waitcnt vmcnt(12) lgkmcnt(0)
	v_fma_f64 v[105:106], v[127:128], v[109:110], v[105:106]
	s_waitcnt vmcnt(7)
	v_fma_f64 v[113:114], v[115:116], v[111:112], v[105:106]
	ds_read2_b64 v[105:108], v104 offset0:99 offset1:100
	ds_read2_b64 v[109:112], v104 offset0:101 offset1:102
	s_waitcnt vmcnt(6) lgkmcnt(1)
	v_fma_f64 v[104:105], v[129:130], v[105:106], v[113:114]
	s_waitcnt vmcnt(5)
	v_fma_f64 v[104:105], v[123:124], v[107:108], v[104:105]
	s_waitcnt vmcnt(4) lgkmcnt(0)
	v_fma_f64 v[104:105], v[121:122], v[109:110], v[104:105]
	s_waitcnt vmcnt(2)
	v_fma_f64 v[104:105], v[117:118], v[111:112], v[104:105]
	s_waitcnt vmcnt(0)
	v_add_f64 v[104:105], v[119:120], -v[104:105]
	buffer_store_dword v105, off, s[0:3], 0 offset:52
	buffer_store_dword v104, off, s[0:3], 0 offset:48
	s_and_saveexec_b64 s[4:5], vcc
	s_cbranch_execz .LBB114_303
; %bb.302:
	buffer_load_dword v104, off, s[0:3], 0 offset:40
	buffer_load_dword v105, off, s[0:3], 0 offset:44
	v_mov_b32_e32 v106, 0
	buffer_store_dword v106, off, s[0:3], 0 offset:40
	buffer_store_dword v106, off, s[0:3], 0 offset:44
	s_waitcnt vmcnt(2)
	ds_write_b64 v103, v[104:105]
.LBB114_303:
	s_or_b64 exec, exec, s[4:5]
	s_waitcnt lgkmcnt(0)
	; wave barrier
	buffer_load_dword v113, off, s[0:3], 0 offset:48
	buffer_load_dword v114, off, s[0:3], 0 offset:52
	;; [unrolled: 1-line block ×21, first 2 shown]
	v_mov_b32_e32 v104, 0
	ds_read_b128 v[105:108], v104 offset:464
	ds_read_b128 v[109:112], v104 offset:480
	buffer_load_dword v130, off, s[0:3], 0 offset:132
	v_cmp_lt_u32_e32 vcc, 4, v0
	s_waitcnt vmcnt(20) lgkmcnt(1)
	v_fma_f64 v[105:106], v[113:114], v[105:106], 0
	s_waitcnt vmcnt(18)
	v_fma_f64 v[105:106], v[115:116], v[107:108], v[105:106]
	buffer_load_dword v114, off, s[0:3], 0 offset:140
	buffer_load_dword v115, off, s[0:3], 0 offset:160
	;; [unrolled: 1-line block ×7, first 2 shown]
	s_waitcnt vmcnt(23) lgkmcnt(0)
	v_fma_f64 v[105:106], v[117:118], v[109:110], v[105:106]
	s_waitcnt vmcnt(21)
	v_fma_f64 v[116:117], v[119:120], v[111:112], v[105:106]
	ds_read_b128 v[105:108], v104 offset:496
	ds_read_b128 v[109:112], v104 offset:512
	s_waitcnt vmcnt(19) lgkmcnt(1)
	v_fma_f64 v[105:106], v[121:122], v[105:106], v[116:117]
	buffer_load_dword v116, off, s[0:3], 0 offset:164
	s_waitcnt vmcnt(18)
	v_fma_f64 v[105:106], v[123:124], v[107:108], v[105:106]
	buffer_load_dword v118, off, s[0:3], 0 offset:172
	buffer_load_dword v119, off, s[0:3], 0 offset:192
	;; [unrolled: 1-line block ×7, first 2 shown]
	s_waitcnt vmcnt(23) lgkmcnt(0)
	v_fma_f64 v[105:106], v[125:126], v[109:110], v[105:106]
	s_waitcnt vmcnt(18)
	v_fma_f64 v[125:126], v[127:128], v[111:112], v[105:106]
	ds_read_b128 v[105:108], v104 offset:528
	ds_read_b128 v[109:112], v104 offset:544
	buffer_load_dword v120, off, s[0:3], 0 offset:196
	s_waitcnt vmcnt(18) lgkmcnt(1)
	v_fma_f64 v[105:106], v[133:134], v[105:106], v[125:126]
	s_waitcnt vmcnt(17)
	v_fma_f64 v[105:106], v[131:132], v[107:108], v[105:106]
	buffer_load_dword v126, off, s[0:3], 0 offset:204
	buffer_load_dword v127, off, s[0:3], 0 offset:224
	;; [unrolled: 1-line block ×7, first 2 shown]
	s_waitcnt vmcnt(23) lgkmcnt(0)
	v_fma_f64 v[105:106], v[129:130], v[109:110], v[105:106]
	s_waitcnt vmcnt(18)
	v_fma_f64 v[113:114], v[113:114], v[111:112], v[105:106]
	ds_read_b128 v[105:108], v104 offset:560
	ds_read_b128 v[109:112], v104 offset:576
	buffer_load_dword v128, off, s[0:3], 0 offset:228
	s_waitcnt vmcnt(18) lgkmcnt(1)
	v_fma_f64 v[105:106], v[137:138], v[105:106], v[113:114]
	s_waitcnt vmcnt(17)
	v_fma_f64 v[105:106], v[135:136], v[107:108], v[105:106]
	buffer_load_dword v114, off, s[0:3], 0 offset:236
	buffer_load_dword v129, off, s[0:3], 0 offset:256
	;; [unrolled: 1-line block ×8, first 2 shown]
	s_waitcnt vmcnt(24) lgkmcnt(0)
	v_fma_f64 v[105:106], v[115:116], v[109:110], v[105:106]
	s_waitcnt vmcnt(19)
	v_fma_f64 v[115:116], v[117:118], v[111:112], v[105:106]
	ds_read_b128 v[105:108], v104 offset:592
	ds_read_b128 v[109:112], v104 offset:608
	s_waitcnt vmcnt(18) lgkmcnt(1)
	v_fma_f64 v[105:106], v[123:124], v[105:106], v[115:116]
	s_waitcnt vmcnt(17)
	v_fma_f64 v[105:106], v[121:122], v[107:108], v[105:106]
	buffer_load_dword v116, off, s[0:3], 0 offset:268
	buffer_load_dword v117, off, s[0:3], 0 offset:288
	;; [unrolled: 1-line block ×7, first 2 shown]
	s_waitcnt vmcnt(23) lgkmcnt(0)
	v_fma_f64 v[105:106], v[119:120], v[109:110], v[105:106]
	s_waitcnt vmcnt(18)
	v_fma_f64 v[118:119], v[125:126], v[111:112], v[105:106]
	ds_read_b128 v[105:108], v104 offset:624
	ds_read_b128 v[109:112], v104 offset:640
	s_waitcnt vmcnt(17) lgkmcnt(1)
	v_fma_f64 v[105:106], v[133:134], v[105:106], v[118:119]
	buffer_load_dword v118, off, s[0:3], 0 offset:292
	s_waitcnt vmcnt(17)
	v_fma_f64 v[105:106], v[131:132], v[107:108], v[105:106]
	buffer_load_dword v120, off, s[0:3], 0 offset:300
	buffer_load_dword v125, off, s[0:3], 0 offset:320
	;; [unrolled: 1-line block ×7, first 2 shown]
	s_waitcnt vmcnt(23) lgkmcnt(0)
	v_fma_f64 v[105:106], v[127:128], v[109:110], v[105:106]
	s_waitcnt vmcnt(18)
	v_fma_f64 v[113:114], v[113:114], v[111:112], v[105:106]
	ds_read_b128 v[105:108], v104 offset:656
	ds_read_b128 v[109:112], v104 offset:672
	buffer_load_dword v126, off, s[0:3], 0 offset:324
	s_waitcnt vmcnt(18) lgkmcnt(1)
	v_fma_f64 v[105:106], v[137:138], v[105:106], v[113:114]
	s_waitcnt vmcnt(17)
	v_fma_f64 v[105:106], v[135:136], v[107:108], v[105:106]
	buffer_load_dword v114, off, s[0:3], 0 offset:332
	buffer_load_dword v127, off, s[0:3], 0 offset:352
	;; [unrolled: 1-line block ×8, first 2 shown]
	s_waitcnt vmcnt(24) lgkmcnt(0)
	v_fma_f64 v[105:106], v[129:130], v[109:110], v[105:106]
	s_waitcnt vmcnt(19)
	v_fma_f64 v[115:116], v[115:116], v[111:112], v[105:106]
	ds_read_b128 v[105:108], v104 offset:688
	ds_read_b128 v[109:112], v104 offset:704
	s_waitcnt vmcnt(18) lgkmcnt(1)
	v_fma_f64 v[105:106], v[123:124], v[105:106], v[115:116]
	s_waitcnt vmcnt(17)
	v_fma_f64 v[105:106], v[121:122], v[107:108], v[105:106]
	buffer_load_dword v116, off, s[0:3], 0 offset:364
	buffer_load_dword v121, off, s[0:3], 0 offset:384
	;; [unrolled: 1-line block ×7, first 2 shown]
	s_waitcnt vmcnt(23) lgkmcnt(0)
	v_fma_f64 v[105:106], v[117:118], v[109:110], v[105:106]
	s_waitcnt vmcnt(18)
	v_fma_f64 v[117:118], v[119:120], v[111:112], v[105:106]
	ds_read_b128 v[105:108], v104 offset:720
	ds_read_b128 v[109:112], v104 offset:736
	buffer_load_dword v122, off, s[0:3], 0 offset:388
	s_waitcnt vmcnt(18) lgkmcnt(1)
	v_fma_f64 v[105:106], v[133:134], v[105:106], v[117:118]
	buffer_load_dword v118, off, s[0:3], 0 offset:396
	buffer_load_dword v119, off, s[0:3], 0 offset:400
	;; [unrolled: 1-line block ×4, first 2 shown]
	s_waitcnt vmcnt(21)
	v_fma_f64 v[105:106], v[131:132], v[107:108], v[105:106]
	s_waitcnt vmcnt(20) lgkmcnt(0)
	v_fma_f64 v[105:106], v[125:126], v[109:110], v[105:106]
	buffer_load_dword v125, off, s[0:3], 0 offset:40
	buffer_load_dword v126, off, s[0:3], 0 offset:44
	s_waitcnt vmcnt(17)
	v_fma_f64 v[113:114], v[113:114], v[111:112], v[105:106]
	ds_read_b128 v[105:108], v104 offset:752
	ds_read_b128 v[109:112], v104 offset:768
	s_waitcnt vmcnt(16) lgkmcnt(1)
	v_fma_f64 v[105:106], v[137:138], v[105:106], v[113:114]
	s_waitcnt vmcnt(15)
	v_fma_f64 v[105:106], v[135:136], v[107:108], v[105:106]
	s_waitcnt vmcnt(14) lgkmcnt(0)
	v_fma_f64 v[105:106], v[127:128], v[109:110], v[105:106]
	s_waitcnt vmcnt(9)
	v_fma_f64 v[113:114], v[115:116], v[111:112], v[105:106]
	ds_read_b128 v[105:108], v104 offset:784
	ds_read_b128 v[109:112], v104 offset:800
	s_waitcnt vmcnt(8) lgkmcnt(1)
	v_fma_f64 v[105:106], v[129:130], v[105:106], v[113:114]
	s_waitcnt vmcnt(7)
	v_fma_f64 v[105:106], v[123:124], v[107:108], v[105:106]
	ds_read_b64 v[107:108], v104 offset:816
	s_waitcnt vmcnt(6) lgkmcnt(1)
	v_fma_f64 v[105:106], v[121:122], v[109:110], v[105:106]
	s_waitcnt vmcnt(3)
	v_fma_f64 v[105:106], v[117:118], v[111:112], v[105:106]
	s_waitcnt vmcnt(2) lgkmcnt(0)
	v_fma_f64 v[105:106], v[119:120], v[107:108], v[105:106]
	s_waitcnt vmcnt(0)
	v_add_f64 v[105:106], v[125:126], -v[105:106]
	buffer_store_dword v106, off, s[0:3], 0 offset:44
	buffer_store_dword v105, off, s[0:3], 0 offset:40
	s_and_saveexec_b64 s[4:5], vcc
	s_cbranch_execz .LBB114_305
; %bb.304:
	buffer_load_dword v105, off, s[0:3], 0 offset:32
	buffer_load_dword v106, off, s[0:3], 0 offset:36
	s_waitcnt vmcnt(0)
	ds_write_b64 v103, v[105:106]
	buffer_store_dword v104, off, s[0:3], 0 offset:32
	buffer_store_dword v104, off, s[0:3], 0 offset:36
.LBB114_305:
	s_or_b64 exec, exec, s[4:5]
	s_waitcnt lgkmcnt(0)
	; wave barrier
	buffer_load_dword v113, off, s[0:3], 0 offset:40
	buffer_load_dword v114, off, s[0:3], 0 offset:44
	;; [unrolled: 1-line block ×21, first 2 shown]
	ds_read2_b64 v[105:108], v104 offset0:57 offset1:58
	ds_read2_b64 v[109:112], v104 offset0:59 offset1:60
	buffer_load_dword v130, off, s[0:3], 0 offset:124
	v_cmp_lt_u32_e32 vcc, 3, v0
	s_waitcnt vmcnt(20) lgkmcnt(1)
	v_fma_f64 v[105:106], v[113:114], v[105:106], 0
	s_waitcnt vmcnt(18)
	v_fma_f64 v[105:106], v[115:116], v[107:108], v[105:106]
	buffer_load_dword v114, off, s[0:3], 0 offset:132
	buffer_load_dword v115, off, s[0:3], 0 offset:152
	;; [unrolled: 1-line block ×7, first 2 shown]
	s_waitcnt vmcnt(23) lgkmcnt(0)
	v_fma_f64 v[105:106], v[117:118], v[109:110], v[105:106]
	s_waitcnt vmcnt(21)
	v_fma_f64 v[116:117], v[119:120], v[111:112], v[105:106]
	ds_read2_b64 v[105:108], v104 offset0:61 offset1:62
	ds_read2_b64 v[109:112], v104 offset0:63 offset1:64
	s_waitcnt vmcnt(19) lgkmcnt(1)
	v_fma_f64 v[105:106], v[121:122], v[105:106], v[116:117]
	buffer_load_dword v116, off, s[0:3], 0 offset:156
	s_waitcnt vmcnt(18)
	v_fma_f64 v[105:106], v[123:124], v[107:108], v[105:106]
	buffer_load_dword v118, off, s[0:3], 0 offset:164
	buffer_load_dword v119, off, s[0:3], 0 offset:184
	;; [unrolled: 1-line block ×8, first 2 shown]
	s_waitcnt vmcnt(24) lgkmcnt(0)
	v_fma_f64 v[105:106], v[125:126], v[109:110], v[105:106]
	s_waitcnt vmcnt(19)
	v_fma_f64 v[125:126], v[127:128], v[111:112], v[105:106]
	ds_read2_b64 v[105:108], v104 offset0:65 offset1:66
	ds_read2_b64 v[109:112], v104 offset0:67 offset1:68
	s_waitcnt vmcnt(18) lgkmcnt(1)
	v_fma_f64 v[105:106], v[133:134], v[105:106], v[125:126]
	s_waitcnt vmcnt(17)
	v_fma_f64 v[105:106], v[131:132], v[107:108], v[105:106]
	buffer_load_dword v126, off, s[0:3], 0 offset:196
	buffer_load_dword v127, off, s[0:3], 0 offset:216
	;; [unrolled: 1-line block ×7, first 2 shown]
	s_waitcnt vmcnt(23) lgkmcnt(0)
	v_fma_f64 v[105:106], v[129:130], v[109:110], v[105:106]
	s_waitcnt vmcnt(18)
	v_fma_f64 v[113:114], v[113:114], v[111:112], v[105:106]
	ds_read2_b64 v[105:108], v104 offset0:69 offset1:70
	ds_read2_b64 v[109:112], v104 offset0:71 offset1:72
	buffer_load_dword v128, off, s[0:3], 0 offset:220
	s_waitcnt vmcnt(18) lgkmcnt(1)
	v_fma_f64 v[105:106], v[137:138], v[105:106], v[113:114]
	s_waitcnt vmcnt(17)
	v_fma_f64 v[105:106], v[135:136], v[107:108], v[105:106]
	buffer_load_dword v114, off, s[0:3], 0 offset:228
	buffer_load_dword v129, off, s[0:3], 0 offset:248
	;; [unrolled: 1-line block ×8, first 2 shown]
	s_waitcnt vmcnt(24) lgkmcnt(0)
	v_fma_f64 v[105:106], v[115:116], v[109:110], v[105:106]
	s_waitcnt vmcnt(19)
	v_fma_f64 v[115:116], v[117:118], v[111:112], v[105:106]
	ds_read2_b64 v[105:108], v104 offset0:73 offset1:74
	ds_read2_b64 v[109:112], v104 offset0:75 offset1:76
	s_waitcnt vmcnt(18) lgkmcnt(1)
	v_fma_f64 v[105:106], v[123:124], v[105:106], v[115:116]
	s_waitcnt vmcnt(17)
	v_fma_f64 v[105:106], v[121:122], v[107:108], v[105:106]
	buffer_load_dword v116, off, s[0:3], 0 offset:260
	buffer_load_dword v117, off, s[0:3], 0 offset:280
	;; [unrolled: 1-line block ×7, first 2 shown]
	s_waitcnt vmcnt(23) lgkmcnt(0)
	v_fma_f64 v[105:106], v[119:120], v[109:110], v[105:106]
	s_waitcnt vmcnt(18)
	v_fma_f64 v[118:119], v[125:126], v[111:112], v[105:106]
	ds_read2_b64 v[105:108], v104 offset0:77 offset1:78
	ds_read2_b64 v[109:112], v104 offset0:79 offset1:80
	s_waitcnt vmcnt(17) lgkmcnt(1)
	v_fma_f64 v[105:106], v[133:134], v[105:106], v[118:119]
	buffer_load_dword v118, off, s[0:3], 0 offset:284
	s_waitcnt vmcnt(17)
	v_fma_f64 v[105:106], v[131:132], v[107:108], v[105:106]
	buffer_load_dword v120, off, s[0:3], 0 offset:292
	buffer_load_dword v125, off, s[0:3], 0 offset:312
	;; [unrolled: 1-line block ×7, first 2 shown]
	s_waitcnt vmcnt(23) lgkmcnt(0)
	v_fma_f64 v[105:106], v[127:128], v[109:110], v[105:106]
	s_waitcnt vmcnt(18)
	v_fma_f64 v[113:114], v[113:114], v[111:112], v[105:106]
	ds_read2_b64 v[105:108], v104 offset0:81 offset1:82
	ds_read2_b64 v[109:112], v104 offset0:83 offset1:84
	buffer_load_dword v126, off, s[0:3], 0 offset:316
	s_waitcnt vmcnt(18) lgkmcnt(1)
	v_fma_f64 v[105:106], v[137:138], v[105:106], v[113:114]
	s_waitcnt vmcnt(17)
	v_fma_f64 v[105:106], v[135:136], v[107:108], v[105:106]
	buffer_load_dword v114, off, s[0:3], 0 offset:324
	buffer_load_dword v127, off, s[0:3], 0 offset:344
	;; [unrolled: 1-line block ×8, first 2 shown]
	s_waitcnt vmcnt(24) lgkmcnt(0)
	v_fma_f64 v[105:106], v[129:130], v[109:110], v[105:106]
	s_waitcnt vmcnt(19)
	v_fma_f64 v[115:116], v[115:116], v[111:112], v[105:106]
	ds_read2_b64 v[105:108], v104 offset0:85 offset1:86
	ds_read2_b64 v[109:112], v104 offset0:87 offset1:88
	s_waitcnt vmcnt(18) lgkmcnt(1)
	v_fma_f64 v[105:106], v[123:124], v[105:106], v[115:116]
	s_waitcnt vmcnt(17)
	v_fma_f64 v[105:106], v[121:122], v[107:108], v[105:106]
	buffer_load_dword v116, off, s[0:3], 0 offset:356
	buffer_load_dword v121, off, s[0:3], 0 offset:376
	;; [unrolled: 1-line block ×8, first 2 shown]
	s_waitcnt vmcnt(24) lgkmcnt(0)
	v_fma_f64 v[105:106], v[117:118], v[109:110], v[105:106]
	s_waitcnt vmcnt(19)
	v_fma_f64 v[117:118], v[119:120], v[111:112], v[105:106]
	ds_read2_b64 v[105:108], v104 offset0:89 offset1:90
	ds_read2_b64 v[109:112], v104 offset0:91 offset1:92
	s_waitcnt vmcnt(18) lgkmcnt(1)
	v_fma_f64 v[105:106], v[133:134], v[105:106], v[117:118]
	s_waitcnt vmcnt(17)
	v_fma_f64 v[105:106], v[131:132], v[107:108], v[105:106]
	buffer_load_dword v118, off, s[0:3], 0 offset:388
	buffer_load_dword v119, off, s[0:3], 0 offset:400
	;; [unrolled: 1-line block ×6, first 2 shown]
	s_waitcnt vmcnt(22) lgkmcnt(0)
	v_fma_f64 v[105:106], v[125:126], v[109:110], v[105:106]
	s_waitcnt vmcnt(17)
	v_fma_f64 v[113:114], v[113:114], v[111:112], v[105:106]
	ds_read2_b64 v[105:108], v104 offset0:93 offset1:94
	buffer_load_dword v125, off, s[0:3], 0 offset:32
	buffer_load_dword v126, off, s[0:3], 0 offset:36
	ds_read2_b64 v[109:112], v104 offset0:95 offset1:96
	s_waitcnt vmcnt(18) lgkmcnt(1)
	v_fma_f64 v[105:106], v[137:138], v[105:106], v[113:114]
	s_waitcnt vmcnt(17)
	v_fma_f64 v[105:106], v[135:136], v[107:108], v[105:106]
	s_waitcnt vmcnt(16) lgkmcnt(0)
	v_fma_f64 v[105:106], v[127:128], v[109:110], v[105:106]
	s_waitcnt vmcnt(11)
	v_fma_f64 v[113:114], v[115:116], v[111:112], v[105:106]
	ds_read2_b64 v[105:108], v104 offset0:97 offset1:98
	ds_read2_b64 v[109:112], v104 offset0:99 offset1:100
	s_waitcnt vmcnt(10) lgkmcnt(1)
	v_fma_f64 v[105:106], v[129:130], v[105:106], v[113:114]
	s_waitcnt vmcnt(9)
	v_fma_f64 v[105:106], v[123:124], v[107:108], v[105:106]
	s_waitcnt vmcnt(8) lgkmcnt(0)
	v_fma_f64 v[105:106], v[121:122], v[109:110], v[105:106]
	s_waitcnt vmcnt(4)
	v_fma_f64 v[108:109], v[117:118], v[111:112], v[105:106]
	ds_read2_b64 v[104:107], v104 offset0:101 offset1:102
	s_waitcnt vmcnt(3) lgkmcnt(0)
	v_fma_f64 v[104:105], v[131:132], v[104:105], v[108:109]
	s_waitcnt vmcnt(2)
	v_fma_f64 v[104:105], v[119:120], v[106:107], v[104:105]
	s_waitcnt vmcnt(0)
	v_add_f64 v[104:105], v[125:126], -v[104:105]
	buffer_store_dword v105, off, s[0:3], 0 offset:36
	buffer_store_dword v104, off, s[0:3], 0 offset:32
	s_and_saveexec_b64 s[4:5], vcc
	s_cbranch_execz .LBB114_307
; %bb.306:
	buffer_load_dword v104, off, s[0:3], 0 offset:24
	buffer_load_dword v105, off, s[0:3], 0 offset:28
	v_mov_b32_e32 v106, 0
	buffer_store_dword v106, off, s[0:3], 0 offset:24
	buffer_store_dword v106, off, s[0:3], 0 offset:28
	s_waitcnt vmcnt(2)
	ds_write_b64 v103, v[104:105]
.LBB114_307:
	s_or_b64 exec, exec, s[4:5]
	s_waitcnt lgkmcnt(0)
	; wave barrier
	buffer_load_dword v113, off, s[0:3], 0 offset:32
	buffer_load_dword v114, off, s[0:3], 0 offset:36
	;; [unrolled: 1-line block ×21, first 2 shown]
	v_mov_b32_e32 v104, 0
	ds_read_b128 v[105:108], v104 offset:448
	ds_read_b128 v[109:112], v104 offset:464
	buffer_load_dword v130, off, s[0:3], 0 offset:116
	v_cmp_lt_u32_e32 vcc, 2, v0
	s_waitcnt vmcnt(20) lgkmcnt(1)
	v_fma_f64 v[105:106], v[113:114], v[105:106], 0
	s_waitcnt vmcnt(18)
	v_fma_f64 v[105:106], v[115:116], v[107:108], v[105:106]
	buffer_load_dword v114, off, s[0:3], 0 offset:124
	buffer_load_dword v115, off, s[0:3], 0 offset:144
	;; [unrolled: 1-line block ×7, first 2 shown]
	s_waitcnt vmcnt(23) lgkmcnt(0)
	v_fma_f64 v[105:106], v[117:118], v[109:110], v[105:106]
	s_waitcnt vmcnt(21)
	v_fma_f64 v[116:117], v[119:120], v[111:112], v[105:106]
	ds_read_b128 v[105:108], v104 offset:480
	ds_read_b128 v[109:112], v104 offset:496
	s_waitcnt vmcnt(19) lgkmcnt(1)
	v_fma_f64 v[105:106], v[121:122], v[105:106], v[116:117]
	buffer_load_dword v116, off, s[0:3], 0 offset:148
	s_waitcnt vmcnt(18)
	v_fma_f64 v[105:106], v[123:124], v[107:108], v[105:106]
	buffer_load_dword v118, off, s[0:3], 0 offset:156
	buffer_load_dword v119, off, s[0:3], 0 offset:176
	;; [unrolled: 1-line block ×8, first 2 shown]
	s_waitcnt vmcnt(24) lgkmcnt(0)
	v_fma_f64 v[105:106], v[125:126], v[109:110], v[105:106]
	s_waitcnt vmcnt(19)
	v_fma_f64 v[125:126], v[127:128], v[111:112], v[105:106]
	ds_read_b128 v[105:108], v104 offset:512
	ds_read_b128 v[109:112], v104 offset:528
	s_waitcnt vmcnt(18) lgkmcnt(1)
	v_fma_f64 v[105:106], v[133:134], v[105:106], v[125:126]
	s_waitcnt vmcnt(17)
	v_fma_f64 v[105:106], v[131:132], v[107:108], v[105:106]
	buffer_load_dword v126, off, s[0:3], 0 offset:188
	buffer_load_dword v127, off, s[0:3], 0 offset:208
	;; [unrolled: 1-line block ×7, first 2 shown]
	s_waitcnt vmcnt(23) lgkmcnt(0)
	v_fma_f64 v[105:106], v[129:130], v[109:110], v[105:106]
	s_waitcnt vmcnt(18)
	v_fma_f64 v[113:114], v[113:114], v[111:112], v[105:106]
	ds_read_b128 v[105:108], v104 offset:544
	ds_read_b128 v[109:112], v104 offset:560
	buffer_load_dword v128, off, s[0:3], 0 offset:212
	s_waitcnt vmcnt(18) lgkmcnt(1)
	v_fma_f64 v[105:106], v[137:138], v[105:106], v[113:114]
	s_waitcnt vmcnt(17)
	v_fma_f64 v[105:106], v[135:136], v[107:108], v[105:106]
	buffer_load_dword v114, off, s[0:3], 0 offset:220
	buffer_load_dword v129, off, s[0:3], 0 offset:240
	;; [unrolled: 1-line block ×8, first 2 shown]
	s_waitcnt vmcnt(24) lgkmcnt(0)
	v_fma_f64 v[105:106], v[115:116], v[109:110], v[105:106]
	s_waitcnt vmcnt(19)
	v_fma_f64 v[115:116], v[117:118], v[111:112], v[105:106]
	ds_read_b128 v[105:108], v104 offset:576
	ds_read_b128 v[109:112], v104 offset:592
	s_waitcnt vmcnt(18) lgkmcnt(1)
	v_fma_f64 v[105:106], v[123:124], v[105:106], v[115:116]
	s_waitcnt vmcnt(17)
	v_fma_f64 v[105:106], v[121:122], v[107:108], v[105:106]
	buffer_load_dword v116, off, s[0:3], 0 offset:252
	buffer_load_dword v117, off, s[0:3], 0 offset:272
	buffer_load_dword v121, off, s[0:3], 0 offset:264
	buffer_load_dword v123, off, s[0:3], 0 offset:256
	buffer_load_dword v115, off, s[0:3], 0 offset:248
	buffer_load_dword v124, off, s[0:3], 0 offset:260
	buffer_load_dword v122, off, s[0:3], 0 offset:268
	s_waitcnt vmcnt(23) lgkmcnt(0)
	v_fma_f64 v[105:106], v[119:120], v[109:110], v[105:106]
	s_waitcnt vmcnt(18)
	v_fma_f64 v[118:119], v[125:126], v[111:112], v[105:106]
	ds_read_b128 v[105:108], v104 offset:608
	ds_read_b128 v[109:112], v104 offset:624
	s_waitcnt vmcnt(17) lgkmcnt(1)
	v_fma_f64 v[105:106], v[133:134], v[105:106], v[118:119]
	buffer_load_dword v118, off, s[0:3], 0 offset:276
	s_waitcnt vmcnt(17)
	v_fma_f64 v[105:106], v[131:132], v[107:108], v[105:106]
	buffer_load_dword v120, off, s[0:3], 0 offset:284
	buffer_load_dword v125, off, s[0:3], 0 offset:304
	;; [unrolled: 1-line block ×7, first 2 shown]
	s_waitcnt vmcnt(23) lgkmcnt(0)
	v_fma_f64 v[105:106], v[127:128], v[109:110], v[105:106]
	s_waitcnt vmcnt(18)
	v_fma_f64 v[113:114], v[113:114], v[111:112], v[105:106]
	ds_read_b128 v[105:108], v104 offset:640
	ds_read_b128 v[109:112], v104 offset:656
	buffer_load_dword v126, off, s[0:3], 0 offset:308
	s_waitcnt vmcnt(18) lgkmcnt(1)
	v_fma_f64 v[105:106], v[137:138], v[105:106], v[113:114]
	s_waitcnt vmcnt(17)
	v_fma_f64 v[105:106], v[135:136], v[107:108], v[105:106]
	buffer_load_dword v114, off, s[0:3], 0 offset:316
	buffer_load_dword v127, off, s[0:3], 0 offset:336
	buffer_load_dword v135, off, s[0:3], 0 offset:328
	buffer_load_dword v137, off, s[0:3], 0 offset:320
	buffer_load_dword v113, off, s[0:3], 0 offset:312
	buffer_load_dword v138, off, s[0:3], 0 offset:324
	buffer_load_dword v136, off, s[0:3], 0 offset:332
	buffer_load_dword v128, off, s[0:3], 0 offset:340
	s_waitcnt vmcnt(24) lgkmcnt(0)
	v_fma_f64 v[105:106], v[129:130], v[109:110], v[105:106]
	s_waitcnt vmcnt(19)
	v_fma_f64 v[115:116], v[115:116], v[111:112], v[105:106]
	ds_read_b128 v[105:108], v104 offset:672
	ds_read_b128 v[109:112], v104 offset:688
	s_waitcnt vmcnt(18) lgkmcnt(1)
	v_fma_f64 v[105:106], v[123:124], v[105:106], v[115:116]
	s_waitcnt vmcnt(17)
	v_fma_f64 v[105:106], v[121:122], v[107:108], v[105:106]
	buffer_load_dword v116, off, s[0:3], 0 offset:348
	buffer_load_dword v121, off, s[0:3], 0 offset:368
	buffer_load_dword v123, off, s[0:3], 0 offset:360
	buffer_load_dword v129, off, s[0:3], 0 offset:352
	buffer_load_dword v115, off, s[0:3], 0 offset:344
	buffer_load_dword v130, off, s[0:3], 0 offset:356
	buffer_load_dword v124, off, s[0:3], 0 offset:364
	buffer_load_dword v122, off, s[0:3], 0 offset:372
	s_waitcnt vmcnt(24) lgkmcnt(0)
	v_fma_f64 v[105:106], v[117:118], v[109:110], v[105:106]
	s_waitcnt vmcnt(19)
	v_fma_f64 v[117:118], v[119:120], v[111:112], v[105:106]
	ds_read_b128 v[105:108], v104 offset:704
	ds_read_b128 v[109:112], v104 offset:720
	;; [unrolled: 18-line block ×3, first 2 shown]
	s_waitcnt vmcnt(18) lgkmcnt(1)
	v_fma_f64 v[105:106], v[137:138], v[105:106], v[113:114]
	buffer_load_dword v113, off, s[0:3], 0 offset:24
	buffer_load_dword v114, off, s[0:3], 0 offset:28
	s_waitcnt vmcnt(19)
	v_fma_f64 v[105:106], v[135:136], v[107:108], v[105:106]
	s_waitcnt vmcnt(18) lgkmcnt(0)
	v_fma_f64 v[105:106], v[127:128], v[109:110], v[105:106]
	s_waitcnt vmcnt(13)
	v_fma_f64 v[115:116], v[115:116], v[111:112], v[105:106]
	ds_read_b128 v[105:108], v104 offset:768
	ds_read_b128 v[109:112], v104 offset:784
	s_waitcnt vmcnt(12) lgkmcnt(1)
	v_fma_f64 v[105:106], v[129:130], v[105:106], v[115:116]
	s_waitcnt vmcnt(11)
	v_fma_f64 v[105:106], v[123:124], v[107:108], v[105:106]
	s_waitcnt vmcnt(10) lgkmcnt(0)
	v_fma_f64 v[105:106], v[121:122], v[109:110], v[105:106]
	s_waitcnt vmcnt(5)
	v_fma_f64 v[109:110], v[117:118], v[111:112], v[105:106]
	ds_read_b128 v[105:108], v104 offset:800
	ds_read_b64 v[111:112], v104 offset:816
	s_waitcnt vmcnt(4) lgkmcnt(1)
	v_fma_f64 v[105:106], v[133:134], v[105:106], v[109:110]
	s_waitcnt vmcnt(3)
	v_fma_f64 v[105:106], v[131:132], v[107:108], v[105:106]
	s_waitcnt vmcnt(2) lgkmcnt(0)
	v_fma_f64 v[105:106], v[119:120], v[111:112], v[105:106]
	s_waitcnt vmcnt(0)
	v_add_f64 v[105:106], v[113:114], -v[105:106]
	buffer_store_dword v106, off, s[0:3], 0 offset:28
	buffer_store_dword v105, off, s[0:3], 0 offset:24
	s_and_saveexec_b64 s[4:5], vcc
	s_cbranch_execz .LBB114_309
; %bb.308:
	buffer_load_dword v105, off, s[0:3], 0 offset:16
	buffer_load_dword v106, off, s[0:3], 0 offset:20
	s_waitcnt vmcnt(0)
	ds_write_b64 v103, v[105:106]
	buffer_store_dword v104, off, s[0:3], 0 offset:16
	buffer_store_dword v104, off, s[0:3], 0 offset:20
.LBB114_309:
	s_or_b64 exec, exec, s[4:5]
	s_waitcnt lgkmcnt(0)
	; wave barrier
	buffer_load_dword v113, off, s[0:3], 0 offset:24
	buffer_load_dword v114, off, s[0:3], 0 offset:28
	;; [unrolled: 1-line block ×21, first 2 shown]
	ds_read2_b64 v[105:108], v104 offset0:55 offset1:56
	ds_read2_b64 v[109:112], v104 offset0:57 offset1:58
	buffer_load_dword v130, off, s[0:3], 0 offset:108
	v_cmp_lt_u32_e32 vcc, 1, v0
	s_waitcnt vmcnt(20) lgkmcnt(1)
	v_fma_f64 v[105:106], v[113:114], v[105:106], 0
	s_waitcnt vmcnt(18)
	v_fma_f64 v[105:106], v[115:116], v[107:108], v[105:106]
	buffer_load_dword v114, off, s[0:3], 0 offset:116
	buffer_load_dword v115, off, s[0:3], 0 offset:136
	;; [unrolled: 1-line block ×7, first 2 shown]
	s_waitcnt vmcnt(23) lgkmcnt(0)
	v_fma_f64 v[105:106], v[117:118], v[109:110], v[105:106]
	s_waitcnt vmcnt(21)
	v_fma_f64 v[116:117], v[119:120], v[111:112], v[105:106]
	ds_read2_b64 v[105:108], v104 offset0:59 offset1:60
	ds_read2_b64 v[109:112], v104 offset0:61 offset1:62
	s_waitcnt vmcnt(19) lgkmcnt(1)
	v_fma_f64 v[105:106], v[121:122], v[105:106], v[116:117]
	buffer_load_dword v116, off, s[0:3], 0 offset:140
	s_waitcnt vmcnt(18)
	v_fma_f64 v[105:106], v[123:124], v[107:108], v[105:106]
	buffer_load_dword v118, off, s[0:3], 0 offset:148
	buffer_load_dword v119, off, s[0:3], 0 offset:168
	;; [unrolled: 1-line block ×8, first 2 shown]
	s_waitcnt vmcnt(24) lgkmcnt(0)
	v_fma_f64 v[105:106], v[125:126], v[109:110], v[105:106]
	s_waitcnt vmcnt(19)
	v_fma_f64 v[125:126], v[127:128], v[111:112], v[105:106]
	ds_read2_b64 v[105:108], v104 offset0:63 offset1:64
	ds_read2_b64 v[109:112], v104 offset0:65 offset1:66
	s_waitcnt vmcnt(18) lgkmcnt(1)
	v_fma_f64 v[105:106], v[133:134], v[105:106], v[125:126]
	s_waitcnt vmcnt(17)
	v_fma_f64 v[105:106], v[131:132], v[107:108], v[105:106]
	buffer_load_dword v126, off, s[0:3], 0 offset:180
	buffer_load_dword v127, off, s[0:3], 0 offset:200
	buffer_load_dword v131, off, s[0:3], 0 offset:192
	buffer_load_dword v133, off, s[0:3], 0 offset:184
	buffer_load_dword v125, off, s[0:3], 0 offset:176
	buffer_load_dword v134, off, s[0:3], 0 offset:188
	buffer_load_dword v132, off, s[0:3], 0 offset:196
	s_waitcnt vmcnt(23) lgkmcnt(0)
	v_fma_f64 v[105:106], v[129:130], v[109:110], v[105:106]
	s_waitcnt vmcnt(18)
	v_fma_f64 v[113:114], v[113:114], v[111:112], v[105:106]
	ds_read2_b64 v[105:108], v104 offset0:67 offset1:68
	ds_read2_b64 v[109:112], v104 offset0:69 offset1:70
	buffer_load_dword v128, off, s[0:3], 0 offset:204
	s_waitcnt vmcnt(18) lgkmcnt(1)
	v_fma_f64 v[105:106], v[137:138], v[105:106], v[113:114]
	s_waitcnt vmcnt(17)
	v_fma_f64 v[105:106], v[135:136], v[107:108], v[105:106]
	buffer_load_dword v114, off, s[0:3], 0 offset:212
	buffer_load_dword v129, off, s[0:3], 0 offset:232
	;; [unrolled: 1-line block ×8, first 2 shown]
	s_waitcnt vmcnt(24) lgkmcnt(0)
	v_fma_f64 v[105:106], v[115:116], v[109:110], v[105:106]
	s_waitcnt vmcnt(19)
	v_fma_f64 v[115:116], v[117:118], v[111:112], v[105:106]
	ds_read2_b64 v[105:108], v104 offset0:71 offset1:72
	ds_read2_b64 v[109:112], v104 offset0:73 offset1:74
	s_waitcnt vmcnt(18) lgkmcnt(1)
	v_fma_f64 v[105:106], v[123:124], v[105:106], v[115:116]
	s_waitcnt vmcnt(17)
	v_fma_f64 v[105:106], v[121:122], v[107:108], v[105:106]
	buffer_load_dword v116, off, s[0:3], 0 offset:244
	buffer_load_dword v117, off, s[0:3], 0 offset:264
	;; [unrolled: 1-line block ×7, first 2 shown]
	s_waitcnt vmcnt(23) lgkmcnt(0)
	v_fma_f64 v[105:106], v[119:120], v[109:110], v[105:106]
	s_waitcnt vmcnt(18)
	v_fma_f64 v[118:119], v[125:126], v[111:112], v[105:106]
	ds_read2_b64 v[105:108], v104 offset0:75 offset1:76
	ds_read2_b64 v[109:112], v104 offset0:77 offset1:78
	s_waitcnt vmcnt(17) lgkmcnt(1)
	v_fma_f64 v[105:106], v[133:134], v[105:106], v[118:119]
	buffer_load_dword v118, off, s[0:3], 0 offset:268
	s_waitcnt vmcnt(17)
	v_fma_f64 v[105:106], v[131:132], v[107:108], v[105:106]
	buffer_load_dword v120, off, s[0:3], 0 offset:276
	buffer_load_dword v125, off, s[0:3], 0 offset:296
	;; [unrolled: 1-line block ×7, first 2 shown]
	s_waitcnt vmcnt(23) lgkmcnt(0)
	v_fma_f64 v[105:106], v[127:128], v[109:110], v[105:106]
	s_waitcnt vmcnt(18)
	v_fma_f64 v[113:114], v[113:114], v[111:112], v[105:106]
	ds_read2_b64 v[105:108], v104 offset0:79 offset1:80
	ds_read2_b64 v[109:112], v104 offset0:81 offset1:82
	buffer_load_dword v126, off, s[0:3], 0 offset:300
	s_waitcnt vmcnt(18) lgkmcnt(1)
	v_fma_f64 v[105:106], v[137:138], v[105:106], v[113:114]
	s_waitcnt vmcnt(17)
	v_fma_f64 v[105:106], v[135:136], v[107:108], v[105:106]
	buffer_load_dword v114, off, s[0:3], 0 offset:308
	buffer_load_dword v127, off, s[0:3], 0 offset:328
	buffer_load_dword v135, off, s[0:3], 0 offset:320
	buffer_load_dword v137, off, s[0:3], 0 offset:312
	buffer_load_dword v113, off, s[0:3], 0 offset:304
	buffer_load_dword v138, off, s[0:3], 0 offset:316
	buffer_load_dword v136, off, s[0:3], 0 offset:324
	buffer_load_dword v128, off, s[0:3], 0 offset:332
	s_waitcnt vmcnt(24) lgkmcnt(0)
	v_fma_f64 v[105:106], v[129:130], v[109:110], v[105:106]
	s_waitcnt vmcnt(19)
	v_fma_f64 v[115:116], v[115:116], v[111:112], v[105:106]
	ds_read2_b64 v[105:108], v104 offset0:83 offset1:84
	ds_read2_b64 v[109:112], v104 offset0:85 offset1:86
	s_waitcnt vmcnt(18) lgkmcnt(1)
	v_fma_f64 v[105:106], v[123:124], v[105:106], v[115:116]
	s_waitcnt vmcnt(17)
	v_fma_f64 v[105:106], v[121:122], v[107:108], v[105:106]
	buffer_load_dword v116, off, s[0:3], 0 offset:340
	buffer_load_dword v121, off, s[0:3], 0 offset:360
	buffer_load_dword v123, off, s[0:3], 0 offset:352
	buffer_load_dword v129, off, s[0:3], 0 offset:344
	buffer_load_dword v115, off, s[0:3], 0 offset:336
	buffer_load_dword v130, off, s[0:3], 0 offset:348
	buffer_load_dword v124, off, s[0:3], 0 offset:356
	buffer_load_dword v122, off, s[0:3], 0 offset:364
	s_waitcnt vmcnt(24) lgkmcnt(0)
	v_fma_f64 v[105:106], v[117:118], v[109:110], v[105:106]
	s_waitcnt vmcnt(19)
	v_fma_f64 v[117:118], v[119:120], v[111:112], v[105:106]
	ds_read2_b64 v[105:108], v104 offset0:87 offset1:88
	ds_read2_b64 v[109:112], v104 offset0:89 offset1:90
	;; [unrolled: 18-line block ×3, first 2 shown]
	s_waitcnt vmcnt(18) lgkmcnt(1)
	v_fma_f64 v[105:106], v[137:138], v[105:106], v[113:114]
	buffer_load_dword v114, off, s[0:3], 0 offset:404
	buffer_load_dword v113, off, s[0:3], 0 offset:400
	;; [unrolled: 1-line block ×4, first 2 shown]
	s_waitcnt vmcnt(21)
	v_fma_f64 v[105:106], v[135:136], v[107:108], v[105:106]
	s_waitcnt vmcnt(20) lgkmcnt(0)
	v_fma_f64 v[105:106], v[127:128], v[109:110], v[105:106]
	s_waitcnt vmcnt(15)
	v_fma_f64 v[115:116], v[115:116], v[111:112], v[105:106]
	ds_read2_b64 v[105:108], v104 offset0:95 offset1:96
	ds_read2_b64 v[109:112], v104 offset0:97 offset1:98
	s_waitcnt vmcnt(14) lgkmcnt(1)
	v_fma_f64 v[105:106], v[129:130], v[105:106], v[115:116]
	s_waitcnt vmcnt(13)
	v_fma_f64 v[105:106], v[123:124], v[107:108], v[105:106]
	s_waitcnt vmcnt(12) lgkmcnt(0)
	v_fma_f64 v[105:106], v[121:122], v[109:110], v[105:106]
	s_waitcnt vmcnt(7)
	v_fma_f64 v[115:116], v[117:118], v[111:112], v[105:106]
	ds_read2_b64 v[105:108], v104 offset0:99 offset1:100
	ds_read2_b64 v[109:112], v104 offset0:101 offset1:102
	s_waitcnt vmcnt(6) lgkmcnt(1)
	v_fma_f64 v[104:105], v[133:134], v[105:106], v[115:116]
	s_waitcnt vmcnt(5)
	v_fma_f64 v[104:105], v[131:132], v[107:108], v[104:105]
	s_waitcnt vmcnt(4) lgkmcnt(0)
	v_fma_f64 v[104:105], v[119:120], v[109:110], v[104:105]
	s_waitcnt vmcnt(2)
	v_fma_f64 v[104:105], v[113:114], v[111:112], v[104:105]
	s_waitcnt vmcnt(0)
	v_add_f64 v[104:105], v[125:126], -v[104:105]
	buffer_store_dword v105, off, s[0:3], 0 offset:20
	buffer_store_dword v104, off, s[0:3], 0 offset:16
	s_and_saveexec_b64 s[4:5], vcc
	s_cbranch_execz .LBB114_311
; %bb.310:
	buffer_load_dword v104, off, s[0:3], 0 offset:8
	buffer_load_dword v105, off, s[0:3], 0 offset:12
	v_mov_b32_e32 v106, 0
	buffer_store_dword v106, off, s[0:3], 0 offset:8
	buffer_store_dword v106, off, s[0:3], 0 offset:12
	s_waitcnt vmcnt(2)
	ds_write_b64 v103, v[104:105]
.LBB114_311:
	s_or_b64 exec, exec, s[4:5]
	s_waitcnt lgkmcnt(0)
	; wave barrier
	buffer_load_dword v114, off, s[0:3], 0 offset:16
	buffer_load_dword v115, off, s[0:3], 0 offset:20
	;; [unrolled: 1-line block ×21, first 2 shown]
	v_mov_b32_e32 v105, 0
	ds_read_b128 v[106:109], v105 offset:432
	ds_read_b128 v[110:113], v105 offset:448
	buffer_load_dword v131, off, s[0:3], 0 offset:100
	v_cmp_ne_u32_e32 vcc, 0, v0
	s_waitcnt vmcnt(20) lgkmcnt(1)
	v_fma_f64 v[106:107], v[114:115], v[106:107], 0
	s_waitcnt vmcnt(18)
	v_fma_f64 v[106:107], v[116:117], v[108:109], v[106:107]
	buffer_load_dword v115, off, s[0:3], 0 offset:108
	buffer_load_dword v116, off, s[0:3], 0 offset:128
	;; [unrolled: 1-line block ×7, first 2 shown]
	s_waitcnt vmcnt(23) lgkmcnt(0)
	v_fma_f64 v[106:107], v[118:119], v[110:111], v[106:107]
	s_waitcnt vmcnt(21)
	v_fma_f64 v[117:118], v[120:121], v[112:113], v[106:107]
	ds_read_b128 v[106:109], v105 offset:464
	ds_read_b128 v[110:113], v105 offset:480
	s_waitcnt vmcnt(19) lgkmcnt(1)
	v_fma_f64 v[106:107], v[122:123], v[106:107], v[117:118]
	buffer_load_dword v117, off, s[0:3], 0 offset:132
	s_waitcnt vmcnt(18)
	v_fma_f64 v[106:107], v[124:125], v[108:109], v[106:107]
	buffer_load_dword v119, off, s[0:3], 0 offset:140
	buffer_load_dword v120, off, s[0:3], 0 offset:160
	;; [unrolled: 1-line block ×8, first 2 shown]
	s_waitcnt vmcnt(24) lgkmcnt(0)
	v_fma_f64 v[106:107], v[126:127], v[110:111], v[106:107]
	s_waitcnt vmcnt(19)
	v_fma_f64 v[126:127], v[128:129], v[112:113], v[106:107]
	ds_read_b128 v[106:109], v105 offset:496
	ds_read_b128 v[110:113], v105 offset:512
	s_waitcnt vmcnt(18) lgkmcnt(1)
	v_fma_f64 v[106:107], v[134:135], v[106:107], v[126:127]
	s_waitcnt vmcnt(17)
	v_fma_f64 v[106:107], v[132:133], v[108:109], v[106:107]
	buffer_load_dword v127, off, s[0:3], 0 offset:172
	buffer_load_dword v128, off, s[0:3], 0 offset:192
	;; [unrolled: 1-line block ×7, first 2 shown]
	s_waitcnt vmcnt(23) lgkmcnt(0)
	v_fma_f64 v[106:107], v[130:131], v[110:111], v[106:107]
	s_waitcnt vmcnt(18)
	v_fma_f64 v[114:115], v[114:115], v[112:113], v[106:107]
	ds_read_b128 v[106:109], v105 offset:528
	ds_read_b128 v[110:113], v105 offset:544
	buffer_load_dword v129, off, s[0:3], 0 offset:196
	s_waitcnt vmcnt(18) lgkmcnt(1)
	v_fma_f64 v[106:107], v[138:139], v[106:107], v[114:115]
	s_waitcnt vmcnt(17)
	v_fma_f64 v[106:107], v[136:137], v[108:109], v[106:107]
	buffer_load_dword v115, off, s[0:3], 0 offset:204
	buffer_load_dword v130, off, s[0:3], 0 offset:224
	buffer_load_dword v136, off, s[0:3], 0 offset:216
	buffer_load_dword v138, off, s[0:3], 0 offset:208
	buffer_load_dword v114, off, s[0:3], 0 offset:200
	buffer_load_dword v139, off, s[0:3], 0 offset:212
	buffer_load_dword v137, off, s[0:3], 0 offset:220
	s_waitcnt vmcnt(23) lgkmcnt(0)
	v_fma_f64 v[106:107], v[116:117], v[110:111], v[106:107]
	s_waitcnt vmcnt(18)
	v_fma_f64 v[116:117], v[118:119], v[112:113], v[106:107]
	ds_read_b128 v[106:109], v105 offset:560
	ds_read_b128 v[110:113], v105 offset:576
	buffer_load_dword v131, off, s[0:3], 0 offset:228
	s_waitcnt vmcnt(18) lgkmcnt(1)
	v_fma_f64 v[106:107], v[124:125], v[106:107], v[116:117]
	s_waitcnt vmcnt(17)
	v_fma_f64 v[106:107], v[122:123], v[108:109], v[106:107]
	buffer_load_dword v117, off, s[0:3], 0 offset:236
	buffer_load_dword v118, off, s[0:3], 0 offset:256
	;; [unrolled: 1-line block ×7, first 2 shown]
	s_waitcnt vmcnt(23) lgkmcnt(0)
	v_fma_f64 v[106:107], v[120:121], v[110:111], v[106:107]
	s_waitcnt vmcnt(18)
	v_fma_f64 v[119:120], v[126:127], v[112:113], v[106:107]
	ds_read_b128 v[106:109], v105 offset:592
	ds_read_b128 v[110:113], v105 offset:608
	s_waitcnt vmcnt(17) lgkmcnt(1)
	v_fma_f64 v[106:107], v[134:135], v[106:107], v[119:120]
	buffer_load_dword v119, off, s[0:3], 0 offset:260
	s_waitcnt vmcnt(17)
	v_fma_f64 v[106:107], v[132:133], v[108:109], v[106:107]
	buffer_load_dword v121, off, s[0:3], 0 offset:268
	buffer_load_dword v126, off, s[0:3], 0 offset:288
	;; [unrolled: 1-line block ×7, first 2 shown]
	s_waitcnt vmcnt(23) lgkmcnt(0)
	v_fma_f64 v[106:107], v[128:129], v[110:111], v[106:107]
	s_waitcnt vmcnt(18)
	v_fma_f64 v[114:115], v[114:115], v[112:113], v[106:107]
	ds_read_b128 v[106:109], v105 offset:624
	ds_read_b128 v[110:113], v105 offset:640
	buffer_load_dword v127, off, s[0:3], 0 offset:292
	s_waitcnt vmcnt(18) lgkmcnt(1)
	v_fma_f64 v[106:107], v[138:139], v[106:107], v[114:115]
	s_waitcnt vmcnt(17)
	v_fma_f64 v[106:107], v[136:137], v[108:109], v[106:107]
	buffer_load_dword v115, off, s[0:3], 0 offset:300
	buffer_load_dword v128, off, s[0:3], 0 offset:320
	;; [unrolled: 1-line block ×7, first 2 shown]
	s_waitcnt vmcnt(23) lgkmcnt(0)
	v_fma_f64 v[106:107], v[130:131], v[110:111], v[106:107]
	s_waitcnt vmcnt(18)
	v_fma_f64 v[116:117], v[116:117], v[112:113], v[106:107]
	ds_read_b128 v[106:109], v105 offset:656
	ds_read_b128 v[110:113], v105 offset:672
	buffer_load_dword v129, off, s[0:3], 0 offset:324
	s_waitcnt vmcnt(18) lgkmcnt(1)
	v_fma_f64 v[106:107], v[124:125], v[106:107], v[116:117]
	s_waitcnt vmcnt(17)
	v_fma_f64 v[106:107], v[122:123], v[108:109], v[106:107]
	buffer_load_dword v117, off, s[0:3], 0 offset:332
	buffer_load_dword v122, off, s[0:3], 0 offset:352
	;; [unrolled: 1-line block ×8, first 2 shown]
	s_waitcnt vmcnt(24) lgkmcnt(0)
	v_fma_f64 v[106:107], v[118:119], v[110:111], v[106:107]
	s_waitcnt vmcnt(19)
	v_fma_f64 v[118:119], v[120:121], v[112:113], v[106:107]
	ds_read_b128 v[106:109], v105 offset:688
	ds_read_b128 v[110:113], v105 offset:704
	s_waitcnt vmcnt(18) lgkmcnt(1)
	v_fma_f64 v[106:107], v[134:135], v[106:107], v[118:119]
	s_waitcnt vmcnt(17)
	v_fma_f64 v[106:107], v[132:133], v[108:109], v[106:107]
	buffer_load_dword v119, off, s[0:3], 0 offset:364
	buffer_load_dword v120, off, s[0:3], 0 offset:384
	;; [unrolled: 1-line block ×7, first 2 shown]
	s_waitcnt vmcnt(23) lgkmcnt(0)
	v_fma_f64 v[106:107], v[126:127], v[110:111], v[106:107]
	s_waitcnt vmcnt(18)
	v_fma_f64 v[114:115], v[114:115], v[112:113], v[106:107]
	ds_read_b128 v[106:109], v105 offset:720
	ds_read_b128 v[110:113], v105 offset:736
	buffer_load_dword v121, off, s[0:3], 0 offset:388
	s_waitcnt vmcnt(18) lgkmcnt(1)
	v_fma_f64 v[106:107], v[138:139], v[106:107], v[114:115]
	buffer_load_dword v115, off, s[0:3], 0 offset:396
	buffer_load_dword v126, off, s[0:3], 0 offset:400
	;; [unrolled: 1-line block ×4, first 2 shown]
	s_waitcnt vmcnt(21)
	v_fma_f64 v[106:107], v[136:137], v[108:109], v[106:107]
	s_waitcnt vmcnt(20) lgkmcnt(0)
	v_fma_f64 v[106:107], v[128:129], v[110:111], v[106:107]
	buffer_load_dword v128, off, s[0:3], 0 offset:8
	buffer_load_dword v129, off, s[0:3], 0 offset:12
	s_waitcnt vmcnt(17)
	v_fma_f64 v[116:117], v[116:117], v[112:113], v[106:107]
	ds_read_b128 v[106:109], v105 offset:752
	ds_read_b128 v[110:113], v105 offset:768
	s_waitcnt vmcnt(16) lgkmcnt(1)
	v_fma_f64 v[106:107], v[130:131], v[106:107], v[116:117]
	s_waitcnt vmcnt(15)
	v_fma_f64 v[106:107], v[124:125], v[108:109], v[106:107]
	s_waitcnt vmcnt(14) lgkmcnt(0)
	v_fma_f64 v[106:107], v[122:123], v[110:111], v[106:107]
	s_waitcnt vmcnt(9)
	v_fma_f64 v[116:117], v[118:119], v[112:113], v[106:107]
	ds_read_b128 v[106:109], v105 offset:784
	ds_read_b128 v[110:113], v105 offset:800
	s_waitcnt vmcnt(8) lgkmcnt(1)
	v_fma_f64 v[106:107], v[134:135], v[106:107], v[116:117]
	s_waitcnt vmcnt(7)
	v_fma_f64 v[106:107], v[132:133], v[108:109], v[106:107]
	ds_read_b64 v[108:109], v105 offset:816
	s_waitcnt vmcnt(6) lgkmcnt(1)
	v_fma_f64 v[106:107], v[120:121], v[110:111], v[106:107]
	s_waitcnt vmcnt(3)
	v_fma_f64 v[106:107], v[114:115], v[112:113], v[106:107]
	s_waitcnt vmcnt(2) lgkmcnt(0)
	v_fma_f64 v[106:107], v[126:127], v[108:109], v[106:107]
	s_waitcnt vmcnt(0)
	v_add_f64 v[106:107], v[128:129], -v[106:107]
	buffer_store_dword v107, off, s[0:3], 0 offset:12
	buffer_store_dword v106, off, s[0:3], 0 offset:8
	s_and_saveexec_b64 s[4:5], vcc
	s_cbranch_execz .LBB114_313
; %bb.312:
	buffer_load_dword v106, off, s[0:3], 0
	buffer_load_dword v107, off, s[0:3], 0 offset:4
	s_waitcnt vmcnt(0)
	ds_write_b64 v103, v[106:107]
	buffer_store_dword v105, off, s[0:3], 0
	buffer_store_dword v105, off, s[0:3], 0 offset:4
.LBB114_313:
	s_or_b64 exec, exec, s[4:5]
	s_waitcnt lgkmcnt(0)
	; wave barrier
	buffer_load_dword v103, off, s[0:3], 0 offset:8
	buffer_load_dword v104, off, s[0:3], 0 offset:12
	;; [unrolled: 1-line block ×22, first 2 shown]
	ds_read2_b64 v[106:109], v105 offset0:53 offset1:54
	ds_read2_b64 v[110:113], v105 offset0:55 offset1:56
	s_and_b64 vcc, exec, s[14:15]
	s_waitcnt vmcnt(20) lgkmcnt(1)
	v_fma_f64 v[103:104], v[103:104], v[106:107], 0
	s_waitcnt vmcnt(18)
	v_fma_f64 v[103:104], v[114:115], v[108:109], v[103:104]
	buffer_load_dword v115, off, s[0:3], 0 offset:100
	buffer_load_dword v134, off, s[0:3], 0 offset:120
	buffer_load_dword v136, off, s[0:3], 0 offset:112
	buffer_load_dword v138, off, s[0:3], 0 offset:104
	buffer_load_dword v114, off, s[0:3], 0 offset:96
	buffer_load_dword v139, off, s[0:3], 0 offset:108
	buffer_load_dword v137, off, s[0:3], 0 offset:116
	s_waitcnt vmcnt(23) lgkmcnt(0)
	v_fma_f64 v[103:104], v[116:117], v[110:111], v[103:104]
	s_waitcnt vmcnt(21)
	v_fma_f64 v[103:104], v[118:119], v[112:113], v[103:104]
	ds_read2_b64 v[106:109], v105 offset0:57 offset1:58
	ds_read2_b64 v[110:113], v105 offset0:59 offset1:60
	buffer_load_dword v135, off, s[0:3], 0 offset:124
	s_waitcnt vmcnt(20) lgkmcnt(1)
	v_fma_f64 v[103:104], v[120:121], v[106:107], v[103:104]
	s_waitcnt vmcnt(18)
	v_fma_f64 v[103:104], v[122:123], v[108:109], v[103:104]
	buffer_load_dword v117, off, s[0:3], 0 offset:132
	buffer_load_dword v118, off, s[0:3], 0 offset:152
	buffer_load_dword v120, off, s[0:3], 0 offset:144
	buffer_load_dword v122, off, s[0:3], 0 offset:136
	buffer_load_dword v116, off, s[0:3], 0 offset:128
	buffer_load_dword v123, off, s[0:3], 0 offset:140
	buffer_load_dword v121, off, s[0:3], 0 offset:148
	buffer_load_dword v119, off, s[0:3], 0 offset:156
	ds_read2_b64 v[106:109], v105 offset0:61 offset1:62
	s_waitcnt vmcnt(24) lgkmcnt(1)
	v_fma_f64 v[103:104], v[124:125], v[110:111], v[103:104]
	s_waitcnt vmcnt(19)
	v_fma_f64 v[103:104], v[126:127], v[112:113], v[103:104]
	ds_read2_b64 v[110:113], v105 offset0:63 offset1:64
	s_waitcnt vmcnt(18) lgkmcnt(1)
	v_fma_f64 v[103:104], v[132:133], v[106:107], v[103:104]
	s_waitcnt vmcnt(17)
	v_fma_f64 v[103:104], v[130:131], v[108:109], v[103:104]
	buffer_load_dword v125, off, s[0:3], 0 offset:164
	buffer_load_dword v126, off, s[0:3], 0 offset:184
	buffer_load_dword v130, off, s[0:3], 0 offset:176
	buffer_load_dword v132, off, s[0:3], 0 offset:168
	buffer_load_dword v124, off, s[0:3], 0 offset:160
	buffer_load_dword v133, off, s[0:3], 0 offset:172
	buffer_load_dword v131, off, s[0:3], 0 offset:180
	buffer_load_dword v127, off, s[0:3], 0 offset:188
	ds_read2_b64 v[106:109], v105 offset0:65 offset1:66
	s_waitcnt vmcnt(24) lgkmcnt(1)
	v_fma_f64 v[103:104], v[128:129], v[110:111], v[103:104]
	s_waitcnt vmcnt(19)
	v_fma_f64 v[103:104], v[114:115], v[112:113], v[103:104]
	ds_read2_b64 v[110:113], v105 offset0:67 offset1:68
	s_waitcnt vmcnt(18) lgkmcnt(1)
	v_fma_f64 v[103:104], v[138:139], v[106:107], v[103:104]
	s_waitcnt vmcnt(17)
	v_fma_f64 v[103:104], v[136:137], v[108:109], v[103:104]
	buffer_load_dword v115, off, s[0:3], 0 offset:196
	buffer_load_dword v128, off, s[0:3], 0 offset:216
	buffer_load_dword v136, off, s[0:3], 0 offset:208
	buffer_load_dword v138, off, s[0:3], 0 offset:200
	buffer_load_dword v114, off, s[0:3], 0 offset:192
	buffer_load_dword v139, off, s[0:3], 0 offset:204
	buffer_load_dword v137, off, s[0:3], 0 offset:212
	s_waitcnt vmcnt(23) lgkmcnt(0)
	v_fma_f64 v[103:104], v[134:135], v[110:111], v[103:104]
	s_waitcnt vmcnt(18)
	v_fma_f64 v[103:104], v[116:117], v[112:113], v[103:104]
	ds_read2_b64 v[106:109], v105 offset0:69 offset1:70
	ds_read2_b64 v[110:113], v105 offset0:71 offset1:72
	buffer_load_dword v129, off, s[0:3], 0 offset:220
	s_waitcnt vmcnt(18) lgkmcnt(1)
	v_fma_f64 v[103:104], v[122:123], v[106:107], v[103:104]
	s_waitcnt vmcnt(17)
	v_fma_f64 v[103:104], v[120:121], v[108:109], v[103:104]
	buffer_load_dword v117, off, s[0:3], 0 offset:228
	buffer_load_dword v120, off, s[0:3], 0 offset:248
	buffer_load_dword v122, off, s[0:3], 0 offset:240
	buffer_load_dword v134, off, s[0:3], 0 offset:232
	buffer_load_dword v116, off, s[0:3], 0 offset:224
	buffer_load_dword v135, off, s[0:3], 0 offset:236
	buffer_load_dword v123, off, s[0:3], 0 offset:244
	buffer_load_dword v121, off, s[0:3], 0 offset:252
	ds_read2_b64 v[106:109], v105 offset0:73 offset1:74
	s_waitcnt vmcnt(24) lgkmcnt(1)
	v_fma_f64 v[103:104], v[118:119], v[110:111], v[103:104]
	s_waitcnt vmcnt(19)
	v_fma_f64 v[103:104], v[124:125], v[112:113], v[103:104]
	ds_read2_b64 v[110:113], v105 offset0:75 offset1:76
	s_waitcnt vmcnt(18) lgkmcnt(1)
	v_fma_f64 v[103:104], v[132:133], v[106:107], v[103:104]
	s_waitcnt vmcnt(17)
	v_fma_f64 v[103:104], v[130:131], v[108:109], v[103:104]
	buffer_load_dword v119, off, s[0:3], 0 offset:260
	buffer_load_dword v124, off, s[0:3], 0 offset:280
	buffer_load_dword v130, off, s[0:3], 0 offset:272
	buffer_load_dword v132, off, s[0:3], 0 offset:264
	buffer_load_dword v118, off, s[0:3], 0 offset:256
	buffer_load_dword v133, off, s[0:3], 0 offset:268
	buffer_load_dword v131, off, s[0:3], 0 offset:276
	buffer_load_dword v125, off, s[0:3], 0 offset:284
	ds_read2_b64 v[106:109], v105 offset0:77 offset1:78
	s_waitcnt vmcnt(24) lgkmcnt(1)
	v_fma_f64 v[103:104], v[126:127], v[110:111], v[103:104]
	s_waitcnt vmcnt(19)
	v_fma_f64 v[103:104], v[114:115], v[112:113], v[103:104]
	ds_read2_b64 v[110:113], v105 offset0:79 offset1:80
	;; [unrolled: 54-line block ×3, first 2 shown]
	s_waitcnt vmcnt(18) lgkmcnt(1)
	v_fma_f64 v[103:104], v[138:139], v[106:107], v[103:104]
	s_waitcnt vmcnt(17)
	v_fma_f64 v[106:107], v[136:137], v[108:109], v[103:104]
	buffer_load_dword v115, off, s[0:3], 0 offset:388
	buffer_load_dword v124, off, s[0:3], 0 offset:400
	;; [unrolled: 1-line block ×6, first 2 shown]
	s_waitcnt vmcnt(22) lgkmcnt(0)
	v_fma_f64 v[106:107], v[126:127], v[110:111], v[106:107]
	s_waitcnt vmcnt(17)
	v_fma_f64 v[116:117], v[116:117], v[112:113], v[106:107]
	ds_read2_b64 v[106:109], v105 offset0:93 offset1:94
	buffer_load_dword v126, off, s[0:3], 0
	buffer_load_dword v127, off, s[0:3], 0 offset:4
	ds_read2_b64 v[110:113], v105 offset0:95 offset1:96
	s_waitcnt vmcnt(18) lgkmcnt(1)
	v_fma_f64 v[106:107], v[134:135], v[106:107], v[116:117]
	s_waitcnt vmcnt(17)
	v_fma_f64 v[106:107], v[128:129], v[108:109], v[106:107]
	s_waitcnt vmcnt(16) lgkmcnt(0)
	v_fma_f64 v[106:107], v[122:123], v[110:111], v[106:107]
	s_waitcnt vmcnt(11)
	v_fma_f64 v[116:117], v[118:119], v[112:113], v[106:107]
	ds_read2_b64 v[106:109], v105 offset0:97 offset1:98
	ds_read2_b64 v[110:113], v105 offset0:99 offset1:100
	s_waitcnt vmcnt(10) lgkmcnt(1)
	v_fma_f64 v[106:107], v[132:133], v[106:107], v[116:117]
	s_waitcnt vmcnt(9)
	v_fma_f64 v[106:107], v[130:131], v[108:109], v[106:107]
	s_waitcnt vmcnt(8) lgkmcnt(0)
	v_fma_f64 v[106:107], v[120:121], v[110:111], v[106:107]
	s_waitcnt vmcnt(4)
	v_fma_f64 v[109:110], v[114:115], v[112:113], v[106:107]
	ds_read2_b64 v[105:108], v105 offset0:101 offset1:102
	s_waitcnt vmcnt(3) lgkmcnt(0)
	v_fma_f64 v[105:106], v[103:104], v[105:106], v[109:110]
	s_waitcnt vmcnt(2)
	v_fma_f64 v[105:106], v[124:125], v[107:108], v[105:106]
	s_waitcnt vmcnt(0)
	v_add_f64 v[105:106], v[126:127], -v[105:106]
	buffer_store_dword v106, off, s[0:3], 0 offset:4
	buffer_store_dword v105, off, s[0:3], 0
	s_cbranch_vccz .LBB114_414
; %bb.314:
	v_mov_b32_e32 v0, 0
	global_load_dword v105, v0, s[12:13] offset:196
	s_waitcnt vmcnt(0)
	v_add_u32_e32 v105, -1, v105
	v_cmp_ne_u32_e32 vcc, 49, v105
	s_cbranch_vccz .LBB114_316
; %bb.315:
	v_lshlrev_b32_e32 v105, 3, v105
	buffer_load_dword v106, v105, s[0:3], 0 offen
	buffer_load_dword v107, v105, s[0:3], 0 offen offset:4
	s_waitcnt vmcnt(1)
	buffer_store_dword v106, off, s[0:3], 0 offset:392
	s_waitcnt vmcnt(1)
	buffer_store_dword v107, off, s[0:3], 0 offset:396
	buffer_store_dword v103, v105, s[0:3], 0 offen
	buffer_store_dword v104, v105, s[0:3], 0 offen offset:4
.LBB114_316:
	global_load_dword v0, v0, s[12:13] offset:192
	s_waitcnt vmcnt(0)
	v_add_u32_e32 v0, -1, v0
	v_cmp_eq_u32_e32 vcc, 48, v0
	s_cbranch_vccnz .LBB114_318
; %bb.317:
	v_lshlrev_b32_e32 v0, 3, v0
	buffer_load_dword v103, v0, s[0:3], 0 offen
	buffer_load_dword v104, v0, s[0:3], 0 offen offset:4
	buffer_load_dword v105, off, s[0:3], 0 offset:388
	buffer_load_dword v106, off, s[0:3], 0 offset:384
	s_waitcnt vmcnt(3)
	buffer_store_dword v103, off, s[0:3], 0 offset:384
	s_waitcnt vmcnt(3)
	buffer_store_dword v104, off, s[0:3], 0 offset:388
	s_waitcnt vmcnt(3)
	buffer_store_dword v105, v0, s[0:3], 0 offen offset:4
	s_waitcnt vmcnt(3)
	buffer_store_dword v106, v0, s[0:3], 0 offen
.LBB114_318:
	v_mov_b32_e32 v0, 0
	global_load_dword v103, v0, s[12:13] offset:188
	s_waitcnt vmcnt(0)
	v_add_u32_e32 v103, -1, v103
	v_cmp_eq_u32_e32 vcc, 47, v103
	s_cbranch_vccnz .LBB114_320
; %bb.319:
	v_lshlrev_b32_e32 v103, 3, v103
	buffer_load_dword v104, v103, s[0:3], 0 offen
	buffer_load_dword v105, v103, s[0:3], 0 offen offset:4
	buffer_load_dword v106, off, s[0:3], 0 offset:376
	buffer_load_dword v107, off, s[0:3], 0 offset:380
	s_waitcnt vmcnt(3)
	buffer_store_dword v104, off, s[0:3], 0 offset:376
	s_waitcnt vmcnt(3)
	buffer_store_dword v105, off, s[0:3], 0 offset:380
	s_waitcnt vmcnt(3)
	buffer_store_dword v106, v103, s[0:3], 0 offen
	s_waitcnt vmcnt(3)
	buffer_store_dword v107, v103, s[0:3], 0 offen offset:4
.LBB114_320:
	global_load_dword v0, v0, s[12:13] offset:184
	s_waitcnt vmcnt(0)
	v_add_u32_e32 v0, -1, v0
	v_cmp_eq_u32_e32 vcc, 46, v0
	s_cbranch_vccnz .LBB114_322
; %bb.321:
	v_lshlrev_b32_e32 v0, 3, v0
	buffer_load_dword v103, v0, s[0:3], 0 offen
	buffer_load_dword v104, v0, s[0:3], 0 offen offset:4
	buffer_load_dword v105, off, s[0:3], 0 offset:372
	buffer_load_dword v106, off, s[0:3], 0 offset:368
	s_waitcnt vmcnt(3)
	buffer_store_dword v103, off, s[0:3], 0 offset:368
	s_waitcnt vmcnt(3)
	buffer_store_dword v104, off, s[0:3], 0 offset:372
	s_waitcnt vmcnt(3)
	buffer_store_dword v105, v0, s[0:3], 0 offen offset:4
	s_waitcnt vmcnt(3)
	buffer_store_dword v106, v0, s[0:3], 0 offen
.LBB114_322:
	v_mov_b32_e32 v0, 0
	global_load_dword v103, v0, s[12:13] offset:180
	s_waitcnt vmcnt(0)
	v_add_u32_e32 v103, -1, v103
	v_cmp_eq_u32_e32 vcc, 45, v103
	s_cbranch_vccnz .LBB114_324
; %bb.323:
	v_lshlrev_b32_e32 v103, 3, v103
	buffer_load_dword v104, v103, s[0:3], 0 offen
	buffer_load_dword v105, v103, s[0:3], 0 offen offset:4
	buffer_load_dword v106, off, s[0:3], 0 offset:360
	buffer_load_dword v107, off, s[0:3], 0 offset:364
	s_waitcnt vmcnt(3)
	buffer_store_dword v104, off, s[0:3], 0 offset:360
	s_waitcnt vmcnt(3)
	buffer_store_dword v105, off, s[0:3], 0 offset:364
	s_waitcnt vmcnt(3)
	buffer_store_dword v106, v103, s[0:3], 0 offen
	s_waitcnt vmcnt(3)
	buffer_store_dword v107, v103, s[0:3], 0 offen offset:4
.LBB114_324:
	;; [unrolled: 41-line block ×24, first 2 shown]
	global_load_dword v0, v0, s[12:13]
	s_nop 0
	buffer_load_dword v105, off, s[0:3], 0
	buffer_load_dword v106, off, s[0:3], 0 offset:4
	s_waitcnt vmcnt(2)
	v_add_u32_e32 v0, -1, v0
	v_cmp_eq_u32_e32 vcc, 0, v0
	s_cbranch_vccnz .LBB114_414
; %bb.413:
	v_lshlrev_b32_e32 v0, 3, v0
	buffer_load_dword v103, v0, s[0:3], 0 offen offset:4
	buffer_load_dword v104, v0, s[0:3], 0 offen
	s_waitcnt vmcnt(1)
	buffer_store_dword v103, off, s[0:3], 0 offset:4
	s_waitcnt vmcnt(1)
	buffer_store_dword v104, off, s[0:3], 0
	buffer_store_dword v106, v0, s[0:3], 0 offen offset:4
	buffer_store_dword v105, v0, s[0:3], 0 offen
	buffer_load_dword v105, off, s[0:3], 0
	s_nop 0
	buffer_load_dword v106, off, s[0:3], 0 offset:4
.LBB114_414:
	s_waitcnt vmcnt(0)
	flat_store_dwordx2 v[1:2], v[105:106]
	buffer_load_dword v0, off, s[0:3], 0 offset:8
	s_nop 0
	buffer_load_dword v1, off, s[0:3], 0 offset:12
	s_waitcnt vmcnt(0)
	flat_store_dwordx2 v[3:4], v[0:1]
	buffer_load_dword v0, off, s[0:3], 0 offset:16
	s_nop 0
	buffer_load_dword v1, off, s[0:3], 0 offset:20
	;; [unrolled: 5-line block ×50, first 2 shown]
	s_waitcnt vmcnt(0)
	flat_store_dwordx2 v[101:102], v[0:1]
	s_endpgm
	.section	.rodata,"a",@progbits
	.p2align	6, 0x0
	.amdhsa_kernel _ZN9rocsolver6v33100L18getri_kernel_smallILi51EdPKPdEEvT1_iilPiilS6_bb
		.amdhsa_group_segment_fixed_size 824
		.amdhsa_private_segment_fixed_size 416
		.amdhsa_kernarg_size 60
		.amdhsa_user_sgpr_count 6
		.amdhsa_user_sgpr_private_segment_buffer 1
		.amdhsa_user_sgpr_dispatch_ptr 0
		.amdhsa_user_sgpr_queue_ptr 0
		.amdhsa_user_sgpr_kernarg_segment_ptr 1
		.amdhsa_user_sgpr_dispatch_id 0
		.amdhsa_user_sgpr_flat_scratch_init 0
		.amdhsa_user_sgpr_private_segment_size 0
		.amdhsa_uses_dynamic_stack 0
		.amdhsa_system_sgpr_private_segment_wavefront_offset 1
		.amdhsa_system_sgpr_workgroup_id_x 1
		.amdhsa_system_sgpr_workgroup_id_y 0
		.amdhsa_system_sgpr_workgroup_id_z 0
		.amdhsa_system_sgpr_workgroup_info 0
		.amdhsa_system_vgpr_workitem_id 0
		.amdhsa_next_free_vgpr 140
		.amdhsa_next_free_sgpr 21
		.amdhsa_reserve_vcc 1
		.amdhsa_reserve_flat_scratch 0
		.amdhsa_float_round_mode_32 0
		.amdhsa_float_round_mode_16_64 0
		.amdhsa_float_denorm_mode_32 3
		.amdhsa_float_denorm_mode_16_64 3
		.amdhsa_dx10_clamp 1
		.amdhsa_ieee_mode 1
		.amdhsa_fp16_overflow 0
		.amdhsa_exception_fp_ieee_invalid_op 0
		.amdhsa_exception_fp_denorm_src 0
		.amdhsa_exception_fp_ieee_div_zero 0
		.amdhsa_exception_fp_ieee_overflow 0
		.amdhsa_exception_fp_ieee_underflow 0
		.amdhsa_exception_fp_ieee_inexact 0
		.amdhsa_exception_int_div_zero 0
	.end_amdhsa_kernel
	.section	.text._ZN9rocsolver6v33100L18getri_kernel_smallILi51EdPKPdEEvT1_iilPiilS6_bb,"axG",@progbits,_ZN9rocsolver6v33100L18getri_kernel_smallILi51EdPKPdEEvT1_iilPiilS6_bb,comdat
.Lfunc_end114:
	.size	_ZN9rocsolver6v33100L18getri_kernel_smallILi51EdPKPdEEvT1_iilPiilS6_bb, .Lfunc_end114-_ZN9rocsolver6v33100L18getri_kernel_smallILi51EdPKPdEEvT1_iilPiilS6_bb
                                        ; -- End function
	.set _ZN9rocsolver6v33100L18getri_kernel_smallILi51EdPKPdEEvT1_iilPiilS6_bb.num_vgpr, 140
	.set _ZN9rocsolver6v33100L18getri_kernel_smallILi51EdPKPdEEvT1_iilPiilS6_bb.num_agpr, 0
	.set _ZN9rocsolver6v33100L18getri_kernel_smallILi51EdPKPdEEvT1_iilPiilS6_bb.numbered_sgpr, 21
	.set _ZN9rocsolver6v33100L18getri_kernel_smallILi51EdPKPdEEvT1_iilPiilS6_bb.num_named_barrier, 0
	.set _ZN9rocsolver6v33100L18getri_kernel_smallILi51EdPKPdEEvT1_iilPiilS6_bb.private_seg_size, 416
	.set _ZN9rocsolver6v33100L18getri_kernel_smallILi51EdPKPdEEvT1_iilPiilS6_bb.uses_vcc, 1
	.set _ZN9rocsolver6v33100L18getri_kernel_smallILi51EdPKPdEEvT1_iilPiilS6_bb.uses_flat_scratch, 0
	.set _ZN9rocsolver6v33100L18getri_kernel_smallILi51EdPKPdEEvT1_iilPiilS6_bb.has_dyn_sized_stack, 0
	.set _ZN9rocsolver6v33100L18getri_kernel_smallILi51EdPKPdEEvT1_iilPiilS6_bb.has_recursion, 0
	.set _ZN9rocsolver6v33100L18getri_kernel_smallILi51EdPKPdEEvT1_iilPiilS6_bb.has_indirect_call, 0
	.section	.AMDGPU.csdata,"",@progbits
; Kernel info:
; codeLenInByte = 66236
; TotalNumSgprs: 25
; NumVgprs: 140
; ScratchSize: 416
; MemoryBound: 1
; FloatMode: 240
; IeeeMode: 1
; LDSByteSize: 824 bytes/workgroup (compile time only)
; SGPRBlocks: 3
; VGPRBlocks: 34
; NumSGPRsForWavesPerEU: 25
; NumVGPRsForWavesPerEU: 140
; Occupancy: 1
; WaveLimiterHint : 1
; COMPUTE_PGM_RSRC2:SCRATCH_EN: 1
; COMPUTE_PGM_RSRC2:USER_SGPR: 6
; COMPUTE_PGM_RSRC2:TRAP_HANDLER: 0
; COMPUTE_PGM_RSRC2:TGID_X_EN: 1
; COMPUTE_PGM_RSRC2:TGID_Y_EN: 0
; COMPUTE_PGM_RSRC2:TGID_Z_EN: 0
; COMPUTE_PGM_RSRC2:TIDIG_COMP_CNT: 0
	.section	.text._ZN9rocsolver6v33100L18getri_kernel_smallILi52EdPKPdEEvT1_iilPiilS6_bb,"axG",@progbits,_ZN9rocsolver6v33100L18getri_kernel_smallILi52EdPKPdEEvT1_iilPiilS6_bb,comdat
	.globl	_ZN9rocsolver6v33100L18getri_kernel_smallILi52EdPKPdEEvT1_iilPiilS6_bb ; -- Begin function _ZN9rocsolver6v33100L18getri_kernel_smallILi52EdPKPdEEvT1_iilPiilS6_bb
	.p2align	8
	.type	_ZN9rocsolver6v33100L18getri_kernel_smallILi52EdPKPdEEvT1_iilPiilS6_bb,@function
_ZN9rocsolver6v33100L18getri_kernel_smallILi52EdPKPdEEvT1_iilPiilS6_bb: ; @_ZN9rocsolver6v33100L18getri_kernel_smallILi52EdPKPdEEvT1_iilPiilS6_bb
; %bb.0:
	s_add_u32 s0, s0, s7
	s_addc_u32 s1, s1, 0
	v_cmp_gt_u32_e32 vcc, 52, v0
	s_and_saveexec_b64 s[8:9], vcc
	s_cbranch_execz .LBB115_216
; %bb.1:
	s_load_dword s18, s[4:5], 0x38
	s_load_dwordx2 s[12:13], s[4:5], 0x0
	s_load_dwordx4 s[8:11], s[4:5], 0x28
	s_waitcnt lgkmcnt(0)
	s_bitcmp1_b32 s18, 8
	s_cselect_b64 s[14:15], -1, 0
	s_ashr_i32 s7, s6, 31
	s_lshl_b64 s[16:17], s[6:7], 3
	s_add_u32 s12, s12, s16
	s_addc_u32 s13, s13, s17
	s_load_dwordx2 s[16:17], s[12:13], 0x0
	s_bfe_u32 s12, s18, 0x10008
	s_cmp_eq_u32 s12, 0
                                        ; implicit-def: $sgpr12_sgpr13
	s_cbranch_scc1 .LBB115_3
; %bb.2:
	s_load_dword s12, s[4:5], 0x20
	s_load_dwordx2 s[18:19], s[4:5], 0x18
	s_mul_i32 s13, s8, s7
	s_mul_hi_u32 s20, s8, s6
	s_add_i32 s20, s20, s13
	s_mul_i32 s9, s9, s6
	s_add_i32 s9, s20, s9
	s_mul_i32 s8, s8, s6
	s_waitcnt lgkmcnt(0)
	s_ashr_i32 s13, s12, 31
	s_lshl_b64 s[8:9], s[8:9], 2
	s_add_u32 s18, s18, s8
	s_addc_u32 s19, s19, s9
	s_lshl_b64 s[8:9], s[12:13], 2
	s_add_u32 s12, s18, s8
	s_addc_u32 s13, s19, s9
.LBB115_3:
	s_load_dwordx2 s[8:9], s[4:5], 0x8
	s_load_dword s18, s[4:5], 0x38
	v_lshlrev_b32_e32 v107, 3, v0
	s_waitcnt lgkmcnt(0)
	s_ashr_i32 s5, s8, 31
	s_mov_b32 s4, s8
	s_lshl_b64 s[4:5], s[4:5], 3
	s_add_u32 s4, s16, s4
	s_addc_u32 s5, s17, s5
	v_mov_b32_e32 v2, s5
	v_add_co_u32_e32 v1, vcc, s4, v107
	v_addc_co_u32_e32 v2, vcc, 0, v2, vcc
	flat_load_dwordx2 v[5:6], v[1:2]
	s_mov_b32 s16, s9
	s_ashr_i32 s17, s9, 31
	s_lshl_b64 s[16:17], s[16:17], 3
	v_mov_b32_e32 v4, s17
	v_add_co_u32_e32 v3, vcc, s16, v1
	v_addc_co_u32_e32 v4, vcc, v2, v4, vcc
	s_add_i32 s8, s9, s9
	v_add_u32_e32 v9, s8, v0
	v_ashrrev_i32_e32 v10, 31, v9
	v_mov_b32_e32 v11, s5
	v_add_u32_e32 v12, s9, v9
	v_ashrrev_i32_e32 v13, 31, v12
	v_mov_b32_e32 v14, s5
	v_mov_b32_e32 v15, s5
	;; [unrolled: 1-line block ×48, first 2 shown]
	s_bitcmp0_b32 s18, 0
	s_waitcnt vmcnt(0) lgkmcnt(0)
	buffer_store_dword v6, off, s[0:3], 0 offset:4
	buffer_store_dword v5, off, s[0:3], 0
	flat_load_dwordx2 v[7:8], v[3:4]
	v_lshlrev_b64 v[5:6], 3, v[9:10]
	s_waitcnt vmcnt(0) lgkmcnt(0)
	buffer_store_dword v8, off, s[0:3], 0 offset:12
	buffer_store_dword v7, off, s[0:3], 0 offset:8
	v_add_co_u32_e32 v5, vcc, s4, v5
	v_addc_co_u32_e32 v6, vcc, v11, v6, vcc
	flat_load_dwordx2 v[10:11], v[5:6]
	v_lshlrev_b64 v[7:8], 3, v[12:13]
	s_waitcnt vmcnt(0) lgkmcnt(0)
	buffer_store_dword v11, off, s[0:3], 0 offset:20
	buffer_store_dword v10, off, s[0:3], 0 offset:16
	v_add_co_u32_e32 v7, vcc, s4, v7
	v_addc_co_u32_e32 v8, vcc, v14, v8, vcc
	flat_load_dwordx2 v[13:14], v[7:8]
	v_add_u32_e32 v11, s9, v12
	v_ashrrev_i32_e32 v12, 31, v11
	v_lshlrev_b64 v[9:10], 3, v[11:12]
	s_waitcnt vmcnt(0) lgkmcnt(0)
	buffer_store_dword v14, off, s[0:3], 0 offset:28
	buffer_store_dword v13, off, s[0:3], 0 offset:24
	v_add_co_u32_e32 v9, vcc, s4, v9
	v_addc_co_u32_e32 v10, vcc, v15, v10, vcc
	flat_load_dwordx2 v[13:14], v[9:10]
	v_add_u32_e32 v15, s9, v11
	v_ashrrev_i32_e32 v16, 31, v15
	v_lshlrev_b64 v[11:12], 3, v[15:16]
	v_add_u32_e32 v18, s9, v15
	v_add_co_u32_e32 v11, vcc, s4, v11
	v_addc_co_u32_e32 v12, vcc, v17, v12, vcc
	v_ashrrev_i32_e32 v19, 31, v18
	s_waitcnt vmcnt(0) lgkmcnt(0)
	buffer_store_dword v14, off, s[0:3], 0 offset:36
	buffer_store_dword v13, off, s[0:3], 0 offset:32
	flat_load_dwordx2 v[16:17], v[11:12]
	v_lshlrev_b64 v[13:14], 3, v[18:19]
	s_waitcnt vmcnt(0) lgkmcnt(0)
	buffer_store_dword v17, off, s[0:3], 0 offset:44
	buffer_store_dword v16, off, s[0:3], 0 offset:40
	v_add_co_u32_e32 v13, vcc, s4, v13
	v_addc_co_u32_e32 v14, vcc, v20, v14, vcc
	flat_load_dwordx2 v[19:20], v[13:14]
	v_add_u32_e32 v17, s9, v18
	v_ashrrev_i32_e32 v18, 31, v17
	v_lshlrev_b64 v[15:16], 3, v[17:18]
	s_waitcnt vmcnt(0) lgkmcnt(0)
	buffer_store_dword v20, off, s[0:3], 0 offset:52
	buffer_store_dword v19, off, s[0:3], 0 offset:48
	v_add_co_u32_e32 v15, vcc, s4, v15
	v_addc_co_u32_e32 v16, vcc, v21, v16, vcc
	flat_load_dwordx2 v[19:20], v[15:16]
	v_add_u32_e32 v21, s9, v17
	v_ashrrev_i32_e32 v22, 31, v21
	v_lshlrev_b64 v[17:18], 3, v[21:22]
	v_add_u32_e32 v24, s9, v21
	v_add_co_u32_e32 v17, vcc, s4, v17
	v_addc_co_u32_e32 v18, vcc, v23, v18, vcc
	v_ashrrev_i32_e32 v25, 31, v24
	s_waitcnt vmcnt(0) lgkmcnt(0)
	buffer_store_dword v20, off, s[0:3], 0 offset:60
	buffer_store_dword v19, off, s[0:3], 0 offset:56
	;; [unrolled: 27-line block ×7, first 2 shown]
	flat_load_dwordx2 v[52:53], v[47:48]
	v_lshlrev_b64 v[49:50], 3, v[54:55]
	s_waitcnt vmcnt(0) lgkmcnt(0)
	buffer_store_dword v53, off, s[0:3], 0 offset:188
	buffer_store_dword v52, off, s[0:3], 0 offset:184
	v_add_co_u32_e32 v49, vcc, s4, v49
	v_addc_co_u32_e32 v50, vcc, v56, v50, vcc
	flat_load_dwordx2 v[55:56], v[49:50]
	v_add_u32_e32 v53, s9, v54
	v_ashrrev_i32_e32 v54, 31, v53
	v_lshlrev_b64 v[51:52], 3, v[53:54]
	s_waitcnt vmcnt(0) lgkmcnt(0)
	buffer_store_dword v56, off, s[0:3], 0 offset:196
	buffer_store_dword v55, off, s[0:3], 0 offset:192
	v_add_co_u32_e32 v51, vcc, s4, v51
	v_addc_co_u32_e32 v52, vcc, v57, v52, vcc
	flat_load_dwordx2 v[55:56], v[51:52]
	v_add_u32_e32 v57, s9, v53
	v_ashrrev_i32_e32 v58, 31, v57
	v_lshlrev_b64 v[53:54], 3, v[57:58]
	v_add_u32_e32 v60, s9, v57
	v_add_co_u32_e32 v53, vcc, s4, v53
	v_addc_co_u32_e32 v54, vcc, v59, v54, vcc
	s_waitcnt vmcnt(0) lgkmcnt(0)
	buffer_store_dword v56, off, s[0:3], 0 offset:204
	buffer_store_dword v55, off, s[0:3], 0 offset:200
	flat_load_dwordx2 v[58:59], v[53:54]
	v_ashrrev_i32_e32 v61, 31, v60
	v_lshlrev_b64 v[55:56], 3, v[60:61]
	s_waitcnt vmcnt(0) lgkmcnt(0)
	buffer_store_dword v59, off, s[0:3], 0 offset:212
	buffer_store_dword v58, off, s[0:3], 0 offset:208
	v_add_co_u32_e32 v55, vcc, s4, v55
	v_addc_co_u32_e32 v56, vcc, v62, v56, vcc
	flat_load_dwordx2 v[61:62], v[55:56]
	v_add_u32_e32 v59, s9, v60
	v_ashrrev_i32_e32 v60, 31, v59
	v_lshlrev_b64 v[57:58], 3, v[59:60]
	s_waitcnt vmcnt(0) lgkmcnt(0)
	buffer_store_dword v62, off, s[0:3], 0 offset:220
	buffer_store_dword v61, off, s[0:3], 0 offset:216
	v_add_co_u32_e32 v57, vcc, s4, v57
	v_addc_co_u32_e32 v58, vcc, v63, v58, vcc
	flat_load_dwordx2 v[61:62], v[57:58]
	v_add_u32_e32 v63, s9, v59
	;; [unrolled: 9-line block ×24, first 2 shown]
	v_ashrrev_i32_e32 v104, 31, v103
	v_lshlrev_b64 v[103:104], 3, v[103:104]
	v_mov_b32_e32 v106, s5
	v_add_co_u32_e32 v103, vcc, s4, v103
	v_addc_co_u32_e32 v104, vcc, v106, v104, vcc
	s_waitcnt vmcnt(0) lgkmcnt(0)
	buffer_store_dword v109, off, s[0:3], 0 offset:404
	buffer_store_dword v108, off, s[0:3], 0 offset:400
	flat_load_dwordx2 v[105:106], v[103:104]
	s_mov_b64 s[8:9], -1
	s_waitcnt vmcnt(0) lgkmcnt(0)
	buffer_store_dword v106, off, s[0:3], 0 offset:412
	buffer_store_dword v105, off, s[0:3], 0 offset:408
	s_cbranch_scc1 .LBB115_214
; %bb.4:
	v_cmp_eq_u32_e64 s[4:5], 0, v0
	s_and_saveexec_b64 s[8:9], s[4:5]
; %bb.5:
	v_mov_b32_e32 v105, 0
	ds_write_b32 v105, v105 offset:832
; %bb.6:
	s_or_b64 exec, exec, s[8:9]
	v_mov_b32_e32 v105, 0
	v_lshl_add_u32 v105, v0, 3, v105
	s_waitcnt lgkmcnt(0)
	; wave barrier
	buffer_load_dword v108, v105, s[0:3], 0 offen
	buffer_load_dword v109, v105, s[0:3], 0 offen offset:4
	s_waitcnt vmcnt(0)
	v_cmp_eq_f64_e32 vcc, 0, v[108:109]
	s_and_saveexec_b64 s[16:17], vcc
	s_cbranch_execz .LBB115_10
; %bb.7:
	v_mov_b32_e32 v106, 0
	ds_read_b32 v109, v106 offset:832
	v_add_u32_e32 v108, 1, v0
	s_waitcnt lgkmcnt(0)
	v_readfirstlane_b32 s8, v109
	s_cmp_eq_u32 s8, 0
	s_cselect_b64 s[18:19], -1, 0
	v_cmp_gt_i32_e32 vcc, s8, v108
	s_or_b64 s[18:19], s[18:19], vcc
	s_and_b64 exec, exec, s[18:19]
	s_cbranch_execz .LBB115_10
; %bb.8:
	s_mov_b64 s[18:19], 0
	v_mov_b32_e32 v109, s8
.LBB115_9:                              ; =>This Inner Loop Header: Depth=1
	ds_cmpst_rtn_b32 v109, v106, v109, v108 offset:832
	s_waitcnt lgkmcnt(0)
	v_cmp_ne_u32_e32 vcc, 0, v109
	v_cmp_le_i32_e64 s[8:9], v109, v108
	s_and_b64 s[8:9], vcc, s[8:9]
	s_and_b64 s[8:9], exec, s[8:9]
	s_or_b64 s[18:19], s[8:9], s[18:19]
	s_andn2_b64 exec, exec, s[18:19]
	s_cbranch_execnz .LBB115_9
.LBB115_10:
	s_or_b64 exec, exec, s[16:17]
	v_mov_b32_e32 v108, 0
	; wave barrier
	ds_read_b32 v106, v108 offset:832
	s_and_saveexec_b64 s[8:9], s[4:5]
	s_cbranch_execz .LBB115_12
; %bb.11:
	s_lshl_b64 s[16:17], s[6:7], 2
	s_add_u32 s16, s10, s16
	s_addc_u32 s17, s11, s17
	s_waitcnt lgkmcnt(0)
	global_store_dword v108, v106, s[16:17]
.LBB115_12:
	s_or_b64 exec, exec, s[8:9]
	s_waitcnt lgkmcnt(0)
	v_cmp_ne_u32_e32 vcc, 0, v106
	s_mov_b64 s[8:9], 0
	s_cbranch_vccnz .LBB115_214
; %bb.13:
	buffer_load_dword v108, v105, s[0:3], 0 offen
	buffer_load_dword v109, v105, s[0:3], 0 offen offset:4
	s_waitcnt vmcnt(0)
	v_div_scale_f64 v[110:111], s[8:9], v[108:109], v[108:109], 1.0
	v_rcp_f64_e32 v[112:113], v[110:111]
	v_fma_f64 v[114:115], -v[110:111], v[112:113], 1.0
	v_fma_f64 v[112:113], v[112:113], v[114:115], v[112:113]
	v_div_scale_f64 v[114:115], vcc, 1.0, v[108:109], 1.0
	v_fma_f64 v[116:117], -v[110:111], v[112:113], 1.0
	v_fma_f64 v[112:113], v[112:113], v[116:117], v[112:113]
	v_mul_f64 v[116:117], v[114:115], v[112:113]
	v_fma_f64 v[110:111], -v[110:111], v[116:117], v[114:115]
	v_div_fmas_f64 v[110:111], v[110:111], v[112:113], v[116:117]
	v_div_fixup_f64 v[109:110], v[110:111], v[108:109], 1.0
	v_add_u32_e32 v108, 0x1a0, v107
	buffer_store_dword v110, v105, s[0:3], 0 offen offset:4
	buffer_store_dword v109, v105, s[0:3], 0 offen
	buffer_load_dword v112, off, s[0:3], 0 offset:12
	buffer_load_dword v111, off, s[0:3], 0 offset:8
	v_xor_b32_e32 v110, 0x80000000, v110
	s_waitcnt vmcnt(0)
	ds_write2_b64 v107, v[109:110], v[111:112] offset1:52
	s_waitcnt lgkmcnt(0)
	; wave barrier
	s_and_saveexec_b64 s[8:9], s[4:5]
	s_cbranch_execz .LBB115_15
; %bb.14:
	buffer_load_dword v109, v105, s[0:3], 0 offen
	buffer_load_dword v110, v105, s[0:3], 0 offen offset:4
	ds_read_b64 v[111:112], v108
	v_mov_b32_e32 v106, 0
	ds_read_b64 v[113:114], v106 offset:8
	s_waitcnt vmcnt(0) lgkmcnt(1)
	v_fma_f64 v[109:110], v[109:110], v[111:112], 0
	s_waitcnt lgkmcnt(0)
	v_mul_f64 v[109:110], v[109:110], v[113:114]
	buffer_store_dword v109, off, s[0:3], 0 offset:8
	buffer_store_dword v110, off, s[0:3], 0 offset:12
.LBB115_15:
	s_or_b64 exec, exec, s[8:9]
	; wave barrier
	buffer_load_dword v109, off, s[0:3], 0 offset:16
	buffer_load_dword v110, off, s[0:3], 0 offset:20
	v_cmp_gt_u32_e32 vcc, 2, v0
	s_waitcnt vmcnt(0)
	ds_write_b64 v108, v[109:110]
	s_waitcnt lgkmcnt(0)
	; wave barrier
	s_and_saveexec_b64 s[8:9], vcc
	s_cbranch_execz .LBB115_17
; %bb.16:
	buffer_load_dword v109, v105, s[0:3], 0 offen
	buffer_load_dword v110, v105, s[0:3], 0 offen offset:4
                                        ; kill: killed $vgpr105
	s_nop 0
	buffer_load_dword v105, off, s[0:3], 0 offset:8
	buffer_load_dword v106, off, s[0:3], 0 offset:12
	ds_read_b64 v[111:112], v108
	s_waitcnt vmcnt(2) lgkmcnt(0)
	v_fma_f64 v[113:114], v[109:110], v[111:112], 0
	v_mov_b32_e32 v109, 0
	ds_read2_b64 v[109:112], v109 offset0:2 offset1:53
	s_waitcnt vmcnt(0) lgkmcnt(0)
	v_fma_f64 v[105:106], v[105:106], v[111:112], v[113:114]
	v_cndmask_b32_e64 v106, v114, v106, s[4:5]
	v_cndmask_b32_e64 v105, v113, v105, s[4:5]
	v_mul_f64 v[105:106], v[105:106], v[109:110]
	buffer_store_dword v106, off, s[0:3], 0 offset:20
	buffer_store_dword v105, off, s[0:3], 0 offset:16
.LBB115_17:
	s_or_b64 exec, exec, s[8:9]
	; wave barrier
	buffer_load_dword v105, off, s[0:3], 0 offset:24
	buffer_load_dword v106, off, s[0:3], 0 offset:28
	v_cmp_gt_u32_e32 vcc, 3, v0
	v_add_u32_e32 v109, -1, v0
	s_waitcnt vmcnt(0)
	ds_write_b64 v108, v[105:106]
	s_waitcnt lgkmcnt(0)
	; wave barrier
	s_and_saveexec_b64 s[4:5], vcc
	s_cbranch_execz .LBB115_21
; %bb.18:
	v_mov_b32_e32 v105, 0
	v_add_u32_e32 v110, -1, v0
	v_add_u32_e32 v111, 0x1a0, v107
	v_mov_b32_e32 v112, v107
	v_mov_b32_e32 v106, 0
	s_mov_b64 s[8:9], 0
.LBB115_19:                             ; =>This Inner Loop Header: Depth=1
	buffer_load_dword v113, v112, s[0:3], 0 offen
	buffer_load_dword v114, v112, s[0:3], 0 offen offset:4
	ds_read_b64 v[115:116], v111
	v_add_u32_e32 v110, 1, v110
	v_cmp_lt_u32_e32 vcc, 1, v110
	v_add_u32_e32 v111, 8, v111
	s_or_b64 s[8:9], vcc, s[8:9]
	v_add_u32_e32 v112, 8, v112
	s_waitcnt vmcnt(0) lgkmcnt(0)
	v_fma_f64 v[105:106], v[113:114], v[115:116], v[105:106]
	s_andn2_b64 exec, exec, s[8:9]
	s_cbranch_execnz .LBB115_19
; %bb.20:
	s_or_b64 exec, exec, s[8:9]
	v_mov_b32_e32 v110, 0
	ds_read_b64 v[110:111], v110 offset:24
	s_waitcnt lgkmcnt(0)
	v_mul_f64 v[105:106], v[105:106], v[110:111]
	buffer_store_dword v106, off, s[0:3], 0 offset:28
	buffer_store_dword v105, off, s[0:3], 0 offset:24
.LBB115_21:
	s_or_b64 exec, exec, s[4:5]
	; wave barrier
	buffer_load_dword v105, off, s[0:3], 0 offset:32
	buffer_load_dword v106, off, s[0:3], 0 offset:36
	v_cmp_gt_u32_e32 vcc, 4, v0
	s_waitcnt vmcnt(0)
	ds_write_b64 v108, v[105:106]
	s_waitcnt lgkmcnt(0)
	; wave barrier
	s_and_saveexec_b64 s[4:5], vcc
	s_cbranch_execz .LBB115_25
; %bb.22:
	v_mov_b32_e32 v105, 0
	v_add_u32_e32 v110, -1, v0
	v_add_u32_e32 v111, 0x1a0, v107
	v_mov_b32_e32 v112, v107
	v_mov_b32_e32 v106, 0
	s_mov_b64 s[8:9], 0
.LBB115_23:                             ; =>This Inner Loop Header: Depth=1
	buffer_load_dword v113, v112, s[0:3], 0 offen
	buffer_load_dword v114, v112, s[0:3], 0 offen offset:4
	ds_read_b64 v[115:116], v111
	v_add_u32_e32 v110, 1, v110
	v_cmp_lt_u32_e32 vcc, 2, v110
	v_add_u32_e32 v111, 8, v111
	s_or_b64 s[8:9], vcc, s[8:9]
	v_add_u32_e32 v112, 8, v112
	s_waitcnt vmcnt(0) lgkmcnt(0)
	v_fma_f64 v[105:106], v[113:114], v[115:116], v[105:106]
	s_andn2_b64 exec, exec, s[8:9]
	s_cbranch_execnz .LBB115_23
; %bb.24:
	s_or_b64 exec, exec, s[8:9]
	v_mov_b32_e32 v110, 0
	ds_read_b64 v[110:111], v110 offset:32
	s_waitcnt lgkmcnt(0)
	v_mul_f64 v[105:106], v[105:106], v[110:111]
	buffer_store_dword v106, off, s[0:3], 0 offset:36
	buffer_store_dword v105, off, s[0:3], 0 offset:32
.LBB115_25:
	s_or_b64 exec, exec, s[4:5]
	; wave barrier
	buffer_load_dword v105, off, s[0:3], 0 offset:40
	buffer_load_dword v106, off, s[0:3], 0 offset:44
	v_cmp_gt_u32_e32 vcc, 5, v0
	;; [unrolled: 40-line block ×21, first 2 shown]
	s_waitcnt vmcnt(0)
	ds_write_b64 v108, v[105:106]
	s_waitcnt lgkmcnt(0)
	; wave barrier
	s_and_saveexec_b64 s[4:5], vcc
	s_cbranch_execz .LBB115_105
; %bb.102:
	v_mov_b32_e32 v105, 0
	v_add_u32_e32 v110, -1, v0
	v_add_u32_e32 v111, 0x1a0, v107
	v_mov_b32_e32 v112, v107
	v_mov_b32_e32 v106, 0
	s_mov_b64 s[8:9], 0
.LBB115_103:                            ; =>This Inner Loop Header: Depth=1
	buffer_load_dword v113, v112, s[0:3], 0 offen
	buffer_load_dword v114, v112, s[0:3], 0 offen offset:4
	ds_read_b64 v[115:116], v111
	v_add_u32_e32 v110, 1, v110
	v_cmp_lt_u32_e32 vcc, 22, v110
	v_add_u32_e32 v111, 8, v111
	s_or_b64 s[8:9], vcc, s[8:9]
	v_add_u32_e32 v112, 8, v112
	s_waitcnt vmcnt(0) lgkmcnt(0)
	v_fma_f64 v[105:106], v[113:114], v[115:116], v[105:106]
	s_andn2_b64 exec, exec, s[8:9]
	s_cbranch_execnz .LBB115_103
; %bb.104:
	s_or_b64 exec, exec, s[8:9]
	v_mov_b32_e32 v110, 0
	ds_read_b64 v[110:111], v110 offset:192
	s_waitcnt lgkmcnt(0)
	v_mul_f64 v[105:106], v[105:106], v[110:111]
	buffer_store_dword v106, off, s[0:3], 0 offset:196
	buffer_store_dword v105, off, s[0:3], 0 offset:192
.LBB115_105:
	s_or_b64 exec, exec, s[4:5]
	; wave barrier
	buffer_load_dword v105, off, s[0:3], 0 offset:200
	buffer_load_dword v106, off, s[0:3], 0 offset:204
	v_cmp_gt_u32_e32 vcc, 25, v0
	s_waitcnt vmcnt(0)
	ds_write_b64 v108, v[105:106]
	s_waitcnt lgkmcnt(0)
	; wave barrier
	s_and_saveexec_b64 s[4:5], vcc
	s_cbranch_execz .LBB115_109
; %bb.106:
	v_mov_b32_e32 v105, 0
	v_add_u32_e32 v110, -1, v0
	v_add_u32_e32 v111, 0x1a0, v107
	v_mov_b32_e32 v112, v107
	v_mov_b32_e32 v106, 0
	s_mov_b64 s[8:9], 0
.LBB115_107:                            ; =>This Inner Loop Header: Depth=1
	buffer_load_dword v113, v112, s[0:3], 0 offen
	buffer_load_dword v114, v112, s[0:3], 0 offen offset:4
	ds_read_b64 v[115:116], v111
	v_add_u32_e32 v110, 1, v110
	v_cmp_lt_u32_e32 vcc, 23, v110
	v_add_u32_e32 v111, 8, v111
	s_or_b64 s[8:9], vcc, s[8:9]
	v_add_u32_e32 v112, 8, v112
	s_waitcnt vmcnt(0) lgkmcnt(0)
	v_fma_f64 v[105:106], v[113:114], v[115:116], v[105:106]
	s_andn2_b64 exec, exec, s[8:9]
	s_cbranch_execnz .LBB115_107
; %bb.108:
	s_or_b64 exec, exec, s[8:9]
	v_mov_b32_e32 v110, 0
	ds_read_b64 v[110:111], v110 offset:200
	s_waitcnt lgkmcnt(0)
	v_mul_f64 v[105:106], v[105:106], v[110:111]
	buffer_store_dword v106, off, s[0:3], 0 offset:204
	buffer_store_dword v105, off, s[0:3], 0 offset:200
.LBB115_109:
	s_or_b64 exec, exec, s[4:5]
	; wave barrier
	buffer_load_dword v105, off, s[0:3], 0 offset:208
	buffer_load_dword v106, off, s[0:3], 0 offset:212
	v_cmp_gt_u32_e32 vcc, 26, v0
	;; [unrolled: 40-line block ×26, first 2 shown]
	s_waitcnt vmcnt(0)
	ds_write_b64 v108, v[105:106]
	s_waitcnt lgkmcnt(0)
	; wave barrier
	s_and_saveexec_b64 s[4:5], vcc
	s_cbranch_execz .LBB115_209
; %bb.206:
	v_mov_b32_e32 v105, 0
	v_add_u32_e32 v110, -1, v0
	v_add_u32_e32 v111, 0x1a0, v107
	v_mov_b32_e32 v112, v107
	v_mov_b32_e32 v106, 0
	s_mov_b64 s[8:9], 0
.LBB115_207:                            ; =>This Inner Loop Header: Depth=1
	buffer_load_dword v113, v112, s[0:3], 0 offen
	buffer_load_dword v114, v112, s[0:3], 0 offen offset:4
	ds_read_b64 v[115:116], v111
	v_add_u32_e32 v110, 1, v110
	v_cmp_lt_u32_e32 vcc, 48, v110
	v_add_u32_e32 v111, 8, v111
	s_or_b64 s[8:9], vcc, s[8:9]
	v_add_u32_e32 v112, 8, v112
	s_waitcnt vmcnt(0) lgkmcnt(0)
	v_fma_f64 v[105:106], v[113:114], v[115:116], v[105:106]
	s_andn2_b64 exec, exec, s[8:9]
	s_cbranch_execnz .LBB115_207
; %bb.208:
	s_or_b64 exec, exec, s[8:9]
	v_mov_b32_e32 v110, 0
	ds_read_b64 v[110:111], v110 offset:400
	s_waitcnt lgkmcnt(0)
	v_mul_f64 v[105:106], v[105:106], v[110:111]
	buffer_store_dword v106, off, s[0:3], 0 offset:404
	buffer_store_dword v105, off, s[0:3], 0 offset:400
.LBB115_209:
	s_or_b64 exec, exec, s[4:5]
	; wave barrier
	buffer_load_dword v105, off, s[0:3], 0 offset:408
	buffer_load_dword v106, off, s[0:3], 0 offset:412
	v_cmp_ne_u32_e32 vcc, 51, v0
	s_waitcnt vmcnt(0)
	ds_write_b64 v108, v[105:106]
	s_waitcnt lgkmcnt(0)
	; wave barrier
	s_and_saveexec_b64 s[4:5], vcc
	s_cbranch_execz .LBB115_213
; %bb.210:
	v_mov_b32_e32 v105, 0
	v_add_u32_e32 v108, 0x1a0, v107
	v_mov_b32_e32 v106, 0
	s_mov_b64 s[8:9], 0
.LBB115_211:                            ; =>This Inner Loop Header: Depth=1
	buffer_load_dword v110, v107, s[0:3], 0 offen
	buffer_load_dword v111, v107, s[0:3], 0 offen offset:4
	ds_read_b64 v[112:113], v108
	v_add_u32_e32 v109, 1, v109
	v_cmp_lt_u32_e32 vcc, 49, v109
	v_add_u32_e32 v108, 8, v108
	s_or_b64 s[8:9], vcc, s[8:9]
	v_add_u32_e32 v107, 8, v107
	s_waitcnt vmcnt(0) lgkmcnt(0)
	v_fma_f64 v[105:106], v[110:111], v[112:113], v[105:106]
	s_andn2_b64 exec, exec, s[8:9]
	s_cbranch_execnz .LBB115_211
; %bb.212:
	s_or_b64 exec, exec, s[8:9]
	v_mov_b32_e32 v107, 0
	ds_read_b64 v[107:108], v107 offset:408
	s_waitcnt lgkmcnt(0)
	v_mul_f64 v[105:106], v[105:106], v[107:108]
	buffer_store_dword v106, off, s[0:3], 0 offset:412
	buffer_store_dword v105, off, s[0:3], 0 offset:408
.LBB115_213:
	s_or_b64 exec, exec, s[4:5]
	s_mov_b64 s[8:9], -1
	; wave barrier
.LBB115_214:
	s_and_b64 vcc, exec, s[8:9]
	s_cbranch_vccz .LBB115_216
; %bb.215:
	s_lshl_b64 s[4:5], s[6:7], 2
	s_add_u32 s4, s10, s4
	s_addc_u32 s5, s11, s5
	v_mov_b32_e32 v105, 0
	global_load_dword v105, v105, s[4:5]
	s_waitcnt vmcnt(0)
	v_cmp_ne_u32_e32 vcc, 0, v105
	s_cbranch_vccz .LBB115_217
.LBB115_216:
	s_endpgm
.LBB115_217:
	v_mov_b32_e32 v105, 0x1a0
	v_lshl_add_u32 v105, v0, 3, v105
	v_cmp_eq_u32_e32 vcc, 51, v0
	s_and_saveexec_b64 s[4:5], vcc
	s_cbranch_execz .LBB115_219
; %bb.218:
	buffer_load_dword v106, off, s[0:3], 0 offset:400
	buffer_load_dword v107, off, s[0:3], 0 offset:404
	v_mov_b32_e32 v108, 0
	buffer_store_dword v108, off, s[0:3], 0 offset:400
	buffer_store_dword v108, off, s[0:3], 0 offset:404
	s_waitcnt vmcnt(2)
	ds_write_b64 v105, v[106:107]
.LBB115_219:
	s_or_b64 exec, exec, s[4:5]
	s_waitcnt lgkmcnt(0)
	; wave barrier
	buffer_load_dword v107, off, s[0:3], 0 offset:408
	buffer_load_dword v108, off, s[0:3], 0 offset:412
	;; [unrolled: 1-line block ×4, first 2 shown]
	v_mov_b32_e32 v106, 0
	ds_read_b64 v[111:112], v106 offset:824
	v_cmp_lt_u32_e32 vcc, 49, v0
	s_waitcnt vmcnt(2) lgkmcnt(0)
	v_fma_f64 v[107:108], v[107:108], v[111:112], 0
	s_waitcnt vmcnt(0)
	v_add_f64 v[107:108], v[109:110], -v[107:108]
	buffer_store_dword v107, off, s[0:3], 0 offset:400
	buffer_store_dword v108, off, s[0:3], 0 offset:404
	s_and_saveexec_b64 s[4:5], vcc
	s_cbranch_execz .LBB115_221
; %bb.220:
	buffer_load_dword v107, off, s[0:3], 0 offset:392
	buffer_load_dword v108, off, s[0:3], 0 offset:396
	s_waitcnt vmcnt(0)
	ds_write_b64 v105, v[107:108]
	buffer_store_dword v106, off, s[0:3], 0 offset:392
	buffer_store_dword v106, off, s[0:3], 0 offset:396
.LBB115_221:
	s_or_b64 exec, exec, s[4:5]
	s_waitcnt lgkmcnt(0)
	; wave barrier
	buffer_load_dword v110, off, s[0:3], 0 offset:400
	buffer_load_dword v111, off, s[0:3], 0 offset:404
	;; [unrolled: 1-line block ×6, first 2 shown]
	ds_read_b128 v[106:109], v106 offset:816
	v_cmp_lt_u32_e32 vcc, 48, v0
	s_waitcnt vmcnt(4) lgkmcnt(0)
	v_fma_f64 v[106:107], v[110:111], v[106:107], 0
	s_waitcnt vmcnt(2)
	v_fma_f64 v[106:107], v[112:113], v[108:109], v[106:107]
	s_waitcnt vmcnt(0)
	v_add_f64 v[106:107], v[114:115], -v[106:107]
	buffer_store_dword v106, off, s[0:3], 0 offset:392
	buffer_store_dword v107, off, s[0:3], 0 offset:396
	s_and_saveexec_b64 s[4:5], vcc
	s_cbranch_execz .LBB115_223
; %bb.222:
	buffer_load_dword v106, off, s[0:3], 0 offset:384
	buffer_load_dword v107, off, s[0:3], 0 offset:388
	v_mov_b32_e32 v108, 0
	buffer_store_dword v108, off, s[0:3], 0 offset:384
	buffer_store_dword v108, off, s[0:3], 0 offset:388
	s_waitcnt vmcnt(2)
	ds_write_b64 v105, v[106:107]
.LBB115_223:
	s_or_b64 exec, exec, s[4:5]
	s_waitcnt lgkmcnt(0)
	; wave barrier
	buffer_load_dword v111, off, s[0:3], 0 offset:392
	buffer_load_dword v112, off, s[0:3], 0 offset:396
	;; [unrolled: 1-line block ×8, first 2 shown]
	v_mov_b32_e32 v106, 0
	ds_read2_b64 v[107:110], v106 offset0:101 offset1:102
	ds_read_b64 v[119:120], v106 offset:824
	v_cmp_lt_u32_e32 vcc, 47, v0
	s_waitcnt vmcnt(6) lgkmcnt(1)
	v_fma_f64 v[107:108], v[111:112], v[107:108], 0
	s_waitcnt vmcnt(4)
	v_fma_f64 v[107:108], v[113:114], v[109:110], v[107:108]
	s_waitcnt vmcnt(2) lgkmcnt(0)
	v_fma_f64 v[107:108], v[115:116], v[119:120], v[107:108]
	s_waitcnt vmcnt(0)
	v_add_f64 v[107:108], v[117:118], -v[107:108]
	buffer_store_dword v107, off, s[0:3], 0 offset:384
	buffer_store_dword v108, off, s[0:3], 0 offset:388
	s_and_saveexec_b64 s[4:5], vcc
	s_cbranch_execz .LBB115_225
; %bb.224:
	buffer_load_dword v107, off, s[0:3], 0 offset:376
	buffer_load_dword v108, off, s[0:3], 0 offset:380
	s_waitcnt vmcnt(0)
	ds_write_b64 v105, v[107:108]
	buffer_store_dword v106, off, s[0:3], 0 offset:376
	buffer_store_dword v106, off, s[0:3], 0 offset:380
.LBB115_225:
	s_or_b64 exec, exec, s[4:5]
	s_waitcnt lgkmcnt(0)
	; wave barrier
	buffer_load_dword v115, off, s[0:3], 0 offset:384
	buffer_load_dword v116, off, s[0:3], 0 offset:388
	;; [unrolled: 1-line block ×10, first 2 shown]
	ds_read_b128 v[107:110], v106 offset:800
	ds_read_b128 v[111:114], v106 offset:816
	v_cmp_lt_u32_e32 vcc, 46, v0
	s_waitcnt vmcnt(8) lgkmcnt(1)
	v_fma_f64 v[106:107], v[115:116], v[107:108], 0
	s_waitcnt vmcnt(6)
	v_fma_f64 v[106:107], v[117:118], v[109:110], v[106:107]
	s_waitcnt vmcnt(4) lgkmcnt(0)
	v_fma_f64 v[106:107], v[119:120], v[111:112], v[106:107]
	s_waitcnt vmcnt(2)
	v_fma_f64 v[106:107], v[121:122], v[113:114], v[106:107]
	s_waitcnt vmcnt(0)
	v_add_f64 v[106:107], v[123:124], -v[106:107]
	buffer_store_dword v106, off, s[0:3], 0 offset:376
	buffer_store_dword v107, off, s[0:3], 0 offset:380
	s_and_saveexec_b64 s[4:5], vcc
	s_cbranch_execz .LBB115_227
; %bb.226:
	buffer_load_dword v106, off, s[0:3], 0 offset:368
	buffer_load_dword v107, off, s[0:3], 0 offset:372
	v_mov_b32_e32 v108, 0
	buffer_store_dword v108, off, s[0:3], 0 offset:368
	buffer_store_dword v108, off, s[0:3], 0 offset:372
	s_waitcnt vmcnt(2)
	ds_write_b64 v105, v[106:107]
.LBB115_227:
	s_or_b64 exec, exec, s[4:5]
	s_waitcnt lgkmcnt(0)
	; wave barrier
	buffer_load_dword v111, off, s[0:3], 0 offset:368
	buffer_load_dword v112, off, s[0:3], 0 offset:372
	;; [unrolled: 1-line block ×12, first 2 shown]
	v_mov_b32_e32 v106, 0
	ds_read2_b64 v[107:110], v106 offset0:99 offset1:100
	v_cmp_lt_u32_e32 vcc, 45, v0
	s_waitcnt vmcnt(8) lgkmcnt(0)
	v_fma_f64 v[107:108], v[113:114], v[107:108], 0
	s_waitcnt vmcnt(6)
	v_fma_f64 v[113:114], v[115:116], v[109:110], v[107:108]
	ds_read2_b64 v[107:110], v106 offset0:101 offset1:102
	s_waitcnt vmcnt(4) lgkmcnt(0)
	v_fma_f64 v[107:108], v[117:118], v[107:108], v[113:114]
	s_waitcnt vmcnt(2)
	v_fma_f64 v[107:108], v[119:120], v[109:110], v[107:108]
	ds_read_b64 v[109:110], v106 offset:824
	s_waitcnt vmcnt(0) lgkmcnt(0)
	v_fma_f64 v[107:108], v[121:122], v[109:110], v[107:108]
	v_add_f64 v[107:108], v[111:112], -v[107:108]
	buffer_store_dword v107, off, s[0:3], 0 offset:368
	buffer_store_dword v108, off, s[0:3], 0 offset:372
	s_and_saveexec_b64 s[4:5], vcc
	s_cbranch_execz .LBB115_229
; %bb.228:
	buffer_load_dword v107, off, s[0:3], 0 offset:360
	buffer_load_dword v108, off, s[0:3], 0 offset:364
	s_waitcnt vmcnt(0)
	ds_write_b64 v105, v[107:108]
	buffer_store_dword v106, off, s[0:3], 0 offset:360
	buffer_store_dword v106, off, s[0:3], 0 offset:364
.LBB115_229:
	s_or_b64 exec, exec, s[4:5]
	s_waitcnt lgkmcnt(0)
	; wave barrier
	buffer_load_dword v111, off, s[0:3], 0 offset:368
	buffer_load_dword v112, off, s[0:3], 0 offset:372
	;; [unrolled: 1-line block ×14, first 2 shown]
	ds_read_b128 v[107:110], v106 offset:784
	v_cmp_lt_u32_e32 vcc, 44, v0
	s_waitcnt vmcnt(12) lgkmcnt(0)
	v_fma_f64 v[107:108], v[111:112], v[107:108], 0
	s_waitcnt vmcnt(10)
	v_fma_f64 v[111:112], v[113:114], v[109:110], v[107:108]
	ds_read_b128 v[107:110], v106 offset:800
	s_waitcnt vmcnt(8) lgkmcnt(0)
	v_fma_f64 v[107:108], v[115:116], v[107:108], v[111:112]
	s_waitcnt vmcnt(6)
	v_fma_f64 v[110:111], v[117:118], v[109:110], v[107:108]
	ds_read_b128 v[106:109], v106 offset:816
	s_waitcnt vmcnt(4) lgkmcnt(0)
	v_fma_f64 v[106:107], v[119:120], v[106:107], v[110:111]
	s_waitcnt vmcnt(2)
	v_fma_f64 v[106:107], v[121:122], v[108:109], v[106:107]
	s_waitcnt vmcnt(0)
	v_add_f64 v[106:107], v[123:124], -v[106:107]
	buffer_store_dword v106, off, s[0:3], 0 offset:360
	buffer_store_dword v107, off, s[0:3], 0 offset:364
	s_and_saveexec_b64 s[4:5], vcc
	s_cbranch_execz .LBB115_231
; %bb.230:
	buffer_load_dword v106, off, s[0:3], 0 offset:352
	buffer_load_dword v107, off, s[0:3], 0 offset:356
	v_mov_b32_e32 v108, 0
	buffer_store_dword v108, off, s[0:3], 0 offset:352
	buffer_store_dword v108, off, s[0:3], 0 offset:356
	s_waitcnt vmcnt(2)
	ds_write_b64 v105, v[106:107]
.LBB115_231:
	s_or_b64 exec, exec, s[4:5]
	s_waitcnt lgkmcnt(0)
	; wave barrier
	buffer_load_dword v111, off, s[0:3], 0 offset:360
	buffer_load_dword v112, off, s[0:3], 0 offset:364
	;; [unrolled: 1-line block ×16, first 2 shown]
	v_mov_b32_e32 v106, 0
	ds_read2_b64 v[107:110], v106 offset0:97 offset1:98
	v_cmp_lt_u32_e32 vcc, 43, v0
	s_waitcnt vmcnt(14) lgkmcnt(0)
	v_fma_f64 v[107:108], v[111:112], v[107:108], 0
	s_waitcnt vmcnt(12)
	v_fma_f64 v[111:112], v[113:114], v[109:110], v[107:108]
	ds_read2_b64 v[107:110], v106 offset0:99 offset1:100
	s_waitcnt vmcnt(10) lgkmcnt(0)
	v_fma_f64 v[107:108], v[115:116], v[107:108], v[111:112]
	s_waitcnt vmcnt(8)
	v_fma_f64 v[111:112], v[117:118], v[109:110], v[107:108]
	ds_read2_b64 v[107:110], v106 offset0:101 offset1:102
	s_waitcnt vmcnt(6) lgkmcnt(0)
	v_fma_f64 v[107:108], v[119:120], v[107:108], v[111:112]
	s_waitcnt vmcnt(4)
	v_fma_f64 v[107:108], v[121:122], v[109:110], v[107:108]
	ds_read_b64 v[109:110], v106 offset:824
	s_waitcnt vmcnt(2) lgkmcnt(0)
	v_fma_f64 v[107:108], v[123:124], v[109:110], v[107:108]
	s_waitcnt vmcnt(0)
	v_add_f64 v[107:108], v[125:126], -v[107:108]
	buffer_store_dword v107, off, s[0:3], 0 offset:352
	buffer_store_dword v108, off, s[0:3], 0 offset:356
	s_and_saveexec_b64 s[4:5], vcc
	s_cbranch_execz .LBB115_233
; %bb.232:
	buffer_load_dword v107, off, s[0:3], 0 offset:344
	buffer_load_dword v108, off, s[0:3], 0 offset:348
	s_waitcnt vmcnt(0)
	ds_write_b64 v105, v[107:108]
	buffer_store_dword v106, off, s[0:3], 0 offset:344
	buffer_store_dword v106, off, s[0:3], 0 offset:348
.LBB115_233:
	s_or_b64 exec, exec, s[4:5]
	s_waitcnt lgkmcnt(0)
	; wave barrier
	buffer_load_dword v115, off, s[0:3], 0 offset:352
	buffer_load_dword v116, off, s[0:3], 0 offset:356
	;; [unrolled: 1-line block ×18, first 2 shown]
	ds_read_b128 v[107:110], v106 offset:768
	ds_read_b128 v[111:114], v106 offset:784
	v_cmp_lt_u32_e32 vcc, 42, v0
	s_waitcnt vmcnt(16) lgkmcnt(1)
	v_fma_f64 v[107:108], v[115:116], v[107:108], 0
	s_waitcnt vmcnt(14)
	v_fma_f64 v[107:108], v[117:118], v[109:110], v[107:108]
	s_waitcnt vmcnt(12) lgkmcnt(0)
	v_fma_f64 v[107:108], v[119:120], v[111:112], v[107:108]
	s_waitcnt vmcnt(10)
	v_fma_f64 v[115:116], v[121:122], v[113:114], v[107:108]
	ds_read_b128 v[107:110], v106 offset:800
	ds_read_b128 v[111:114], v106 offset:816
	s_waitcnt vmcnt(8) lgkmcnt(1)
	v_fma_f64 v[106:107], v[123:124], v[107:108], v[115:116]
	s_waitcnt vmcnt(6)
	v_fma_f64 v[106:107], v[125:126], v[109:110], v[106:107]
	s_waitcnt vmcnt(4) lgkmcnt(0)
	v_fma_f64 v[106:107], v[127:128], v[111:112], v[106:107]
	s_waitcnt vmcnt(2)
	v_fma_f64 v[106:107], v[129:130], v[113:114], v[106:107]
	s_waitcnt vmcnt(0)
	v_add_f64 v[106:107], v[131:132], -v[106:107]
	buffer_store_dword v106, off, s[0:3], 0 offset:344
	buffer_store_dword v107, off, s[0:3], 0 offset:348
	s_and_saveexec_b64 s[4:5], vcc
	s_cbranch_execz .LBB115_235
; %bb.234:
	buffer_load_dword v106, off, s[0:3], 0 offset:336
	buffer_load_dword v107, off, s[0:3], 0 offset:340
	v_mov_b32_e32 v108, 0
	buffer_store_dword v108, off, s[0:3], 0 offset:336
	buffer_store_dword v108, off, s[0:3], 0 offset:340
	s_waitcnt vmcnt(2)
	ds_write_b64 v105, v[106:107]
.LBB115_235:
	s_or_b64 exec, exec, s[4:5]
	s_waitcnt lgkmcnt(0)
	; wave barrier
	buffer_load_dword v115, off, s[0:3], 0 offset:344
	buffer_load_dword v116, off, s[0:3], 0 offset:348
	buffer_load_dword v117, off, s[0:3], 0 offset:352
	buffer_load_dword v118, off, s[0:3], 0 offset:356
	buffer_load_dword v119, off, s[0:3], 0 offset:360
	buffer_load_dword v120, off, s[0:3], 0 offset:364
	buffer_load_dword v121, off, s[0:3], 0 offset:368
	buffer_load_dword v122, off, s[0:3], 0 offset:372
	buffer_load_dword v123, off, s[0:3], 0 offset:376
	buffer_load_dword v124, off, s[0:3], 0 offset:380
	buffer_load_dword v125, off, s[0:3], 0 offset:384
	buffer_load_dword v126, off, s[0:3], 0 offset:388
	buffer_load_dword v127, off, s[0:3], 0 offset:392
	buffer_load_dword v128, off, s[0:3], 0 offset:396
	buffer_load_dword v130, off, s[0:3], 0 offset:404
	buffer_load_dword v131, off, s[0:3], 0 offset:408
	buffer_load_dword v129, off, s[0:3], 0 offset:400
	buffer_load_dword v132, off, s[0:3], 0 offset:412
	buffer_load_dword v133, off, s[0:3], 0 offset:336
	buffer_load_dword v134, off, s[0:3], 0 offset:340
	v_mov_b32_e32 v106, 0
	ds_read2_b64 v[107:110], v106 offset0:95 offset1:96
	ds_read2_b64 v[111:114], v106 offset0:97 offset1:98
	v_cmp_lt_u32_e32 vcc, 41, v0
	s_waitcnt vmcnt(18) lgkmcnt(1)
	v_fma_f64 v[107:108], v[115:116], v[107:108], 0
	s_waitcnt vmcnt(16)
	v_fma_f64 v[107:108], v[117:118], v[109:110], v[107:108]
	s_waitcnt vmcnt(14) lgkmcnt(0)
	v_fma_f64 v[107:108], v[119:120], v[111:112], v[107:108]
	s_waitcnt vmcnt(12)
	v_fma_f64 v[115:116], v[121:122], v[113:114], v[107:108]
	ds_read2_b64 v[107:110], v106 offset0:99 offset1:100
	ds_read2_b64 v[111:114], v106 offset0:101 offset1:102
	s_waitcnt vmcnt(10) lgkmcnt(1)
	v_fma_f64 v[107:108], v[123:124], v[107:108], v[115:116]
	s_waitcnt vmcnt(8)
	v_fma_f64 v[107:108], v[125:126], v[109:110], v[107:108]
	ds_read_b64 v[109:110], v106 offset:824
	s_waitcnt vmcnt(6) lgkmcnt(1)
	v_fma_f64 v[107:108], v[127:128], v[111:112], v[107:108]
	s_waitcnt vmcnt(3)
	v_fma_f64 v[107:108], v[129:130], v[113:114], v[107:108]
	s_waitcnt vmcnt(2) lgkmcnt(0)
	v_fma_f64 v[107:108], v[131:132], v[109:110], v[107:108]
	s_waitcnt vmcnt(0)
	v_add_f64 v[107:108], v[133:134], -v[107:108]
	buffer_store_dword v107, off, s[0:3], 0 offset:336
	buffer_store_dword v108, off, s[0:3], 0 offset:340
	s_and_saveexec_b64 s[4:5], vcc
	s_cbranch_execz .LBB115_237
; %bb.236:
	buffer_load_dword v107, off, s[0:3], 0 offset:328
	buffer_load_dword v108, off, s[0:3], 0 offset:332
	s_waitcnt vmcnt(0)
	ds_write_b64 v105, v[107:108]
	buffer_store_dword v106, off, s[0:3], 0 offset:328
	buffer_store_dword v106, off, s[0:3], 0 offset:332
.LBB115_237:
	s_or_b64 exec, exec, s[4:5]
	s_waitcnt lgkmcnt(0)
	; wave barrier
	buffer_load_dword v115, off, s[0:3], 0 offset:336
	buffer_load_dword v116, off, s[0:3], 0 offset:340
	;; [unrolled: 1-line block ×20, first 2 shown]
	ds_read_b128 v[107:110], v106 offset:752
	buffer_load_dword v135, off, s[0:3], 0 offset:328
	buffer_load_dword v136, off, s[0:3], 0 offset:332
	ds_read_b128 v[111:114], v106 offset:768
	v_cmp_lt_u32_e32 vcc, 40, v0
	s_waitcnt vmcnt(20) lgkmcnt(1)
	v_fma_f64 v[107:108], v[115:116], v[107:108], 0
	s_waitcnt vmcnt(18)
	v_fma_f64 v[107:108], v[117:118], v[109:110], v[107:108]
	s_waitcnt vmcnt(16) lgkmcnt(0)
	v_fma_f64 v[107:108], v[119:120], v[111:112], v[107:108]
	s_waitcnt vmcnt(14)
	v_fma_f64 v[115:116], v[121:122], v[113:114], v[107:108]
	ds_read_b128 v[107:110], v106 offset:784
	ds_read_b128 v[111:114], v106 offset:800
	s_waitcnt vmcnt(12) lgkmcnt(1)
	v_fma_f64 v[107:108], v[123:124], v[107:108], v[115:116]
	s_waitcnt vmcnt(10)
	v_fma_f64 v[107:108], v[125:126], v[109:110], v[107:108]
	s_waitcnt vmcnt(8) lgkmcnt(0)
	v_fma_f64 v[107:108], v[127:128], v[111:112], v[107:108]
	s_waitcnt vmcnt(4)
	v_fma_f64 v[110:111], v[129:130], v[113:114], v[107:108]
	ds_read_b128 v[106:109], v106 offset:816
	s_waitcnt vmcnt(3) lgkmcnt(0)
	v_fma_f64 v[106:107], v[133:134], v[106:107], v[110:111]
	s_waitcnt vmcnt(2)
	v_fma_f64 v[106:107], v[131:132], v[108:109], v[106:107]
	s_waitcnt vmcnt(0)
	v_add_f64 v[106:107], v[135:136], -v[106:107]
	buffer_store_dword v106, off, s[0:3], 0 offset:328
	buffer_store_dword v107, off, s[0:3], 0 offset:332
	s_and_saveexec_b64 s[4:5], vcc
	s_cbranch_execz .LBB115_239
; %bb.238:
	buffer_load_dword v106, off, s[0:3], 0 offset:320
	buffer_load_dword v107, off, s[0:3], 0 offset:324
	v_mov_b32_e32 v108, 0
	buffer_store_dword v108, off, s[0:3], 0 offset:320
	buffer_store_dword v108, off, s[0:3], 0 offset:324
	s_waitcnt vmcnt(2)
	ds_write_b64 v105, v[106:107]
.LBB115_239:
	s_or_b64 exec, exec, s[4:5]
	s_waitcnt lgkmcnt(0)
	; wave barrier
	buffer_load_dword v115, off, s[0:3], 0 offset:328
	buffer_load_dword v116, off, s[0:3], 0 offset:332
	;; [unrolled: 1-line block ×21, first 2 shown]
	v_mov_b32_e32 v106, 0
	ds_read2_b64 v[107:110], v106 offset0:93 offset1:94
	ds_read2_b64 v[111:114], v106 offset0:95 offset1:96
	buffer_load_dword v132, off, s[0:3], 0 offset:412
	v_cmp_lt_u32_e32 vcc, 39, v0
	s_waitcnt vmcnt(20) lgkmcnt(1)
	v_fma_f64 v[107:108], v[115:116], v[107:108], 0
	buffer_load_dword v115, off, s[0:3], 0 offset:320
	buffer_load_dword v116, off, s[0:3], 0 offset:324
	s_waitcnt vmcnt(20)
	v_fma_f64 v[107:108], v[117:118], v[109:110], v[107:108]
	s_waitcnt vmcnt(18) lgkmcnt(0)
	v_fma_f64 v[107:108], v[119:120], v[111:112], v[107:108]
	s_waitcnt vmcnt(16)
	v_fma_f64 v[117:118], v[121:122], v[113:114], v[107:108]
	ds_read2_b64 v[107:110], v106 offset0:97 offset1:98
	ds_read2_b64 v[111:114], v106 offset0:99 offset1:100
	s_waitcnt vmcnt(14) lgkmcnt(1)
	v_fma_f64 v[107:108], v[123:124], v[107:108], v[117:118]
	s_waitcnt vmcnt(12)
	v_fma_f64 v[107:108], v[125:126], v[109:110], v[107:108]
	s_waitcnt vmcnt(10) lgkmcnt(0)
	v_fma_f64 v[107:108], v[127:128], v[111:112], v[107:108]
	s_waitcnt vmcnt(5)
	v_fma_f64 v[111:112], v[129:130], v[113:114], v[107:108]
	ds_read2_b64 v[107:110], v106 offset0:101 offset1:102
	ds_read_b64 v[113:114], v106 offset:824
	s_waitcnt vmcnt(4) lgkmcnt(1)
	v_fma_f64 v[107:108], v[135:136], v[107:108], v[111:112]
	s_waitcnt vmcnt(3)
	v_fma_f64 v[107:108], v[133:134], v[109:110], v[107:108]
	s_waitcnt vmcnt(2) lgkmcnt(0)
	v_fma_f64 v[107:108], v[131:132], v[113:114], v[107:108]
	s_waitcnt vmcnt(0)
	v_add_f64 v[107:108], v[115:116], -v[107:108]
	buffer_store_dword v108, off, s[0:3], 0 offset:324
	buffer_store_dword v107, off, s[0:3], 0 offset:320
	s_and_saveexec_b64 s[4:5], vcc
	s_cbranch_execz .LBB115_241
; %bb.240:
	buffer_load_dword v107, off, s[0:3], 0 offset:312
	buffer_load_dword v108, off, s[0:3], 0 offset:316
	s_waitcnt vmcnt(0)
	ds_write_b64 v105, v[107:108]
	buffer_store_dword v106, off, s[0:3], 0 offset:312
	buffer_store_dword v106, off, s[0:3], 0 offset:316
.LBB115_241:
	s_or_b64 exec, exec, s[4:5]
	s_waitcnt lgkmcnt(0)
	; wave barrier
	buffer_load_dword v115, off, s[0:3], 0 offset:320
	buffer_load_dword v116, off, s[0:3], 0 offset:324
	;; [unrolled: 1-line block ×21, first 2 shown]
	ds_read_b128 v[107:110], v106 offset:736
	ds_read_b128 v[111:114], v106 offset:752
	buffer_load_dword v132, off, s[0:3], 0 offset:404
	v_cmp_lt_u32_e32 vcc, 38, v0
	s_waitcnt vmcnt(20) lgkmcnt(1)
	v_fma_f64 v[107:108], v[115:116], v[107:108], 0
	buffer_load_dword v116, off, s[0:3], 0 offset:412
	buffer_load_dword v115, off, s[0:3], 0 offset:408
	s_waitcnt vmcnt(20)
	v_fma_f64 v[107:108], v[117:118], v[109:110], v[107:108]
	buffer_load_dword v117, off, s[0:3], 0 offset:312
	buffer_load_dword v118, off, s[0:3], 0 offset:316
	s_waitcnt vmcnt(20) lgkmcnt(0)
	v_fma_f64 v[107:108], v[119:120], v[111:112], v[107:108]
	s_waitcnt vmcnt(18)
	v_fma_f64 v[119:120], v[121:122], v[113:114], v[107:108]
	ds_read_b128 v[107:110], v106 offset:768
	ds_read_b128 v[111:114], v106 offset:784
	s_waitcnt vmcnt(16) lgkmcnt(1)
	v_fma_f64 v[107:108], v[123:124], v[107:108], v[119:120]
	s_waitcnt vmcnt(14)
	v_fma_f64 v[107:108], v[125:126], v[109:110], v[107:108]
	s_waitcnt vmcnt(12) lgkmcnt(0)
	v_fma_f64 v[107:108], v[127:128], v[111:112], v[107:108]
	s_waitcnt vmcnt(7)
	v_fma_f64 v[119:120], v[129:130], v[113:114], v[107:108]
	ds_read_b128 v[107:110], v106 offset:800
	ds_read_b128 v[111:114], v106 offset:816
	s_waitcnt vmcnt(6) lgkmcnt(1)
	v_fma_f64 v[106:107], v[135:136], v[107:108], v[119:120]
	s_waitcnt vmcnt(5)
	v_fma_f64 v[106:107], v[133:134], v[109:110], v[106:107]
	s_waitcnt vmcnt(4) lgkmcnt(0)
	v_fma_f64 v[106:107], v[131:132], v[111:112], v[106:107]
	s_waitcnt vmcnt(2)
	v_fma_f64 v[106:107], v[115:116], v[113:114], v[106:107]
	s_waitcnt vmcnt(0)
	v_add_f64 v[106:107], v[117:118], -v[106:107]
	buffer_store_dword v107, off, s[0:3], 0 offset:316
	buffer_store_dword v106, off, s[0:3], 0 offset:312
	s_and_saveexec_b64 s[4:5], vcc
	s_cbranch_execz .LBB115_243
; %bb.242:
	buffer_load_dword v106, off, s[0:3], 0 offset:304
	buffer_load_dword v107, off, s[0:3], 0 offset:308
	v_mov_b32_e32 v108, 0
	buffer_store_dword v108, off, s[0:3], 0 offset:304
	buffer_store_dword v108, off, s[0:3], 0 offset:308
	s_waitcnt vmcnt(2)
	ds_write_b64 v105, v[106:107]
.LBB115_243:
	s_or_b64 exec, exec, s[4:5]
	s_waitcnt lgkmcnt(0)
	; wave barrier
	buffer_load_dword v115, off, s[0:3], 0 offset:312
	buffer_load_dword v116, off, s[0:3], 0 offset:316
	;; [unrolled: 1-line block ×21, first 2 shown]
	v_mov_b32_e32 v106, 0
	ds_read2_b64 v[107:110], v106 offset0:91 offset1:92
	ds_read2_b64 v[111:114], v106 offset0:93 offset1:94
	buffer_load_dword v132, off, s[0:3], 0 offset:396
	v_cmp_lt_u32_e32 vcc, 37, v0
	s_waitcnt vmcnt(20) lgkmcnt(1)
	v_fma_f64 v[107:108], v[115:116], v[107:108], 0
	s_waitcnt vmcnt(18)
	v_fma_f64 v[107:108], v[117:118], v[109:110], v[107:108]
	buffer_load_dword v116, off, s[0:3], 0 offset:404
	buffer_load_dword v117, off, s[0:3], 0 offset:408
	;; [unrolled: 1-line block ×4, first 2 shown]
	s_waitcnt vmcnt(20) lgkmcnt(0)
	v_fma_f64 v[107:108], v[119:120], v[111:112], v[107:108]
	buffer_load_dword v119, off, s[0:3], 0 offset:304
	buffer_load_dword v120, off, s[0:3], 0 offset:308
	s_waitcnt vmcnt(20)
	v_fma_f64 v[121:122], v[121:122], v[113:114], v[107:108]
	ds_read2_b64 v[107:110], v106 offset0:95 offset1:96
	ds_read2_b64 v[111:114], v106 offset0:97 offset1:98
	s_waitcnt vmcnt(18) lgkmcnt(1)
	v_fma_f64 v[107:108], v[123:124], v[107:108], v[121:122]
	s_waitcnt vmcnt(16)
	v_fma_f64 v[107:108], v[125:126], v[109:110], v[107:108]
	s_waitcnt vmcnt(14) lgkmcnt(0)
	v_fma_f64 v[107:108], v[127:128], v[111:112], v[107:108]
	s_waitcnt vmcnt(9)
	v_fma_f64 v[121:122], v[129:130], v[113:114], v[107:108]
	ds_read2_b64 v[107:110], v106 offset0:99 offset1:100
	ds_read2_b64 v[111:114], v106 offset0:101 offset1:102
	s_waitcnt vmcnt(8) lgkmcnt(1)
	v_fma_f64 v[107:108], v[135:136], v[107:108], v[121:122]
	s_waitcnt vmcnt(7)
	v_fma_f64 v[107:108], v[133:134], v[109:110], v[107:108]
	ds_read_b64 v[109:110], v106 offset:824
	s_waitcnt vmcnt(6) lgkmcnt(1)
	v_fma_f64 v[107:108], v[131:132], v[111:112], v[107:108]
	s_waitcnt vmcnt(3)
	v_fma_f64 v[107:108], v[115:116], v[113:114], v[107:108]
	s_waitcnt vmcnt(2) lgkmcnt(0)
	v_fma_f64 v[107:108], v[117:118], v[109:110], v[107:108]
	s_waitcnt vmcnt(0)
	v_add_f64 v[107:108], v[119:120], -v[107:108]
	buffer_store_dword v108, off, s[0:3], 0 offset:308
	buffer_store_dword v107, off, s[0:3], 0 offset:304
	s_and_saveexec_b64 s[4:5], vcc
	s_cbranch_execz .LBB115_245
; %bb.244:
	buffer_load_dword v107, off, s[0:3], 0 offset:296
	buffer_load_dword v108, off, s[0:3], 0 offset:300
	s_waitcnt vmcnt(0)
	ds_write_b64 v105, v[107:108]
	buffer_store_dword v106, off, s[0:3], 0 offset:296
	buffer_store_dword v106, off, s[0:3], 0 offset:300
.LBB115_245:
	s_or_b64 exec, exec, s[4:5]
	s_waitcnt lgkmcnt(0)
	; wave barrier
	buffer_load_dword v115, off, s[0:3], 0 offset:304
	buffer_load_dword v116, off, s[0:3], 0 offset:308
	;; [unrolled: 1-line block ×22, first 2 shown]
	ds_read_b128 v[107:110], v106 offset:720
	ds_read_b128 v[111:114], v106 offset:736
	v_cmp_lt_u32_e32 vcc, 36, v0
	s_waitcnt vmcnt(20) lgkmcnt(1)
	v_fma_f64 v[107:108], v[115:116], v[107:108], 0
	s_waitcnt vmcnt(18)
	v_fma_f64 v[107:108], v[117:118], v[109:110], v[107:108]
	buffer_load_dword v116, off, s[0:3], 0 offset:396
	buffer_load_dword v117, off, s[0:3], 0 offset:408
	buffer_load_dword v137, off, s[0:3], 0 offset:400
	buffer_load_dword v115, off, s[0:3], 0 offset:392
	buffer_load_dword v138, off, s[0:3], 0 offset:404
	buffer_load_dword v118, off, s[0:3], 0 offset:412
	s_waitcnt vmcnt(22) lgkmcnt(0)
	v_fma_f64 v[107:108], v[119:120], v[111:112], v[107:108]
	s_waitcnt vmcnt(20)
	v_fma_f64 v[119:120], v[121:122], v[113:114], v[107:108]
	ds_read_b128 v[107:110], v106 offset:752
	buffer_load_dword v121, off, s[0:3], 0 offset:296
	buffer_load_dword v122, off, s[0:3], 0 offset:300
	ds_read_b128 v[111:114], v106 offset:768
	s_waitcnt vmcnt(20) lgkmcnt(1)
	v_fma_f64 v[107:108], v[123:124], v[107:108], v[119:120]
	s_waitcnt vmcnt(18)
	v_fma_f64 v[107:108], v[125:126], v[109:110], v[107:108]
	s_waitcnt vmcnt(16) lgkmcnt(0)
	v_fma_f64 v[107:108], v[127:128], v[111:112], v[107:108]
	s_waitcnt vmcnt(11)
	v_fma_f64 v[119:120], v[129:130], v[113:114], v[107:108]
	ds_read_b128 v[107:110], v106 offset:784
	ds_read_b128 v[111:114], v106 offset:800
	s_waitcnt vmcnt(10) lgkmcnt(1)
	v_fma_f64 v[107:108], v[135:136], v[107:108], v[119:120]
	s_waitcnt vmcnt(9)
	v_fma_f64 v[107:108], v[133:134], v[109:110], v[107:108]
	s_waitcnt vmcnt(8) lgkmcnt(0)
	v_fma_f64 v[107:108], v[131:132], v[111:112], v[107:108]
	s_waitcnt vmcnt(4)
	v_fma_f64 v[110:111], v[115:116], v[113:114], v[107:108]
	ds_read_b128 v[106:109], v106 offset:816
	s_waitcnt vmcnt(3) lgkmcnt(0)
	v_fma_f64 v[106:107], v[137:138], v[106:107], v[110:111]
	s_waitcnt vmcnt(2)
	v_fma_f64 v[106:107], v[117:118], v[108:109], v[106:107]
	s_waitcnt vmcnt(0)
	v_add_f64 v[106:107], v[121:122], -v[106:107]
	buffer_store_dword v107, off, s[0:3], 0 offset:300
	buffer_store_dword v106, off, s[0:3], 0 offset:296
	s_and_saveexec_b64 s[4:5], vcc
	s_cbranch_execz .LBB115_247
; %bb.246:
	buffer_load_dword v106, off, s[0:3], 0 offset:288
	buffer_load_dword v107, off, s[0:3], 0 offset:292
	v_mov_b32_e32 v108, 0
	buffer_store_dword v108, off, s[0:3], 0 offset:288
	buffer_store_dword v108, off, s[0:3], 0 offset:292
	s_waitcnt vmcnt(2)
	ds_write_b64 v105, v[106:107]
.LBB115_247:
	s_or_b64 exec, exec, s[4:5]
	s_waitcnt lgkmcnt(0)
	; wave barrier
	buffer_load_dword v115, off, s[0:3], 0 offset:296
	buffer_load_dword v116, off, s[0:3], 0 offset:300
	;; [unrolled: 1-line block ×22, first 2 shown]
	v_mov_b32_e32 v106, 0
	ds_read2_b64 v[107:110], v106 offset0:89 offset1:90
	ds_read2_b64 v[111:114], v106 offset0:91 offset1:92
	v_cmp_lt_u32_e32 vcc, 35, v0
	s_waitcnt vmcnt(20) lgkmcnt(1)
	v_fma_f64 v[107:108], v[115:116], v[107:108], 0
	s_waitcnt vmcnt(18)
	v_fma_f64 v[107:108], v[117:118], v[109:110], v[107:108]
	buffer_load_dword v116, off, s[0:3], 0 offset:388
	buffer_load_dword v117, off, s[0:3], 0 offset:408
	;; [unrolled: 1-line block ×8, first 2 shown]
	s_waitcnt vmcnt(24) lgkmcnt(0)
	v_fma_f64 v[107:108], v[119:120], v[111:112], v[107:108]
	s_waitcnt vmcnt(22)
	v_fma_f64 v[119:120], v[121:122], v[113:114], v[107:108]
	ds_read2_b64 v[107:110], v106 offset0:93 offset1:94
	ds_read2_b64 v[111:114], v106 offset0:95 offset1:96
	s_waitcnt vmcnt(20) lgkmcnt(1)
	v_fma_f64 v[107:108], v[123:124], v[107:108], v[119:120]
	buffer_load_dword v119, off, s[0:3], 0 offset:288
	buffer_load_dword v120, off, s[0:3], 0 offset:292
	s_waitcnt vmcnt(20)
	v_fma_f64 v[107:108], v[125:126], v[109:110], v[107:108]
	s_waitcnt vmcnt(18) lgkmcnt(0)
	v_fma_f64 v[107:108], v[127:128], v[111:112], v[107:108]
	s_waitcnt vmcnt(13)
	v_fma_f64 v[121:122], v[129:130], v[113:114], v[107:108]
	ds_read2_b64 v[107:110], v106 offset0:97 offset1:98
	ds_read2_b64 v[111:114], v106 offset0:99 offset1:100
	s_waitcnt vmcnt(12) lgkmcnt(1)
	v_fma_f64 v[107:108], v[135:136], v[107:108], v[121:122]
	s_waitcnt vmcnt(11)
	v_fma_f64 v[107:108], v[133:134], v[109:110], v[107:108]
	s_waitcnt vmcnt(10) lgkmcnt(0)
	v_fma_f64 v[107:108], v[131:132], v[111:112], v[107:108]
	s_waitcnt vmcnt(5)
	v_fma_f64 v[111:112], v[115:116], v[113:114], v[107:108]
	ds_read2_b64 v[107:110], v106 offset0:101 offset1:102
	ds_read_b64 v[113:114], v106 offset:824
	s_waitcnt vmcnt(4) lgkmcnt(1)
	v_fma_f64 v[107:108], v[139:140], v[107:108], v[111:112]
	s_waitcnt vmcnt(3)
	v_fma_f64 v[107:108], v[137:138], v[109:110], v[107:108]
	s_waitcnt vmcnt(2) lgkmcnt(0)
	v_fma_f64 v[107:108], v[117:118], v[113:114], v[107:108]
	s_waitcnt vmcnt(0)
	v_add_f64 v[107:108], v[119:120], -v[107:108]
	buffer_store_dword v108, off, s[0:3], 0 offset:292
	buffer_store_dword v107, off, s[0:3], 0 offset:288
	s_and_saveexec_b64 s[4:5], vcc
	s_cbranch_execz .LBB115_249
; %bb.248:
	buffer_load_dword v107, off, s[0:3], 0 offset:280
	buffer_load_dword v108, off, s[0:3], 0 offset:284
	s_waitcnt vmcnt(0)
	ds_write_b64 v105, v[107:108]
	buffer_store_dword v106, off, s[0:3], 0 offset:280
	buffer_store_dword v106, off, s[0:3], 0 offset:284
.LBB115_249:
	s_or_b64 exec, exec, s[4:5]
	s_waitcnt lgkmcnt(0)
	; wave barrier
	buffer_load_dword v115, off, s[0:3], 0 offset:288
	buffer_load_dword v116, off, s[0:3], 0 offset:292
	;; [unrolled: 1-line block ×22, first 2 shown]
	ds_read_b128 v[107:110], v106 offset:704
	ds_read_b128 v[111:114], v106 offset:720
	v_cmp_lt_u32_e32 vcc, 34, v0
	s_waitcnt vmcnt(20) lgkmcnt(1)
	v_fma_f64 v[107:108], v[115:116], v[107:108], 0
	s_waitcnt vmcnt(18)
	v_fma_f64 v[107:108], v[117:118], v[109:110], v[107:108]
	buffer_load_dword v116, off, s[0:3], 0 offset:380
	buffer_load_dword v117, off, s[0:3], 0 offset:400
	;; [unrolled: 1-line block ×8, first 2 shown]
	s_waitcnt vmcnt(24) lgkmcnt(0)
	v_fma_f64 v[107:108], v[119:120], v[111:112], v[107:108]
	s_waitcnt vmcnt(22)
	v_fma_f64 v[119:120], v[121:122], v[113:114], v[107:108]
	ds_read_b128 v[107:110], v106 offset:736
	ds_read_b128 v[111:114], v106 offset:752
	s_waitcnt vmcnt(20) lgkmcnt(1)
	v_fma_f64 v[107:108], v[123:124], v[107:108], v[119:120]
	buffer_load_dword v120, off, s[0:3], 0 offset:412
	buffer_load_dword v119, off, s[0:3], 0 offset:408
	;; [unrolled: 1-line block ×4, first 2 shown]
	s_waitcnt vmcnt(22)
	v_fma_f64 v[107:108], v[125:126], v[109:110], v[107:108]
	s_waitcnt vmcnt(20) lgkmcnt(0)
	v_fma_f64 v[107:108], v[127:128], v[111:112], v[107:108]
	s_waitcnt vmcnt(15)
	v_fma_f64 v[123:124], v[129:130], v[113:114], v[107:108]
	ds_read_b128 v[107:110], v106 offset:768
	ds_read_b128 v[111:114], v106 offset:784
	s_waitcnt vmcnt(14) lgkmcnt(1)
	v_fma_f64 v[107:108], v[135:136], v[107:108], v[123:124]
	s_waitcnt vmcnt(13)
	v_fma_f64 v[107:108], v[133:134], v[109:110], v[107:108]
	s_waitcnt vmcnt(12) lgkmcnt(0)
	v_fma_f64 v[107:108], v[131:132], v[111:112], v[107:108]
	s_waitcnt vmcnt(7)
	v_fma_f64 v[115:116], v[115:116], v[113:114], v[107:108]
	ds_read_b128 v[107:110], v106 offset:800
	ds_read_b128 v[111:114], v106 offset:816
	s_waitcnt vmcnt(6) lgkmcnt(1)
	v_fma_f64 v[106:107], v[139:140], v[107:108], v[115:116]
	s_waitcnt vmcnt(5)
	v_fma_f64 v[106:107], v[137:138], v[109:110], v[106:107]
	s_waitcnt vmcnt(4) lgkmcnt(0)
	v_fma_f64 v[106:107], v[117:118], v[111:112], v[106:107]
	s_waitcnt vmcnt(2)
	v_fma_f64 v[106:107], v[119:120], v[113:114], v[106:107]
	s_waitcnt vmcnt(0)
	v_add_f64 v[106:107], v[121:122], -v[106:107]
	buffer_store_dword v107, off, s[0:3], 0 offset:284
	buffer_store_dword v106, off, s[0:3], 0 offset:280
	s_and_saveexec_b64 s[4:5], vcc
	s_cbranch_execz .LBB115_251
; %bb.250:
	buffer_load_dword v106, off, s[0:3], 0 offset:272
	buffer_load_dword v107, off, s[0:3], 0 offset:276
	v_mov_b32_e32 v108, 0
	buffer_store_dword v108, off, s[0:3], 0 offset:272
	buffer_store_dword v108, off, s[0:3], 0 offset:276
	s_waitcnt vmcnt(2)
	ds_write_b64 v105, v[106:107]
.LBB115_251:
	s_or_b64 exec, exec, s[4:5]
	s_waitcnt lgkmcnt(0)
	; wave barrier
	buffer_load_dword v115, off, s[0:3], 0 offset:280
	buffer_load_dword v116, off, s[0:3], 0 offset:284
	;; [unrolled: 1-line block ×22, first 2 shown]
	v_mov_b32_e32 v106, 0
	ds_read2_b64 v[107:110], v106 offset0:87 offset1:88
	ds_read2_b64 v[111:114], v106 offset0:89 offset1:90
	v_cmp_lt_u32_e32 vcc, 33, v0
	s_waitcnt vmcnt(20) lgkmcnt(1)
	v_fma_f64 v[107:108], v[115:116], v[107:108], 0
	s_waitcnt vmcnt(18)
	v_fma_f64 v[107:108], v[117:118], v[109:110], v[107:108]
	buffer_load_dword v116, off, s[0:3], 0 offset:372
	buffer_load_dword v117, off, s[0:3], 0 offset:392
	;; [unrolled: 1-line block ×7, first 2 shown]
	s_waitcnt vmcnt(23) lgkmcnt(0)
	v_fma_f64 v[107:108], v[119:120], v[111:112], v[107:108]
	s_waitcnt vmcnt(21)
	v_fma_f64 v[118:119], v[121:122], v[113:114], v[107:108]
	ds_read2_b64 v[107:110], v106 offset0:91 offset1:92
	ds_read2_b64 v[111:114], v106 offset0:93 offset1:94
	s_waitcnt vmcnt(19) lgkmcnt(1)
	v_fma_f64 v[107:108], v[123:124], v[107:108], v[118:119]
	buffer_load_dword v118, off, s[0:3], 0 offset:396
	buffer_load_dword v120, off, s[0:3], 0 offset:404
	;; [unrolled: 1-line block ×7, first 2 shown]
	s_waitcnt vmcnt(24)
	v_fma_f64 v[107:108], v[125:126], v[109:110], v[107:108]
	s_waitcnt vmcnt(22) lgkmcnt(0)
	v_fma_f64 v[107:108], v[127:128], v[111:112], v[107:108]
	s_waitcnt vmcnt(17)
	v_fma_f64 v[125:126], v[129:130], v[113:114], v[107:108]
	ds_read2_b64 v[107:110], v106 offset0:95 offset1:96
	ds_read2_b64 v[111:114], v106 offset0:97 offset1:98
	s_waitcnt vmcnt(16) lgkmcnt(1)
	v_fma_f64 v[107:108], v[135:136], v[107:108], v[125:126]
	s_waitcnt vmcnt(15)
	v_fma_f64 v[107:108], v[133:134], v[109:110], v[107:108]
	s_waitcnt vmcnt(14) lgkmcnt(0)
	v_fma_f64 v[107:108], v[131:132], v[111:112], v[107:108]
	s_waitcnt vmcnt(9)
	v_fma_f64 v[115:116], v[115:116], v[113:114], v[107:108]
	ds_read2_b64 v[107:110], v106 offset0:99 offset1:100
	ds_read2_b64 v[111:114], v106 offset0:101 offset1:102
	s_waitcnt vmcnt(8) lgkmcnt(1)
	v_fma_f64 v[107:108], v[139:140], v[107:108], v[115:116]
	s_waitcnt vmcnt(7)
	v_fma_f64 v[107:108], v[137:138], v[109:110], v[107:108]
	ds_read_b64 v[109:110], v106 offset:824
	s_waitcnt vmcnt(6) lgkmcnt(1)
	v_fma_f64 v[107:108], v[117:118], v[111:112], v[107:108]
	s_waitcnt vmcnt(3)
	v_fma_f64 v[107:108], v[119:120], v[113:114], v[107:108]
	s_waitcnt vmcnt(2) lgkmcnt(0)
	v_fma_f64 v[107:108], v[121:122], v[109:110], v[107:108]
	s_waitcnt vmcnt(0)
	v_add_f64 v[107:108], v[123:124], -v[107:108]
	buffer_store_dword v108, off, s[0:3], 0 offset:276
	buffer_store_dword v107, off, s[0:3], 0 offset:272
	s_and_saveexec_b64 s[4:5], vcc
	s_cbranch_execz .LBB115_253
; %bb.252:
	buffer_load_dword v107, off, s[0:3], 0 offset:264
	buffer_load_dword v108, off, s[0:3], 0 offset:268
	s_waitcnt vmcnt(0)
	ds_write_b64 v105, v[107:108]
	buffer_store_dword v106, off, s[0:3], 0 offset:264
	buffer_store_dword v106, off, s[0:3], 0 offset:268
.LBB115_253:
	s_or_b64 exec, exec, s[4:5]
	s_waitcnt lgkmcnt(0)
	; wave barrier
	buffer_load_dword v115, off, s[0:3], 0 offset:272
	buffer_load_dword v116, off, s[0:3], 0 offset:276
	;; [unrolled: 1-line block ×22, first 2 shown]
	ds_read_b128 v[107:110], v106 offset:688
	ds_read_b128 v[111:114], v106 offset:704
	v_cmp_lt_u32_e32 vcc, 32, v0
	s_waitcnt vmcnt(20) lgkmcnt(1)
	v_fma_f64 v[107:108], v[115:116], v[107:108], 0
	s_waitcnt vmcnt(18)
	v_fma_f64 v[107:108], v[117:118], v[109:110], v[107:108]
	buffer_load_dword v116, off, s[0:3], 0 offset:364
	buffer_load_dword v117, off, s[0:3], 0 offset:384
	buffer_load_dword v137, off, s[0:3], 0 offset:376
	buffer_load_dword v139, off, s[0:3], 0 offset:368
	buffer_load_dword v115, off, s[0:3], 0 offset:360
	buffer_load_dword v140, off, s[0:3], 0 offset:372
	buffer_load_dword v138, off, s[0:3], 0 offset:380
	s_waitcnt vmcnt(23) lgkmcnt(0)
	v_fma_f64 v[107:108], v[119:120], v[111:112], v[107:108]
	s_waitcnt vmcnt(21)
	v_fma_f64 v[118:119], v[121:122], v[113:114], v[107:108]
	ds_read_b128 v[107:110], v106 offset:720
	ds_read_b128 v[111:114], v106 offset:736
	s_waitcnt vmcnt(19) lgkmcnt(1)
	v_fma_f64 v[107:108], v[123:124], v[107:108], v[118:119]
	buffer_load_dword v118, off, s[0:3], 0 offset:388
	buffer_load_dword v120, off, s[0:3], 0 offset:396
	;; [unrolled: 1-line block ×7, first 2 shown]
	s_waitcnt vmcnt(24)
	v_fma_f64 v[107:108], v[125:126], v[109:110], v[107:108]
	s_waitcnt vmcnt(22) lgkmcnt(0)
	v_fma_f64 v[107:108], v[127:128], v[111:112], v[107:108]
	s_waitcnt vmcnt(17)
	v_fma_f64 v[125:126], v[129:130], v[113:114], v[107:108]
	ds_read_b128 v[107:110], v106 offset:752
	buffer_load_dword v127, off, s[0:3], 0 offset:264
	buffer_load_dword v128, off, s[0:3], 0 offset:268
	ds_read_b128 v[111:114], v106 offset:768
	s_waitcnt vmcnt(18) lgkmcnt(1)
	v_fma_f64 v[107:108], v[135:136], v[107:108], v[125:126]
	s_waitcnt vmcnt(17)
	v_fma_f64 v[107:108], v[133:134], v[109:110], v[107:108]
	s_waitcnt vmcnt(16) lgkmcnt(0)
	v_fma_f64 v[107:108], v[131:132], v[111:112], v[107:108]
	s_waitcnt vmcnt(11)
	v_fma_f64 v[115:116], v[115:116], v[113:114], v[107:108]
	ds_read_b128 v[107:110], v106 offset:784
	ds_read_b128 v[111:114], v106 offset:800
	s_waitcnt vmcnt(10) lgkmcnt(1)
	v_fma_f64 v[107:108], v[139:140], v[107:108], v[115:116]
	s_waitcnt vmcnt(9)
	v_fma_f64 v[107:108], v[137:138], v[109:110], v[107:108]
	s_waitcnt vmcnt(8) lgkmcnt(0)
	v_fma_f64 v[107:108], v[117:118], v[111:112], v[107:108]
	s_waitcnt vmcnt(4)
	v_fma_f64 v[110:111], v[119:120], v[113:114], v[107:108]
	ds_read_b128 v[106:109], v106 offset:816
	s_waitcnt vmcnt(3) lgkmcnt(0)
	v_fma_f64 v[106:107], v[123:124], v[106:107], v[110:111]
	s_waitcnt vmcnt(2)
	v_fma_f64 v[106:107], v[121:122], v[108:109], v[106:107]
	s_waitcnt vmcnt(0)
	v_add_f64 v[106:107], v[127:128], -v[106:107]
	buffer_store_dword v107, off, s[0:3], 0 offset:268
	buffer_store_dword v106, off, s[0:3], 0 offset:264
	s_and_saveexec_b64 s[4:5], vcc
	s_cbranch_execz .LBB115_255
; %bb.254:
	buffer_load_dword v106, off, s[0:3], 0 offset:256
	buffer_load_dword v107, off, s[0:3], 0 offset:260
	v_mov_b32_e32 v108, 0
	buffer_store_dword v108, off, s[0:3], 0 offset:256
	buffer_store_dword v108, off, s[0:3], 0 offset:260
	s_waitcnt vmcnt(2)
	ds_write_b64 v105, v[106:107]
.LBB115_255:
	s_or_b64 exec, exec, s[4:5]
	s_waitcnt lgkmcnt(0)
	; wave barrier
	buffer_load_dword v115, off, s[0:3], 0 offset:264
	buffer_load_dword v116, off, s[0:3], 0 offset:268
	;; [unrolled: 1-line block ×22, first 2 shown]
	v_mov_b32_e32 v106, 0
	ds_read2_b64 v[107:110], v106 offset0:85 offset1:86
	ds_read2_b64 v[111:114], v106 offset0:87 offset1:88
	v_cmp_lt_u32_e32 vcc, 31, v0
	s_waitcnt vmcnt(20) lgkmcnt(1)
	v_fma_f64 v[107:108], v[115:116], v[107:108], 0
	s_waitcnt vmcnt(18)
	v_fma_f64 v[107:108], v[117:118], v[109:110], v[107:108]
	buffer_load_dword v116, off, s[0:3], 0 offset:356
	buffer_load_dword v117, off, s[0:3], 0 offset:376
	;; [unrolled: 1-line block ×7, first 2 shown]
	s_waitcnt vmcnt(23) lgkmcnt(0)
	v_fma_f64 v[107:108], v[119:120], v[111:112], v[107:108]
	s_waitcnt vmcnt(21)
	v_fma_f64 v[118:119], v[121:122], v[113:114], v[107:108]
	ds_read2_b64 v[107:110], v106 offset0:89 offset1:90
	ds_read2_b64 v[111:114], v106 offset0:91 offset1:92
	s_waitcnt vmcnt(19) lgkmcnt(1)
	v_fma_f64 v[107:108], v[123:124], v[107:108], v[118:119]
	buffer_load_dword v118, off, s[0:3], 0 offset:380
	s_waitcnt vmcnt(18)
	v_fma_f64 v[107:108], v[125:126], v[109:110], v[107:108]
	buffer_load_dword v120, off, s[0:3], 0 offset:388
	buffer_load_dword v121, off, s[0:3], 0 offset:408
	;; [unrolled: 1-line block ×8, first 2 shown]
	s_waitcnt vmcnt(24) lgkmcnt(0)
	v_fma_f64 v[107:108], v[127:128], v[111:112], v[107:108]
	s_waitcnt vmcnt(19)
	v_fma_f64 v[127:128], v[129:130], v[113:114], v[107:108]
	ds_read2_b64 v[107:110], v106 offset0:93 offset1:94
	ds_read2_b64 v[111:114], v106 offset0:95 offset1:96
	s_waitcnt vmcnt(18) lgkmcnt(1)
	v_fma_f64 v[107:108], v[135:136], v[107:108], v[127:128]
	buffer_load_dword v127, off, s[0:3], 0 offset:256
	buffer_load_dword v128, off, s[0:3], 0 offset:260
	s_waitcnt vmcnt(19)
	v_fma_f64 v[107:108], v[133:134], v[109:110], v[107:108]
	s_waitcnt vmcnt(18) lgkmcnt(0)
	v_fma_f64 v[107:108], v[131:132], v[111:112], v[107:108]
	s_waitcnt vmcnt(13)
	v_fma_f64 v[115:116], v[115:116], v[113:114], v[107:108]
	ds_read2_b64 v[107:110], v106 offset0:97 offset1:98
	ds_read2_b64 v[111:114], v106 offset0:99 offset1:100
	s_waitcnt vmcnt(12) lgkmcnt(1)
	v_fma_f64 v[107:108], v[139:140], v[107:108], v[115:116]
	s_waitcnt vmcnt(11)
	v_fma_f64 v[107:108], v[137:138], v[109:110], v[107:108]
	s_waitcnt vmcnt(10) lgkmcnt(0)
	v_fma_f64 v[107:108], v[117:118], v[111:112], v[107:108]
	s_waitcnt vmcnt(5)
	v_fma_f64 v[111:112], v[119:120], v[113:114], v[107:108]
	ds_read2_b64 v[107:110], v106 offset0:101 offset1:102
	ds_read_b64 v[113:114], v106 offset:824
	s_waitcnt vmcnt(4) lgkmcnt(1)
	v_fma_f64 v[107:108], v[125:126], v[107:108], v[111:112]
	s_waitcnt vmcnt(3)
	v_fma_f64 v[107:108], v[123:124], v[109:110], v[107:108]
	s_waitcnt vmcnt(2) lgkmcnt(0)
	v_fma_f64 v[107:108], v[121:122], v[113:114], v[107:108]
	s_waitcnt vmcnt(0)
	v_add_f64 v[107:108], v[127:128], -v[107:108]
	buffer_store_dword v108, off, s[0:3], 0 offset:260
	buffer_store_dword v107, off, s[0:3], 0 offset:256
	s_and_saveexec_b64 s[4:5], vcc
	s_cbranch_execz .LBB115_257
; %bb.256:
	buffer_load_dword v107, off, s[0:3], 0 offset:248
	buffer_load_dword v108, off, s[0:3], 0 offset:252
	s_waitcnt vmcnt(0)
	ds_write_b64 v105, v[107:108]
	buffer_store_dword v106, off, s[0:3], 0 offset:248
	buffer_store_dword v106, off, s[0:3], 0 offset:252
.LBB115_257:
	s_or_b64 exec, exec, s[4:5]
	s_waitcnt lgkmcnt(0)
	; wave barrier
	buffer_load_dword v115, off, s[0:3], 0 offset:256
	buffer_load_dword v116, off, s[0:3], 0 offset:260
	;; [unrolled: 1-line block ×22, first 2 shown]
	ds_read_b128 v[107:110], v106 offset:672
	ds_read_b128 v[111:114], v106 offset:688
	v_cmp_lt_u32_e32 vcc, 30, v0
	s_waitcnt vmcnt(20) lgkmcnt(1)
	v_fma_f64 v[107:108], v[115:116], v[107:108], 0
	s_waitcnt vmcnt(18)
	v_fma_f64 v[107:108], v[117:118], v[109:110], v[107:108]
	buffer_load_dword v116, off, s[0:3], 0 offset:348
	buffer_load_dword v117, off, s[0:3], 0 offset:368
	;; [unrolled: 1-line block ×7, first 2 shown]
	s_waitcnt vmcnt(23) lgkmcnt(0)
	v_fma_f64 v[107:108], v[119:120], v[111:112], v[107:108]
	s_waitcnt vmcnt(21)
	v_fma_f64 v[118:119], v[121:122], v[113:114], v[107:108]
	ds_read_b128 v[107:110], v106 offset:704
	ds_read_b128 v[111:114], v106 offset:720
	s_waitcnt vmcnt(19) lgkmcnt(1)
	v_fma_f64 v[107:108], v[123:124], v[107:108], v[118:119]
	buffer_load_dword v118, off, s[0:3], 0 offset:372
	s_waitcnt vmcnt(18)
	v_fma_f64 v[107:108], v[125:126], v[109:110], v[107:108]
	buffer_load_dword v120, off, s[0:3], 0 offset:380
	buffer_load_dword v121, off, s[0:3], 0 offset:400
	;; [unrolled: 1-line block ×8, first 2 shown]
	s_waitcnt vmcnt(24) lgkmcnt(0)
	v_fma_f64 v[107:108], v[127:128], v[111:112], v[107:108]
	s_waitcnt vmcnt(19)
	v_fma_f64 v[127:128], v[129:130], v[113:114], v[107:108]
	ds_read_b128 v[107:110], v106 offset:736
	ds_read_b128 v[111:114], v106 offset:752
	s_waitcnt vmcnt(18) lgkmcnt(1)
	v_fma_f64 v[107:108], v[135:136], v[107:108], v[127:128]
	buffer_load_dword v128, off, s[0:3], 0 offset:412
	buffer_load_dword v127, off, s[0:3], 0 offset:408
	;; [unrolled: 1-line block ×4, first 2 shown]
	s_waitcnt vmcnt(21)
	v_fma_f64 v[107:108], v[133:134], v[109:110], v[107:108]
	s_waitcnt vmcnt(20) lgkmcnt(0)
	v_fma_f64 v[107:108], v[131:132], v[111:112], v[107:108]
	s_waitcnt vmcnt(15)
	v_fma_f64 v[115:116], v[115:116], v[113:114], v[107:108]
	ds_read_b128 v[107:110], v106 offset:768
	ds_read_b128 v[111:114], v106 offset:784
	s_waitcnt vmcnt(14) lgkmcnt(1)
	v_fma_f64 v[107:108], v[139:140], v[107:108], v[115:116]
	s_waitcnt vmcnt(13)
	v_fma_f64 v[107:108], v[137:138], v[109:110], v[107:108]
	s_waitcnt vmcnt(12) lgkmcnt(0)
	v_fma_f64 v[107:108], v[117:118], v[111:112], v[107:108]
	s_waitcnt vmcnt(7)
	v_fma_f64 v[115:116], v[119:120], v[113:114], v[107:108]
	ds_read_b128 v[107:110], v106 offset:800
	ds_read_b128 v[111:114], v106 offset:816
	s_waitcnt vmcnt(6) lgkmcnt(1)
	v_fma_f64 v[106:107], v[125:126], v[107:108], v[115:116]
	s_waitcnt vmcnt(5)
	v_fma_f64 v[106:107], v[123:124], v[109:110], v[106:107]
	s_waitcnt vmcnt(4) lgkmcnt(0)
	v_fma_f64 v[106:107], v[121:122], v[111:112], v[106:107]
	s_waitcnt vmcnt(2)
	v_fma_f64 v[106:107], v[127:128], v[113:114], v[106:107]
	s_waitcnt vmcnt(0)
	v_add_f64 v[106:107], v[129:130], -v[106:107]
	buffer_store_dword v107, off, s[0:3], 0 offset:252
	buffer_store_dword v106, off, s[0:3], 0 offset:248
	s_and_saveexec_b64 s[4:5], vcc
	s_cbranch_execz .LBB115_259
; %bb.258:
	buffer_load_dword v106, off, s[0:3], 0 offset:240
	buffer_load_dword v107, off, s[0:3], 0 offset:244
	v_mov_b32_e32 v108, 0
	buffer_store_dword v108, off, s[0:3], 0 offset:240
	buffer_store_dword v108, off, s[0:3], 0 offset:244
	s_waitcnt vmcnt(2)
	ds_write_b64 v105, v[106:107]
.LBB115_259:
	s_or_b64 exec, exec, s[4:5]
	s_waitcnt lgkmcnt(0)
	; wave barrier
	buffer_load_dword v115, off, s[0:3], 0 offset:248
	buffer_load_dword v116, off, s[0:3], 0 offset:252
	;; [unrolled: 1-line block ×21, first 2 shown]
	v_mov_b32_e32 v106, 0
	ds_read2_b64 v[107:110], v106 offset0:83 offset1:84
	ds_read2_b64 v[111:114], v106 offset0:85 offset1:86
	buffer_load_dword v132, off, s[0:3], 0 offset:332
	v_cmp_lt_u32_e32 vcc, 29, v0
	s_waitcnt vmcnt(20) lgkmcnt(1)
	v_fma_f64 v[107:108], v[115:116], v[107:108], 0
	s_waitcnt vmcnt(18)
	v_fma_f64 v[107:108], v[117:118], v[109:110], v[107:108]
	buffer_load_dword v116, off, s[0:3], 0 offset:340
	buffer_load_dword v117, off, s[0:3], 0 offset:360
	;; [unrolled: 1-line block ×7, first 2 shown]
	s_waitcnt vmcnt(23) lgkmcnt(0)
	v_fma_f64 v[107:108], v[119:120], v[111:112], v[107:108]
	s_waitcnt vmcnt(21)
	v_fma_f64 v[118:119], v[121:122], v[113:114], v[107:108]
	ds_read2_b64 v[107:110], v106 offset0:87 offset1:88
	ds_read2_b64 v[111:114], v106 offset0:89 offset1:90
	s_waitcnt vmcnt(19) lgkmcnt(1)
	v_fma_f64 v[107:108], v[123:124], v[107:108], v[118:119]
	buffer_load_dword v118, off, s[0:3], 0 offset:364
	s_waitcnt vmcnt(18)
	v_fma_f64 v[107:108], v[125:126], v[109:110], v[107:108]
	buffer_load_dword v120, off, s[0:3], 0 offset:372
	buffer_load_dword v121, off, s[0:3], 0 offset:392
	;; [unrolled: 1-line block ×7, first 2 shown]
	s_waitcnt vmcnt(23) lgkmcnt(0)
	v_fma_f64 v[107:108], v[127:128], v[111:112], v[107:108]
	s_waitcnt vmcnt(18)
	v_fma_f64 v[127:128], v[129:130], v[113:114], v[107:108]
	ds_read2_b64 v[107:110], v106 offset0:91 offset1:92
	ds_read2_b64 v[111:114], v106 offset0:93 offset1:94
	buffer_load_dword v122, off, s[0:3], 0 offset:396
	s_waitcnt vmcnt(18) lgkmcnt(1)
	v_fma_f64 v[107:108], v[135:136], v[107:108], v[127:128]
	buffer_load_dword v128, off, s[0:3], 0 offset:404
	buffer_load_dword v129, off, s[0:3], 0 offset:408
	;; [unrolled: 1-line block ×4, first 2 shown]
	s_waitcnt vmcnt(21)
	v_fma_f64 v[107:108], v[133:134], v[109:110], v[107:108]
	s_waitcnt vmcnt(20) lgkmcnt(0)
	v_fma_f64 v[107:108], v[131:132], v[111:112], v[107:108]
	buffer_load_dword v131, off, s[0:3], 0 offset:240
	buffer_load_dword v132, off, s[0:3], 0 offset:244
	s_waitcnt vmcnt(17)
	v_fma_f64 v[115:116], v[115:116], v[113:114], v[107:108]
	ds_read2_b64 v[107:110], v106 offset0:95 offset1:96
	ds_read2_b64 v[111:114], v106 offset0:97 offset1:98
	s_waitcnt vmcnt(16) lgkmcnt(1)
	v_fma_f64 v[107:108], v[139:140], v[107:108], v[115:116]
	s_waitcnt vmcnt(15)
	v_fma_f64 v[107:108], v[137:138], v[109:110], v[107:108]
	s_waitcnt vmcnt(14) lgkmcnt(0)
	v_fma_f64 v[107:108], v[117:118], v[111:112], v[107:108]
	s_waitcnt vmcnt(9)
	v_fma_f64 v[115:116], v[119:120], v[113:114], v[107:108]
	ds_read2_b64 v[107:110], v106 offset0:99 offset1:100
	ds_read2_b64 v[111:114], v106 offset0:101 offset1:102
	s_waitcnt vmcnt(8) lgkmcnt(1)
	v_fma_f64 v[107:108], v[125:126], v[107:108], v[115:116]
	s_waitcnt vmcnt(7)
	v_fma_f64 v[107:108], v[123:124], v[109:110], v[107:108]
	ds_read_b64 v[109:110], v106 offset:824
	s_waitcnt vmcnt(6) lgkmcnt(1)
	v_fma_f64 v[107:108], v[121:122], v[111:112], v[107:108]
	s_waitcnt vmcnt(3)
	v_fma_f64 v[107:108], v[127:128], v[113:114], v[107:108]
	s_waitcnt vmcnt(2) lgkmcnt(0)
	v_fma_f64 v[107:108], v[129:130], v[109:110], v[107:108]
	s_waitcnt vmcnt(0)
	v_add_f64 v[107:108], v[131:132], -v[107:108]
	buffer_store_dword v108, off, s[0:3], 0 offset:244
	buffer_store_dword v107, off, s[0:3], 0 offset:240
	s_and_saveexec_b64 s[4:5], vcc
	s_cbranch_execz .LBB115_261
; %bb.260:
	buffer_load_dword v107, off, s[0:3], 0 offset:232
	buffer_load_dword v108, off, s[0:3], 0 offset:236
	s_waitcnt vmcnt(0)
	ds_write_b64 v105, v[107:108]
	buffer_store_dword v106, off, s[0:3], 0 offset:232
	buffer_store_dword v106, off, s[0:3], 0 offset:236
.LBB115_261:
	s_or_b64 exec, exec, s[4:5]
	s_waitcnt lgkmcnt(0)
	; wave barrier
	buffer_load_dword v115, off, s[0:3], 0 offset:240
	buffer_load_dword v116, off, s[0:3], 0 offset:244
	;; [unrolled: 1-line block ×21, first 2 shown]
	ds_read_b128 v[107:110], v106 offset:656
	ds_read_b128 v[111:114], v106 offset:672
	buffer_load_dword v132, off, s[0:3], 0 offset:324
	v_cmp_lt_u32_e32 vcc, 28, v0
	s_waitcnt vmcnt(20) lgkmcnt(1)
	v_fma_f64 v[107:108], v[115:116], v[107:108], 0
	s_waitcnt vmcnt(18)
	v_fma_f64 v[107:108], v[117:118], v[109:110], v[107:108]
	buffer_load_dword v116, off, s[0:3], 0 offset:332
	buffer_load_dword v117, off, s[0:3], 0 offset:352
	;; [unrolled: 1-line block ×7, first 2 shown]
	s_waitcnt vmcnt(23) lgkmcnt(0)
	v_fma_f64 v[107:108], v[119:120], v[111:112], v[107:108]
	s_waitcnt vmcnt(21)
	v_fma_f64 v[118:119], v[121:122], v[113:114], v[107:108]
	ds_read_b128 v[107:110], v106 offset:688
	ds_read_b128 v[111:114], v106 offset:704
	s_waitcnt vmcnt(19) lgkmcnt(1)
	v_fma_f64 v[107:108], v[123:124], v[107:108], v[118:119]
	buffer_load_dword v118, off, s[0:3], 0 offset:356
	s_waitcnt vmcnt(18)
	v_fma_f64 v[107:108], v[125:126], v[109:110], v[107:108]
	buffer_load_dword v120, off, s[0:3], 0 offset:364
	buffer_load_dword v121, off, s[0:3], 0 offset:384
	;; [unrolled: 1-line block ×8, first 2 shown]
	s_waitcnt vmcnt(24) lgkmcnt(0)
	v_fma_f64 v[107:108], v[127:128], v[111:112], v[107:108]
	s_waitcnt vmcnt(19)
	v_fma_f64 v[127:128], v[129:130], v[113:114], v[107:108]
	ds_read_b128 v[107:110], v106 offset:720
	ds_read_b128 v[111:114], v106 offset:736
	s_waitcnt vmcnt(18) lgkmcnt(1)
	v_fma_f64 v[107:108], v[135:136], v[107:108], v[127:128]
	s_waitcnt vmcnt(17)
	v_fma_f64 v[107:108], v[133:134], v[109:110], v[107:108]
	buffer_load_dword v128, off, s[0:3], 0 offset:396
	buffer_load_dword v129, off, s[0:3], 0 offset:408
	;; [unrolled: 1-line block ×6, first 2 shown]
	s_waitcnt vmcnt(22) lgkmcnt(0)
	v_fma_f64 v[107:108], v[131:132], v[111:112], v[107:108]
	s_waitcnt vmcnt(17)
	v_fma_f64 v[115:116], v[115:116], v[113:114], v[107:108]
	ds_read_b128 v[107:110], v106 offset:752
	buffer_load_dword v131, off, s[0:3], 0 offset:232
	buffer_load_dword v132, off, s[0:3], 0 offset:236
	ds_read_b128 v[111:114], v106 offset:768
	s_waitcnt vmcnt(18) lgkmcnt(1)
	v_fma_f64 v[107:108], v[139:140], v[107:108], v[115:116]
	s_waitcnt vmcnt(17)
	v_fma_f64 v[107:108], v[137:138], v[109:110], v[107:108]
	s_waitcnt vmcnt(16) lgkmcnt(0)
	v_fma_f64 v[107:108], v[117:118], v[111:112], v[107:108]
	s_waitcnt vmcnt(11)
	v_fma_f64 v[115:116], v[119:120], v[113:114], v[107:108]
	ds_read_b128 v[107:110], v106 offset:784
	ds_read_b128 v[111:114], v106 offset:800
	s_waitcnt vmcnt(10) lgkmcnt(1)
	v_fma_f64 v[107:108], v[125:126], v[107:108], v[115:116]
	s_waitcnt vmcnt(9)
	v_fma_f64 v[107:108], v[123:124], v[109:110], v[107:108]
	s_waitcnt vmcnt(8) lgkmcnt(0)
	v_fma_f64 v[107:108], v[121:122], v[111:112], v[107:108]
	s_waitcnt vmcnt(4)
	v_fma_f64 v[110:111], v[127:128], v[113:114], v[107:108]
	ds_read_b128 v[106:109], v106 offset:816
	s_waitcnt vmcnt(3) lgkmcnt(0)
	v_fma_f64 v[106:107], v[133:134], v[106:107], v[110:111]
	s_waitcnt vmcnt(2)
	v_fma_f64 v[106:107], v[129:130], v[108:109], v[106:107]
	s_waitcnt vmcnt(0)
	v_add_f64 v[106:107], v[131:132], -v[106:107]
	buffer_store_dword v107, off, s[0:3], 0 offset:236
	buffer_store_dword v106, off, s[0:3], 0 offset:232
	s_and_saveexec_b64 s[4:5], vcc
	s_cbranch_execz .LBB115_263
; %bb.262:
	buffer_load_dword v106, off, s[0:3], 0 offset:224
	buffer_load_dword v107, off, s[0:3], 0 offset:228
	v_mov_b32_e32 v108, 0
	buffer_store_dword v108, off, s[0:3], 0 offset:224
	buffer_store_dword v108, off, s[0:3], 0 offset:228
	s_waitcnt vmcnt(2)
	ds_write_b64 v105, v[106:107]
.LBB115_263:
	s_or_b64 exec, exec, s[4:5]
	s_waitcnt lgkmcnt(0)
	; wave barrier
	buffer_load_dword v115, off, s[0:3], 0 offset:232
	buffer_load_dword v116, off, s[0:3], 0 offset:236
	;; [unrolled: 1-line block ×21, first 2 shown]
	v_mov_b32_e32 v106, 0
	ds_read2_b64 v[107:110], v106 offset0:81 offset1:82
	ds_read2_b64 v[111:114], v106 offset0:83 offset1:84
	buffer_load_dword v132, off, s[0:3], 0 offset:316
	v_cmp_lt_u32_e32 vcc, 27, v0
	s_waitcnt vmcnt(20) lgkmcnt(1)
	v_fma_f64 v[107:108], v[115:116], v[107:108], 0
	s_waitcnt vmcnt(18)
	v_fma_f64 v[107:108], v[117:118], v[109:110], v[107:108]
	buffer_load_dword v116, off, s[0:3], 0 offset:324
	buffer_load_dword v117, off, s[0:3], 0 offset:344
	;; [unrolled: 1-line block ×7, first 2 shown]
	s_waitcnt vmcnt(23) lgkmcnt(0)
	v_fma_f64 v[107:108], v[119:120], v[111:112], v[107:108]
	s_waitcnt vmcnt(21)
	v_fma_f64 v[118:119], v[121:122], v[113:114], v[107:108]
	ds_read2_b64 v[107:110], v106 offset0:85 offset1:86
	ds_read2_b64 v[111:114], v106 offset0:87 offset1:88
	s_waitcnt vmcnt(19) lgkmcnt(1)
	v_fma_f64 v[107:108], v[123:124], v[107:108], v[118:119]
	buffer_load_dword v118, off, s[0:3], 0 offset:348
	s_waitcnt vmcnt(18)
	v_fma_f64 v[107:108], v[125:126], v[109:110], v[107:108]
	buffer_load_dword v120, off, s[0:3], 0 offset:356
	buffer_load_dword v121, off, s[0:3], 0 offset:376
	;; [unrolled: 1-line block ×8, first 2 shown]
	s_waitcnt vmcnt(24) lgkmcnt(0)
	v_fma_f64 v[107:108], v[127:128], v[111:112], v[107:108]
	s_waitcnt vmcnt(19)
	v_fma_f64 v[127:128], v[129:130], v[113:114], v[107:108]
	ds_read2_b64 v[107:110], v106 offset0:89 offset1:90
	ds_read2_b64 v[111:114], v106 offset0:91 offset1:92
	s_waitcnt vmcnt(18) lgkmcnt(1)
	v_fma_f64 v[107:108], v[135:136], v[107:108], v[127:128]
	s_waitcnt vmcnt(17)
	v_fma_f64 v[107:108], v[133:134], v[109:110], v[107:108]
	buffer_load_dword v128, off, s[0:3], 0 offset:388
	buffer_load_dword v129, off, s[0:3], 0 offset:408
	;; [unrolled: 1-line block ×8, first 2 shown]
	s_waitcnt vmcnt(24) lgkmcnt(0)
	v_fma_f64 v[107:108], v[131:132], v[111:112], v[107:108]
	s_waitcnt vmcnt(19)
	v_fma_f64 v[115:116], v[115:116], v[113:114], v[107:108]
	ds_read2_b64 v[107:110], v106 offset0:93 offset1:94
	ds_read2_b64 v[111:114], v106 offset0:95 offset1:96
	s_waitcnt vmcnt(18) lgkmcnt(1)
	v_fma_f64 v[107:108], v[139:140], v[107:108], v[115:116]
	buffer_load_dword v115, off, s[0:3], 0 offset:224
	buffer_load_dword v116, off, s[0:3], 0 offset:228
	s_waitcnt vmcnt(19)
	v_fma_f64 v[107:108], v[137:138], v[109:110], v[107:108]
	s_waitcnt vmcnt(18) lgkmcnt(0)
	v_fma_f64 v[107:108], v[117:118], v[111:112], v[107:108]
	s_waitcnt vmcnt(13)
	v_fma_f64 v[117:118], v[119:120], v[113:114], v[107:108]
	ds_read2_b64 v[107:110], v106 offset0:97 offset1:98
	ds_read2_b64 v[111:114], v106 offset0:99 offset1:100
	s_waitcnt vmcnt(12) lgkmcnt(1)
	v_fma_f64 v[107:108], v[125:126], v[107:108], v[117:118]
	s_waitcnt vmcnt(11)
	v_fma_f64 v[107:108], v[123:124], v[109:110], v[107:108]
	s_waitcnt vmcnt(10) lgkmcnt(0)
	v_fma_f64 v[107:108], v[121:122], v[111:112], v[107:108]
	s_waitcnt vmcnt(5)
	v_fma_f64 v[111:112], v[127:128], v[113:114], v[107:108]
	ds_read2_b64 v[107:110], v106 offset0:101 offset1:102
	ds_read_b64 v[113:114], v106 offset:824
	s_waitcnt vmcnt(4) lgkmcnt(1)
	v_fma_f64 v[107:108], v[135:136], v[107:108], v[111:112]
	s_waitcnt vmcnt(3)
	v_fma_f64 v[107:108], v[133:134], v[109:110], v[107:108]
	s_waitcnt vmcnt(2) lgkmcnt(0)
	v_fma_f64 v[107:108], v[129:130], v[113:114], v[107:108]
	s_waitcnt vmcnt(0)
	v_add_f64 v[107:108], v[115:116], -v[107:108]
	buffer_store_dword v108, off, s[0:3], 0 offset:228
	buffer_store_dword v107, off, s[0:3], 0 offset:224
	s_and_saveexec_b64 s[4:5], vcc
	s_cbranch_execz .LBB115_265
; %bb.264:
	buffer_load_dword v107, off, s[0:3], 0 offset:216
	buffer_load_dword v108, off, s[0:3], 0 offset:220
	s_waitcnt vmcnt(0)
	ds_write_b64 v105, v[107:108]
	buffer_store_dword v106, off, s[0:3], 0 offset:216
	buffer_store_dword v106, off, s[0:3], 0 offset:220
.LBB115_265:
	s_or_b64 exec, exec, s[4:5]
	s_waitcnt lgkmcnt(0)
	; wave barrier
	buffer_load_dword v115, off, s[0:3], 0 offset:224
	buffer_load_dword v116, off, s[0:3], 0 offset:228
	;; [unrolled: 1-line block ×21, first 2 shown]
	ds_read_b128 v[107:110], v106 offset:640
	ds_read_b128 v[111:114], v106 offset:656
	buffer_load_dword v132, off, s[0:3], 0 offset:308
	v_cmp_lt_u32_e32 vcc, 26, v0
	s_waitcnt vmcnt(20) lgkmcnt(1)
	v_fma_f64 v[107:108], v[115:116], v[107:108], 0
	s_waitcnt vmcnt(18)
	v_fma_f64 v[107:108], v[117:118], v[109:110], v[107:108]
	buffer_load_dword v116, off, s[0:3], 0 offset:316
	buffer_load_dword v117, off, s[0:3], 0 offset:336
	;; [unrolled: 1-line block ×7, first 2 shown]
	s_waitcnt vmcnt(23) lgkmcnt(0)
	v_fma_f64 v[107:108], v[119:120], v[111:112], v[107:108]
	s_waitcnt vmcnt(21)
	v_fma_f64 v[118:119], v[121:122], v[113:114], v[107:108]
	ds_read_b128 v[107:110], v106 offset:672
	ds_read_b128 v[111:114], v106 offset:688
	s_waitcnt vmcnt(19) lgkmcnt(1)
	v_fma_f64 v[107:108], v[123:124], v[107:108], v[118:119]
	buffer_load_dword v118, off, s[0:3], 0 offset:340
	s_waitcnt vmcnt(18)
	v_fma_f64 v[107:108], v[125:126], v[109:110], v[107:108]
	buffer_load_dword v120, off, s[0:3], 0 offset:348
	buffer_load_dword v121, off, s[0:3], 0 offset:368
	;; [unrolled: 1-line block ×8, first 2 shown]
	s_waitcnt vmcnt(24) lgkmcnt(0)
	v_fma_f64 v[107:108], v[127:128], v[111:112], v[107:108]
	s_waitcnt vmcnt(19)
	v_fma_f64 v[127:128], v[129:130], v[113:114], v[107:108]
	ds_read_b128 v[107:110], v106 offset:704
	ds_read_b128 v[111:114], v106 offset:720
	s_waitcnt vmcnt(18) lgkmcnt(1)
	v_fma_f64 v[107:108], v[135:136], v[107:108], v[127:128]
	s_waitcnt vmcnt(17)
	v_fma_f64 v[107:108], v[133:134], v[109:110], v[107:108]
	buffer_load_dword v128, off, s[0:3], 0 offset:380
	buffer_load_dword v129, off, s[0:3], 0 offset:400
	;; [unrolled: 1-line block ×8, first 2 shown]
	s_waitcnt vmcnt(24) lgkmcnt(0)
	v_fma_f64 v[107:108], v[131:132], v[111:112], v[107:108]
	s_waitcnt vmcnt(19)
	v_fma_f64 v[115:116], v[115:116], v[113:114], v[107:108]
	ds_read_b128 v[107:110], v106 offset:736
	ds_read_b128 v[111:114], v106 offset:752
	s_waitcnt vmcnt(18) lgkmcnt(1)
	v_fma_f64 v[107:108], v[139:140], v[107:108], v[115:116]
	buffer_load_dword v116, off, s[0:3], 0 offset:412
	buffer_load_dword v115, off, s[0:3], 0 offset:408
	;; [unrolled: 1-line block ×4, first 2 shown]
	s_waitcnt vmcnt(21)
	v_fma_f64 v[107:108], v[137:138], v[109:110], v[107:108]
	s_waitcnt vmcnt(20) lgkmcnt(0)
	v_fma_f64 v[107:108], v[117:118], v[111:112], v[107:108]
	s_waitcnt vmcnt(15)
	v_fma_f64 v[117:118], v[119:120], v[113:114], v[107:108]
	ds_read_b128 v[107:110], v106 offset:768
	ds_read_b128 v[111:114], v106 offset:784
	s_waitcnt vmcnt(14) lgkmcnt(1)
	v_fma_f64 v[107:108], v[125:126], v[107:108], v[117:118]
	s_waitcnt vmcnt(13)
	v_fma_f64 v[107:108], v[123:124], v[109:110], v[107:108]
	s_waitcnt vmcnt(12) lgkmcnt(0)
	v_fma_f64 v[107:108], v[121:122], v[111:112], v[107:108]
	s_waitcnt vmcnt(7)
	v_fma_f64 v[117:118], v[127:128], v[113:114], v[107:108]
	ds_read_b128 v[107:110], v106 offset:800
	ds_read_b128 v[111:114], v106 offset:816
	s_waitcnt vmcnt(6) lgkmcnt(1)
	v_fma_f64 v[106:107], v[135:136], v[107:108], v[117:118]
	s_waitcnt vmcnt(5)
	v_fma_f64 v[106:107], v[133:134], v[109:110], v[106:107]
	s_waitcnt vmcnt(4) lgkmcnt(0)
	v_fma_f64 v[106:107], v[129:130], v[111:112], v[106:107]
	s_waitcnt vmcnt(2)
	v_fma_f64 v[106:107], v[115:116], v[113:114], v[106:107]
	s_waitcnt vmcnt(0)
	v_add_f64 v[106:107], v[131:132], -v[106:107]
	buffer_store_dword v107, off, s[0:3], 0 offset:220
	buffer_store_dword v106, off, s[0:3], 0 offset:216
	s_and_saveexec_b64 s[4:5], vcc
	s_cbranch_execz .LBB115_267
; %bb.266:
	buffer_load_dword v106, off, s[0:3], 0 offset:208
	buffer_load_dword v107, off, s[0:3], 0 offset:212
	v_mov_b32_e32 v108, 0
	buffer_store_dword v108, off, s[0:3], 0 offset:208
	buffer_store_dword v108, off, s[0:3], 0 offset:212
	s_waitcnt vmcnt(2)
	ds_write_b64 v105, v[106:107]
.LBB115_267:
	s_or_b64 exec, exec, s[4:5]
	s_waitcnt lgkmcnt(0)
	; wave barrier
	buffer_load_dword v115, off, s[0:3], 0 offset:216
	buffer_load_dword v116, off, s[0:3], 0 offset:220
	;; [unrolled: 1-line block ×21, first 2 shown]
	v_mov_b32_e32 v106, 0
	ds_read2_b64 v[107:110], v106 offset0:79 offset1:80
	ds_read2_b64 v[111:114], v106 offset0:81 offset1:82
	buffer_load_dword v132, off, s[0:3], 0 offset:300
	v_cmp_lt_u32_e32 vcc, 25, v0
	s_waitcnt vmcnt(20) lgkmcnt(1)
	v_fma_f64 v[107:108], v[115:116], v[107:108], 0
	s_waitcnt vmcnt(18)
	v_fma_f64 v[107:108], v[117:118], v[109:110], v[107:108]
	buffer_load_dword v116, off, s[0:3], 0 offset:308
	buffer_load_dword v117, off, s[0:3], 0 offset:328
	;; [unrolled: 1-line block ×7, first 2 shown]
	s_waitcnt vmcnt(23) lgkmcnt(0)
	v_fma_f64 v[107:108], v[119:120], v[111:112], v[107:108]
	s_waitcnt vmcnt(21)
	v_fma_f64 v[118:119], v[121:122], v[113:114], v[107:108]
	ds_read2_b64 v[107:110], v106 offset0:83 offset1:84
	ds_read2_b64 v[111:114], v106 offset0:85 offset1:86
	s_waitcnt vmcnt(19) lgkmcnt(1)
	v_fma_f64 v[107:108], v[123:124], v[107:108], v[118:119]
	buffer_load_dword v118, off, s[0:3], 0 offset:332
	s_waitcnt vmcnt(18)
	v_fma_f64 v[107:108], v[125:126], v[109:110], v[107:108]
	buffer_load_dword v120, off, s[0:3], 0 offset:340
	buffer_load_dword v121, off, s[0:3], 0 offset:360
	;; [unrolled: 1-line block ×8, first 2 shown]
	s_waitcnt vmcnt(24) lgkmcnt(0)
	v_fma_f64 v[107:108], v[127:128], v[111:112], v[107:108]
	s_waitcnt vmcnt(19)
	v_fma_f64 v[127:128], v[129:130], v[113:114], v[107:108]
	ds_read2_b64 v[107:110], v106 offset0:87 offset1:88
	ds_read2_b64 v[111:114], v106 offset0:89 offset1:90
	s_waitcnt vmcnt(18) lgkmcnt(1)
	v_fma_f64 v[107:108], v[135:136], v[107:108], v[127:128]
	s_waitcnt vmcnt(17)
	v_fma_f64 v[107:108], v[133:134], v[109:110], v[107:108]
	buffer_load_dword v128, off, s[0:3], 0 offset:372
	buffer_load_dword v129, off, s[0:3], 0 offset:392
	;; [unrolled: 1-line block ×7, first 2 shown]
	s_waitcnt vmcnt(23) lgkmcnt(0)
	v_fma_f64 v[107:108], v[131:132], v[111:112], v[107:108]
	s_waitcnt vmcnt(18)
	v_fma_f64 v[115:116], v[115:116], v[113:114], v[107:108]
	ds_read2_b64 v[107:110], v106 offset0:91 offset1:92
	ds_read2_b64 v[111:114], v106 offset0:93 offset1:94
	buffer_load_dword v130, off, s[0:3], 0 offset:396
	s_waitcnt vmcnt(18) lgkmcnt(1)
	v_fma_f64 v[107:108], v[139:140], v[107:108], v[115:116]
	buffer_load_dword v116, off, s[0:3], 0 offset:404
	buffer_load_dword v131, off, s[0:3], 0 offset:408
	;; [unrolled: 1-line block ×4, first 2 shown]
	s_waitcnt vmcnt(21)
	v_fma_f64 v[107:108], v[137:138], v[109:110], v[107:108]
	s_waitcnt vmcnt(20) lgkmcnt(0)
	v_fma_f64 v[107:108], v[117:118], v[111:112], v[107:108]
	buffer_load_dword v117, off, s[0:3], 0 offset:208
	buffer_load_dword v118, off, s[0:3], 0 offset:212
	s_waitcnt vmcnt(17)
	v_fma_f64 v[119:120], v[119:120], v[113:114], v[107:108]
	ds_read2_b64 v[107:110], v106 offset0:95 offset1:96
	ds_read2_b64 v[111:114], v106 offset0:97 offset1:98
	s_waitcnt vmcnt(16) lgkmcnt(1)
	v_fma_f64 v[107:108], v[125:126], v[107:108], v[119:120]
	s_waitcnt vmcnt(15)
	v_fma_f64 v[107:108], v[123:124], v[109:110], v[107:108]
	s_waitcnt vmcnt(14) lgkmcnt(0)
	v_fma_f64 v[107:108], v[121:122], v[111:112], v[107:108]
	s_waitcnt vmcnt(9)
	v_fma_f64 v[119:120], v[127:128], v[113:114], v[107:108]
	ds_read2_b64 v[107:110], v106 offset0:99 offset1:100
	ds_read2_b64 v[111:114], v106 offset0:101 offset1:102
	s_waitcnt vmcnt(8) lgkmcnt(1)
	v_fma_f64 v[107:108], v[135:136], v[107:108], v[119:120]
	s_waitcnt vmcnt(7)
	v_fma_f64 v[107:108], v[133:134], v[109:110], v[107:108]
	ds_read_b64 v[109:110], v106 offset:824
	s_waitcnt vmcnt(6) lgkmcnt(1)
	v_fma_f64 v[107:108], v[129:130], v[111:112], v[107:108]
	s_waitcnt vmcnt(3)
	v_fma_f64 v[107:108], v[115:116], v[113:114], v[107:108]
	s_waitcnt vmcnt(2) lgkmcnt(0)
	v_fma_f64 v[107:108], v[131:132], v[109:110], v[107:108]
	s_waitcnt vmcnt(0)
	v_add_f64 v[107:108], v[117:118], -v[107:108]
	buffer_store_dword v108, off, s[0:3], 0 offset:212
	buffer_store_dword v107, off, s[0:3], 0 offset:208
	s_and_saveexec_b64 s[4:5], vcc
	s_cbranch_execz .LBB115_269
; %bb.268:
	buffer_load_dword v107, off, s[0:3], 0 offset:200
	buffer_load_dword v108, off, s[0:3], 0 offset:204
	s_waitcnt vmcnt(0)
	ds_write_b64 v105, v[107:108]
	buffer_store_dword v106, off, s[0:3], 0 offset:200
	buffer_store_dword v106, off, s[0:3], 0 offset:204
.LBB115_269:
	s_or_b64 exec, exec, s[4:5]
	s_waitcnt lgkmcnt(0)
	; wave barrier
	buffer_load_dword v115, off, s[0:3], 0 offset:208
	buffer_load_dword v116, off, s[0:3], 0 offset:212
	;; [unrolled: 1-line block ×22, first 2 shown]
	ds_read_b128 v[107:110], v106 offset:624
	ds_read_b128 v[111:114], v106 offset:640
	v_cmp_lt_u32_e32 vcc, 24, v0
	s_waitcnt vmcnt(20) lgkmcnt(1)
	v_fma_f64 v[107:108], v[115:116], v[107:108], 0
	s_waitcnt vmcnt(18)
	v_fma_f64 v[107:108], v[117:118], v[109:110], v[107:108]
	buffer_load_dword v116, off, s[0:3], 0 offset:300
	buffer_load_dword v117, off, s[0:3], 0 offset:320
	;; [unrolled: 1-line block ×7, first 2 shown]
	s_waitcnt vmcnt(23) lgkmcnt(0)
	v_fma_f64 v[107:108], v[119:120], v[111:112], v[107:108]
	s_waitcnt vmcnt(21)
	v_fma_f64 v[118:119], v[121:122], v[113:114], v[107:108]
	ds_read_b128 v[107:110], v106 offset:656
	ds_read_b128 v[111:114], v106 offset:672
	s_waitcnt vmcnt(19) lgkmcnt(1)
	v_fma_f64 v[107:108], v[123:124], v[107:108], v[118:119]
	buffer_load_dword v118, off, s[0:3], 0 offset:324
	s_waitcnt vmcnt(18)
	v_fma_f64 v[107:108], v[125:126], v[109:110], v[107:108]
	buffer_load_dword v120, off, s[0:3], 0 offset:332
	buffer_load_dword v121, off, s[0:3], 0 offset:352
	;; [unrolled: 1-line block ×8, first 2 shown]
	s_waitcnt vmcnt(24) lgkmcnt(0)
	v_fma_f64 v[107:108], v[127:128], v[111:112], v[107:108]
	s_waitcnt vmcnt(19)
	v_fma_f64 v[127:128], v[129:130], v[113:114], v[107:108]
	ds_read_b128 v[107:110], v106 offset:688
	ds_read_b128 v[111:114], v106 offset:704
	s_waitcnt vmcnt(18) lgkmcnt(1)
	v_fma_f64 v[107:108], v[135:136], v[107:108], v[127:128]
	s_waitcnt vmcnt(17)
	v_fma_f64 v[107:108], v[133:134], v[109:110], v[107:108]
	buffer_load_dword v128, off, s[0:3], 0 offset:364
	buffer_load_dword v129, off, s[0:3], 0 offset:384
	;; [unrolled: 1-line block ×8, first 2 shown]
	s_waitcnt vmcnt(24) lgkmcnt(0)
	v_fma_f64 v[107:108], v[131:132], v[111:112], v[107:108]
	s_waitcnt vmcnt(19)
	v_fma_f64 v[115:116], v[115:116], v[113:114], v[107:108]
	ds_read_b128 v[107:110], v106 offset:720
	ds_read_b128 v[111:114], v106 offset:736
	s_waitcnt vmcnt(18) lgkmcnt(1)
	v_fma_f64 v[107:108], v[139:140], v[107:108], v[115:116]
	s_waitcnt vmcnt(17)
	v_fma_f64 v[107:108], v[137:138], v[109:110], v[107:108]
	buffer_load_dword v116, off, s[0:3], 0 offset:396
	buffer_load_dword v131, off, s[0:3], 0 offset:408
	;; [unrolled: 1-line block ×6, first 2 shown]
	s_waitcnt vmcnt(22) lgkmcnt(0)
	v_fma_f64 v[107:108], v[117:118], v[111:112], v[107:108]
	s_waitcnt vmcnt(17)
	v_fma_f64 v[117:118], v[119:120], v[113:114], v[107:108]
	ds_read_b128 v[107:110], v106 offset:752
	buffer_load_dword v119, off, s[0:3], 0 offset:200
	buffer_load_dword v120, off, s[0:3], 0 offset:204
	ds_read_b128 v[111:114], v106 offset:768
	s_waitcnt vmcnt(18) lgkmcnt(1)
	v_fma_f64 v[107:108], v[125:126], v[107:108], v[117:118]
	s_waitcnt vmcnt(17)
	v_fma_f64 v[107:108], v[123:124], v[109:110], v[107:108]
	s_waitcnt vmcnt(16) lgkmcnt(0)
	v_fma_f64 v[107:108], v[121:122], v[111:112], v[107:108]
	s_waitcnt vmcnt(11)
	v_fma_f64 v[117:118], v[127:128], v[113:114], v[107:108]
	ds_read_b128 v[107:110], v106 offset:784
	ds_read_b128 v[111:114], v106 offset:800
	s_waitcnt vmcnt(10) lgkmcnt(1)
	v_fma_f64 v[107:108], v[135:136], v[107:108], v[117:118]
	s_waitcnt vmcnt(9)
	v_fma_f64 v[107:108], v[133:134], v[109:110], v[107:108]
	s_waitcnt vmcnt(8) lgkmcnt(0)
	v_fma_f64 v[107:108], v[129:130], v[111:112], v[107:108]
	s_waitcnt vmcnt(4)
	v_fma_f64 v[110:111], v[115:116], v[113:114], v[107:108]
	ds_read_b128 v[106:109], v106 offset:816
	s_waitcnt vmcnt(3) lgkmcnt(0)
	v_fma_f64 v[106:107], v[137:138], v[106:107], v[110:111]
	s_waitcnt vmcnt(2)
	v_fma_f64 v[106:107], v[131:132], v[108:109], v[106:107]
	s_waitcnt vmcnt(0)
	v_add_f64 v[106:107], v[119:120], -v[106:107]
	buffer_store_dword v107, off, s[0:3], 0 offset:204
	buffer_store_dword v106, off, s[0:3], 0 offset:200
	s_and_saveexec_b64 s[4:5], vcc
	s_cbranch_execz .LBB115_271
; %bb.270:
	buffer_load_dword v106, off, s[0:3], 0 offset:192
	buffer_load_dword v107, off, s[0:3], 0 offset:196
	v_mov_b32_e32 v108, 0
	buffer_store_dword v108, off, s[0:3], 0 offset:192
	buffer_store_dword v108, off, s[0:3], 0 offset:196
	s_waitcnt vmcnt(2)
	ds_write_b64 v105, v[106:107]
.LBB115_271:
	s_or_b64 exec, exec, s[4:5]
	s_waitcnt lgkmcnt(0)
	; wave barrier
	buffer_load_dword v115, off, s[0:3], 0 offset:200
	buffer_load_dword v116, off, s[0:3], 0 offset:204
	;; [unrolled: 1-line block ×22, first 2 shown]
	v_mov_b32_e32 v106, 0
	ds_read2_b64 v[107:110], v106 offset0:77 offset1:78
	ds_read2_b64 v[111:114], v106 offset0:79 offset1:80
	v_cmp_lt_u32_e32 vcc, 23, v0
	s_waitcnt vmcnt(20) lgkmcnt(1)
	v_fma_f64 v[107:108], v[115:116], v[107:108], 0
	s_waitcnt vmcnt(18)
	v_fma_f64 v[107:108], v[117:118], v[109:110], v[107:108]
	buffer_load_dword v116, off, s[0:3], 0 offset:292
	buffer_load_dword v117, off, s[0:3], 0 offset:312
	buffer_load_dword v137, off, s[0:3], 0 offset:304
	buffer_load_dword v139, off, s[0:3], 0 offset:296
	buffer_load_dword v115, off, s[0:3], 0 offset:288
	buffer_load_dword v140, off, s[0:3], 0 offset:300
	buffer_load_dword v138, off, s[0:3], 0 offset:308
	s_waitcnt vmcnt(23) lgkmcnt(0)
	v_fma_f64 v[107:108], v[119:120], v[111:112], v[107:108]
	s_waitcnt vmcnt(21)
	v_fma_f64 v[118:119], v[121:122], v[113:114], v[107:108]
	ds_read2_b64 v[107:110], v106 offset0:81 offset1:82
	ds_read2_b64 v[111:114], v106 offset0:83 offset1:84
	s_waitcnt vmcnt(19) lgkmcnt(1)
	v_fma_f64 v[107:108], v[123:124], v[107:108], v[118:119]
	buffer_load_dword v118, off, s[0:3], 0 offset:316
	s_waitcnt vmcnt(18)
	v_fma_f64 v[107:108], v[125:126], v[109:110], v[107:108]
	buffer_load_dword v120, off, s[0:3], 0 offset:324
	buffer_load_dword v121, off, s[0:3], 0 offset:344
	buffer_load_dword v123, off, s[0:3], 0 offset:336
	buffer_load_dword v125, off, s[0:3], 0 offset:328
	buffer_load_dword v119, off, s[0:3], 0 offset:320
	buffer_load_dword v126, off, s[0:3], 0 offset:332
	buffer_load_dword v124, off, s[0:3], 0 offset:340
	buffer_load_dword v122, off, s[0:3], 0 offset:348
	s_waitcnt vmcnt(24) lgkmcnt(0)
	v_fma_f64 v[107:108], v[127:128], v[111:112], v[107:108]
	s_waitcnt vmcnt(19)
	v_fma_f64 v[127:128], v[129:130], v[113:114], v[107:108]
	ds_read2_b64 v[107:110], v106 offset0:85 offset1:86
	ds_read2_b64 v[111:114], v106 offset0:87 offset1:88
	s_waitcnt vmcnt(18) lgkmcnt(1)
	v_fma_f64 v[107:108], v[135:136], v[107:108], v[127:128]
	s_waitcnt vmcnt(17)
	v_fma_f64 v[107:108], v[133:134], v[109:110], v[107:108]
	buffer_load_dword v128, off, s[0:3], 0 offset:356
	buffer_load_dword v129, off, s[0:3], 0 offset:376
	buffer_load_dword v133, off, s[0:3], 0 offset:368
	buffer_load_dword v135, off, s[0:3], 0 offset:360
	buffer_load_dword v127, off, s[0:3], 0 offset:352
	buffer_load_dword v136, off, s[0:3], 0 offset:364
	buffer_load_dword v134, off, s[0:3], 0 offset:372
	buffer_load_dword v130, off, s[0:3], 0 offset:380
	s_waitcnt vmcnt(24) lgkmcnt(0)
	v_fma_f64 v[107:108], v[131:132], v[111:112], v[107:108]
	s_waitcnt vmcnt(19)
	v_fma_f64 v[115:116], v[115:116], v[113:114], v[107:108]
	ds_read2_b64 v[107:110], v106 offset0:89 offset1:90
	ds_read2_b64 v[111:114], v106 offset0:91 offset1:92
	s_waitcnt vmcnt(18) lgkmcnt(1)
	v_fma_f64 v[107:108], v[139:140], v[107:108], v[115:116]
	;; [unrolled: 18-line block ×3, first 2 shown]
	buffer_load_dword v117, off, s[0:3], 0 offset:192
	buffer_load_dword v118, off, s[0:3], 0 offset:196
	s_waitcnt vmcnt(19)
	v_fma_f64 v[107:108], v[123:124], v[109:110], v[107:108]
	s_waitcnt vmcnt(18) lgkmcnt(0)
	v_fma_f64 v[107:108], v[121:122], v[111:112], v[107:108]
	s_waitcnt vmcnt(13)
	v_fma_f64 v[119:120], v[127:128], v[113:114], v[107:108]
	ds_read2_b64 v[107:110], v106 offset0:97 offset1:98
	ds_read2_b64 v[111:114], v106 offset0:99 offset1:100
	s_waitcnt vmcnt(12) lgkmcnt(1)
	v_fma_f64 v[107:108], v[135:136], v[107:108], v[119:120]
	s_waitcnt vmcnt(11)
	v_fma_f64 v[107:108], v[133:134], v[109:110], v[107:108]
	s_waitcnt vmcnt(10) lgkmcnt(0)
	v_fma_f64 v[107:108], v[129:130], v[111:112], v[107:108]
	s_waitcnt vmcnt(5)
	v_fma_f64 v[111:112], v[115:116], v[113:114], v[107:108]
	ds_read2_b64 v[107:110], v106 offset0:101 offset1:102
	ds_read_b64 v[113:114], v106 offset:824
	s_waitcnt vmcnt(4) lgkmcnt(1)
	v_fma_f64 v[107:108], v[139:140], v[107:108], v[111:112]
	s_waitcnt vmcnt(3)
	v_fma_f64 v[107:108], v[137:138], v[109:110], v[107:108]
	s_waitcnt vmcnt(2) lgkmcnt(0)
	v_fma_f64 v[107:108], v[131:132], v[113:114], v[107:108]
	s_waitcnt vmcnt(0)
	v_add_f64 v[107:108], v[117:118], -v[107:108]
	buffer_store_dword v108, off, s[0:3], 0 offset:196
	buffer_store_dword v107, off, s[0:3], 0 offset:192
	s_and_saveexec_b64 s[4:5], vcc
	s_cbranch_execz .LBB115_273
; %bb.272:
	buffer_load_dword v107, off, s[0:3], 0 offset:184
	buffer_load_dword v108, off, s[0:3], 0 offset:188
	s_waitcnt vmcnt(0)
	ds_write_b64 v105, v[107:108]
	buffer_store_dword v106, off, s[0:3], 0 offset:184
	buffer_store_dword v106, off, s[0:3], 0 offset:188
.LBB115_273:
	s_or_b64 exec, exec, s[4:5]
	s_waitcnt lgkmcnt(0)
	; wave barrier
	buffer_load_dword v115, off, s[0:3], 0 offset:192
	buffer_load_dword v116, off, s[0:3], 0 offset:196
	;; [unrolled: 1-line block ×22, first 2 shown]
	ds_read_b128 v[107:110], v106 offset:608
	ds_read_b128 v[111:114], v106 offset:624
	v_cmp_lt_u32_e32 vcc, 22, v0
	s_waitcnt vmcnt(20) lgkmcnt(1)
	v_fma_f64 v[107:108], v[115:116], v[107:108], 0
	s_waitcnt vmcnt(18)
	v_fma_f64 v[107:108], v[117:118], v[109:110], v[107:108]
	buffer_load_dword v116, off, s[0:3], 0 offset:284
	buffer_load_dword v117, off, s[0:3], 0 offset:304
	;; [unrolled: 1-line block ×7, first 2 shown]
	s_waitcnt vmcnt(23) lgkmcnt(0)
	v_fma_f64 v[107:108], v[119:120], v[111:112], v[107:108]
	s_waitcnt vmcnt(21)
	v_fma_f64 v[118:119], v[121:122], v[113:114], v[107:108]
	ds_read_b128 v[107:110], v106 offset:640
	ds_read_b128 v[111:114], v106 offset:656
	s_waitcnt vmcnt(19) lgkmcnt(1)
	v_fma_f64 v[107:108], v[123:124], v[107:108], v[118:119]
	buffer_load_dword v118, off, s[0:3], 0 offset:308
	s_waitcnt vmcnt(18)
	v_fma_f64 v[107:108], v[125:126], v[109:110], v[107:108]
	buffer_load_dword v120, off, s[0:3], 0 offset:316
	buffer_load_dword v121, off, s[0:3], 0 offset:336
	buffer_load_dword v123, off, s[0:3], 0 offset:328
	buffer_load_dword v125, off, s[0:3], 0 offset:320
	buffer_load_dword v119, off, s[0:3], 0 offset:312
	buffer_load_dword v126, off, s[0:3], 0 offset:324
	buffer_load_dword v124, off, s[0:3], 0 offset:332
	buffer_load_dword v122, off, s[0:3], 0 offset:340
	s_waitcnt vmcnt(24) lgkmcnt(0)
	v_fma_f64 v[107:108], v[127:128], v[111:112], v[107:108]
	s_waitcnt vmcnt(19)
	v_fma_f64 v[127:128], v[129:130], v[113:114], v[107:108]
	ds_read_b128 v[107:110], v106 offset:672
	ds_read_b128 v[111:114], v106 offset:688
	s_waitcnt vmcnt(18) lgkmcnt(1)
	v_fma_f64 v[107:108], v[135:136], v[107:108], v[127:128]
	s_waitcnt vmcnt(17)
	v_fma_f64 v[107:108], v[133:134], v[109:110], v[107:108]
	buffer_load_dword v128, off, s[0:3], 0 offset:348
	buffer_load_dword v129, off, s[0:3], 0 offset:368
	buffer_load_dword v133, off, s[0:3], 0 offset:360
	buffer_load_dword v135, off, s[0:3], 0 offset:352
	buffer_load_dword v127, off, s[0:3], 0 offset:344
	buffer_load_dword v136, off, s[0:3], 0 offset:356
	buffer_load_dword v134, off, s[0:3], 0 offset:364
	buffer_load_dword v130, off, s[0:3], 0 offset:372
	s_waitcnt vmcnt(24) lgkmcnt(0)
	v_fma_f64 v[107:108], v[131:132], v[111:112], v[107:108]
	s_waitcnt vmcnt(19)
	v_fma_f64 v[115:116], v[115:116], v[113:114], v[107:108]
	ds_read_b128 v[107:110], v106 offset:704
	ds_read_b128 v[111:114], v106 offset:720
	s_waitcnt vmcnt(18) lgkmcnt(1)
	v_fma_f64 v[107:108], v[139:140], v[107:108], v[115:116]
	;; [unrolled: 18-line block ×3, first 2 shown]
	buffer_load_dword v118, off, s[0:3], 0 offset:412
	buffer_load_dword v117, off, s[0:3], 0 offset:408
	;; [unrolled: 1-line block ×4, first 2 shown]
	s_waitcnt vmcnt(21)
	v_fma_f64 v[107:108], v[123:124], v[109:110], v[107:108]
	s_waitcnt vmcnt(20) lgkmcnt(0)
	v_fma_f64 v[107:108], v[121:122], v[111:112], v[107:108]
	s_waitcnt vmcnt(15)
	v_fma_f64 v[121:122], v[127:128], v[113:114], v[107:108]
	ds_read_b128 v[107:110], v106 offset:768
	ds_read_b128 v[111:114], v106 offset:784
	s_waitcnt vmcnt(14) lgkmcnt(1)
	v_fma_f64 v[107:108], v[135:136], v[107:108], v[121:122]
	s_waitcnt vmcnt(13)
	v_fma_f64 v[107:108], v[133:134], v[109:110], v[107:108]
	s_waitcnt vmcnt(12) lgkmcnt(0)
	v_fma_f64 v[107:108], v[129:130], v[111:112], v[107:108]
	s_waitcnt vmcnt(7)
	v_fma_f64 v[115:116], v[115:116], v[113:114], v[107:108]
	ds_read_b128 v[107:110], v106 offset:800
	ds_read_b128 v[111:114], v106 offset:816
	s_waitcnt vmcnt(6) lgkmcnt(1)
	v_fma_f64 v[106:107], v[139:140], v[107:108], v[115:116]
	s_waitcnt vmcnt(5)
	v_fma_f64 v[106:107], v[137:138], v[109:110], v[106:107]
	s_waitcnt vmcnt(4) lgkmcnt(0)
	v_fma_f64 v[106:107], v[131:132], v[111:112], v[106:107]
	s_waitcnt vmcnt(2)
	v_fma_f64 v[106:107], v[117:118], v[113:114], v[106:107]
	s_waitcnt vmcnt(0)
	v_add_f64 v[106:107], v[119:120], -v[106:107]
	buffer_store_dword v107, off, s[0:3], 0 offset:188
	buffer_store_dword v106, off, s[0:3], 0 offset:184
	s_and_saveexec_b64 s[4:5], vcc
	s_cbranch_execz .LBB115_275
; %bb.274:
	buffer_load_dword v106, off, s[0:3], 0 offset:176
	buffer_load_dword v107, off, s[0:3], 0 offset:180
	v_mov_b32_e32 v108, 0
	buffer_store_dword v108, off, s[0:3], 0 offset:176
	buffer_store_dword v108, off, s[0:3], 0 offset:180
	s_waitcnt vmcnt(2)
	ds_write_b64 v105, v[106:107]
.LBB115_275:
	s_or_b64 exec, exec, s[4:5]
	s_waitcnt lgkmcnt(0)
	; wave barrier
	buffer_load_dword v115, off, s[0:3], 0 offset:184
	buffer_load_dword v116, off, s[0:3], 0 offset:188
	;; [unrolled: 1-line block ×22, first 2 shown]
	v_mov_b32_e32 v106, 0
	ds_read2_b64 v[107:110], v106 offset0:75 offset1:76
	ds_read2_b64 v[111:114], v106 offset0:77 offset1:78
	v_cmp_lt_u32_e32 vcc, 21, v0
	s_waitcnt vmcnt(20) lgkmcnt(1)
	v_fma_f64 v[107:108], v[115:116], v[107:108], 0
	s_waitcnt vmcnt(18)
	v_fma_f64 v[107:108], v[117:118], v[109:110], v[107:108]
	buffer_load_dword v116, off, s[0:3], 0 offset:276
	buffer_load_dword v117, off, s[0:3], 0 offset:296
	;; [unrolled: 1-line block ×7, first 2 shown]
	s_waitcnt vmcnt(23) lgkmcnt(0)
	v_fma_f64 v[107:108], v[119:120], v[111:112], v[107:108]
	s_waitcnt vmcnt(21)
	v_fma_f64 v[118:119], v[121:122], v[113:114], v[107:108]
	ds_read2_b64 v[107:110], v106 offset0:79 offset1:80
	ds_read2_b64 v[111:114], v106 offset0:81 offset1:82
	s_waitcnt vmcnt(19) lgkmcnt(1)
	v_fma_f64 v[107:108], v[123:124], v[107:108], v[118:119]
	buffer_load_dword v118, off, s[0:3], 0 offset:300
	s_waitcnt vmcnt(18)
	v_fma_f64 v[107:108], v[125:126], v[109:110], v[107:108]
	buffer_load_dword v120, off, s[0:3], 0 offset:308
	buffer_load_dword v121, off, s[0:3], 0 offset:328
	buffer_load_dword v123, off, s[0:3], 0 offset:320
	buffer_load_dword v125, off, s[0:3], 0 offset:312
	buffer_load_dword v119, off, s[0:3], 0 offset:304
	buffer_load_dword v126, off, s[0:3], 0 offset:316
	buffer_load_dword v124, off, s[0:3], 0 offset:324
	s_waitcnt vmcnt(23) lgkmcnt(0)
	v_fma_f64 v[107:108], v[127:128], v[111:112], v[107:108]
	s_waitcnt vmcnt(18)
	v_fma_f64 v[127:128], v[129:130], v[113:114], v[107:108]
	ds_read2_b64 v[107:110], v106 offset0:83 offset1:84
	ds_read2_b64 v[111:114], v106 offset0:85 offset1:86
	buffer_load_dword v122, off, s[0:3], 0 offset:332
	s_waitcnt vmcnt(18) lgkmcnt(1)
	v_fma_f64 v[107:108], v[135:136], v[107:108], v[127:128]
	s_waitcnt vmcnt(17)
	v_fma_f64 v[107:108], v[133:134], v[109:110], v[107:108]
	buffer_load_dword v128, off, s[0:3], 0 offset:340
	buffer_load_dword v129, off, s[0:3], 0 offset:360
	;; [unrolled: 1-line block ×8, first 2 shown]
	s_waitcnt vmcnt(24) lgkmcnt(0)
	v_fma_f64 v[107:108], v[131:132], v[111:112], v[107:108]
	s_waitcnt vmcnt(19)
	v_fma_f64 v[115:116], v[115:116], v[113:114], v[107:108]
	ds_read2_b64 v[107:110], v106 offset0:87 offset1:88
	ds_read2_b64 v[111:114], v106 offset0:89 offset1:90
	s_waitcnt vmcnt(18) lgkmcnt(1)
	v_fma_f64 v[107:108], v[139:140], v[107:108], v[115:116]
	s_waitcnt vmcnt(17)
	v_fma_f64 v[107:108], v[137:138], v[109:110], v[107:108]
	buffer_load_dword v116, off, s[0:3], 0 offset:372
	buffer_load_dword v131, off, s[0:3], 0 offset:392
	;; [unrolled: 1-line block ×7, first 2 shown]
	s_waitcnt vmcnt(23) lgkmcnt(0)
	v_fma_f64 v[107:108], v[117:118], v[111:112], v[107:108]
	s_waitcnt vmcnt(18)
	v_fma_f64 v[117:118], v[119:120], v[113:114], v[107:108]
	ds_read2_b64 v[107:110], v106 offset0:91 offset1:92
	ds_read2_b64 v[111:114], v106 offset0:93 offset1:94
	buffer_load_dword v132, off, s[0:3], 0 offset:396
	s_waitcnt vmcnt(18) lgkmcnt(1)
	v_fma_f64 v[107:108], v[125:126], v[107:108], v[117:118]
	buffer_load_dword v118, off, s[0:3], 0 offset:404
	buffer_load_dword v119, off, s[0:3], 0 offset:408
	;; [unrolled: 1-line block ×4, first 2 shown]
	s_waitcnt vmcnt(21)
	v_fma_f64 v[107:108], v[123:124], v[109:110], v[107:108]
	s_waitcnt vmcnt(20) lgkmcnt(0)
	v_fma_f64 v[107:108], v[121:122], v[111:112], v[107:108]
	buffer_load_dword v121, off, s[0:3], 0 offset:176
	buffer_load_dword v122, off, s[0:3], 0 offset:180
	s_waitcnt vmcnt(17)
	v_fma_f64 v[123:124], v[127:128], v[113:114], v[107:108]
	ds_read2_b64 v[107:110], v106 offset0:95 offset1:96
	ds_read2_b64 v[111:114], v106 offset0:97 offset1:98
	s_waitcnt vmcnt(16) lgkmcnt(1)
	v_fma_f64 v[107:108], v[135:136], v[107:108], v[123:124]
	s_waitcnt vmcnt(15)
	v_fma_f64 v[107:108], v[133:134], v[109:110], v[107:108]
	s_waitcnt vmcnt(14) lgkmcnt(0)
	v_fma_f64 v[107:108], v[129:130], v[111:112], v[107:108]
	s_waitcnt vmcnt(9)
	v_fma_f64 v[115:116], v[115:116], v[113:114], v[107:108]
	ds_read2_b64 v[107:110], v106 offset0:99 offset1:100
	ds_read2_b64 v[111:114], v106 offset0:101 offset1:102
	s_waitcnt vmcnt(8) lgkmcnt(1)
	v_fma_f64 v[107:108], v[139:140], v[107:108], v[115:116]
	s_waitcnt vmcnt(7)
	v_fma_f64 v[107:108], v[137:138], v[109:110], v[107:108]
	ds_read_b64 v[109:110], v106 offset:824
	s_waitcnt vmcnt(6) lgkmcnt(1)
	v_fma_f64 v[107:108], v[131:132], v[111:112], v[107:108]
	s_waitcnt vmcnt(3)
	v_fma_f64 v[107:108], v[117:118], v[113:114], v[107:108]
	s_waitcnt vmcnt(2) lgkmcnt(0)
	v_fma_f64 v[107:108], v[119:120], v[109:110], v[107:108]
	s_waitcnt vmcnt(0)
	v_add_f64 v[107:108], v[121:122], -v[107:108]
	buffer_store_dword v108, off, s[0:3], 0 offset:180
	buffer_store_dword v107, off, s[0:3], 0 offset:176
	s_and_saveexec_b64 s[4:5], vcc
	s_cbranch_execz .LBB115_277
; %bb.276:
	buffer_load_dword v107, off, s[0:3], 0 offset:168
	buffer_load_dword v108, off, s[0:3], 0 offset:172
	s_waitcnt vmcnt(0)
	ds_write_b64 v105, v[107:108]
	buffer_store_dword v106, off, s[0:3], 0 offset:168
	buffer_store_dword v106, off, s[0:3], 0 offset:172
.LBB115_277:
	s_or_b64 exec, exec, s[4:5]
	s_waitcnt lgkmcnt(0)
	; wave barrier
	buffer_load_dword v115, off, s[0:3], 0 offset:176
	buffer_load_dword v116, off, s[0:3], 0 offset:180
	;; [unrolled: 1-line block ×22, first 2 shown]
	ds_read_b128 v[107:110], v106 offset:592
	ds_read_b128 v[111:114], v106 offset:608
	v_cmp_lt_u32_e32 vcc, 20, v0
	s_waitcnt vmcnt(20) lgkmcnt(1)
	v_fma_f64 v[107:108], v[115:116], v[107:108], 0
	s_waitcnt vmcnt(18)
	v_fma_f64 v[107:108], v[117:118], v[109:110], v[107:108]
	buffer_load_dword v116, off, s[0:3], 0 offset:268
	buffer_load_dword v117, off, s[0:3], 0 offset:288
	buffer_load_dword v137, off, s[0:3], 0 offset:280
	buffer_load_dword v139, off, s[0:3], 0 offset:272
	buffer_load_dword v115, off, s[0:3], 0 offset:264
	buffer_load_dword v140, off, s[0:3], 0 offset:276
	buffer_load_dword v138, off, s[0:3], 0 offset:284
	s_waitcnt vmcnt(23) lgkmcnt(0)
	v_fma_f64 v[107:108], v[119:120], v[111:112], v[107:108]
	s_waitcnt vmcnt(21)
	v_fma_f64 v[118:119], v[121:122], v[113:114], v[107:108]
	ds_read_b128 v[107:110], v106 offset:624
	ds_read_b128 v[111:114], v106 offset:640
	s_waitcnt vmcnt(19) lgkmcnt(1)
	v_fma_f64 v[107:108], v[123:124], v[107:108], v[118:119]
	buffer_load_dword v118, off, s[0:3], 0 offset:292
	s_waitcnt vmcnt(18)
	v_fma_f64 v[107:108], v[125:126], v[109:110], v[107:108]
	buffer_load_dword v120, off, s[0:3], 0 offset:300
	buffer_load_dword v121, off, s[0:3], 0 offset:320
	;; [unrolled: 1-line block ×7, first 2 shown]
	s_waitcnt vmcnt(23) lgkmcnt(0)
	v_fma_f64 v[107:108], v[127:128], v[111:112], v[107:108]
	s_waitcnt vmcnt(18)
	v_fma_f64 v[127:128], v[129:130], v[113:114], v[107:108]
	ds_read_b128 v[107:110], v106 offset:656
	ds_read_b128 v[111:114], v106 offset:672
	buffer_load_dword v122, off, s[0:3], 0 offset:324
	s_waitcnt vmcnt(18) lgkmcnt(1)
	v_fma_f64 v[107:108], v[135:136], v[107:108], v[127:128]
	s_waitcnt vmcnt(17)
	v_fma_f64 v[107:108], v[133:134], v[109:110], v[107:108]
	buffer_load_dword v128, off, s[0:3], 0 offset:332
	buffer_load_dword v129, off, s[0:3], 0 offset:352
	;; [unrolled: 1-line block ×8, first 2 shown]
	s_waitcnt vmcnt(24) lgkmcnt(0)
	v_fma_f64 v[107:108], v[131:132], v[111:112], v[107:108]
	s_waitcnt vmcnt(19)
	v_fma_f64 v[115:116], v[115:116], v[113:114], v[107:108]
	ds_read_b128 v[107:110], v106 offset:688
	ds_read_b128 v[111:114], v106 offset:704
	s_waitcnt vmcnt(18) lgkmcnt(1)
	v_fma_f64 v[107:108], v[139:140], v[107:108], v[115:116]
	s_waitcnt vmcnt(17)
	v_fma_f64 v[107:108], v[137:138], v[109:110], v[107:108]
	buffer_load_dword v116, off, s[0:3], 0 offset:364
	buffer_load_dword v131, off, s[0:3], 0 offset:384
	;; [unrolled: 1-line block ×8, first 2 shown]
	s_waitcnt vmcnt(24) lgkmcnt(0)
	v_fma_f64 v[107:108], v[117:118], v[111:112], v[107:108]
	s_waitcnt vmcnt(19)
	v_fma_f64 v[117:118], v[119:120], v[113:114], v[107:108]
	ds_read_b128 v[107:110], v106 offset:720
	ds_read_b128 v[111:114], v106 offset:736
	s_waitcnt vmcnt(18) lgkmcnt(1)
	v_fma_f64 v[107:108], v[125:126], v[107:108], v[117:118]
	s_waitcnt vmcnt(17)
	v_fma_f64 v[107:108], v[123:124], v[109:110], v[107:108]
	buffer_load_dword v118, off, s[0:3], 0 offset:396
	buffer_load_dword v119, off, s[0:3], 0 offset:408
	;; [unrolled: 1-line block ×6, first 2 shown]
	s_waitcnt vmcnt(22) lgkmcnt(0)
	v_fma_f64 v[107:108], v[121:122], v[111:112], v[107:108]
	s_waitcnt vmcnt(17)
	v_fma_f64 v[121:122], v[127:128], v[113:114], v[107:108]
	ds_read_b128 v[107:110], v106 offset:752
	buffer_load_dword v125, off, s[0:3], 0 offset:168
	buffer_load_dword v126, off, s[0:3], 0 offset:172
	ds_read_b128 v[111:114], v106 offset:768
	s_waitcnt vmcnt(18) lgkmcnt(1)
	v_fma_f64 v[107:108], v[135:136], v[107:108], v[121:122]
	s_waitcnt vmcnt(17)
	v_fma_f64 v[107:108], v[133:134], v[109:110], v[107:108]
	s_waitcnt vmcnt(16) lgkmcnt(0)
	v_fma_f64 v[107:108], v[129:130], v[111:112], v[107:108]
	s_waitcnt vmcnt(11)
	v_fma_f64 v[115:116], v[115:116], v[113:114], v[107:108]
	ds_read_b128 v[107:110], v106 offset:784
	ds_read_b128 v[111:114], v106 offset:800
	s_waitcnt vmcnt(10) lgkmcnt(1)
	v_fma_f64 v[107:108], v[139:140], v[107:108], v[115:116]
	s_waitcnt vmcnt(9)
	v_fma_f64 v[107:108], v[137:138], v[109:110], v[107:108]
	s_waitcnt vmcnt(8) lgkmcnt(0)
	v_fma_f64 v[107:108], v[131:132], v[111:112], v[107:108]
	s_waitcnt vmcnt(4)
	v_fma_f64 v[110:111], v[117:118], v[113:114], v[107:108]
	ds_read_b128 v[106:109], v106 offset:816
	s_waitcnt vmcnt(3) lgkmcnt(0)
	v_fma_f64 v[106:107], v[123:124], v[106:107], v[110:111]
	s_waitcnt vmcnt(2)
	v_fma_f64 v[106:107], v[119:120], v[108:109], v[106:107]
	s_waitcnt vmcnt(0)
	v_add_f64 v[106:107], v[125:126], -v[106:107]
	buffer_store_dword v107, off, s[0:3], 0 offset:172
	buffer_store_dword v106, off, s[0:3], 0 offset:168
	s_and_saveexec_b64 s[4:5], vcc
	s_cbranch_execz .LBB115_279
; %bb.278:
	buffer_load_dword v106, off, s[0:3], 0 offset:160
	buffer_load_dword v107, off, s[0:3], 0 offset:164
	v_mov_b32_e32 v108, 0
	buffer_store_dword v108, off, s[0:3], 0 offset:160
	buffer_store_dword v108, off, s[0:3], 0 offset:164
	s_waitcnt vmcnt(2)
	ds_write_b64 v105, v[106:107]
.LBB115_279:
	s_or_b64 exec, exec, s[4:5]
	s_waitcnt lgkmcnt(0)
	; wave barrier
	buffer_load_dword v115, off, s[0:3], 0 offset:168
	buffer_load_dword v116, off, s[0:3], 0 offset:172
	;; [unrolled: 1-line block ×22, first 2 shown]
	v_mov_b32_e32 v106, 0
	ds_read2_b64 v[107:110], v106 offset0:73 offset1:74
	ds_read2_b64 v[111:114], v106 offset0:75 offset1:76
	v_cmp_lt_u32_e32 vcc, 19, v0
	s_waitcnt vmcnt(20) lgkmcnt(1)
	v_fma_f64 v[107:108], v[115:116], v[107:108], 0
	s_waitcnt vmcnt(18)
	v_fma_f64 v[107:108], v[117:118], v[109:110], v[107:108]
	buffer_load_dword v116, off, s[0:3], 0 offset:260
	buffer_load_dword v117, off, s[0:3], 0 offset:280
	;; [unrolled: 1-line block ×7, first 2 shown]
	s_waitcnt vmcnt(23) lgkmcnt(0)
	v_fma_f64 v[107:108], v[119:120], v[111:112], v[107:108]
	s_waitcnt vmcnt(21)
	v_fma_f64 v[118:119], v[121:122], v[113:114], v[107:108]
	ds_read2_b64 v[107:110], v106 offset0:77 offset1:78
	ds_read2_b64 v[111:114], v106 offset0:79 offset1:80
	s_waitcnt vmcnt(19) lgkmcnt(1)
	v_fma_f64 v[107:108], v[123:124], v[107:108], v[118:119]
	buffer_load_dword v118, off, s[0:3], 0 offset:284
	s_waitcnt vmcnt(18)
	v_fma_f64 v[107:108], v[125:126], v[109:110], v[107:108]
	buffer_load_dword v120, off, s[0:3], 0 offset:292
	buffer_load_dword v121, off, s[0:3], 0 offset:312
	;; [unrolled: 1-line block ×7, first 2 shown]
	s_waitcnt vmcnt(23) lgkmcnt(0)
	v_fma_f64 v[107:108], v[127:128], v[111:112], v[107:108]
	s_waitcnt vmcnt(18)
	v_fma_f64 v[127:128], v[129:130], v[113:114], v[107:108]
	ds_read2_b64 v[107:110], v106 offset0:81 offset1:82
	ds_read2_b64 v[111:114], v106 offset0:83 offset1:84
	buffer_load_dword v122, off, s[0:3], 0 offset:316
	s_waitcnt vmcnt(18) lgkmcnt(1)
	v_fma_f64 v[107:108], v[135:136], v[107:108], v[127:128]
	s_waitcnt vmcnt(17)
	v_fma_f64 v[107:108], v[133:134], v[109:110], v[107:108]
	buffer_load_dword v128, off, s[0:3], 0 offset:324
	buffer_load_dword v129, off, s[0:3], 0 offset:344
	buffer_load_dword v133, off, s[0:3], 0 offset:336
	buffer_load_dword v135, off, s[0:3], 0 offset:328
	buffer_load_dword v127, off, s[0:3], 0 offset:320
	buffer_load_dword v136, off, s[0:3], 0 offset:332
	buffer_load_dword v134, off, s[0:3], 0 offset:340
	buffer_load_dword v130, off, s[0:3], 0 offset:348
	s_waitcnt vmcnt(24) lgkmcnt(0)
	v_fma_f64 v[107:108], v[131:132], v[111:112], v[107:108]
	s_waitcnt vmcnt(19)
	v_fma_f64 v[115:116], v[115:116], v[113:114], v[107:108]
	ds_read2_b64 v[107:110], v106 offset0:85 offset1:86
	ds_read2_b64 v[111:114], v106 offset0:87 offset1:88
	s_waitcnt vmcnt(18) lgkmcnt(1)
	v_fma_f64 v[107:108], v[139:140], v[107:108], v[115:116]
	s_waitcnt vmcnt(17)
	v_fma_f64 v[107:108], v[137:138], v[109:110], v[107:108]
	buffer_load_dword v116, off, s[0:3], 0 offset:356
	buffer_load_dword v131, off, s[0:3], 0 offset:376
	buffer_load_dword v137, off, s[0:3], 0 offset:368
	buffer_load_dword v139, off, s[0:3], 0 offset:360
	buffer_load_dword v115, off, s[0:3], 0 offset:352
	buffer_load_dword v140, off, s[0:3], 0 offset:364
	buffer_load_dword v138, off, s[0:3], 0 offset:372
	buffer_load_dword v132, off, s[0:3], 0 offset:380
	s_waitcnt vmcnt(24) lgkmcnt(0)
	v_fma_f64 v[107:108], v[117:118], v[111:112], v[107:108]
	s_waitcnt vmcnt(19)
	v_fma_f64 v[117:118], v[119:120], v[113:114], v[107:108]
	ds_read2_b64 v[107:110], v106 offset0:89 offset1:90
	ds_read2_b64 v[111:114], v106 offset0:91 offset1:92
	;; [unrolled: 18-line block ×3, first 2 shown]
	s_waitcnt vmcnt(18) lgkmcnt(1)
	v_fma_f64 v[107:108], v[135:136], v[107:108], v[121:122]
	buffer_load_dword v121, off, s[0:3], 0 offset:160
	buffer_load_dword v122, off, s[0:3], 0 offset:164
	s_waitcnt vmcnt(19)
	v_fma_f64 v[107:108], v[133:134], v[109:110], v[107:108]
	s_waitcnt vmcnt(18) lgkmcnt(0)
	v_fma_f64 v[107:108], v[129:130], v[111:112], v[107:108]
	s_waitcnt vmcnt(13)
	v_fma_f64 v[115:116], v[115:116], v[113:114], v[107:108]
	ds_read2_b64 v[107:110], v106 offset0:97 offset1:98
	ds_read2_b64 v[111:114], v106 offset0:99 offset1:100
	s_waitcnt vmcnt(12) lgkmcnt(1)
	v_fma_f64 v[107:108], v[139:140], v[107:108], v[115:116]
	s_waitcnt vmcnt(11)
	v_fma_f64 v[107:108], v[137:138], v[109:110], v[107:108]
	s_waitcnt vmcnt(10) lgkmcnt(0)
	v_fma_f64 v[107:108], v[131:132], v[111:112], v[107:108]
	s_waitcnt vmcnt(5)
	v_fma_f64 v[111:112], v[117:118], v[113:114], v[107:108]
	ds_read2_b64 v[107:110], v106 offset0:101 offset1:102
	ds_read_b64 v[113:114], v106 offset:824
	s_waitcnt vmcnt(4) lgkmcnt(1)
	v_fma_f64 v[107:108], v[125:126], v[107:108], v[111:112]
	s_waitcnt vmcnt(3)
	v_fma_f64 v[107:108], v[123:124], v[109:110], v[107:108]
	s_waitcnt vmcnt(2) lgkmcnt(0)
	v_fma_f64 v[107:108], v[119:120], v[113:114], v[107:108]
	s_waitcnt vmcnt(0)
	v_add_f64 v[107:108], v[121:122], -v[107:108]
	buffer_store_dword v108, off, s[0:3], 0 offset:164
	buffer_store_dword v107, off, s[0:3], 0 offset:160
	s_and_saveexec_b64 s[4:5], vcc
	s_cbranch_execz .LBB115_281
; %bb.280:
	buffer_load_dword v107, off, s[0:3], 0 offset:152
	buffer_load_dword v108, off, s[0:3], 0 offset:156
	s_waitcnt vmcnt(0)
	ds_write_b64 v105, v[107:108]
	buffer_store_dword v106, off, s[0:3], 0 offset:152
	buffer_store_dword v106, off, s[0:3], 0 offset:156
.LBB115_281:
	s_or_b64 exec, exec, s[4:5]
	s_waitcnt lgkmcnt(0)
	; wave barrier
	buffer_load_dword v115, off, s[0:3], 0 offset:160
	buffer_load_dword v116, off, s[0:3], 0 offset:164
	;; [unrolled: 1-line block ×22, first 2 shown]
	ds_read_b128 v[107:110], v106 offset:576
	ds_read_b128 v[111:114], v106 offset:592
	v_cmp_lt_u32_e32 vcc, 18, v0
	s_waitcnt vmcnt(20) lgkmcnt(1)
	v_fma_f64 v[107:108], v[115:116], v[107:108], 0
	s_waitcnt vmcnt(18)
	v_fma_f64 v[107:108], v[117:118], v[109:110], v[107:108]
	buffer_load_dword v116, off, s[0:3], 0 offset:252
	buffer_load_dword v117, off, s[0:3], 0 offset:272
	;; [unrolled: 1-line block ×7, first 2 shown]
	s_waitcnt vmcnt(23) lgkmcnt(0)
	v_fma_f64 v[107:108], v[119:120], v[111:112], v[107:108]
	s_waitcnt vmcnt(21)
	v_fma_f64 v[118:119], v[121:122], v[113:114], v[107:108]
	ds_read_b128 v[107:110], v106 offset:608
	ds_read_b128 v[111:114], v106 offset:624
	s_waitcnt vmcnt(19) lgkmcnt(1)
	v_fma_f64 v[107:108], v[123:124], v[107:108], v[118:119]
	buffer_load_dword v118, off, s[0:3], 0 offset:276
	s_waitcnt vmcnt(18)
	v_fma_f64 v[107:108], v[125:126], v[109:110], v[107:108]
	buffer_load_dword v120, off, s[0:3], 0 offset:284
	buffer_load_dword v121, off, s[0:3], 0 offset:304
	;; [unrolled: 1-line block ×7, first 2 shown]
	s_waitcnt vmcnt(23) lgkmcnt(0)
	v_fma_f64 v[107:108], v[127:128], v[111:112], v[107:108]
	s_waitcnt vmcnt(18)
	v_fma_f64 v[127:128], v[129:130], v[113:114], v[107:108]
	ds_read_b128 v[107:110], v106 offset:640
	ds_read_b128 v[111:114], v106 offset:656
	buffer_load_dword v122, off, s[0:3], 0 offset:308
	s_waitcnt vmcnt(18) lgkmcnt(1)
	v_fma_f64 v[107:108], v[135:136], v[107:108], v[127:128]
	s_waitcnt vmcnt(17)
	v_fma_f64 v[107:108], v[133:134], v[109:110], v[107:108]
	buffer_load_dword v128, off, s[0:3], 0 offset:316
	buffer_load_dword v129, off, s[0:3], 0 offset:336
	buffer_load_dword v133, off, s[0:3], 0 offset:328
	buffer_load_dword v135, off, s[0:3], 0 offset:320
	buffer_load_dword v127, off, s[0:3], 0 offset:312
	buffer_load_dword v136, off, s[0:3], 0 offset:324
	buffer_load_dword v134, off, s[0:3], 0 offset:332
	buffer_load_dword v130, off, s[0:3], 0 offset:340
	s_waitcnt vmcnt(24) lgkmcnt(0)
	v_fma_f64 v[107:108], v[131:132], v[111:112], v[107:108]
	s_waitcnt vmcnt(19)
	v_fma_f64 v[115:116], v[115:116], v[113:114], v[107:108]
	ds_read_b128 v[107:110], v106 offset:672
	ds_read_b128 v[111:114], v106 offset:688
	s_waitcnt vmcnt(18) lgkmcnt(1)
	v_fma_f64 v[107:108], v[139:140], v[107:108], v[115:116]
	s_waitcnt vmcnt(17)
	v_fma_f64 v[107:108], v[137:138], v[109:110], v[107:108]
	buffer_load_dword v116, off, s[0:3], 0 offset:348
	buffer_load_dword v131, off, s[0:3], 0 offset:368
	buffer_load_dword v137, off, s[0:3], 0 offset:360
	buffer_load_dword v139, off, s[0:3], 0 offset:352
	buffer_load_dword v115, off, s[0:3], 0 offset:344
	buffer_load_dword v140, off, s[0:3], 0 offset:356
	buffer_load_dword v138, off, s[0:3], 0 offset:364
	buffer_load_dword v132, off, s[0:3], 0 offset:372
	s_waitcnt vmcnt(24) lgkmcnt(0)
	v_fma_f64 v[107:108], v[117:118], v[111:112], v[107:108]
	s_waitcnt vmcnt(19)
	v_fma_f64 v[117:118], v[119:120], v[113:114], v[107:108]
	ds_read_b128 v[107:110], v106 offset:704
	ds_read_b128 v[111:114], v106 offset:720
	;; [unrolled: 18-line block ×3, first 2 shown]
	s_waitcnt vmcnt(18) lgkmcnt(1)
	v_fma_f64 v[107:108], v[135:136], v[107:108], v[121:122]
	buffer_load_dword v122, off, s[0:3], 0 offset:412
	buffer_load_dword v121, off, s[0:3], 0 offset:408
	;; [unrolled: 1-line block ×4, first 2 shown]
	s_waitcnt vmcnt(21)
	v_fma_f64 v[107:108], v[133:134], v[109:110], v[107:108]
	s_waitcnt vmcnt(20) lgkmcnt(0)
	v_fma_f64 v[107:108], v[129:130], v[111:112], v[107:108]
	s_waitcnt vmcnt(15)
	v_fma_f64 v[115:116], v[115:116], v[113:114], v[107:108]
	ds_read_b128 v[107:110], v106 offset:768
	ds_read_b128 v[111:114], v106 offset:784
	s_waitcnt vmcnt(14) lgkmcnt(1)
	v_fma_f64 v[107:108], v[139:140], v[107:108], v[115:116]
	s_waitcnt vmcnt(13)
	v_fma_f64 v[107:108], v[137:138], v[109:110], v[107:108]
	s_waitcnt vmcnt(12) lgkmcnt(0)
	v_fma_f64 v[107:108], v[131:132], v[111:112], v[107:108]
	s_waitcnt vmcnt(7)
	v_fma_f64 v[115:116], v[117:118], v[113:114], v[107:108]
	ds_read_b128 v[107:110], v106 offset:800
	ds_read_b128 v[111:114], v106 offset:816
	s_waitcnt vmcnt(6) lgkmcnt(1)
	v_fma_f64 v[106:107], v[125:126], v[107:108], v[115:116]
	s_waitcnt vmcnt(5)
	v_fma_f64 v[106:107], v[123:124], v[109:110], v[106:107]
	s_waitcnt vmcnt(4) lgkmcnt(0)
	v_fma_f64 v[106:107], v[119:120], v[111:112], v[106:107]
	s_waitcnt vmcnt(2)
	v_fma_f64 v[106:107], v[121:122], v[113:114], v[106:107]
	s_waitcnt vmcnt(0)
	v_add_f64 v[106:107], v[127:128], -v[106:107]
	buffer_store_dword v107, off, s[0:3], 0 offset:156
	buffer_store_dword v106, off, s[0:3], 0 offset:152
	s_and_saveexec_b64 s[4:5], vcc
	s_cbranch_execz .LBB115_283
; %bb.282:
	buffer_load_dword v106, off, s[0:3], 0 offset:144
	buffer_load_dword v107, off, s[0:3], 0 offset:148
	v_mov_b32_e32 v108, 0
	buffer_store_dword v108, off, s[0:3], 0 offset:144
	buffer_store_dword v108, off, s[0:3], 0 offset:148
	s_waitcnt vmcnt(2)
	ds_write_b64 v105, v[106:107]
.LBB115_283:
	s_or_b64 exec, exec, s[4:5]
	s_waitcnt lgkmcnt(0)
	; wave barrier
	buffer_load_dword v115, off, s[0:3], 0 offset:152
	buffer_load_dword v116, off, s[0:3], 0 offset:156
	buffer_load_dword v117, off, s[0:3], 0 offset:160
	buffer_load_dword v118, off, s[0:3], 0 offset:164
	buffer_load_dword v119, off, s[0:3], 0 offset:168
	buffer_load_dword v120, off, s[0:3], 0 offset:172
	buffer_load_dword v121, off, s[0:3], 0 offset:176
	buffer_load_dword v122, off, s[0:3], 0 offset:180
	buffer_load_dword v123, off, s[0:3], 0 offset:184
	buffer_load_dword v124, off, s[0:3], 0 offset:188
	buffer_load_dword v125, off, s[0:3], 0 offset:192
	buffer_load_dword v126, off, s[0:3], 0 offset:196
	buffer_load_dword v127, off, s[0:3], 0 offset:200
	buffer_load_dword v128, off, s[0:3], 0 offset:204
	buffer_load_dword v130, off, s[0:3], 0 offset:212
	buffer_load_dword v131, off, s[0:3], 0 offset:232
	buffer_load_dword v133, off, s[0:3], 0 offset:224
	buffer_load_dword v135, off, s[0:3], 0 offset:216
	buffer_load_dword v129, off, s[0:3], 0 offset:208
	buffer_load_dword v136, off, s[0:3], 0 offset:220
	buffer_load_dword v134, off, s[0:3], 0 offset:228
	v_mov_b32_e32 v106, 0
	ds_read2_b64 v[107:110], v106 offset0:71 offset1:72
	ds_read2_b64 v[111:114], v106 offset0:73 offset1:74
	buffer_load_dword v132, off, s[0:3], 0 offset:236
	v_cmp_lt_u32_e32 vcc, 17, v0
	s_waitcnt vmcnt(20) lgkmcnt(1)
	v_fma_f64 v[107:108], v[115:116], v[107:108], 0
	s_waitcnt vmcnt(18)
	v_fma_f64 v[107:108], v[117:118], v[109:110], v[107:108]
	buffer_load_dword v116, off, s[0:3], 0 offset:244
	buffer_load_dword v117, off, s[0:3], 0 offset:264
	;; [unrolled: 1-line block ×7, first 2 shown]
	s_waitcnt vmcnt(23) lgkmcnt(0)
	v_fma_f64 v[107:108], v[119:120], v[111:112], v[107:108]
	s_waitcnt vmcnt(21)
	v_fma_f64 v[118:119], v[121:122], v[113:114], v[107:108]
	ds_read2_b64 v[107:110], v106 offset0:75 offset1:76
	ds_read2_b64 v[111:114], v106 offset0:77 offset1:78
	s_waitcnt vmcnt(19) lgkmcnt(1)
	v_fma_f64 v[107:108], v[123:124], v[107:108], v[118:119]
	buffer_load_dword v118, off, s[0:3], 0 offset:268
	s_waitcnt vmcnt(18)
	v_fma_f64 v[107:108], v[125:126], v[109:110], v[107:108]
	buffer_load_dword v120, off, s[0:3], 0 offset:276
	buffer_load_dword v121, off, s[0:3], 0 offset:296
	;; [unrolled: 1-line block ×7, first 2 shown]
	s_waitcnt vmcnt(23) lgkmcnt(0)
	v_fma_f64 v[107:108], v[127:128], v[111:112], v[107:108]
	s_waitcnt vmcnt(18)
	v_fma_f64 v[127:128], v[129:130], v[113:114], v[107:108]
	ds_read2_b64 v[107:110], v106 offset0:79 offset1:80
	ds_read2_b64 v[111:114], v106 offset0:81 offset1:82
	buffer_load_dword v122, off, s[0:3], 0 offset:300
	s_waitcnt vmcnt(18) lgkmcnt(1)
	v_fma_f64 v[107:108], v[135:136], v[107:108], v[127:128]
	s_waitcnt vmcnt(17)
	v_fma_f64 v[107:108], v[133:134], v[109:110], v[107:108]
	buffer_load_dword v128, off, s[0:3], 0 offset:308
	buffer_load_dword v129, off, s[0:3], 0 offset:328
	;; [unrolled: 1-line block ×7, first 2 shown]
	s_waitcnt vmcnt(23) lgkmcnt(0)
	v_fma_f64 v[107:108], v[131:132], v[111:112], v[107:108]
	s_waitcnt vmcnt(18)
	v_fma_f64 v[115:116], v[115:116], v[113:114], v[107:108]
	ds_read2_b64 v[107:110], v106 offset0:83 offset1:84
	ds_read2_b64 v[111:114], v106 offset0:85 offset1:86
	buffer_load_dword v130, off, s[0:3], 0 offset:332
	s_waitcnt vmcnt(18) lgkmcnt(1)
	v_fma_f64 v[107:108], v[139:140], v[107:108], v[115:116]
	s_waitcnt vmcnt(17)
	v_fma_f64 v[107:108], v[137:138], v[109:110], v[107:108]
	buffer_load_dword v116, off, s[0:3], 0 offset:340
	buffer_load_dword v131, off, s[0:3], 0 offset:360
	;; [unrolled: 1-line block ×8, first 2 shown]
	s_waitcnt vmcnt(24) lgkmcnt(0)
	v_fma_f64 v[107:108], v[117:118], v[111:112], v[107:108]
	s_waitcnt vmcnt(19)
	v_fma_f64 v[117:118], v[119:120], v[113:114], v[107:108]
	ds_read2_b64 v[107:110], v106 offset0:87 offset1:88
	ds_read2_b64 v[111:114], v106 offset0:89 offset1:90
	s_waitcnt vmcnt(18) lgkmcnt(1)
	v_fma_f64 v[107:108], v[125:126], v[107:108], v[117:118]
	s_waitcnt vmcnt(17)
	v_fma_f64 v[107:108], v[123:124], v[109:110], v[107:108]
	buffer_load_dword v118, off, s[0:3], 0 offset:372
	buffer_load_dword v119, off, s[0:3], 0 offset:392
	;; [unrolled: 1-line block ×7, first 2 shown]
	s_waitcnt vmcnt(23) lgkmcnt(0)
	v_fma_f64 v[107:108], v[121:122], v[111:112], v[107:108]
	s_waitcnt vmcnt(18)
	v_fma_f64 v[120:121], v[127:128], v[113:114], v[107:108]
	ds_read2_b64 v[107:110], v106 offset0:91 offset1:92
	ds_read2_b64 v[111:114], v106 offset0:93 offset1:94
	s_waitcnt vmcnt(17) lgkmcnt(1)
	v_fma_f64 v[107:108], v[135:136], v[107:108], v[120:121]
	buffer_load_dword v120, off, s[0:3], 0 offset:396
	buffer_load_dword v122, off, s[0:3], 0 offset:404
	;; [unrolled: 1-line block ×5, first 2 shown]
	s_waitcnt vmcnt(21)
	v_fma_f64 v[107:108], v[133:134], v[109:110], v[107:108]
	s_waitcnt vmcnt(20) lgkmcnt(0)
	v_fma_f64 v[107:108], v[129:130], v[111:112], v[107:108]
	buffer_load_dword v129, off, s[0:3], 0 offset:144
	buffer_load_dword v130, off, s[0:3], 0 offset:148
	s_waitcnt vmcnt(17)
	v_fma_f64 v[115:116], v[115:116], v[113:114], v[107:108]
	ds_read2_b64 v[107:110], v106 offset0:95 offset1:96
	ds_read2_b64 v[111:114], v106 offset0:97 offset1:98
	s_waitcnt vmcnt(16) lgkmcnt(1)
	v_fma_f64 v[107:108], v[139:140], v[107:108], v[115:116]
	s_waitcnt vmcnt(15)
	v_fma_f64 v[107:108], v[137:138], v[109:110], v[107:108]
	s_waitcnt vmcnt(14) lgkmcnt(0)
	v_fma_f64 v[107:108], v[131:132], v[111:112], v[107:108]
	s_waitcnt vmcnt(9)
	v_fma_f64 v[115:116], v[117:118], v[113:114], v[107:108]
	ds_read2_b64 v[107:110], v106 offset0:99 offset1:100
	ds_read2_b64 v[111:114], v106 offset0:101 offset1:102
	s_waitcnt vmcnt(8) lgkmcnt(1)
	v_fma_f64 v[107:108], v[125:126], v[107:108], v[115:116]
	s_waitcnt vmcnt(7)
	v_fma_f64 v[107:108], v[123:124], v[109:110], v[107:108]
	ds_read_b64 v[109:110], v106 offset:824
	s_waitcnt vmcnt(6) lgkmcnt(1)
	v_fma_f64 v[107:108], v[119:120], v[111:112], v[107:108]
	s_waitcnt vmcnt(3)
	v_fma_f64 v[107:108], v[121:122], v[113:114], v[107:108]
	s_waitcnt vmcnt(2) lgkmcnt(0)
	v_fma_f64 v[107:108], v[127:128], v[109:110], v[107:108]
	s_waitcnt vmcnt(0)
	v_add_f64 v[107:108], v[129:130], -v[107:108]
	buffer_store_dword v108, off, s[0:3], 0 offset:148
	buffer_store_dword v107, off, s[0:3], 0 offset:144
	s_and_saveexec_b64 s[4:5], vcc
	s_cbranch_execz .LBB115_285
; %bb.284:
	buffer_load_dword v107, off, s[0:3], 0 offset:136
	buffer_load_dword v108, off, s[0:3], 0 offset:140
	s_waitcnt vmcnt(0)
	ds_write_b64 v105, v[107:108]
	buffer_store_dword v106, off, s[0:3], 0 offset:136
	buffer_store_dword v106, off, s[0:3], 0 offset:140
.LBB115_285:
	s_or_b64 exec, exec, s[4:5]
	s_waitcnt lgkmcnt(0)
	; wave barrier
	buffer_load_dword v115, off, s[0:3], 0 offset:144
	buffer_load_dword v116, off, s[0:3], 0 offset:148
	;; [unrolled: 1-line block ×21, first 2 shown]
	ds_read_b128 v[107:110], v106 offset:560
	ds_read_b128 v[111:114], v106 offset:576
	buffer_load_dword v132, off, s[0:3], 0 offset:228
	v_cmp_lt_u32_e32 vcc, 16, v0
	s_waitcnt vmcnt(20) lgkmcnt(1)
	v_fma_f64 v[107:108], v[115:116], v[107:108], 0
	s_waitcnt vmcnt(18)
	v_fma_f64 v[107:108], v[117:118], v[109:110], v[107:108]
	buffer_load_dword v116, off, s[0:3], 0 offset:236
	buffer_load_dword v117, off, s[0:3], 0 offset:256
	;; [unrolled: 1-line block ×7, first 2 shown]
	s_waitcnt vmcnt(23) lgkmcnt(0)
	v_fma_f64 v[107:108], v[119:120], v[111:112], v[107:108]
	s_waitcnt vmcnt(21)
	v_fma_f64 v[118:119], v[121:122], v[113:114], v[107:108]
	ds_read_b128 v[107:110], v106 offset:592
	ds_read_b128 v[111:114], v106 offset:608
	s_waitcnt vmcnt(19) lgkmcnt(1)
	v_fma_f64 v[107:108], v[123:124], v[107:108], v[118:119]
	buffer_load_dword v118, off, s[0:3], 0 offset:260
	s_waitcnt vmcnt(18)
	v_fma_f64 v[107:108], v[125:126], v[109:110], v[107:108]
	buffer_load_dword v120, off, s[0:3], 0 offset:268
	buffer_load_dword v121, off, s[0:3], 0 offset:288
	;; [unrolled: 1-line block ×8, first 2 shown]
	s_waitcnt vmcnt(24) lgkmcnt(0)
	v_fma_f64 v[107:108], v[127:128], v[111:112], v[107:108]
	s_waitcnt vmcnt(19)
	v_fma_f64 v[127:128], v[129:130], v[113:114], v[107:108]
	ds_read_b128 v[107:110], v106 offset:624
	ds_read_b128 v[111:114], v106 offset:640
	s_waitcnt vmcnt(18) lgkmcnt(1)
	v_fma_f64 v[107:108], v[135:136], v[107:108], v[127:128]
	s_waitcnt vmcnt(17)
	v_fma_f64 v[107:108], v[133:134], v[109:110], v[107:108]
	buffer_load_dword v128, off, s[0:3], 0 offset:300
	buffer_load_dword v129, off, s[0:3], 0 offset:320
	;; [unrolled: 1-line block ×7, first 2 shown]
	s_waitcnt vmcnt(23) lgkmcnt(0)
	v_fma_f64 v[107:108], v[131:132], v[111:112], v[107:108]
	s_waitcnt vmcnt(18)
	v_fma_f64 v[115:116], v[115:116], v[113:114], v[107:108]
	ds_read_b128 v[107:110], v106 offset:656
	ds_read_b128 v[111:114], v106 offset:672
	buffer_load_dword v130, off, s[0:3], 0 offset:324
	s_waitcnt vmcnt(18) lgkmcnt(1)
	v_fma_f64 v[107:108], v[139:140], v[107:108], v[115:116]
	s_waitcnt vmcnt(17)
	v_fma_f64 v[107:108], v[137:138], v[109:110], v[107:108]
	buffer_load_dword v116, off, s[0:3], 0 offset:332
	buffer_load_dword v131, off, s[0:3], 0 offset:352
	;; [unrolled: 1-line block ×8, first 2 shown]
	s_waitcnt vmcnt(24) lgkmcnt(0)
	v_fma_f64 v[107:108], v[117:118], v[111:112], v[107:108]
	s_waitcnt vmcnt(19)
	v_fma_f64 v[117:118], v[119:120], v[113:114], v[107:108]
	ds_read_b128 v[107:110], v106 offset:688
	ds_read_b128 v[111:114], v106 offset:704
	s_waitcnt vmcnt(18) lgkmcnt(1)
	v_fma_f64 v[107:108], v[125:126], v[107:108], v[117:118]
	s_waitcnt vmcnt(17)
	v_fma_f64 v[107:108], v[123:124], v[109:110], v[107:108]
	buffer_load_dword v118, off, s[0:3], 0 offset:364
	buffer_load_dword v119, off, s[0:3], 0 offset:384
	;; [unrolled: 1-line block ×7, first 2 shown]
	s_waitcnt vmcnt(23) lgkmcnt(0)
	v_fma_f64 v[107:108], v[121:122], v[111:112], v[107:108]
	s_waitcnt vmcnt(18)
	v_fma_f64 v[120:121], v[127:128], v[113:114], v[107:108]
	ds_read_b128 v[107:110], v106 offset:720
	ds_read_b128 v[111:114], v106 offset:736
	s_waitcnt vmcnt(17) lgkmcnt(1)
	v_fma_f64 v[107:108], v[135:136], v[107:108], v[120:121]
	buffer_load_dword v120, off, s[0:3], 0 offset:388
	s_waitcnt vmcnt(17)
	v_fma_f64 v[107:108], v[133:134], v[109:110], v[107:108]
	buffer_load_dword v122, off, s[0:3], 0 offset:396
	buffer_load_dword v127, off, s[0:3], 0 offset:408
	;; [unrolled: 1-line block ×6, first 2 shown]
	s_waitcnt vmcnt(22) lgkmcnt(0)
	v_fma_f64 v[107:108], v[129:130], v[111:112], v[107:108]
	s_waitcnt vmcnt(17)
	v_fma_f64 v[115:116], v[115:116], v[113:114], v[107:108]
	ds_read_b128 v[107:110], v106 offset:752
	buffer_load_dword v129, off, s[0:3], 0 offset:136
	buffer_load_dword v130, off, s[0:3], 0 offset:140
	ds_read_b128 v[111:114], v106 offset:768
	s_waitcnt vmcnt(18) lgkmcnt(1)
	v_fma_f64 v[107:108], v[139:140], v[107:108], v[115:116]
	s_waitcnt vmcnt(17)
	v_fma_f64 v[107:108], v[137:138], v[109:110], v[107:108]
	s_waitcnt vmcnt(16) lgkmcnt(0)
	v_fma_f64 v[107:108], v[131:132], v[111:112], v[107:108]
	s_waitcnt vmcnt(11)
	v_fma_f64 v[115:116], v[117:118], v[113:114], v[107:108]
	ds_read_b128 v[107:110], v106 offset:784
	ds_read_b128 v[111:114], v106 offset:800
	s_waitcnt vmcnt(10) lgkmcnt(1)
	v_fma_f64 v[107:108], v[125:126], v[107:108], v[115:116]
	s_waitcnt vmcnt(9)
	v_fma_f64 v[107:108], v[123:124], v[109:110], v[107:108]
	s_waitcnt vmcnt(8) lgkmcnt(0)
	v_fma_f64 v[107:108], v[119:120], v[111:112], v[107:108]
	s_waitcnt vmcnt(4)
	v_fma_f64 v[110:111], v[121:122], v[113:114], v[107:108]
	ds_read_b128 v[106:109], v106 offset:816
	s_waitcnt vmcnt(3) lgkmcnt(0)
	v_fma_f64 v[106:107], v[133:134], v[106:107], v[110:111]
	s_waitcnt vmcnt(2)
	v_fma_f64 v[106:107], v[127:128], v[108:109], v[106:107]
	s_waitcnt vmcnt(0)
	v_add_f64 v[106:107], v[129:130], -v[106:107]
	buffer_store_dword v107, off, s[0:3], 0 offset:140
	buffer_store_dword v106, off, s[0:3], 0 offset:136
	s_and_saveexec_b64 s[4:5], vcc
	s_cbranch_execz .LBB115_287
; %bb.286:
	buffer_load_dword v106, off, s[0:3], 0 offset:128
	buffer_load_dword v107, off, s[0:3], 0 offset:132
	v_mov_b32_e32 v108, 0
	buffer_store_dword v108, off, s[0:3], 0 offset:128
	buffer_store_dword v108, off, s[0:3], 0 offset:132
	s_waitcnt vmcnt(2)
	ds_write_b64 v105, v[106:107]
.LBB115_287:
	s_or_b64 exec, exec, s[4:5]
	s_waitcnt lgkmcnt(0)
	; wave barrier
	buffer_load_dword v115, off, s[0:3], 0 offset:136
	buffer_load_dword v116, off, s[0:3], 0 offset:140
	;; [unrolled: 1-line block ×21, first 2 shown]
	v_mov_b32_e32 v106, 0
	ds_read2_b64 v[107:110], v106 offset0:69 offset1:70
	ds_read2_b64 v[111:114], v106 offset0:71 offset1:72
	buffer_load_dword v132, off, s[0:3], 0 offset:220
	v_cmp_lt_u32_e32 vcc, 15, v0
	s_waitcnt vmcnt(20) lgkmcnt(1)
	v_fma_f64 v[107:108], v[115:116], v[107:108], 0
	s_waitcnt vmcnt(18)
	v_fma_f64 v[107:108], v[117:118], v[109:110], v[107:108]
	buffer_load_dword v116, off, s[0:3], 0 offset:228
	buffer_load_dword v117, off, s[0:3], 0 offset:248
	;; [unrolled: 1-line block ×7, first 2 shown]
	s_waitcnt vmcnt(23) lgkmcnt(0)
	v_fma_f64 v[107:108], v[119:120], v[111:112], v[107:108]
	s_waitcnt vmcnt(21)
	v_fma_f64 v[118:119], v[121:122], v[113:114], v[107:108]
	ds_read2_b64 v[107:110], v106 offset0:73 offset1:74
	ds_read2_b64 v[111:114], v106 offset0:75 offset1:76
	s_waitcnt vmcnt(19) lgkmcnt(1)
	v_fma_f64 v[107:108], v[123:124], v[107:108], v[118:119]
	buffer_load_dword v118, off, s[0:3], 0 offset:252
	s_waitcnt vmcnt(18)
	v_fma_f64 v[107:108], v[125:126], v[109:110], v[107:108]
	buffer_load_dword v120, off, s[0:3], 0 offset:260
	buffer_load_dword v121, off, s[0:3], 0 offset:280
	;; [unrolled: 1-line block ×8, first 2 shown]
	s_waitcnt vmcnt(24) lgkmcnt(0)
	v_fma_f64 v[107:108], v[127:128], v[111:112], v[107:108]
	s_waitcnt vmcnt(19)
	v_fma_f64 v[127:128], v[129:130], v[113:114], v[107:108]
	ds_read2_b64 v[107:110], v106 offset0:77 offset1:78
	ds_read2_b64 v[111:114], v106 offset0:79 offset1:80
	s_waitcnt vmcnt(18) lgkmcnt(1)
	v_fma_f64 v[107:108], v[135:136], v[107:108], v[127:128]
	s_waitcnt vmcnt(17)
	v_fma_f64 v[107:108], v[133:134], v[109:110], v[107:108]
	buffer_load_dword v128, off, s[0:3], 0 offset:292
	buffer_load_dword v129, off, s[0:3], 0 offset:312
	;; [unrolled: 1-line block ×7, first 2 shown]
	s_waitcnt vmcnt(23) lgkmcnt(0)
	v_fma_f64 v[107:108], v[131:132], v[111:112], v[107:108]
	s_waitcnt vmcnt(18)
	v_fma_f64 v[115:116], v[115:116], v[113:114], v[107:108]
	ds_read2_b64 v[107:110], v106 offset0:81 offset1:82
	ds_read2_b64 v[111:114], v106 offset0:83 offset1:84
	buffer_load_dword v130, off, s[0:3], 0 offset:316
	s_waitcnt vmcnt(18) lgkmcnt(1)
	v_fma_f64 v[107:108], v[139:140], v[107:108], v[115:116]
	s_waitcnt vmcnt(17)
	v_fma_f64 v[107:108], v[137:138], v[109:110], v[107:108]
	buffer_load_dword v116, off, s[0:3], 0 offset:324
	buffer_load_dword v131, off, s[0:3], 0 offset:344
	;; [unrolled: 1-line block ×8, first 2 shown]
	s_waitcnt vmcnt(24) lgkmcnt(0)
	v_fma_f64 v[107:108], v[117:118], v[111:112], v[107:108]
	s_waitcnt vmcnt(19)
	v_fma_f64 v[117:118], v[119:120], v[113:114], v[107:108]
	ds_read2_b64 v[107:110], v106 offset0:85 offset1:86
	ds_read2_b64 v[111:114], v106 offset0:87 offset1:88
	s_waitcnt vmcnt(18) lgkmcnt(1)
	v_fma_f64 v[107:108], v[125:126], v[107:108], v[117:118]
	s_waitcnt vmcnt(17)
	v_fma_f64 v[107:108], v[123:124], v[109:110], v[107:108]
	buffer_load_dword v118, off, s[0:3], 0 offset:356
	buffer_load_dword v119, off, s[0:3], 0 offset:376
	;; [unrolled: 1-line block ×7, first 2 shown]
	s_waitcnt vmcnt(23) lgkmcnt(0)
	v_fma_f64 v[107:108], v[121:122], v[111:112], v[107:108]
	s_waitcnt vmcnt(18)
	v_fma_f64 v[120:121], v[127:128], v[113:114], v[107:108]
	ds_read2_b64 v[107:110], v106 offset0:89 offset1:90
	ds_read2_b64 v[111:114], v106 offset0:91 offset1:92
	s_waitcnt vmcnt(17) lgkmcnt(1)
	v_fma_f64 v[107:108], v[135:136], v[107:108], v[120:121]
	buffer_load_dword v120, off, s[0:3], 0 offset:380
	s_waitcnt vmcnt(17)
	v_fma_f64 v[107:108], v[133:134], v[109:110], v[107:108]
	buffer_load_dword v122, off, s[0:3], 0 offset:388
	buffer_load_dword v127, off, s[0:3], 0 offset:408
	;; [unrolled: 1-line block ×8, first 2 shown]
	s_waitcnt vmcnt(24) lgkmcnt(0)
	v_fma_f64 v[107:108], v[129:130], v[111:112], v[107:108]
	s_waitcnt vmcnt(19)
	v_fma_f64 v[115:116], v[115:116], v[113:114], v[107:108]
	ds_read2_b64 v[107:110], v106 offset0:93 offset1:94
	ds_read2_b64 v[111:114], v106 offset0:95 offset1:96
	s_waitcnt vmcnt(18) lgkmcnt(1)
	v_fma_f64 v[107:108], v[139:140], v[107:108], v[115:116]
	buffer_load_dword v115, off, s[0:3], 0 offset:128
	buffer_load_dword v116, off, s[0:3], 0 offset:132
	s_waitcnt vmcnt(19)
	v_fma_f64 v[107:108], v[137:138], v[109:110], v[107:108]
	s_waitcnt vmcnt(18) lgkmcnt(0)
	v_fma_f64 v[107:108], v[131:132], v[111:112], v[107:108]
	s_waitcnt vmcnt(13)
	v_fma_f64 v[117:118], v[117:118], v[113:114], v[107:108]
	ds_read2_b64 v[107:110], v106 offset0:97 offset1:98
	ds_read2_b64 v[111:114], v106 offset0:99 offset1:100
	s_waitcnt vmcnt(12) lgkmcnt(1)
	v_fma_f64 v[107:108], v[125:126], v[107:108], v[117:118]
	s_waitcnt vmcnt(11)
	v_fma_f64 v[107:108], v[123:124], v[109:110], v[107:108]
	s_waitcnt vmcnt(10) lgkmcnt(0)
	v_fma_f64 v[107:108], v[119:120], v[111:112], v[107:108]
	s_waitcnt vmcnt(5)
	v_fma_f64 v[111:112], v[121:122], v[113:114], v[107:108]
	ds_read2_b64 v[107:110], v106 offset0:101 offset1:102
	ds_read_b64 v[113:114], v106 offset:824
	s_waitcnt vmcnt(4) lgkmcnt(1)
	v_fma_f64 v[107:108], v[135:136], v[107:108], v[111:112]
	s_waitcnt vmcnt(3)
	v_fma_f64 v[107:108], v[133:134], v[109:110], v[107:108]
	s_waitcnt vmcnt(2) lgkmcnt(0)
	v_fma_f64 v[107:108], v[127:128], v[113:114], v[107:108]
	s_waitcnt vmcnt(0)
	v_add_f64 v[107:108], v[115:116], -v[107:108]
	buffer_store_dword v108, off, s[0:3], 0 offset:132
	buffer_store_dword v107, off, s[0:3], 0 offset:128
	s_and_saveexec_b64 s[4:5], vcc
	s_cbranch_execz .LBB115_289
; %bb.288:
	buffer_load_dword v107, off, s[0:3], 0 offset:120
	buffer_load_dword v108, off, s[0:3], 0 offset:124
	s_waitcnt vmcnt(0)
	ds_write_b64 v105, v[107:108]
	buffer_store_dword v106, off, s[0:3], 0 offset:120
	buffer_store_dword v106, off, s[0:3], 0 offset:124
.LBB115_289:
	s_or_b64 exec, exec, s[4:5]
	s_waitcnt lgkmcnt(0)
	; wave barrier
	buffer_load_dword v115, off, s[0:3], 0 offset:128
	buffer_load_dword v116, off, s[0:3], 0 offset:132
	;; [unrolled: 1-line block ×21, first 2 shown]
	ds_read_b128 v[107:110], v106 offset:544
	ds_read_b128 v[111:114], v106 offset:560
	buffer_load_dword v132, off, s[0:3], 0 offset:212
	v_cmp_lt_u32_e32 vcc, 14, v0
	s_waitcnt vmcnt(20) lgkmcnt(1)
	v_fma_f64 v[107:108], v[115:116], v[107:108], 0
	s_waitcnt vmcnt(18)
	v_fma_f64 v[107:108], v[117:118], v[109:110], v[107:108]
	buffer_load_dword v116, off, s[0:3], 0 offset:220
	buffer_load_dword v117, off, s[0:3], 0 offset:240
	buffer_load_dword v137, off, s[0:3], 0 offset:232
	buffer_load_dword v139, off, s[0:3], 0 offset:224
	buffer_load_dword v115, off, s[0:3], 0 offset:216
	buffer_load_dword v140, off, s[0:3], 0 offset:228
	buffer_load_dword v138, off, s[0:3], 0 offset:236
	s_waitcnt vmcnt(23) lgkmcnt(0)
	v_fma_f64 v[107:108], v[119:120], v[111:112], v[107:108]
	s_waitcnt vmcnt(21)
	v_fma_f64 v[118:119], v[121:122], v[113:114], v[107:108]
	ds_read_b128 v[107:110], v106 offset:576
	ds_read_b128 v[111:114], v106 offset:592
	s_waitcnt vmcnt(19) lgkmcnt(1)
	v_fma_f64 v[107:108], v[123:124], v[107:108], v[118:119]
	buffer_load_dword v118, off, s[0:3], 0 offset:244
	s_waitcnt vmcnt(18)
	v_fma_f64 v[107:108], v[125:126], v[109:110], v[107:108]
	buffer_load_dword v120, off, s[0:3], 0 offset:252
	buffer_load_dword v121, off, s[0:3], 0 offset:272
	;; [unrolled: 1-line block ×8, first 2 shown]
	s_waitcnt vmcnt(24) lgkmcnt(0)
	v_fma_f64 v[107:108], v[127:128], v[111:112], v[107:108]
	s_waitcnt vmcnt(19)
	v_fma_f64 v[127:128], v[129:130], v[113:114], v[107:108]
	ds_read_b128 v[107:110], v106 offset:608
	ds_read_b128 v[111:114], v106 offset:624
	s_waitcnt vmcnt(18) lgkmcnt(1)
	v_fma_f64 v[107:108], v[135:136], v[107:108], v[127:128]
	s_waitcnt vmcnt(17)
	v_fma_f64 v[107:108], v[133:134], v[109:110], v[107:108]
	buffer_load_dword v128, off, s[0:3], 0 offset:284
	buffer_load_dword v129, off, s[0:3], 0 offset:304
	;; [unrolled: 1-line block ×7, first 2 shown]
	s_waitcnt vmcnt(23) lgkmcnt(0)
	v_fma_f64 v[107:108], v[131:132], v[111:112], v[107:108]
	s_waitcnt vmcnt(18)
	v_fma_f64 v[115:116], v[115:116], v[113:114], v[107:108]
	ds_read_b128 v[107:110], v106 offset:640
	ds_read_b128 v[111:114], v106 offset:656
	buffer_load_dword v130, off, s[0:3], 0 offset:308
	s_waitcnt vmcnt(18) lgkmcnt(1)
	v_fma_f64 v[107:108], v[139:140], v[107:108], v[115:116]
	s_waitcnt vmcnt(17)
	v_fma_f64 v[107:108], v[137:138], v[109:110], v[107:108]
	buffer_load_dword v116, off, s[0:3], 0 offset:316
	buffer_load_dword v131, off, s[0:3], 0 offset:336
	;; [unrolled: 1-line block ×8, first 2 shown]
	s_waitcnt vmcnt(24) lgkmcnt(0)
	v_fma_f64 v[107:108], v[117:118], v[111:112], v[107:108]
	s_waitcnt vmcnt(19)
	v_fma_f64 v[117:118], v[119:120], v[113:114], v[107:108]
	ds_read_b128 v[107:110], v106 offset:672
	ds_read_b128 v[111:114], v106 offset:688
	s_waitcnt vmcnt(18) lgkmcnt(1)
	v_fma_f64 v[107:108], v[125:126], v[107:108], v[117:118]
	s_waitcnt vmcnt(17)
	v_fma_f64 v[107:108], v[123:124], v[109:110], v[107:108]
	buffer_load_dword v118, off, s[0:3], 0 offset:348
	buffer_load_dword v119, off, s[0:3], 0 offset:368
	;; [unrolled: 1-line block ×7, first 2 shown]
	s_waitcnt vmcnt(23) lgkmcnt(0)
	v_fma_f64 v[107:108], v[121:122], v[111:112], v[107:108]
	s_waitcnt vmcnt(18)
	v_fma_f64 v[120:121], v[127:128], v[113:114], v[107:108]
	ds_read_b128 v[107:110], v106 offset:704
	ds_read_b128 v[111:114], v106 offset:720
	s_waitcnt vmcnt(17) lgkmcnt(1)
	v_fma_f64 v[107:108], v[135:136], v[107:108], v[120:121]
	buffer_load_dword v120, off, s[0:3], 0 offset:372
	s_waitcnt vmcnt(17)
	v_fma_f64 v[107:108], v[133:134], v[109:110], v[107:108]
	buffer_load_dword v122, off, s[0:3], 0 offset:380
	buffer_load_dword v127, off, s[0:3], 0 offset:400
	;; [unrolled: 1-line block ×8, first 2 shown]
	s_waitcnt vmcnt(24) lgkmcnt(0)
	v_fma_f64 v[107:108], v[129:130], v[111:112], v[107:108]
	s_waitcnt vmcnt(19)
	v_fma_f64 v[115:116], v[115:116], v[113:114], v[107:108]
	ds_read_b128 v[107:110], v106 offset:736
	ds_read_b128 v[111:114], v106 offset:752
	s_waitcnt vmcnt(18) lgkmcnt(1)
	v_fma_f64 v[107:108], v[139:140], v[107:108], v[115:116]
	buffer_load_dword v116, off, s[0:3], 0 offset:412
	buffer_load_dword v115, off, s[0:3], 0 offset:408
	;; [unrolled: 1-line block ×4, first 2 shown]
	s_waitcnt vmcnt(21)
	v_fma_f64 v[107:108], v[137:138], v[109:110], v[107:108]
	s_waitcnt vmcnt(20) lgkmcnt(0)
	v_fma_f64 v[107:108], v[131:132], v[111:112], v[107:108]
	s_waitcnt vmcnt(15)
	v_fma_f64 v[117:118], v[117:118], v[113:114], v[107:108]
	ds_read_b128 v[107:110], v106 offset:768
	ds_read_b128 v[111:114], v106 offset:784
	s_waitcnt vmcnt(14) lgkmcnt(1)
	v_fma_f64 v[107:108], v[125:126], v[107:108], v[117:118]
	s_waitcnt vmcnt(13)
	v_fma_f64 v[107:108], v[123:124], v[109:110], v[107:108]
	s_waitcnt vmcnt(12) lgkmcnt(0)
	v_fma_f64 v[107:108], v[119:120], v[111:112], v[107:108]
	s_waitcnt vmcnt(7)
	v_fma_f64 v[117:118], v[121:122], v[113:114], v[107:108]
	ds_read_b128 v[107:110], v106 offset:800
	ds_read_b128 v[111:114], v106 offset:816
	s_waitcnt vmcnt(6) lgkmcnt(1)
	v_fma_f64 v[106:107], v[135:136], v[107:108], v[117:118]
	s_waitcnt vmcnt(5)
	v_fma_f64 v[106:107], v[133:134], v[109:110], v[106:107]
	s_waitcnt vmcnt(4) lgkmcnt(0)
	v_fma_f64 v[106:107], v[127:128], v[111:112], v[106:107]
	s_waitcnt vmcnt(2)
	v_fma_f64 v[106:107], v[115:116], v[113:114], v[106:107]
	s_waitcnt vmcnt(0)
	v_add_f64 v[106:107], v[129:130], -v[106:107]
	buffer_store_dword v107, off, s[0:3], 0 offset:124
	buffer_store_dword v106, off, s[0:3], 0 offset:120
	s_and_saveexec_b64 s[4:5], vcc
	s_cbranch_execz .LBB115_291
; %bb.290:
	buffer_load_dword v106, off, s[0:3], 0 offset:112
	buffer_load_dword v107, off, s[0:3], 0 offset:116
	v_mov_b32_e32 v108, 0
	buffer_store_dword v108, off, s[0:3], 0 offset:112
	buffer_store_dword v108, off, s[0:3], 0 offset:116
	s_waitcnt vmcnt(2)
	ds_write_b64 v105, v[106:107]
.LBB115_291:
	s_or_b64 exec, exec, s[4:5]
	s_waitcnt lgkmcnt(0)
	; wave barrier
	buffer_load_dword v115, off, s[0:3], 0 offset:120
	buffer_load_dword v116, off, s[0:3], 0 offset:124
	;; [unrolled: 1-line block ×21, first 2 shown]
	v_mov_b32_e32 v106, 0
	ds_read2_b64 v[107:110], v106 offset0:67 offset1:68
	ds_read2_b64 v[111:114], v106 offset0:69 offset1:70
	buffer_load_dword v132, off, s[0:3], 0 offset:204
	v_cmp_lt_u32_e32 vcc, 13, v0
	s_waitcnt vmcnt(20) lgkmcnt(1)
	v_fma_f64 v[107:108], v[115:116], v[107:108], 0
	s_waitcnt vmcnt(18)
	v_fma_f64 v[107:108], v[117:118], v[109:110], v[107:108]
	buffer_load_dword v116, off, s[0:3], 0 offset:212
	buffer_load_dword v117, off, s[0:3], 0 offset:232
	;; [unrolled: 1-line block ×7, first 2 shown]
	s_waitcnt vmcnt(23) lgkmcnt(0)
	v_fma_f64 v[107:108], v[119:120], v[111:112], v[107:108]
	s_waitcnt vmcnt(21)
	v_fma_f64 v[118:119], v[121:122], v[113:114], v[107:108]
	ds_read2_b64 v[107:110], v106 offset0:71 offset1:72
	ds_read2_b64 v[111:114], v106 offset0:73 offset1:74
	s_waitcnt vmcnt(19) lgkmcnt(1)
	v_fma_f64 v[107:108], v[123:124], v[107:108], v[118:119]
	buffer_load_dword v118, off, s[0:3], 0 offset:236
	s_waitcnt vmcnt(18)
	v_fma_f64 v[107:108], v[125:126], v[109:110], v[107:108]
	buffer_load_dword v120, off, s[0:3], 0 offset:244
	buffer_load_dword v121, off, s[0:3], 0 offset:264
	;; [unrolled: 1-line block ×8, first 2 shown]
	s_waitcnt vmcnt(24) lgkmcnt(0)
	v_fma_f64 v[107:108], v[127:128], v[111:112], v[107:108]
	s_waitcnt vmcnt(19)
	v_fma_f64 v[127:128], v[129:130], v[113:114], v[107:108]
	ds_read2_b64 v[107:110], v106 offset0:75 offset1:76
	ds_read2_b64 v[111:114], v106 offset0:77 offset1:78
	s_waitcnt vmcnt(18) lgkmcnt(1)
	v_fma_f64 v[107:108], v[135:136], v[107:108], v[127:128]
	s_waitcnt vmcnt(17)
	v_fma_f64 v[107:108], v[133:134], v[109:110], v[107:108]
	buffer_load_dword v128, off, s[0:3], 0 offset:276
	buffer_load_dword v129, off, s[0:3], 0 offset:296
	buffer_load_dword v133, off, s[0:3], 0 offset:288
	buffer_load_dword v135, off, s[0:3], 0 offset:280
	buffer_load_dword v127, off, s[0:3], 0 offset:272
	buffer_load_dword v136, off, s[0:3], 0 offset:284
	buffer_load_dword v134, off, s[0:3], 0 offset:292
	s_waitcnt vmcnt(23) lgkmcnt(0)
	v_fma_f64 v[107:108], v[131:132], v[111:112], v[107:108]
	s_waitcnt vmcnt(18)
	v_fma_f64 v[115:116], v[115:116], v[113:114], v[107:108]
	ds_read2_b64 v[107:110], v106 offset0:79 offset1:80
	ds_read2_b64 v[111:114], v106 offset0:81 offset1:82
	buffer_load_dword v130, off, s[0:3], 0 offset:300
	s_waitcnt vmcnt(18) lgkmcnt(1)
	v_fma_f64 v[107:108], v[139:140], v[107:108], v[115:116]
	s_waitcnt vmcnt(17)
	v_fma_f64 v[107:108], v[137:138], v[109:110], v[107:108]
	buffer_load_dword v116, off, s[0:3], 0 offset:308
	buffer_load_dword v131, off, s[0:3], 0 offset:328
	;; [unrolled: 1-line block ×7, first 2 shown]
	s_waitcnt vmcnt(23) lgkmcnt(0)
	v_fma_f64 v[107:108], v[117:118], v[111:112], v[107:108]
	s_waitcnt vmcnt(18)
	v_fma_f64 v[117:118], v[119:120], v[113:114], v[107:108]
	ds_read2_b64 v[107:110], v106 offset0:83 offset1:84
	ds_read2_b64 v[111:114], v106 offset0:85 offset1:86
	buffer_load_dword v132, off, s[0:3], 0 offset:332
	s_waitcnt vmcnt(18) lgkmcnt(1)
	v_fma_f64 v[107:108], v[125:126], v[107:108], v[117:118]
	s_waitcnt vmcnt(17)
	v_fma_f64 v[107:108], v[123:124], v[109:110], v[107:108]
	buffer_load_dword v118, off, s[0:3], 0 offset:340
	buffer_load_dword v119, off, s[0:3], 0 offset:360
	;; [unrolled: 1-line block ×7, first 2 shown]
	s_waitcnt vmcnt(23) lgkmcnt(0)
	v_fma_f64 v[107:108], v[121:122], v[111:112], v[107:108]
	s_waitcnt vmcnt(18)
	v_fma_f64 v[120:121], v[127:128], v[113:114], v[107:108]
	ds_read2_b64 v[107:110], v106 offset0:87 offset1:88
	ds_read2_b64 v[111:114], v106 offset0:89 offset1:90
	s_waitcnt vmcnt(17) lgkmcnt(1)
	v_fma_f64 v[107:108], v[135:136], v[107:108], v[120:121]
	buffer_load_dword v120, off, s[0:3], 0 offset:364
	s_waitcnt vmcnt(17)
	v_fma_f64 v[107:108], v[133:134], v[109:110], v[107:108]
	buffer_load_dword v122, off, s[0:3], 0 offset:372
	buffer_load_dword v127, off, s[0:3], 0 offset:392
	buffer_load_dword v133, off, s[0:3], 0 offset:384
	buffer_load_dword v135, off, s[0:3], 0 offset:376
	buffer_load_dword v121, off, s[0:3], 0 offset:368
	buffer_load_dword v136, off, s[0:3], 0 offset:380
	buffer_load_dword v134, off, s[0:3], 0 offset:388
	s_waitcnt vmcnt(23) lgkmcnt(0)
	v_fma_f64 v[107:108], v[129:130], v[111:112], v[107:108]
	s_waitcnt vmcnt(18)
	v_fma_f64 v[115:116], v[115:116], v[113:114], v[107:108]
	ds_read2_b64 v[107:110], v106 offset0:91 offset1:92
	ds_read2_b64 v[111:114], v106 offset0:93 offset1:94
	buffer_load_dword v128, off, s[0:3], 0 offset:396
	s_waitcnt vmcnt(18) lgkmcnt(1)
	v_fma_f64 v[107:108], v[139:140], v[107:108], v[115:116]
	buffer_load_dword v116, off, s[0:3], 0 offset:404
	buffer_load_dword v129, off, s[0:3], 0 offset:408
	;; [unrolled: 1-line block ×4, first 2 shown]
	s_waitcnt vmcnt(21)
	v_fma_f64 v[107:108], v[137:138], v[109:110], v[107:108]
	s_waitcnt vmcnt(20) lgkmcnt(0)
	v_fma_f64 v[107:108], v[131:132], v[111:112], v[107:108]
	buffer_load_dword v131, off, s[0:3], 0 offset:112
	buffer_load_dword v132, off, s[0:3], 0 offset:116
	s_waitcnt vmcnt(17)
	v_fma_f64 v[117:118], v[117:118], v[113:114], v[107:108]
	ds_read2_b64 v[107:110], v106 offset0:95 offset1:96
	ds_read2_b64 v[111:114], v106 offset0:97 offset1:98
	s_waitcnt vmcnt(16) lgkmcnt(1)
	v_fma_f64 v[107:108], v[125:126], v[107:108], v[117:118]
	s_waitcnt vmcnt(15)
	v_fma_f64 v[107:108], v[123:124], v[109:110], v[107:108]
	s_waitcnt vmcnt(14) lgkmcnt(0)
	v_fma_f64 v[107:108], v[119:120], v[111:112], v[107:108]
	s_waitcnt vmcnt(9)
	v_fma_f64 v[117:118], v[121:122], v[113:114], v[107:108]
	ds_read2_b64 v[107:110], v106 offset0:99 offset1:100
	ds_read2_b64 v[111:114], v106 offset0:101 offset1:102
	s_waitcnt vmcnt(8) lgkmcnt(1)
	v_fma_f64 v[107:108], v[135:136], v[107:108], v[117:118]
	s_waitcnt vmcnt(7)
	v_fma_f64 v[107:108], v[133:134], v[109:110], v[107:108]
	ds_read_b64 v[109:110], v106 offset:824
	s_waitcnt vmcnt(6) lgkmcnt(1)
	v_fma_f64 v[107:108], v[127:128], v[111:112], v[107:108]
	s_waitcnt vmcnt(3)
	v_fma_f64 v[107:108], v[115:116], v[113:114], v[107:108]
	s_waitcnt vmcnt(2) lgkmcnt(0)
	v_fma_f64 v[107:108], v[129:130], v[109:110], v[107:108]
	s_waitcnt vmcnt(0)
	v_add_f64 v[107:108], v[131:132], -v[107:108]
	buffer_store_dword v108, off, s[0:3], 0 offset:116
	buffer_store_dword v107, off, s[0:3], 0 offset:112
	s_and_saveexec_b64 s[4:5], vcc
	s_cbranch_execz .LBB115_293
; %bb.292:
	buffer_load_dword v107, off, s[0:3], 0 offset:104
	buffer_load_dword v108, off, s[0:3], 0 offset:108
	s_waitcnt vmcnt(0)
	ds_write_b64 v105, v[107:108]
	buffer_store_dword v106, off, s[0:3], 0 offset:104
	buffer_store_dword v106, off, s[0:3], 0 offset:108
.LBB115_293:
	s_or_b64 exec, exec, s[4:5]
	s_waitcnt lgkmcnt(0)
	; wave barrier
	buffer_load_dword v115, off, s[0:3], 0 offset:112
	buffer_load_dword v116, off, s[0:3], 0 offset:116
	;; [unrolled: 1-line block ×22, first 2 shown]
	ds_read_b128 v[107:110], v106 offset:528
	ds_read_b128 v[111:114], v106 offset:544
	v_cmp_lt_u32_e32 vcc, 12, v0
	s_waitcnt vmcnt(20) lgkmcnt(1)
	v_fma_f64 v[107:108], v[115:116], v[107:108], 0
	s_waitcnt vmcnt(18)
	v_fma_f64 v[107:108], v[117:118], v[109:110], v[107:108]
	buffer_load_dword v116, off, s[0:3], 0 offset:204
	buffer_load_dword v117, off, s[0:3], 0 offset:224
	;; [unrolled: 1-line block ×7, first 2 shown]
	s_waitcnt vmcnt(23) lgkmcnt(0)
	v_fma_f64 v[107:108], v[119:120], v[111:112], v[107:108]
	s_waitcnt vmcnt(21)
	v_fma_f64 v[118:119], v[121:122], v[113:114], v[107:108]
	ds_read_b128 v[107:110], v106 offset:560
	ds_read_b128 v[111:114], v106 offset:576
	s_waitcnt vmcnt(19) lgkmcnt(1)
	v_fma_f64 v[107:108], v[123:124], v[107:108], v[118:119]
	buffer_load_dword v118, off, s[0:3], 0 offset:228
	s_waitcnt vmcnt(18)
	v_fma_f64 v[107:108], v[125:126], v[109:110], v[107:108]
	buffer_load_dword v120, off, s[0:3], 0 offset:236
	buffer_load_dword v121, off, s[0:3], 0 offset:256
	;; [unrolled: 1-line block ×8, first 2 shown]
	s_waitcnt vmcnt(24) lgkmcnt(0)
	v_fma_f64 v[107:108], v[127:128], v[111:112], v[107:108]
	s_waitcnt vmcnt(19)
	v_fma_f64 v[127:128], v[129:130], v[113:114], v[107:108]
	ds_read_b128 v[107:110], v106 offset:592
	ds_read_b128 v[111:114], v106 offset:608
	s_waitcnt vmcnt(18) lgkmcnt(1)
	v_fma_f64 v[107:108], v[135:136], v[107:108], v[127:128]
	s_waitcnt vmcnt(17)
	v_fma_f64 v[107:108], v[133:134], v[109:110], v[107:108]
	buffer_load_dword v128, off, s[0:3], 0 offset:268
	buffer_load_dword v129, off, s[0:3], 0 offset:288
	;; [unrolled: 1-line block ×8, first 2 shown]
	s_waitcnt vmcnt(24) lgkmcnt(0)
	v_fma_f64 v[107:108], v[131:132], v[111:112], v[107:108]
	s_waitcnt vmcnt(19)
	v_fma_f64 v[115:116], v[115:116], v[113:114], v[107:108]
	ds_read_b128 v[107:110], v106 offset:624
	ds_read_b128 v[111:114], v106 offset:640
	s_waitcnt vmcnt(18) lgkmcnt(1)
	v_fma_f64 v[107:108], v[139:140], v[107:108], v[115:116]
	s_waitcnt vmcnt(17)
	v_fma_f64 v[107:108], v[137:138], v[109:110], v[107:108]
	buffer_load_dword v116, off, s[0:3], 0 offset:300
	buffer_load_dword v131, off, s[0:3], 0 offset:320
	;; [unrolled: 1-line block ×7, first 2 shown]
	s_waitcnt vmcnt(23) lgkmcnt(0)
	v_fma_f64 v[107:108], v[117:118], v[111:112], v[107:108]
	s_waitcnt vmcnt(18)
	v_fma_f64 v[117:118], v[119:120], v[113:114], v[107:108]
	ds_read_b128 v[107:110], v106 offset:656
	ds_read_b128 v[111:114], v106 offset:672
	buffer_load_dword v132, off, s[0:3], 0 offset:324
	s_waitcnt vmcnt(18) lgkmcnt(1)
	v_fma_f64 v[107:108], v[125:126], v[107:108], v[117:118]
	s_waitcnt vmcnt(17)
	v_fma_f64 v[107:108], v[123:124], v[109:110], v[107:108]
	buffer_load_dword v118, off, s[0:3], 0 offset:332
	buffer_load_dword v119, off, s[0:3], 0 offset:352
	buffer_load_dword v123, off, s[0:3], 0 offset:344
	buffer_load_dword v125, off, s[0:3], 0 offset:336
	buffer_load_dword v117, off, s[0:3], 0 offset:328
	buffer_load_dword v126, off, s[0:3], 0 offset:340
	buffer_load_dword v124, off, s[0:3], 0 offset:348
	s_waitcnt vmcnt(23) lgkmcnt(0)
	v_fma_f64 v[107:108], v[121:122], v[111:112], v[107:108]
	s_waitcnt vmcnt(18)
	v_fma_f64 v[120:121], v[127:128], v[113:114], v[107:108]
	ds_read_b128 v[107:110], v106 offset:688
	ds_read_b128 v[111:114], v106 offset:704
	s_waitcnt vmcnt(17) lgkmcnt(1)
	v_fma_f64 v[107:108], v[135:136], v[107:108], v[120:121]
	buffer_load_dword v120, off, s[0:3], 0 offset:356
	s_waitcnt vmcnt(17)
	v_fma_f64 v[107:108], v[133:134], v[109:110], v[107:108]
	buffer_load_dword v122, off, s[0:3], 0 offset:364
	buffer_load_dword v127, off, s[0:3], 0 offset:384
	;; [unrolled: 1-line block ×8, first 2 shown]
	s_waitcnt vmcnt(24) lgkmcnt(0)
	v_fma_f64 v[107:108], v[129:130], v[111:112], v[107:108]
	s_waitcnt vmcnt(19)
	v_fma_f64 v[115:116], v[115:116], v[113:114], v[107:108]
	ds_read_b128 v[107:110], v106 offset:720
	ds_read_b128 v[111:114], v106 offset:736
	s_waitcnt vmcnt(18) lgkmcnt(1)
	v_fma_f64 v[107:108], v[139:140], v[107:108], v[115:116]
	s_waitcnt vmcnt(17)
	v_fma_f64 v[107:108], v[137:138], v[109:110], v[107:108]
	buffer_load_dword v116, off, s[0:3], 0 offset:396
	buffer_load_dword v129, off, s[0:3], 0 offset:408
	;; [unrolled: 1-line block ×6, first 2 shown]
	s_waitcnt vmcnt(22) lgkmcnt(0)
	v_fma_f64 v[107:108], v[131:132], v[111:112], v[107:108]
	s_waitcnt vmcnt(17)
	v_fma_f64 v[117:118], v[117:118], v[113:114], v[107:108]
	ds_read_b128 v[107:110], v106 offset:752
	buffer_load_dword v131, off, s[0:3], 0 offset:104
	buffer_load_dword v132, off, s[0:3], 0 offset:108
	ds_read_b128 v[111:114], v106 offset:768
	s_waitcnt vmcnt(18) lgkmcnt(1)
	v_fma_f64 v[107:108], v[125:126], v[107:108], v[117:118]
	s_waitcnt vmcnt(17)
	v_fma_f64 v[107:108], v[123:124], v[109:110], v[107:108]
	s_waitcnt vmcnt(16) lgkmcnt(0)
	v_fma_f64 v[107:108], v[119:120], v[111:112], v[107:108]
	s_waitcnt vmcnt(11)
	v_fma_f64 v[117:118], v[121:122], v[113:114], v[107:108]
	ds_read_b128 v[107:110], v106 offset:784
	ds_read_b128 v[111:114], v106 offset:800
	s_waitcnt vmcnt(10) lgkmcnt(1)
	v_fma_f64 v[107:108], v[135:136], v[107:108], v[117:118]
	s_waitcnt vmcnt(9)
	v_fma_f64 v[107:108], v[133:134], v[109:110], v[107:108]
	s_waitcnt vmcnt(8) lgkmcnt(0)
	v_fma_f64 v[107:108], v[127:128], v[111:112], v[107:108]
	s_waitcnt vmcnt(4)
	v_fma_f64 v[110:111], v[115:116], v[113:114], v[107:108]
	ds_read_b128 v[106:109], v106 offset:816
	s_waitcnt vmcnt(3) lgkmcnt(0)
	v_fma_f64 v[106:107], v[137:138], v[106:107], v[110:111]
	s_waitcnt vmcnt(2)
	v_fma_f64 v[106:107], v[129:130], v[108:109], v[106:107]
	s_waitcnt vmcnt(0)
	v_add_f64 v[106:107], v[131:132], -v[106:107]
	buffer_store_dword v107, off, s[0:3], 0 offset:108
	buffer_store_dword v106, off, s[0:3], 0 offset:104
	s_and_saveexec_b64 s[4:5], vcc
	s_cbranch_execz .LBB115_295
; %bb.294:
	buffer_load_dword v106, off, s[0:3], 0 offset:96
	buffer_load_dword v107, off, s[0:3], 0 offset:100
	v_mov_b32_e32 v108, 0
	buffer_store_dword v108, off, s[0:3], 0 offset:96
	buffer_store_dword v108, off, s[0:3], 0 offset:100
	s_waitcnt vmcnt(2)
	ds_write_b64 v105, v[106:107]
.LBB115_295:
	s_or_b64 exec, exec, s[4:5]
	s_waitcnt lgkmcnt(0)
	; wave barrier
	buffer_load_dword v115, off, s[0:3], 0 offset:104
	buffer_load_dword v116, off, s[0:3], 0 offset:108
	;; [unrolled: 1-line block ×22, first 2 shown]
	v_mov_b32_e32 v106, 0
	ds_read2_b64 v[107:110], v106 offset0:65 offset1:66
	ds_read2_b64 v[111:114], v106 offset0:67 offset1:68
	v_cmp_lt_u32_e32 vcc, 11, v0
	s_waitcnt vmcnt(20) lgkmcnt(1)
	v_fma_f64 v[107:108], v[115:116], v[107:108], 0
	s_waitcnt vmcnt(18)
	v_fma_f64 v[107:108], v[117:118], v[109:110], v[107:108]
	buffer_load_dword v116, off, s[0:3], 0 offset:196
	buffer_load_dword v117, off, s[0:3], 0 offset:216
	;; [unrolled: 1-line block ×7, first 2 shown]
	s_waitcnt vmcnt(23) lgkmcnt(0)
	v_fma_f64 v[107:108], v[119:120], v[111:112], v[107:108]
	s_waitcnt vmcnt(21)
	v_fma_f64 v[118:119], v[121:122], v[113:114], v[107:108]
	ds_read2_b64 v[107:110], v106 offset0:69 offset1:70
	ds_read2_b64 v[111:114], v106 offset0:71 offset1:72
	s_waitcnt vmcnt(19) lgkmcnt(1)
	v_fma_f64 v[107:108], v[123:124], v[107:108], v[118:119]
	buffer_load_dword v118, off, s[0:3], 0 offset:220
	s_waitcnt vmcnt(18)
	v_fma_f64 v[107:108], v[125:126], v[109:110], v[107:108]
	buffer_load_dword v120, off, s[0:3], 0 offset:228
	buffer_load_dword v121, off, s[0:3], 0 offset:248
	;; [unrolled: 1-line block ×8, first 2 shown]
	s_waitcnt vmcnt(24) lgkmcnt(0)
	v_fma_f64 v[107:108], v[127:128], v[111:112], v[107:108]
	s_waitcnt vmcnt(19)
	v_fma_f64 v[127:128], v[129:130], v[113:114], v[107:108]
	ds_read2_b64 v[107:110], v106 offset0:73 offset1:74
	ds_read2_b64 v[111:114], v106 offset0:75 offset1:76
	s_waitcnt vmcnt(18) lgkmcnt(1)
	v_fma_f64 v[107:108], v[135:136], v[107:108], v[127:128]
	s_waitcnt vmcnt(17)
	v_fma_f64 v[107:108], v[133:134], v[109:110], v[107:108]
	buffer_load_dword v128, off, s[0:3], 0 offset:260
	buffer_load_dword v129, off, s[0:3], 0 offset:280
	;; [unrolled: 1-line block ×8, first 2 shown]
	s_waitcnt vmcnt(24) lgkmcnt(0)
	v_fma_f64 v[107:108], v[131:132], v[111:112], v[107:108]
	s_waitcnt vmcnt(19)
	v_fma_f64 v[115:116], v[115:116], v[113:114], v[107:108]
	ds_read2_b64 v[107:110], v106 offset0:77 offset1:78
	ds_read2_b64 v[111:114], v106 offset0:79 offset1:80
	s_waitcnt vmcnt(18) lgkmcnt(1)
	v_fma_f64 v[107:108], v[139:140], v[107:108], v[115:116]
	s_waitcnt vmcnt(17)
	v_fma_f64 v[107:108], v[137:138], v[109:110], v[107:108]
	buffer_load_dword v116, off, s[0:3], 0 offset:292
	buffer_load_dword v131, off, s[0:3], 0 offset:312
	;; [unrolled: 1-line block ×7, first 2 shown]
	s_waitcnt vmcnt(23) lgkmcnt(0)
	v_fma_f64 v[107:108], v[117:118], v[111:112], v[107:108]
	s_waitcnt vmcnt(18)
	v_fma_f64 v[117:118], v[119:120], v[113:114], v[107:108]
	ds_read2_b64 v[107:110], v106 offset0:81 offset1:82
	ds_read2_b64 v[111:114], v106 offset0:83 offset1:84
	buffer_load_dword v132, off, s[0:3], 0 offset:316
	s_waitcnt vmcnt(18) lgkmcnt(1)
	v_fma_f64 v[107:108], v[125:126], v[107:108], v[117:118]
	s_waitcnt vmcnt(17)
	v_fma_f64 v[107:108], v[123:124], v[109:110], v[107:108]
	buffer_load_dword v118, off, s[0:3], 0 offset:324
	buffer_load_dword v119, off, s[0:3], 0 offset:344
	buffer_load_dword v123, off, s[0:3], 0 offset:336
	buffer_load_dword v125, off, s[0:3], 0 offset:328
	buffer_load_dword v117, off, s[0:3], 0 offset:320
	buffer_load_dword v126, off, s[0:3], 0 offset:332
	buffer_load_dword v124, off, s[0:3], 0 offset:340
	s_waitcnt vmcnt(23) lgkmcnt(0)
	v_fma_f64 v[107:108], v[121:122], v[111:112], v[107:108]
	s_waitcnt vmcnt(18)
	v_fma_f64 v[120:121], v[127:128], v[113:114], v[107:108]
	ds_read2_b64 v[107:110], v106 offset0:85 offset1:86
	ds_read2_b64 v[111:114], v106 offset0:87 offset1:88
	s_waitcnt vmcnt(17) lgkmcnt(1)
	v_fma_f64 v[107:108], v[135:136], v[107:108], v[120:121]
	buffer_load_dword v120, off, s[0:3], 0 offset:348
	s_waitcnt vmcnt(17)
	v_fma_f64 v[107:108], v[133:134], v[109:110], v[107:108]
	buffer_load_dword v122, off, s[0:3], 0 offset:356
	buffer_load_dword v127, off, s[0:3], 0 offset:376
	;; [unrolled: 1-line block ×8, first 2 shown]
	s_waitcnt vmcnt(24) lgkmcnt(0)
	v_fma_f64 v[107:108], v[129:130], v[111:112], v[107:108]
	s_waitcnt vmcnt(19)
	v_fma_f64 v[115:116], v[115:116], v[113:114], v[107:108]
	ds_read2_b64 v[107:110], v106 offset0:89 offset1:90
	ds_read2_b64 v[111:114], v106 offset0:91 offset1:92
	s_waitcnt vmcnt(18) lgkmcnt(1)
	v_fma_f64 v[107:108], v[139:140], v[107:108], v[115:116]
	s_waitcnt vmcnt(17)
	v_fma_f64 v[107:108], v[137:138], v[109:110], v[107:108]
	buffer_load_dword v116, off, s[0:3], 0 offset:388
	buffer_load_dword v129, off, s[0:3], 0 offset:408
	;; [unrolled: 1-line block ×8, first 2 shown]
	s_waitcnt vmcnt(24) lgkmcnt(0)
	v_fma_f64 v[107:108], v[131:132], v[111:112], v[107:108]
	s_waitcnt vmcnt(19)
	v_fma_f64 v[117:118], v[117:118], v[113:114], v[107:108]
	ds_read2_b64 v[107:110], v106 offset0:93 offset1:94
	ds_read2_b64 v[111:114], v106 offset0:95 offset1:96
	s_waitcnt vmcnt(18) lgkmcnt(1)
	v_fma_f64 v[107:108], v[125:126], v[107:108], v[117:118]
	buffer_load_dword v117, off, s[0:3], 0 offset:96
	buffer_load_dword v118, off, s[0:3], 0 offset:100
	s_waitcnt vmcnt(19)
	v_fma_f64 v[107:108], v[123:124], v[109:110], v[107:108]
	s_waitcnt vmcnt(18) lgkmcnt(0)
	v_fma_f64 v[107:108], v[119:120], v[111:112], v[107:108]
	s_waitcnt vmcnt(13)
	v_fma_f64 v[119:120], v[121:122], v[113:114], v[107:108]
	ds_read2_b64 v[107:110], v106 offset0:97 offset1:98
	ds_read2_b64 v[111:114], v106 offset0:99 offset1:100
	s_waitcnt vmcnt(12) lgkmcnt(1)
	v_fma_f64 v[107:108], v[135:136], v[107:108], v[119:120]
	s_waitcnt vmcnt(11)
	v_fma_f64 v[107:108], v[133:134], v[109:110], v[107:108]
	s_waitcnt vmcnt(10) lgkmcnt(0)
	v_fma_f64 v[107:108], v[127:128], v[111:112], v[107:108]
	s_waitcnt vmcnt(5)
	v_fma_f64 v[111:112], v[115:116], v[113:114], v[107:108]
	ds_read2_b64 v[107:110], v106 offset0:101 offset1:102
	ds_read_b64 v[113:114], v106 offset:824
	s_waitcnt vmcnt(4) lgkmcnt(1)
	v_fma_f64 v[107:108], v[139:140], v[107:108], v[111:112]
	s_waitcnt vmcnt(3)
	v_fma_f64 v[107:108], v[137:138], v[109:110], v[107:108]
	s_waitcnt vmcnt(2) lgkmcnt(0)
	v_fma_f64 v[107:108], v[129:130], v[113:114], v[107:108]
	s_waitcnt vmcnt(0)
	v_add_f64 v[107:108], v[117:118], -v[107:108]
	buffer_store_dword v108, off, s[0:3], 0 offset:100
	buffer_store_dword v107, off, s[0:3], 0 offset:96
	s_and_saveexec_b64 s[4:5], vcc
	s_cbranch_execz .LBB115_297
; %bb.296:
	buffer_load_dword v107, off, s[0:3], 0 offset:88
	buffer_load_dword v108, off, s[0:3], 0 offset:92
	s_waitcnt vmcnt(0)
	ds_write_b64 v105, v[107:108]
	buffer_store_dword v106, off, s[0:3], 0 offset:88
	buffer_store_dword v106, off, s[0:3], 0 offset:92
.LBB115_297:
	s_or_b64 exec, exec, s[4:5]
	s_waitcnt lgkmcnt(0)
	; wave barrier
	buffer_load_dword v115, off, s[0:3], 0 offset:96
	buffer_load_dword v116, off, s[0:3], 0 offset:100
	;; [unrolled: 1-line block ×22, first 2 shown]
	ds_read_b128 v[107:110], v106 offset:512
	ds_read_b128 v[111:114], v106 offset:528
	v_cmp_lt_u32_e32 vcc, 10, v0
	s_waitcnt vmcnt(20) lgkmcnt(1)
	v_fma_f64 v[107:108], v[115:116], v[107:108], 0
	s_waitcnt vmcnt(18)
	v_fma_f64 v[107:108], v[117:118], v[109:110], v[107:108]
	buffer_load_dword v116, off, s[0:3], 0 offset:188
	buffer_load_dword v117, off, s[0:3], 0 offset:208
	;; [unrolled: 1-line block ×7, first 2 shown]
	s_waitcnt vmcnt(23) lgkmcnt(0)
	v_fma_f64 v[107:108], v[119:120], v[111:112], v[107:108]
	s_waitcnt vmcnt(21)
	v_fma_f64 v[118:119], v[121:122], v[113:114], v[107:108]
	ds_read_b128 v[107:110], v106 offset:544
	ds_read_b128 v[111:114], v106 offset:560
	s_waitcnt vmcnt(19) lgkmcnt(1)
	v_fma_f64 v[107:108], v[123:124], v[107:108], v[118:119]
	buffer_load_dword v118, off, s[0:3], 0 offset:212
	s_waitcnt vmcnt(18)
	v_fma_f64 v[107:108], v[125:126], v[109:110], v[107:108]
	buffer_load_dword v120, off, s[0:3], 0 offset:220
	buffer_load_dword v121, off, s[0:3], 0 offset:240
	;; [unrolled: 1-line block ×8, first 2 shown]
	s_waitcnt vmcnt(24) lgkmcnt(0)
	v_fma_f64 v[107:108], v[127:128], v[111:112], v[107:108]
	s_waitcnt vmcnt(19)
	v_fma_f64 v[127:128], v[129:130], v[113:114], v[107:108]
	ds_read_b128 v[107:110], v106 offset:576
	ds_read_b128 v[111:114], v106 offset:592
	s_waitcnt vmcnt(18) lgkmcnt(1)
	v_fma_f64 v[107:108], v[135:136], v[107:108], v[127:128]
	s_waitcnt vmcnt(17)
	v_fma_f64 v[107:108], v[133:134], v[109:110], v[107:108]
	buffer_load_dword v128, off, s[0:3], 0 offset:252
	buffer_load_dword v129, off, s[0:3], 0 offset:272
	;; [unrolled: 1-line block ×8, first 2 shown]
	s_waitcnt vmcnt(24) lgkmcnt(0)
	v_fma_f64 v[107:108], v[131:132], v[111:112], v[107:108]
	s_waitcnt vmcnt(19)
	v_fma_f64 v[115:116], v[115:116], v[113:114], v[107:108]
	ds_read_b128 v[107:110], v106 offset:608
	ds_read_b128 v[111:114], v106 offset:624
	s_waitcnt vmcnt(18) lgkmcnt(1)
	v_fma_f64 v[107:108], v[139:140], v[107:108], v[115:116]
	s_waitcnt vmcnt(17)
	v_fma_f64 v[107:108], v[137:138], v[109:110], v[107:108]
	buffer_load_dword v116, off, s[0:3], 0 offset:284
	buffer_load_dword v131, off, s[0:3], 0 offset:304
	;; [unrolled: 1-line block ×7, first 2 shown]
	s_waitcnt vmcnt(23) lgkmcnt(0)
	v_fma_f64 v[107:108], v[117:118], v[111:112], v[107:108]
	s_waitcnt vmcnt(18)
	v_fma_f64 v[117:118], v[119:120], v[113:114], v[107:108]
	ds_read_b128 v[107:110], v106 offset:640
	ds_read_b128 v[111:114], v106 offset:656
	buffer_load_dword v132, off, s[0:3], 0 offset:308
	s_waitcnt vmcnt(18) lgkmcnt(1)
	v_fma_f64 v[107:108], v[125:126], v[107:108], v[117:118]
	s_waitcnt vmcnt(17)
	v_fma_f64 v[107:108], v[123:124], v[109:110], v[107:108]
	buffer_load_dword v118, off, s[0:3], 0 offset:316
	buffer_load_dword v119, off, s[0:3], 0 offset:336
	;; [unrolled: 1-line block ×7, first 2 shown]
	s_waitcnt vmcnt(23) lgkmcnt(0)
	v_fma_f64 v[107:108], v[121:122], v[111:112], v[107:108]
	s_waitcnt vmcnt(18)
	v_fma_f64 v[120:121], v[127:128], v[113:114], v[107:108]
	ds_read_b128 v[107:110], v106 offset:672
	ds_read_b128 v[111:114], v106 offset:688
	s_waitcnt vmcnt(17) lgkmcnt(1)
	v_fma_f64 v[107:108], v[135:136], v[107:108], v[120:121]
	buffer_load_dword v120, off, s[0:3], 0 offset:340
	s_waitcnt vmcnt(17)
	v_fma_f64 v[107:108], v[133:134], v[109:110], v[107:108]
	buffer_load_dword v122, off, s[0:3], 0 offset:348
	buffer_load_dword v127, off, s[0:3], 0 offset:368
	;; [unrolled: 1-line block ×8, first 2 shown]
	s_waitcnt vmcnt(24) lgkmcnt(0)
	v_fma_f64 v[107:108], v[129:130], v[111:112], v[107:108]
	s_waitcnt vmcnt(19)
	v_fma_f64 v[115:116], v[115:116], v[113:114], v[107:108]
	ds_read_b128 v[107:110], v106 offset:704
	ds_read_b128 v[111:114], v106 offset:720
	s_waitcnt vmcnt(18) lgkmcnt(1)
	v_fma_f64 v[107:108], v[139:140], v[107:108], v[115:116]
	s_waitcnt vmcnt(17)
	v_fma_f64 v[107:108], v[137:138], v[109:110], v[107:108]
	buffer_load_dword v116, off, s[0:3], 0 offset:380
	buffer_load_dword v129, off, s[0:3], 0 offset:400
	;; [unrolled: 1-line block ×8, first 2 shown]
	s_waitcnt vmcnt(24) lgkmcnt(0)
	v_fma_f64 v[107:108], v[131:132], v[111:112], v[107:108]
	s_waitcnt vmcnt(19)
	v_fma_f64 v[117:118], v[117:118], v[113:114], v[107:108]
	ds_read_b128 v[107:110], v106 offset:736
	ds_read_b128 v[111:114], v106 offset:752
	s_waitcnt vmcnt(18) lgkmcnt(1)
	v_fma_f64 v[107:108], v[125:126], v[107:108], v[117:118]
	buffer_load_dword v118, off, s[0:3], 0 offset:412
	buffer_load_dword v117, off, s[0:3], 0 offset:408
	s_waitcnt vmcnt(19)
	v_fma_f64 v[107:108], v[123:124], v[109:110], v[107:108]
	buffer_load_dword v123, off, s[0:3], 0 offset:88
	buffer_load_dword v124, off, s[0:3], 0 offset:92
	s_waitcnt vmcnt(20) lgkmcnt(0)
	v_fma_f64 v[107:108], v[119:120], v[111:112], v[107:108]
	s_waitcnt vmcnt(15)
	v_fma_f64 v[119:120], v[121:122], v[113:114], v[107:108]
	ds_read_b128 v[107:110], v106 offset:768
	ds_read_b128 v[111:114], v106 offset:784
	s_waitcnt vmcnt(14) lgkmcnt(1)
	v_fma_f64 v[107:108], v[135:136], v[107:108], v[119:120]
	s_waitcnt vmcnt(13)
	v_fma_f64 v[107:108], v[133:134], v[109:110], v[107:108]
	s_waitcnt vmcnt(12) lgkmcnt(0)
	v_fma_f64 v[107:108], v[127:128], v[111:112], v[107:108]
	s_waitcnt vmcnt(7)
	v_fma_f64 v[115:116], v[115:116], v[113:114], v[107:108]
	ds_read_b128 v[107:110], v106 offset:800
	ds_read_b128 v[111:114], v106 offset:816
	s_waitcnt vmcnt(6) lgkmcnt(1)
	v_fma_f64 v[106:107], v[139:140], v[107:108], v[115:116]
	s_waitcnt vmcnt(5)
	v_fma_f64 v[106:107], v[137:138], v[109:110], v[106:107]
	s_waitcnt vmcnt(4) lgkmcnt(0)
	v_fma_f64 v[106:107], v[129:130], v[111:112], v[106:107]
	s_waitcnt vmcnt(2)
	v_fma_f64 v[106:107], v[117:118], v[113:114], v[106:107]
	s_waitcnt vmcnt(0)
	v_add_f64 v[106:107], v[123:124], -v[106:107]
	buffer_store_dword v107, off, s[0:3], 0 offset:92
	buffer_store_dword v106, off, s[0:3], 0 offset:88
	s_and_saveexec_b64 s[4:5], vcc
	s_cbranch_execz .LBB115_299
; %bb.298:
	buffer_load_dword v106, off, s[0:3], 0 offset:80
	buffer_load_dword v107, off, s[0:3], 0 offset:84
	v_mov_b32_e32 v108, 0
	buffer_store_dword v108, off, s[0:3], 0 offset:80
	buffer_store_dword v108, off, s[0:3], 0 offset:84
	s_waitcnt vmcnt(2)
	ds_write_b64 v105, v[106:107]
.LBB115_299:
	s_or_b64 exec, exec, s[4:5]
	s_waitcnt lgkmcnt(0)
	; wave barrier
	buffer_load_dword v115, off, s[0:3], 0 offset:88
	buffer_load_dword v116, off, s[0:3], 0 offset:92
	;; [unrolled: 1-line block ×22, first 2 shown]
	v_mov_b32_e32 v106, 0
	ds_read2_b64 v[107:110], v106 offset0:63 offset1:64
	ds_read2_b64 v[111:114], v106 offset0:65 offset1:66
	v_cmp_lt_u32_e32 vcc, 9, v0
	s_waitcnt vmcnt(20) lgkmcnt(1)
	v_fma_f64 v[107:108], v[115:116], v[107:108], 0
	s_waitcnt vmcnt(18)
	v_fma_f64 v[107:108], v[117:118], v[109:110], v[107:108]
	buffer_load_dword v116, off, s[0:3], 0 offset:180
	buffer_load_dword v117, off, s[0:3], 0 offset:200
	;; [unrolled: 1-line block ×7, first 2 shown]
	s_waitcnt vmcnt(23) lgkmcnt(0)
	v_fma_f64 v[107:108], v[119:120], v[111:112], v[107:108]
	s_waitcnt vmcnt(21)
	v_fma_f64 v[118:119], v[121:122], v[113:114], v[107:108]
	ds_read2_b64 v[107:110], v106 offset0:67 offset1:68
	ds_read2_b64 v[111:114], v106 offset0:69 offset1:70
	s_waitcnt vmcnt(19) lgkmcnt(1)
	v_fma_f64 v[107:108], v[123:124], v[107:108], v[118:119]
	buffer_load_dword v118, off, s[0:3], 0 offset:204
	s_waitcnt vmcnt(18)
	v_fma_f64 v[107:108], v[125:126], v[109:110], v[107:108]
	buffer_load_dword v120, off, s[0:3], 0 offset:212
	buffer_load_dword v121, off, s[0:3], 0 offset:232
	buffer_load_dword v123, off, s[0:3], 0 offset:224
	buffer_load_dword v125, off, s[0:3], 0 offset:216
	buffer_load_dword v119, off, s[0:3], 0 offset:208
	buffer_load_dword v126, off, s[0:3], 0 offset:220
	buffer_load_dword v124, off, s[0:3], 0 offset:228
	s_waitcnt vmcnt(23) lgkmcnt(0)
	v_fma_f64 v[107:108], v[127:128], v[111:112], v[107:108]
	s_waitcnt vmcnt(18)
	v_fma_f64 v[127:128], v[129:130], v[113:114], v[107:108]
	ds_read2_b64 v[107:110], v106 offset0:71 offset1:72
	ds_read2_b64 v[111:114], v106 offset0:73 offset1:74
	buffer_load_dword v122, off, s[0:3], 0 offset:236
	s_waitcnt vmcnt(18) lgkmcnt(1)
	v_fma_f64 v[107:108], v[135:136], v[107:108], v[127:128]
	s_waitcnt vmcnt(17)
	v_fma_f64 v[107:108], v[133:134], v[109:110], v[107:108]
	buffer_load_dword v128, off, s[0:3], 0 offset:244
	buffer_load_dword v129, off, s[0:3], 0 offset:264
	;; [unrolled: 1-line block ×8, first 2 shown]
	s_waitcnt vmcnt(24) lgkmcnt(0)
	v_fma_f64 v[107:108], v[131:132], v[111:112], v[107:108]
	s_waitcnt vmcnt(19)
	v_fma_f64 v[115:116], v[115:116], v[113:114], v[107:108]
	ds_read2_b64 v[107:110], v106 offset0:75 offset1:76
	ds_read2_b64 v[111:114], v106 offset0:77 offset1:78
	s_waitcnt vmcnt(18) lgkmcnt(1)
	v_fma_f64 v[107:108], v[139:140], v[107:108], v[115:116]
	s_waitcnt vmcnt(17)
	v_fma_f64 v[107:108], v[137:138], v[109:110], v[107:108]
	buffer_load_dword v116, off, s[0:3], 0 offset:276
	buffer_load_dword v131, off, s[0:3], 0 offset:296
	;; [unrolled: 1-line block ×7, first 2 shown]
	s_waitcnt vmcnt(23) lgkmcnt(0)
	v_fma_f64 v[107:108], v[117:118], v[111:112], v[107:108]
	s_waitcnt vmcnt(18)
	v_fma_f64 v[117:118], v[119:120], v[113:114], v[107:108]
	ds_read2_b64 v[107:110], v106 offset0:79 offset1:80
	ds_read2_b64 v[111:114], v106 offset0:81 offset1:82
	buffer_load_dword v132, off, s[0:3], 0 offset:300
	s_waitcnt vmcnt(18) lgkmcnt(1)
	v_fma_f64 v[107:108], v[125:126], v[107:108], v[117:118]
	s_waitcnt vmcnt(17)
	v_fma_f64 v[107:108], v[123:124], v[109:110], v[107:108]
	buffer_load_dword v118, off, s[0:3], 0 offset:308
	buffer_load_dword v119, off, s[0:3], 0 offset:328
	;; [unrolled: 1-line block ×7, first 2 shown]
	s_waitcnt vmcnt(23) lgkmcnt(0)
	v_fma_f64 v[107:108], v[121:122], v[111:112], v[107:108]
	s_waitcnt vmcnt(18)
	v_fma_f64 v[120:121], v[127:128], v[113:114], v[107:108]
	ds_read2_b64 v[107:110], v106 offset0:83 offset1:84
	ds_read2_b64 v[111:114], v106 offset0:85 offset1:86
	s_waitcnt vmcnt(17) lgkmcnt(1)
	v_fma_f64 v[107:108], v[135:136], v[107:108], v[120:121]
	buffer_load_dword v120, off, s[0:3], 0 offset:332
	s_waitcnt vmcnt(17)
	v_fma_f64 v[107:108], v[133:134], v[109:110], v[107:108]
	buffer_load_dword v122, off, s[0:3], 0 offset:340
	buffer_load_dword v127, off, s[0:3], 0 offset:360
	;; [unrolled: 1-line block ×8, first 2 shown]
	s_waitcnt vmcnt(24) lgkmcnt(0)
	v_fma_f64 v[107:108], v[129:130], v[111:112], v[107:108]
	s_waitcnt vmcnt(19)
	v_fma_f64 v[115:116], v[115:116], v[113:114], v[107:108]
	ds_read2_b64 v[107:110], v106 offset0:87 offset1:88
	ds_read2_b64 v[111:114], v106 offset0:89 offset1:90
	s_waitcnt vmcnt(18) lgkmcnt(1)
	v_fma_f64 v[107:108], v[139:140], v[107:108], v[115:116]
	s_waitcnt vmcnt(17)
	v_fma_f64 v[107:108], v[137:138], v[109:110], v[107:108]
	buffer_load_dword v116, off, s[0:3], 0 offset:372
	buffer_load_dword v129, off, s[0:3], 0 offset:392
	;; [unrolled: 1-line block ×7, first 2 shown]
	s_waitcnt vmcnt(23) lgkmcnt(0)
	v_fma_f64 v[107:108], v[131:132], v[111:112], v[107:108]
	s_waitcnt vmcnt(18)
	v_fma_f64 v[117:118], v[117:118], v[113:114], v[107:108]
	ds_read2_b64 v[107:110], v106 offset0:91 offset1:92
	ds_read2_b64 v[111:114], v106 offset0:93 offset1:94
	buffer_load_dword v130, off, s[0:3], 0 offset:396
	s_waitcnt vmcnt(18) lgkmcnt(1)
	v_fma_f64 v[107:108], v[125:126], v[107:108], v[117:118]
	s_waitcnt vmcnt(17)
	v_fma_f64 v[107:108], v[123:124], v[109:110], v[107:108]
	buffer_load_dword v118, off, s[0:3], 0 offset:404
	buffer_load_dword v123, off, s[0:3], 0 offset:408
	;; [unrolled: 1-line block ×4, first 2 shown]
	s_waitcnt vmcnt(20) lgkmcnt(0)
	v_fma_f64 v[107:108], v[119:120], v[111:112], v[107:108]
	buffer_load_dword v119, off, s[0:3], 0 offset:80
	buffer_load_dword v120, off, s[0:3], 0 offset:84
	s_waitcnt vmcnt(17)
	v_fma_f64 v[121:122], v[121:122], v[113:114], v[107:108]
	ds_read2_b64 v[107:110], v106 offset0:95 offset1:96
	ds_read2_b64 v[111:114], v106 offset0:97 offset1:98
	s_waitcnt vmcnt(16) lgkmcnt(1)
	v_fma_f64 v[107:108], v[135:136], v[107:108], v[121:122]
	s_waitcnt vmcnt(15)
	v_fma_f64 v[107:108], v[133:134], v[109:110], v[107:108]
	s_waitcnt vmcnt(14) lgkmcnt(0)
	v_fma_f64 v[107:108], v[127:128], v[111:112], v[107:108]
	s_waitcnt vmcnt(9)
	v_fma_f64 v[115:116], v[115:116], v[113:114], v[107:108]
	ds_read2_b64 v[107:110], v106 offset0:99 offset1:100
	ds_read2_b64 v[111:114], v106 offset0:101 offset1:102
	s_waitcnt vmcnt(8) lgkmcnt(1)
	v_fma_f64 v[107:108], v[139:140], v[107:108], v[115:116]
	s_waitcnt vmcnt(7)
	v_fma_f64 v[107:108], v[137:138], v[109:110], v[107:108]
	ds_read_b64 v[109:110], v106 offset:824
	s_waitcnt vmcnt(6) lgkmcnt(1)
	v_fma_f64 v[107:108], v[129:130], v[111:112], v[107:108]
	s_waitcnt vmcnt(3)
	v_fma_f64 v[107:108], v[117:118], v[113:114], v[107:108]
	s_waitcnt vmcnt(2) lgkmcnt(0)
	v_fma_f64 v[107:108], v[123:124], v[109:110], v[107:108]
	s_waitcnt vmcnt(0)
	v_add_f64 v[107:108], v[119:120], -v[107:108]
	buffer_store_dword v108, off, s[0:3], 0 offset:84
	buffer_store_dword v107, off, s[0:3], 0 offset:80
	s_and_saveexec_b64 s[4:5], vcc
	s_cbranch_execz .LBB115_301
; %bb.300:
	buffer_load_dword v107, off, s[0:3], 0 offset:72
	buffer_load_dword v108, off, s[0:3], 0 offset:76
	s_waitcnt vmcnt(0)
	ds_write_b64 v105, v[107:108]
	buffer_store_dword v106, off, s[0:3], 0 offset:72
	buffer_store_dword v106, off, s[0:3], 0 offset:76
.LBB115_301:
	s_or_b64 exec, exec, s[4:5]
	s_waitcnt lgkmcnt(0)
	; wave barrier
	buffer_load_dword v115, off, s[0:3], 0 offset:80
	buffer_load_dword v116, off, s[0:3], 0 offset:84
	buffer_load_dword v117, off, s[0:3], 0 offset:88
	buffer_load_dword v118, off, s[0:3], 0 offset:92
	buffer_load_dword v119, off, s[0:3], 0 offset:96
	buffer_load_dword v120, off, s[0:3], 0 offset:100
	buffer_load_dword v121, off, s[0:3], 0 offset:104
	buffer_load_dword v122, off, s[0:3], 0 offset:108
	buffer_load_dword v123, off, s[0:3], 0 offset:112
	buffer_load_dword v124, off, s[0:3], 0 offset:116
	buffer_load_dword v125, off, s[0:3], 0 offset:120
	buffer_load_dword v126, off, s[0:3], 0 offset:124
	buffer_load_dword v127, off, s[0:3], 0 offset:128
	buffer_load_dword v128, off, s[0:3], 0 offset:132
	buffer_load_dword v130, off, s[0:3], 0 offset:140
	buffer_load_dword v131, off, s[0:3], 0 offset:160
	buffer_load_dword v133, off, s[0:3], 0 offset:152
	buffer_load_dword v135, off, s[0:3], 0 offset:144
	buffer_load_dword v129, off, s[0:3], 0 offset:136
	buffer_load_dword v136, off, s[0:3], 0 offset:148
	buffer_load_dword v134, off, s[0:3], 0 offset:156
	buffer_load_dword v132, off, s[0:3], 0 offset:164
	ds_read_b128 v[107:110], v106 offset:496
	ds_read_b128 v[111:114], v106 offset:512
	v_cmp_lt_u32_e32 vcc, 8, v0
	s_waitcnt vmcnt(20) lgkmcnt(1)
	v_fma_f64 v[107:108], v[115:116], v[107:108], 0
	s_waitcnt vmcnt(18)
	v_fma_f64 v[107:108], v[117:118], v[109:110], v[107:108]
	buffer_load_dword v116, off, s[0:3], 0 offset:172
	buffer_load_dword v117, off, s[0:3], 0 offset:192
	;; [unrolled: 1-line block ×7, first 2 shown]
	s_waitcnt vmcnt(23) lgkmcnt(0)
	v_fma_f64 v[107:108], v[119:120], v[111:112], v[107:108]
	s_waitcnt vmcnt(21)
	v_fma_f64 v[118:119], v[121:122], v[113:114], v[107:108]
	ds_read_b128 v[107:110], v106 offset:528
	ds_read_b128 v[111:114], v106 offset:544
	s_waitcnt vmcnt(19) lgkmcnt(1)
	v_fma_f64 v[107:108], v[123:124], v[107:108], v[118:119]
	buffer_load_dword v118, off, s[0:3], 0 offset:196
	s_waitcnt vmcnt(18)
	v_fma_f64 v[107:108], v[125:126], v[109:110], v[107:108]
	buffer_load_dword v120, off, s[0:3], 0 offset:204
	buffer_load_dword v121, off, s[0:3], 0 offset:224
	;; [unrolled: 1-line block ×7, first 2 shown]
	s_waitcnt vmcnt(23) lgkmcnt(0)
	v_fma_f64 v[107:108], v[127:128], v[111:112], v[107:108]
	s_waitcnt vmcnt(18)
	v_fma_f64 v[127:128], v[129:130], v[113:114], v[107:108]
	ds_read_b128 v[107:110], v106 offset:560
	ds_read_b128 v[111:114], v106 offset:576
	buffer_load_dword v122, off, s[0:3], 0 offset:228
	s_waitcnt vmcnt(18) lgkmcnt(1)
	v_fma_f64 v[107:108], v[135:136], v[107:108], v[127:128]
	s_waitcnt vmcnt(17)
	v_fma_f64 v[107:108], v[133:134], v[109:110], v[107:108]
	buffer_load_dword v128, off, s[0:3], 0 offset:236
	buffer_load_dword v129, off, s[0:3], 0 offset:256
	;; [unrolled: 1-line block ×8, first 2 shown]
	s_waitcnt vmcnt(24) lgkmcnt(0)
	v_fma_f64 v[107:108], v[131:132], v[111:112], v[107:108]
	s_waitcnt vmcnt(19)
	v_fma_f64 v[115:116], v[115:116], v[113:114], v[107:108]
	ds_read_b128 v[107:110], v106 offset:592
	ds_read_b128 v[111:114], v106 offset:608
	s_waitcnt vmcnt(18) lgkmcnt(1)
	v_fma_f64 v[107:108], v[139:140], v[107:108], v[115:116]
	s_waitcnt vmcnt(17)
	v_fma_f64 v[107:108], v[137:138], v[109:110], v[107:108]
	buffer_load_dword v116, off, s[0:3], 0 offset:268
	buffer_load_dword v131, off, s[0:3], 0 offset:288
	;; [unrolled: 1-line block ×8, first 2 shown]
	s_waitcnt vmcnt(24) lgkmcnt(0)
	v_fma_f64 v[107:108], v[117:118], v[111:112], v[107:108]
	s_waitcnt vmcnt(19)
	v_fma_f64 v[117:118], v[119:120], v[113:114], v[107:108]
	ds_read_b128 v[107:110], v106 offset:624
	ds_read_b128 v[111:114], v106 offset:640
	s_waitcnt vmcnt(18) lgkmcnt(1)
	v_fma_f64 v[107:108], v[125:126], v[107:108], v[117:118]
	s_waitcnt vmcnt(17)
	v_fma_f64 v[107:108], v[123:124], v[109:110], v[107:108]
	buffer_load_dword v118, off, s[0:3], 0 offset:300
	buffer_load_dword v119, off, s[0:3], 0 offset:320
	;; [unrolled: 1-line block ×7, first 2 shown]
	s_waitcnt vmcnt(23) lgkmcnt(0)
	v_fma_f64 v[107:108], v[121:122], v[111:112], v[107:108]
	s_waitcnt vmcnt(18)
	v_fma_f64 v[120:121], v[127:128], v[113:114], v[107:108]
	ds_read_b128 v[107:110], v106 offset:656
	ds_read_b128 v[111:114], v106 offset:672
	s_waitcnt vmcnt(17) lgkmcnt(1)
	v_fma_f64 v[107:108], v[135:136], v[107:108], v[120:121]
	buffer_load_dword v120, off, s[0:3], 0 offset:324
	s_waitcnt vmcnt(17)
	v_fma_f64 v[107:108], v[133:134], v[109:110], v[107:108]
	buffer_load_dword v122, off, s[0:3], 0 offset:332
	buffer_load_dword v127, off, s[0:3], 0 offset:352
	;; [unrolled: 1-line block ×8, first 2 shown]
	s_waitcnt vmcnt(24) lgkmcnt(0)
	v_fma_f64 v[107:108], v[129:130], v[111:112], v[107:108]
	s_waitcnt vmcnt(19)
	v_fma_f64 v[115:116], v[115:116], v[113:114], v[107:108]
	ds_read_b128 v[107:110], v106 offset:688
	ds_read_b128 v[111:114], v106 offset:704
	s_waitcnt vmcnt(18) lgkmcnt(1)
	v_fma_f64 v[107:108], v[139:140], v[107:108], v[115:116]
	s_waitcnt vmcnt(17)
	v_fma_f64 v[107:108], v[137:138], v[109:110], v[107:108]
	buffer_load_dword v116, off, s[0:3], 0 offset:364
	buffer_load_dword v129, off, s[0:3], 0 offset:384
	;; [unrolled: 1-line block ×8, first 2 shown]
	s_waitcnt vmcnt(24) lgkmcnt(0)
	v_fma_f64 v[107:108], v[131:132], v[111:112], v[107:108]
	s_waitcnt vmcnt(19)
	v_fma_f64 v[117:118], v[117:118], v[113:114], v[107:108]
	ds_read_b128 v[107:110], v106 offset:720
	ds_read_b128 v[111:114], v106 offset:736
	s_waitcnt vmcnt(18) lgkmcnt(1)
	v_fma_f64 v[107:108], v[125:126], v[107:108], v[117:118]
	s_waitcnt vmcnt(17)
	v_fma_f64 v[107:108], v[123:124], v[109:110], v[107:108]
	buffer_load_dword v118, off, s[0:3], 0 offset:396
	buffer_load_dword v123, off, s[0:3], 0 offset:408
	;; [unrolled: 1-line block ×6, first 2 shown]
	s_waitcnt vmcnt(22) lgkmcnt(0)
	v_fma_f64 v[107:108], v[119:120], v[111:112], v[107:108]
	s_waitcnt vmcnt(17)
	v_fma_f64 v[119:120], v[121:122], v[113:114], v[107:108]
	ds_read_b128 v[107:110], v106 offset:752
	buffer_load_dword v121, off, s[0:3], 0 offset:72
	buffer_load_dword v122, off, s[0:3], 0 offset:76
	ds_read_b128 v[111:114], v106 offset:768
	s_waitcnt vmcnt(18) lgkmcnt(1)
	v_fma_f64 v[107:108], v[135:136], v[107:108], v[119:120]
	s_waitcnt vmcnt(17)
	v_fma_f64 v[107:108], v[133:134], v[109:110], v[107:108]
	s_waitcnt vmcnt(16) lgkmcnt(0)
	v_fma_f64 v[107:108], v[127:128], v[111:112], v[107:108]
	s_waitcnt vmcnt(11)
	v_fma_f64 v[115:116], v[115:116], v[113:114], v[107:108]
	ds_read_b128 v[107:110], v106 offset:784
	ds_read_b128 v[111:114], v106 offset:800
	s_waitcnt vmcnt(10) lgkmcnt(1)
	v_fma_f64 v[107:108], v[139:140], v[107:108], v[115:116]
	s_waitcnt vmcnt(9)
	v_fma_f64 v[107:108], v[137:138], v[109:110], v[107:108]
	s_waitcnt vmcnt(8) lgkmcnt(0)
	v_fma_f64 v[107:108], v[129:130], v[111:112], v[107:108]
	s_waitcnt vmcnt(4)
	v_fma_f64 v[110:111], v[117:118], v[113:114], v[107:108]
	ds_read_b128 v[106:109], v106 offset:816
	s_waitcnt vmcnt(3) lgkmcnt(0)
	v_fma_f64 v[106:107], v[125:126], v[106:107], v[110:111]
	s_waitcnt vmcnt(2)
	v_fma_f64 v[106:107], v[123:124], v[108:109], v[106:107]
	s_waitcnt vmcnt(0)
	v_add_f64 v[106:107], v[121:122], -v[106:107]
	buffer_store_dword v107, off, s[0:3], 0 offset:76
	buffer_store_dword v106, off, s[0:3], 0 offset:72
	s_and_saveexec_b64 s[4:5], vcc
	s_cbranch_execz .LBB115_303
; %bb.302:
	buffer_load_dword v106, off, s[0:3], 0 offset:64
	buffer_load_dword v107, off, s[0:3], 0 offset:68
	v_mov_b32_e32 v108, 0
	buffer_store_dword v108, off, s[0:3], 0 offset:64
	buffer_store_dword v108, off, s[0:3], 0 offset:68
	s_waitcnt vmcnt(2)
	ds_write_b64 v105, v[106:107]
.LBB115_303:
	s_or_b64 exec, exec, s[4:5]
	s_waitcnt lgkmcnt(0)
	; wave barrier
	buffer_load_dword v115, off, s[0:3], 0 offset:72
	buffer_load_dword v116, off, s[0:3], 0 offset:76
	;; [unrolled: 1-line block ×22, first 2 shown]
	v_mov_b32_e32 v106, 0
	ds_read2_b64 v[107:110], v106 offset0:61 offset1:62
	ds_read2_b64 v[111:114], v106 offset0:63 offset1:64
	v_cmp_lt_u32_e32 vcc, 7, v0
	s_waitcnt vmcnt(20) lgkmcnt(1)
	v_fma_f64 v[107:108], v[115:116], v[107:108], 0
	s_waitcnt vmcnt(18)
	v_fma_f64 v[107:108], v[117:118], v[109:110], v[107:108]
	buffer_load_dword v116, off, s[0:3], 0 offset:164
	buffer_load_dword v117, off, s[0:3], 0 offset:184
	;; [unrolled: 1-line block ×7, first 2 shown]
	s_waitcnt vmcnt(23) lgkmcnt(0)
	v_fma_f64 v[107:108], v[119:120], v[111:112], v[107:108]
	s_waitcnt vmcnt(21)
	v_fma_f64 v[118:119], v[121:122], v[113:114], v[107:108]
	ds_read2_b64 v[107:110], v106 offset0:65 offset1:66
	ds_read2_b64 v[111:114], v106 offset0:67 offset1:68
	s_waitcnt vmcnt(19) lgkmcnt(1)
	v_fma_f64 v[107:108], v[123:124], v[107:108], v[118:119]
	buffer_load_dword v118, off, s[0:3], 0 offset:188
	s_waitcnt vmcnt(18)
	v_fma_f64 v[107:108], v[125:126], v[109:110], v[107:108]
	buffer_load_dword v120, off, s[0:3], 0 offset:196
	buffer_load_dword v121, off, s[0:3], 0 offset:216
	buffer_load_dword v123, off, s[0:3], 0 offset:208
	buffer_load_dword v125, off, s[0:3], 0 offset:200
	buffer_load_dword v119, off, s[0:3], 0 offset:192
	buffer_load_dword v126, off, s[0:3], 0 offset:204
	buffer_load_dword v124, off, s[0:3], 0 offset:212
	s_waitcnt vmcnt(23) lgkmcnt(0)
	v_fma_f64 v[107:108], v[127:128], v[111:112], v[107:108]
	s_waitcnt vmcnt(18)
	v_fma_f64 v[127:128], v[129:130], v[113:114], v[107:108]
	ds_read2_b64 v[107:110], v106 offset0:69 offset1:70
	ds_read2_b64 v[111:114], v106 offset0:71 offset1:72
	buffer_load_dword v122, off, s[0:3], 0 offset:220
	s_waitcnt vmcnt(18) lgkmcnt(1)
	v_fma_f64 v[107:108], v[135:136], v[107:108], v[127:128]
	s_waitcnt vmcnt(17)
	v_fma_f64 v[107:108], v[133:134], v[109:110], v[107:108]
	buffer_load_dword v128, off, s[0:3], 0 offset:228
	buffer_load_dword v129, off, s[0:3], 0 offset:248
	;; [unrolled: 1-line block ×8, first 2 shown]
	s_waitcnt vmcnt(24) lgkmcnt(0)
	v_fma_f64 v[107:108], v[131:132], v[111:112], v[107:108]
	s_waitcnt vmcnt(19)
	v_fma_f64 v[115:116], v[115:116], v[113:114], v[107:108]
	ds_read2_b64 v[107:110], v106 offset0:73 offset1:74
	ds_read2_b64 v[111:114], v106 offset0:75 offset1:76
	s_waitcnt vmcnt(18) lgkmcnt(1)
	v_fma_f64 v[107:108], v[139:140], v[107:108], v[115:116]
	s_waitcnt vmcnt(17)
	v_fma_f64 v[107:108], v[137:138], v[109:110], v[107:108]
	buffer_load_dword v116, off, s[0:3], 0 offset:260
	buffer_load_dword v131, off, s[0:3], 0 offset:280
	;; [unrolled: 1-line block ×8, first 2 shown]
	s_waitcnt vmcnt(24) lgkmcnt(0)
	v_fma_f64 v[107:108], v[117:118], v[111:112], v[107:108]
	s_waitcnt vmcnt(19)
	v_fma_f64 v[117:118], v[119:120], v[113:114], v[107:108]
	ds_read2_b64 v[107:110], v106 offset0:77 offset1:78
	ds_read2_b64 v[111:114], v106 offset0:79 offset1:80
	s_waitcnt vmcnt(18) lgkmcnt(1)
	v_fma_f64 v[107:108], v[125:126], v[107:108], v[117:118]
	s_waitcnt vmcnt(17)
	v_fma_f64 v[107:108], v[123:124], v[109:110], v[107:108]
	buffer_load_dword v118, off, s[0:3], 0 offset:292
	buffer_load_dword v119, off, s[0:3], 0 offset:312
	;; [unrolled: 1-line block ×7, first 2 shown]
	s_waitcnt vmcnt(23) lgkmcnt(0)
	v_fma_f64 v[107:108], v[121:122], v[111:112], v[107:108]
	s_waitcnt vmcnt(18)
	v_fma_f64 v[120:121], v[127:128], v[113:114], v[107:108]
	ds_read2_b64 v[107:110], v106 offset0:81 offset1:82
	ds_read2_b64 v[111:114], v106 offset0:83 offset1:84
	s_waitcnt vmcnt(17) lgkmcnt(1)
	v_fma_f64 v[107:108], v[135:136], v[107:108], v[120:121]
	buffer_load_dword v120, off, s[0:3], 0 offset:316
	s_waitcnt vmcnt(17)
	v_fma_f64 v[107:108], v[133:134], v[109:110], v[107:108]
	buffer_load_dword v122, off, s[0:3], 0 offset:324
	buffer_load_dword v127, off, s[0:3], 0 offset:344
	buffer_load_dword v133, off, s[0:3], 0 offset:336
	buffer_load_dword v135, off, s[0:3], 0 offset:328
	buffer_load_dword v121, off, s[0:3], 0 offset:320
	buffer_load_dword v136, off, s[0:3], 0 offset:332
	buffer_load_dword v134, off, s[0:3], 0 offset:340
	buffer_load_dword v128, off, s[0:3], 0 offset:348
	s_waitcnt vmcnt(24) lgkmcnt(0)
	v_fma_f64 v[107:108], v[129:130], v[111:112], v[107:108]
	s_waitcnt vmcnt(19)
	v_fma_f64 v[115:116], v[115:116], v[113:114], v[107:108]
	ds_read2_b64 v[107:110], v106 offset0:85 offset1:86
	ds_read2_b64 v[111:114], v106 offset0:87 offset1:88
	s_waitcnt vmcnt(18) lgkmcnt(1)
	v_fma_f64 v[107:108], v[139:140], v[107:108], v[115:116]
	s_waitcnt vmcnt(17)
	v_fma_f64 v[107:108], v[137:138], v[109:110], v[107:108]
	buffer_load_dword v116, off, s[0:3], 0 offset:356
	buffer_load_dword v129, off, s[0:3], 0 offset:376
	buffer_load_dword v137, off, s[0:3], 0 offset:368
	buffer_load_dword v139, off, s[0:3], 0 offset:360
	buffer_load_dword v115, off, s[0:3], 0 offset:352
	buffer_load_dword v140, off, s[0:3], 0 offset:364
	buffer_load_dword v138, off, s[0:3], 0 offset:372
	buffer_load_dword v130, off, s[0:3], 0 offset:380
	s_waitcnt vmcnt(24) lgkmcnt(0)
	v_fma_f64 v[107:108], v[131:132], v[111:112], v[107:108]
	s_waitcnt vmcnt(19)
	v_fma_f64 v[117:118], v[117:118], v[113:114], v[107:108]
	ds_read2_b64 v[107:110], v106 offset0:89 offset1:90
	ds_read2_b64 v[111:114], v106 offset0:91 offset1:92
	s_waitcnt vmcnt(18) lgkmcnt(1)
	v_fma_f64 v[107:108], v[125:126], v[107:108], v[117:118]
	;; [unrolled: 18-line block ×3, first 2 shown]
	buffer_load_dword v119, off, s[0:3], 0 offset:64
	buffer_load_dword v120, off, s[0:3], 0 offset:68
	s_waitcnt vmcnt(19)
	v_fma_f64 v[107:108], v[133:134], v[109:110], v[107:108]
	s_waitcnt vmcnt(18) lgkmcnt(0)
	v_fma_f64 v[107:108], v[127:128], v[111:112], v[107:108]
	s_waitcnt vmcnt(13)
	v_fma_f64 v[115:116], v[115:116], v[113:114], v[107:108]
	ds_read2_b64 v[107:110], v106 offset0:97 offset1:98
	ds_read2_b64 v[111:114], v106 offset0:99 offset1:100
	s_waitcnt vmcnt(12) lgkmcnt(1)
	v_fma_f64 v[107:108], v[139:140], v[107:108], v[115:116]
	s_waitcnt vmcnt(11)
	v_fma_f64 v[107:108], v[137:138], v[109:110], v[107:108]
	s_waitcnt vmcnt(10) lgkmcnt(0)
	v_fma_f64 v[107:108], v[129:130], v[111:112], v[107:108]
	s_waitcnt vmcnt(5)
	v_fma_f64 v[111:112], v[117:118], v[113:114], v[107:108]
	ds_read2_b64 v[107:110], v106 offset0:101 offset1:102
	ds_read_b64 v[113:114], v106 offset:824
	s_waitcnt vmcnt(4) lgkmcnt(1)
	v_fma_f64 v[107:108], v[131:132], v[107:108], v[111:112]
	s_waitcnt vmcnt(3)
	v_fma_f64 v[107:108], v[125:126], v[109:110], v[107:108]
	s_waitcnt vmcnt(2) lgkmcnt(0)
	v_fma_f64 v[107:108], v[123:124], v[113:114], v[107:108]
	s_waitcnt vmcnt(0)
	v_add_f64 v[107:108], v[119:120], -v[107:108]
	buffer_store_dword v108, off, s[0:3], 0 offset:68
	buffer_store_dword v107, off, s[0:3], 0 offset:64
	s_and_saveexec_b64 s[4:5], vcc
	s_cbranch_execz .LBB115_305
; %bb.304:
	buffer_load_dword v107, off, s[0:3], 0 offset:56
	buffer_load_dword v108, off, s[0:3], 0 offset:60
	s_waitcnt vmcnt(0)
	ds_write_b64 v105, v[107:108]
	buffer_store_dword v106, off, s[0:3], 0 offset:56
	buffer_store_dword v106, off, s[0:3], 0 offset:60
.LBB115_305:
	s_or_b64 exec, exec, s[4:5]
	s_waitcnt lgkmcnt(0)
	; wave barrier
	buffer_load_dword v115, off, s[0:3], 0 offset:64
	buffer_load_dword v116, off, s[0:3], 0 offset:68
	buffer_load_dword v117, off, s[0:3], 0 offset:72
	buffer_load_dword v118, off, s[0:3], 0 offset:76
	buffer_load_dword v119, off, s[0:3], 0 offset:80
	buffer_load_dword v120, off, s[0:3], 0 offset:84
	buffer_load_dword v121, off, s[0:3], 0 offset:88
	buffer_load_dword v122, off, s[0:3], 0 offset:92
	buffer_load_dword v123, off, s[0:3], 0 offset:96
	buffer_load_dword v124, off, s[0:3], 0 offset:100
	buffer_load_dword v125, off, s[0:3], 0 offset:104
	buffer_load_dword v126, off, s[0:3], 0 offset:108
	buffer_load_dword v127, off, s[0:3], 0 offset:112
	buffer_load_dword v128, off, s[0:3], 0 offset:116
	buffer_load_dword v130, off, s[0:3], 0 offset:124
	buffer_load_dword v131, off, s[0:3], 0 offset:144
	buffer_load_dword v133, off, s[0:3], 0 offset:136
	buffer_load_dword v135, off, s[0:3], 0 offset:128
	buffer_load_dword v129, off, s[0:3], 0 offset:120
	buffer_load_dword v136, off, s[0:3], 0 offset:132
	buffer_load_dword v134, off, s[0:3], 0 offset:140
	buffer_load_dword v132, off, s[0:3], 0 offset:148
	ds_read_b128 v[107:110], v106 offset:480
	ds_read_b128 v[111:114], v106 offset:496
	v_cmp_lt_u32_e32 vcc, 6, v0
	s_waitcnt vmcnt(20) lgkmcnt(1)
	v_fma_f64 v[107:108], v[115:116], v[107:108], 0
	s_waitcnt vmcnt(18)
	v_fma_f64 v[107:108], v[117:118], v[109:110], v[107:108]
	buffer_load_dword v116, off, s[0:3], 0 offset:156
	buffer_load_dword v117, off, s[0:3], 0 offset:176
	;; [unrolled: 1-line block ×7, first 2 shown]
	s_waitcnt vmcnt(23) lgkmcnt(0)
	v_fma_f64 v[107:108], v[119:120], v[111:112], v[107:108]
	s_waitcnt vmcnt(21)
	v_fma_f64 v[118:119], v[121:122], v[113:114], v[107:108]
	ds_read_b128 v[107:110], v106 offset:512
	ds_read_b128 v[111:114], v106 offset:528
	s_waitcnt vmcnt(19) lgkmcnt(1)
	v_fma_f64 v[107:108], v[123:124], v[107:108], v[118:119]
	buffer_load_dword v118, off, s[0:3], 0 offset:180
	s_waitcnt vmcnt(18)
	v_fma_f64 v[107:108], v[125:126], v[109:110], v[107:108]
	buffer_load_dword v120, off, s[0:3], 0 offset:188
	buffer_load_dword v121, off, s[0:3], 0 offset:208
	;; [unrolled: 1-line block ×7, first 2 shown]
	s_waitcnt vmcnt(23) lgkmcnt(0)
	v_fma_f64 v[107:108], v[127:128], v[111:112], v[107:108]
	s_waitcnt vmcnt(18)
	v_fma_f64 v[127:128], v[129:130], v[113:114], v[107:108]
	ds_read_b128 v[107:110], v106 offset:544
	ds_read_b128 v[111:114], v106 offset:560
	buffer_load_dword v122, off, s[0:3], 0 offset:212
	s_waitcnt vmcnt(18) lgkmcnt(1)
	v_fma_f64 v[107:108], v[135:136], v[107:108], v[127:128]
	s_waitcnt vmcnt(17)
	v_fma_f64 v[107:108], v[133:134], v[109:110], v[107:108]
	buffer_load_dword v128, off, s[0:3], 0 offset:220
	buffer_load_dword v129, off, s[0:3], 0 offset:240
	;; [unrolled: 1-line block ×8, first 2 shown]
	s_waitcnt vmcnt(24) lgkmcnt(0)
	v_fma_f64 v[107:108], v[131:132], v[111:112], v[107:108]
	s_waitcnt vmcnt(19)
	v_fma_f64 v[115:116], v[115:116], v[113:114], v[107:108]
	ds_read_b128 v[107:110], v106 offset:576
	ds_read_b128 v[111:114], v106 offset:592
	s_waitcnt vmcnt(18) lgkmcnt(1)
	v_fma_f64 v[107:108], v[139:140], v[107:108], v[115:116]
	s_waitcnt vmcnt(17)
	v_fma_f64 v[107:108], v[137:138], v[109:110], v[107:108]
	buffer_load_dword v116, off, s[0:3], 0 offset:252
	buffer_load_dword v131, off, s[0:3], 0 offset:272
	;; [unrolled: 1-line block ×8, first 2 shown]
	s_waitcnt vmcnt(24) lgkmcnt(0)
	v_fma_f64 v[107:108], v[117:118], v[111:112], v[107:108]
	s_waitcnt vmcnt(19)
	v_fma_f64 v[117:118], v[119:120], v[113:114], v[107:108]
	ds_read_b128 v[107:110], v106 offset:608
	ds_read_b128 v[111:114], v106 offset:624
	s_waitcnt vmcnt(18) lgkmcnt(1)
	v_fma_f64 v[107:108], v[125:126], v[107:108], v[117:118]
	s_waitcnt vmcnt(17)
	v_fma_f64 v[107:108], v[123:124], v[109:110], v[107:108]
	buffer_load_dword v118, off, s[0:3], 0 offset:284
	buffer_load_dword v119, off, s[0:3], 0 offset:304
	;; [unrolled: 1-line block ×7, first 2 shown]
	s_waitcnt vmcnt(23) lgkmcnt(0)
	v_fma_f64 v[107:108], v[121:122], v[111:112], v[107:108]
	s_waitcnt vmcnt(18)
	v_fma_f64 v[120:121], v[127:128], v[113:114], v[107:108]
	ds_read_b128 v[107:110], v106 offset:640
	ds_read_b128 v[111:114], v106 offset:656
	s_waitcnt vmcnt(17) lgkmcnt(1)
	v_fma_f64 v[107:108], v[135:136], v[107:108], v[120:121]
	buffer_load_dword v120, off, s[0:3], 0 offset:308
	s_waitcnt vmcnt(17)
	v_fma_f64 v[107:108], v[133:134], v[109:110], v[107:108]
	buffer_load_dword v122, off, s[0:3], 0 offset:316
	buffer_load_dword v127, off, s[0:3], 0 offset:336
	buffer_load_dword v133, off, s[0:3], 0 offset:328
	buffer_load_dword v135, off, s[0:3], 0 offset:320
	buffer_load_dword v121, off, s[0:3], 0 offset:312
	buffer_load_dword v136, off, s[0:3], 0 offset:324
	buffer_load_dword v134, off, s[0:3], 0 offset:332
	buffer_load_dword v128, off, s[0:3], 0 offset:340
	s_waitcnt vmcnt(24) lgkmcnt(0)
	v_fma_f64 v[107:108], v[129:130], v[111:112], v[107:108]
	s_waitcnt vmcnt(19)
	v_fma_f64 v[115:116], v[115:116], v[113:114], v[107:108]
	ds_read_b128 v[107:110], v106 offset:672
	ds_read_b128 v[111:114], v106 offset:688
	s_waitcnt vmcnt(18) lgkmcnt(1)
	v_fma_f64 v[107:108], v[139:140], v[107:108], v[115:116]
	s_waitcnt vmcnt(17)
	v_fma_f64 v[107:108], v[137:138], v[109:110], v[107:108]
	buffer_load_dword v116, off, s[0:3], 0 offset:348
	buffer_load_dword v129, off, s[0:3], 0 offset:368
	buffer_load_dword v137, off, s[0:3], 0 offset:360
	buffer_load_dword v139, off, s[0:3], 0 offset:352
	buffer_load_dword v115, off, s[0:3], 0 offset:344
	buffer_load_dword v140, off, s[0:3], 0 offset:356
	buffer_load_dword v138, off, s[0:3], 0 offset:364
	buffer_load_dword v130, off, s[0:3], 0 offset:372
	s_waitcnt vmcnt(24) lgkmcnt(0)
	v_fma_f64 v[107:108], v[131:132], v[111:112], v[107:108]
	s_waitcnt vmcnt(19)
	v_fma_f64 v[117:118], v[117:118], v[113:114], v[107:108]
	ds_read_b128 v[107:110], v106 offset:704
	ds_read_b128 v[111:114], v106 offset:720
	s_waitcnt vmcnt(18) lgkmcnt(1)
	v_fma_f64 v[107:108], v[125:126], v[107:108], v[117:118]
	;; [unrolled: 18-line block ×3, first 2 shown]
	buffer_load_dword v120, off, s[0:3], 0 offset:412
	buffer_load_dword v119, off, s[0:3], 0 offset:408
	;; [unrolled: 1-line block ×4, first 2 shown]
	s_waitcnt vmcnt(21)
	v_fma_f64 v[107:108], v[133:134], v[109:110], v[107:108]
	s_waitcnt vmcnt(20) lgkmcnt(0)
	v_fma_f64 v[107:108], v[127:128], v[111:112], v[107:108]
	s_waitcnt vmcnt(15)
	v_fma_f64 v[115:116], v[115:116], v[113:114], v[107:108]
	ds_read_b128 v[107:110], v106 offset:768
	ds_read_b128 v[111:114], v106 offset:784
	s_waitcnt vmcnt(14) lgkmcnt(1)
	v_fma_f64 v[107:108], v[139:140], v[107:108], v[115:116]
	s_waitcnt vmcnt(13)
	v_fma_f64 v[107:108], v[137:138], v[109:110], v[107:108]
	s_waitcnt vmcnt(12) lgkmcnt(0)
	v_fma_f64 v[107:108], v[129:130], v[111:112], v[107:108]
	s_waitcnt vmcnt(7)
	v_fma_f64 v[115:116], v[117:118], v[113:114], v[107:108]
	ds_read_b128 v[107:110], v106 offset:800
	ds_read_b128 v[111:114], v106 offset:816
	s_waitcnt vmcnt(6) lgkmcnt(1)
	v_fma_f64 v[106:107], v[131:132], v[107:108], v[115:116]
	s_waitcnt vmcnt(5)
	v_fma_f64 v[106:107], v[125:126], v[109:110], v[106:107]
	s_waitcnt vmcnt(4) lgkmcnt(0)
	v_fma_f64 v[106:107], v[123:124], v[111:112], v[106:107]
	s_waitcnt vmcnt(2)
	v_fma_f64 v[106:107], v[119:120], v[113:114], v[106:107]
	s_waitcnt vmcnt(0)
	v_add_f64 v[106:107], v[121:122], -v[106:107]
	buffer_store_dword v107, off, s[0:3], 0 offset:60
	buffer_store_dword v106, off, s[0:3], 0 offset:56
	s_and_saveexec_b64 s[4:5], vcc
	s_cbranch_execz .LBB115_307
; %bb.306:
	buffer_load_dword v106, off, s[0:3], 0 offset:48
	buffer_load_dword v107, off, s[0:3], 0 offset:52
	v_mov_b32_e32 v108, 0
	buffer_store_dword v108, off, s[0:3], 0 offset:48
	buffer_store_dword v108, off, s[0:3], 0 offset:52
	s_waitcnt vmcnt(2)
	ds_write_b64 v105, v[106:107]
.LBB115_307:
	s_or_b64 exec, exec, s[4:5]
	s_waitcnt lgkmcnt(0)
	; wave barrier
	buffer_load_dword v115, off, s[0:3], 0 offset:56
	buffer_load_dword v116, off, s[0:3], 0 offset:60
	;; [unrolled: 1-line block ×21, first 2 shown]
	v_mov_b32_e32 v106, 0
	ds_read2_b64 v[107:110], v106 offset0:59 offset1:60
	ds_read2_b64 v[111:114], v106 offset0:61 offset1:62
	buffer_load_dword v132, off, s[0:3], 0 offset:140
	v_cmp_lt_u32_e32 vcc, 5, v0
	s_waitcnt vmcnt(20) lgkmcnt(1)
	v_fma_f64 v[107:108], v[115:116], v[107:108], 0
	s_waitcnt vmcnt(18)
	v_fma_f64 v[107:108], v[117:118], v[109:110], v[107:108]
	buffer_load_dword v116, off, s[0:3], 0 offset:148
	buffer_load_dword v117, off, s[0:3], 0 offset:168
	;; [unrolled: 1-line block ×7, first 2 shown]
	s_waitcnt vmcnt(23) lgkmcnt(0)
	v_fma_f64 v[107:108], v[119:120], v[111:112], v[107:108]
	s_waitcnt vmcnt(21)
	v_fma_f64 v[118:119], v[121:122], v[113:114], v[107:108]
	ds_read2_b64 v[107:110], v106 offset0:63 offset1:64
	ds_read2_b64 v[111:114], v106 offset0:65 offset1:66
	s_waitcnt vmcnt(19) lgkmcnt(1)
	v_fma_f64 v[107:108], v[123:124], v[107:108], v[118:119]
	buffer_load_dword v118, off, s[0:3], 0 offset:172
	s_waitcnt vmcnt(18)
	v_fma_f64 v[107:108], v[125:126], v[109:110], v[107:108]
	buffer_load_dword v120, off, s[0:3], 0 offset:180
	buffer_load_dword v121, off, s[0:3], 0 offset:200
	;; [unrolled: 1-line block ×7, first 2 shown]
	s_waitcnt vmcnt(23) lgkmcnt(0)
	v_fma_f64 v[107:108], v[127:128], v[111:112], v[107:108]
	s_waitcnt vmcnt(18)
	v_fma_f64 v[127:128], v[129:130], v[113:114], v[107:108]
	ds_read2_b64 v[107:110], v106 offset0:67 offset1:68
	ds_read2_b64 v[111:114], v106 offset0:69 offset1:70
	buffer_load_dword v122, off, s[0:3], 0 offset:204
	s_waitcnt vmcnt(18) lgkmcnt(1)
	v_fma_f64 v[107:108], v[135:136], v[107:108], v[127:128]
	s_waitcnt vmcnt(17)
	v_fma_f64 v[107:108], v[133:134], v[109:110], v[107:108]
	buffer_load_dword v128, off, s[0:3], 0 offset:212
	buffer_load_dword v129, off, s[0:3], 0 offset:232
	;; [unrolled: 1-line block ×7, first 2 shown]
	s_waitcnt vmcnt(23) lgkmcnt(0)
	v_fma_f64 v[107:108], v[131:132], v[111:112], v[107:108]
	s_waitcnt vmcnt(18)
	v_fma_f64 v[115:116], v[115:116], v[113:114], v[107:108]
	ds_read2_b64 v[107:110], v106 offset0:71 offset1:72
	ds_read2_b64 v[111:114], v106 offset0:73 offset1:74
	buffer_load_dword v130, off, s[0:3], 0 offset:236
	s_waitcnt vmcnt(18) lgkmcnt(1)
	v_fma_f64 v[107:108], v[139:140], v[107:108], v[115:116]
	s_waitcnt vmcnt(17)
	v_fma_f64 v[107:108], v[137:138], v[109:110], v[107:108]
	buffer_load_dword v116, off, s[0:3], 0 offset:244
	buffer_load_dword v131, off, s[0:3], 0 offset:264
	;; [unrolled: 1-line block ×8, first 2 shown]
	s_waitcnt vmcnt(24) lgkmcnt(0)
	v_fma_f64 v[107:108], v[117:118], v[111:112], v[107:108]
	s_waitcnt vmcnt(19)
	v_fma_f64 v[117:118], v[119:120], v[113:114], v[107:108]
	ds_read2_b64 v[107:110], v106 offset0:75 offset1:76
	ds_read2_b64 v[111:114], v106 offset0:77 offset1:78
	s_waitcnt vmcnt(18) lgkmcnt(1)
	v_fma_f64 v[107:108], v[125:126], v[107:108], v[117:118]
	s_waitcnt vmcnt(17)
	v_fma_f64 v[107:108], v[123:124], v[109:110], v[107:108]
	buffer_load_dword v118, off, s[0:3], 0 offset:276
	buffer_load_dword v119, off, s[0:3], 0 offset:296
	;; [unrolled: 1-line block ×7, first 2 shown]
	s_waitcnt vmcnt(23) lgkmcnt(0)
	v_fma_f64 v[107:108], v[121:122], v[111:112], v[107:108]
	s_waitcnt vmcnt(18)
	v_fma_f64 v[120:121], v[127:128], v[113:114], v[107:108]
	ds_read2_b64 v[107:110], v106 offset0:79 offset1:80
	ds_read2_b64 v[111:114], v106 offset0:81 offset1:82
	s_waitcnt vmcnt(17) lgkmcnt(1)
	v_fma_f64 v[107:108], v[135:136], v[107:108], v[120:121]
	buffer_load_dword v120, off, s[0:3], 0 offset:300
	s_waitcnt vmcnt(17)
	v_fma_f64 v[107:108], v[133:134], v[109:110], v[107:108]
	buffer_load_dword v122, off, s[0:3], 0 offset:308
	buffer_load_dword v127, off, s[0:3], 0 offset:328
	;; [unrolled: 1-line block ×7, first 2 shown]
	s_waitcnt vmcnt(23) lgkmcnt(0)
	v_fma_f64 v[107:108], v[129:130], v[111:112], v[107:108]
	s_waitcnt vmcnt(18)
	v_fma_f64 v[115:116], v[115:116], v[113:114], v[107:108]
	ds_read2_b64 v[107:110], v106 offset0:83 offset1:84
	ds_read2_b64 v[111:114], v106 offset0:85 offset1:86
	buffer_load_dword v128, off, s[0:3], 0 offset:332
	s_waitcnt vmcnt(18) lgkmcnt(1)
	v_fma_f64 v[107:108], v[139:140], v[107:108], v[115:116]
	s_waitcnt vmcnt(17)
	v_fma_f64 v[107:108], v[137:138], v[109:110], v[107:108]
	buffer_load_dword v116, off, s[0:3], 0 offset:340
	buffer_load_dword v129, off, s[0:3], 0 offset:360
	;; [unrolled: 1-line block ×8, first 2 shown]
	s_waitcnt vmcnt(24) lgkmcnt(0)
	v_fma_f64 v[107:108], v[131:132], v[111:112], v[107:108]
	s_waitcnt vmcnt(19)
	v_fma_f64 v[117:118], v[117:118], v[113:114], v[107:108]
	ds_read2_b64 v[107:110], v106 offset0:87 offset1:88
	ds_read2_b64 v[111:114], v106 offset0:89 offset1:90
	s_waitcnt vmcnt(18) lgkmcnt(1)
	v_fma_f64 v[107:108], v[125:126], v[107:108], v[117:118]
	s_waitcnt vmcnt(17)
	v_fma_f64 v[107:108], v[123:124], v[109:110], v[107:108]
	buffer_load_dword v118, off, s[0:3], 0 offset:372
	buffer_load_dword v123, off, s[0:3], 0 offset:392
	;; [unrolled: 1-line block ×7, first 2 shown]
	s_waitcnt vmcnt(23) lgkmcnt(0)
	v_fma_f64 v[107:108], v[119:120], v[111:112], v[107:108]
	s_waitcnt vmcnt(18)
	v_fma_f64 v[119:120], v[121:122], v[113:114], v[107:108]
	ds_read2_b64 v[107:110], v106 offset0:91 offset1:92
	ds_read2_b64 v[111:114], v106 offset0:93 offset1:94
	buffer_load_dword v124, off, s[0:3], 0 offset:396
	s_waitcnt vmcnt(18) lgkmcnt(1)
	v_fma_f64 v[107:108], v[135:136], v[107:108], v[119:120]
	buffer_load_dword v120, off, s[0:3], 0 offset:404
	buffer_load_dword v121, off, s[0:3], 0 offset:408
	;; [unrolled: 1-line block ×4, first 2 shown]
	s_waitcnt vmcnt(21)
	v_fma_f64 v[107:108], v[133:134], v[109:110], v[107:108]
	s_waitcnt vmcnt(20) lgkmcnt(0)
	v_fma_f64 v[107:108], v[127:128], v[111:112], v[107:108]
	buffer_load_dword v127, off, s[0:3], 0 offset:48
	buffer_load_dword v128, off, s[0:3], 0 offset:52
	s_waitcnt vmcnt(17)
	v_fma_f64 v[115:116], v[115:116], v[113:114], v[107:108]
	ds_read2_b64 v[107:110], v106 offset0:95 offset1:96
	ds_read2_b64 v[111:114], v106 offset0:97 offset1:98
	s_waitcnt vmcnt(16) lgkmcnt(1)
	v_fma_f64 v[107:108], v[139:140], v[107:108], v[115:116]
	s_waitcnt vmcnt(15)
	v_fma_f64 v[107:108], v[137:138], v[109:110], v[107:108]
	s_waitcnt vmcnt(14) lgkmcnt(0)
	v_fma_f64 v[107:108], v[129:130], v[111:112], v[107:108]
	s_waitcnt vmcnt(9)
	v_fma_f64 v[115:116], v[117:118], v[113:114], v[107:108]
	ds_read2_b64 v[107:110], v106 offset0:99 offset1:100
	ds_read2_b64 v[111:114], v106 offset0:101 offset1:102
	s_waitcnt vmcnt(8) lgkmcnt(1)
	v_fma_f64 v[107:108], v[131:132], v[107:108], v[115:116]
	s_waitcnt vmcnt(7)
	v_fma_f64 v[107:108], v[125:126], v[109:110], v[107:108]
	ds_read_b64 v[109:110], v106 offset:824
	s_waitcnt vmcnt(6) lgkmcnt(1)
	v_fma_f64 v[107:108], v[123:124], v[111:112], v[107:108]
	s_waitcnt vmcnt(3)
	v_fma_f64 v[107:108], v[119:120], v[113:114], v[107:108]
	s_waitcnt vmcnt(2) lgkmcnt(0)
	v_fma_f64 v[107:108], v[121:122], v[109:110], v[107:108]
	s_waitcnt vmcnt(0)
	v_add_f64 v[107:108], v[127:128], -v[107:108]
	buffer_store_dword v108, off, s[0:3], 0 offset:52
	buffer_store_dword v107, off, s[0:3], 0 offset:48
	s_and_saveexec_b64 s[4:5], vcc
	s_cbranch_execz .LBB115_309
; %bb.308:
	buffer_load_dword v107, off, s[0:3], 0 offset:40
	buffer_load_dword v108, off, s[0:3], 0 offset:44
	s_waitcnt vmcnt(0)
	ds_write_b64 v105, v[107:108]
	buffer_store_dword v106, off, s[0:3], 0 offset:40
	buffer_store_dword v106, off, s[0:3], 0 offset:44
.LBB115_309:
	s_or_b64 exec, exec, s[4:5]
	s_waitcnt lgkmcnt(0)
	; wave barrier
	buffer_load_dword v115, off, s[0:3], 0 offset:48
	buffer_load_dword v116, off, s[0:3], 0 offset:52
	;; [unrolled: 1-line block ×21, first 2 shown]
	ds_read_b128 v[107:110], v106 offset:464
	ds_read_b128 v[111:114], v106 offset:480
	buffer_load_dword v132, off, s[0:3], 0 offset:132
	v_cmp_lt_u32_e32 vcc, 4, v0
	s_waitcnt vmcnt(20) lgkmcnt(1)
	v_fma_f64 v[107:108], v[115:116], v[107:108], 0
	s_waitcnt vmcnt(18)
	v_fma_f64 v[107:108], v[117:118], v[109:110], v[107:108]
	buffer_load_dword v116, off, s[0:3], 0 offset:140
	buffer_load_dword v117, off, s[0:3], 0 offset:160
	;; [unrolled: 1-line block ×7, first 2 shown]
	s_waitcnt vmcnt(23) lgkmcnt(0)
	v_fma_f64 v[107:108], v[119:120], v[111:112], v[107:108]
	s_waitcnt vmcnt(21)
	v_fma_f64 v[118:119], v[121:122], v[113:114], v[107:108]
	ds_read_b128 v[107:110], v106 offset:496
	ds_read_b128 v[111:114], v106 offset:512
	s_waitcnt vmcnt(19) lgkmcnt(1)
	v_fma_f64 v[107:108], v[123:124], v[107:108], v[118:119]
	buffer_load_dword v118, off, s[0:3], 0 offset:164
	s_waitcnt vmcnt(18)
	v_fma_f64 v[107:108], v[125:126], v[109:110], v[107:108]
	buffer_load_dword v120, off, s[0:3], 0 offset:172
	buffer_load_dword v121, off, s[0:3], 0 offset:192
	;; [unrolled: 1-line block ×8, first 2 shown]
	s_waitcnt vmcnt(24) lgkmcnt(0)
	v_fma_f64 v[107:108], v[127:128], v[111:112], v[107:108]
	s_waitcnt vmcnt(19)
	v_fma_f64 v[127:128], v[129:130], v[113:114], v[107:108]
	ds_read_b128 v[107:110], v106 offset:528
	ds_read_b128 v[111:114], v106 offset:544
	s_waitcnt vmcnt(18) lgkmcnt(1)
	v_fma_f64 v[107:108], v[135:136], v[107:108], v[127:128]
	s_waitcnt vmcnt(17)
	v_fma_f64 v[107:108], v[133:134], v[109:110], v[107:108]
	buffer_load_dword v128, off, s[0:3], 0 offset:204
	buffer_load_dword v129, off, s[0:3], 0 offset:224
	;; [unrolled: 1-line block ×7, first 2 shown]
	s_waitcnt vmcnt(23) lgkmcnt(0)
	v_fma_f64 v[107:108], v[131:132], v[111:112], v[107:108]
	s_waitcnt vmcnt(18)
	v_fma_f64 v[115:116], v[115:116], v[113:114], v[107:108]
	ds_read_b128 v[107:110], v106 offset:560
	ds_read_b128 v[111:114], v106 offset:576
	buffer_load_dword v130, off, s[0:3], 0 offset:228
	s_waitcnt vmcnt(18) lgkmcnt(1)
	v_fma_f64 v[107:108], v[139:140], v[107:108], v[115:116]
	s_waitcnt vmcnt(17)
	v_fma_f64 v[107:108], v[137:138], v[109:110], v[107:108]
	buffer_load_dword v116, off, s[0:3], 0 offset:236
	buffer_load_dword v131, off, s[0:3], 0 offset:256
	;; [unrolled: 1-line block ×8, first 2 shown]
	s_waitcnt vmcnt(24) lgkmcnt(0)
	v_fma_f64 v[107:108], v[117:118], v[111:112], v[107:108]
	s_waitcnt vmcnt(19)
	v_fma_f64 v[117:118], v[119:120], v[113:114], v[107:108]
	ds_read_b128 v[107:110], v106 offset:592
	ds_read_b128 v[111:114], v106 offset:608
	s_waitcnt vmcnt(18) lgkmcnt(1)
	v_fma_f64 v[107:108], v[125:126], v[107:108], v[117:118]
	s_waitcnt vmcnt(17)
	v_fma_f64 v[107:108], v[123:124], v[109:110], v[107:108]
	buffer_load_dword v118, off, s[0:3], 0 offset:268
	buffer_load_dword v119, off, s[0:3], 0 offset:288
	;; [unrolled: 1-line block ×7, first 2 shown]
	s_waitcnt vmcnt(23) lgkmcnt(0)
	v_fma_f64 v[107:108], v[121:122], v[111:112], v[107:108]
	s_waitcnt vmcnt(18)
	v_fma_f64 v[120:121], v[127:128], v[113:114], v[107:108]
	ds_read_b128 v[107:110], v106 offset:624
	ds_read_b128 v[111:114], v106 offset:640
	s_waitcnt vmcnt(17) lgkmcnt(1)
	v_fma_f64 v[107:108], v[135:136], v[107:108], v[120:121]
	buffer_load_dword v120, off, s[0:3], 0 offset:292
	s_waitcnt vmcnt(17)
	v_fma_f64 v[107:108], v[133:134], v[109:110], v[107:108]
	buffer_load_dword v122, off, s[0:3], 0 offset:300
	buffer_load_dword v127, off, s[0:3], 0 offset:320
	;; [unrolled: 1-line block ×7, first 2 shown]
	s_waitcnt vmcnt(23) lgkmcnt(0)
	v_fma_f64 v[107:108], v[129:130], v[111:112], v[107:108]
	s_waitcnt vmcnt(18)
	v_fma_f64 v[115:116], v[115:116], v[113:114], v[107:108]
	ds_read_b128 v[107:110], v106 offset:656
	ds_read_b128 v[111:114], v106 offset:672
	buffer_load_dword v128, off, s[0:3], 0 offset:324
	s_waitcnt vmcnt(18) lgkmcnt(1)
	v_fma_f64 v[107:108], v[139:140], v[107:108], v[115:116]
	s_waitcnt vmcnt(17)
	v_fma_f64 v[107:108], v[137:138], v[109:110], v[107:108]
	buffer_load_dword v116, off, s[0:3], 0 offset:332
	buffer_load_dword v129, off, s[0:3], 0 offset:352
	;; [unrolled: 1-line block ×8, first 2 shown]
	s_waitcnt vmcnt(24) lgkmcnt(0)
	v_fma_f64 v[107:108], v[131:132], v[111:112], v[107:108]
	s_waitcnt vmcnt(19)
	v_fma_f64 v[117:118], v[117:118], v[113:114], v[107:108]
	ds_read_b128 v[107:110], v106 offset:688
	ds_read_b128 v[111:114], v106 offset:704
	s_waitcnt vmcnt(18) lgkmcnt(1)
	v_fma_f64 v[107:108], v[125:126], v[107:108], v[117:118]
	s_waitcnt vmcnt(17)
	v_fma_f64 v[107:108], v[123:124], v[109:110], v[107:108]
	buffer_load_dword v118, off, s[0:3], 0 offset:364
	buffer_load_dword v123, off, s[0:3], 0 offset:384
	;; [unrolled: 1-line block ×8, first 2 shown]
	s_waitcnt vmcnt(24) lgkmcnt(0)
	v_fma_f64 v[107:108], v[119:120], v[111:112], v[107:108]
	s_waitcnt vmcnt(19)
	v_fma_f64 v[119:120], v[121:122], v[113:114], v[107:108]
	ds_read_b128 v[107:110], v106 offset:720
	ds_read_b128 v[111:114], v106 offset:736
	s_waitcnt vmcnt(18) lgkmcnt(1)
	v_fma_f64 v[107:108], v[135:136], v[107:108], v[119:120]
	s_waitcnt vmcnt(17)
	v_fma_f64 v[107:108], v[133:134], v[109:110], v[107:108]
	buffer_load_dword v120, off, s[0:3], 0 offset:396
	buffer_load_dword v121, off, s[0:3], 0 offset:408
	;; [unrolled: 1-line block ×6, first 2 shown]
	s_waitcnt vmcnt(22) lgkmcnt(0)
	v_fma_f64 v[107:108], v[127:128], v[111:112], v[107:108]
	s_waitcnt vmcnt(17)
	v_fma_f64 v[115:116], v[115:116], v[113:114], v[107:108]
	ds_read_b128 v[107:110], v106 offset:752
	buffer_load_dword v127, off, s[0:3], 0 offset:40
	buffer_load_dword v128, off, s[0:3], 0 offset:44
	ds_read_b128 v[111:114], v106 offset:768
	s_waitcnt vmcnt(18) lgkmcnt(1)
	v_fma_f64 v[107:108], v[139:140], v[107:108], v[115:116]
	s_waitcnt vmcnt(17)
	v_fma_f64 v[107:108], v[137:138], v[109:110], v[107:108]
	s_waitcnt vmcnt(16) lgkmcnt(0)
	v_fma_f64 v[107:108], v[129:130], v[111:112], v[107:108]
	s_waitcnt vmcnt(11)
	v_fma_f64 v[115:116], v[117:118], v[113:114], v[107:108]
	ds_read_b128 v[107:110], v106 offset:784
	ds_read_b128 v[111:114], v106 offset:800
	s_waitcnt vmcnt(10) lgkmcnt(1)
	v_fma_f64 v[107:108], v[131:132], v[107:108], v[115:116]
	s_waitcnt vmcnt(9)
	v_fma_f64 v[107:108], v[125:126], v[109:110], v[107:108]
	s_waitcnt vmcnt(8) lgkmcnt(0)
	v_fma_f64 v[107:108], v[123:124], v[111:112], v[107:108]
	s_waitcnt vmcnt(4)
	v_fma_f64 v[110:111], v[119:120], v[113:114], v[107:108]
	ds_read_b128 v[106:109], v106 offset:816
	s_waitcnt vmcnt(3) lgkmcnt(0)
	v_fma_f64 v[106:107], v[133:134], v[106:107], v[110:111]
	s_waitcnt vmcnt(2)
	v_fma_f64 v[106:107], v[121:122], v[108:109], v[106:107]
	s_waitcnt vmcnt(0)
	v_add_f64 v[106:107], v[127:128], -v[106:107]
	buffer_store_dword v107, off, s[0:3], 0 offset:44
	buffer_store_dword v106, off, s[0:3], 0 offset:40
	s_and_saveexec_b64 s[4:5], vcc
	s_cbranch_execz .LBB115_311
; %bb.310:
	buffer_load_dword v106, off, s[0:3], 0 offset:32
	buffer_load_dword v107, off, s[0:3], 0 offset:36
	v_mov_b32_e32 v108, 0
	buffer_store_dword v108, off, s[0:3], 0 offset:32
	buffer_store_dword v108, off, s[0:3], 0 offset:36
	s_waitcnt vmcnt(2)
	ds_write_b64 v105, v[106:107]
.LBB115_311:
	s_or_b64 exec, exec, s[4:5]
	s_waitcnt lgkmcnt(0)
	; wave barrier
	buffer_load_dword v115, off, s[0:3], 0 offset:40
	buffer_load_dword v116, off, s[0:3], 0 offset:44
	;; [unrolled: 1-line block ×21, first 2 shown]
	v_mov_b32_e32 v106, 0
	ds_read2_b64 v[107:110], v106 offset0:57 offset1:58
	ds_read2_b64 v[111:114], v106 offset0:59 offset1:60
	buffer_load_dword v132, off, s[0:3], 0 offset:124
	v_cmp_lt_u32_e32 vcc, 3, v0
	s_waitcnt vmcnt(20) lgkmcnt(1)
	v_fma_f64 v[107:108], v[115:116], v[107:108], 0
	s_waitcnt vmcnt(18)
	v_fma_f64 v[107:108], v[117:118], v[109:110], v[107:108]
	buffer_load_dword v116, off, s[0:3], 0 offset:132
	buffer_load_dword v117, off, s[0:3], 0 offset:152
	buffer_load_dword v137, off, s[0:3], 0 offset:144
	buffer_load_dword v139, off, s[0:3], 0 offset:136
	buffer_load_dword v115, off, s[0:3], 0 offset:128
	buffer_load_dword v140, off, s[0:3], 0 offset:140
	buffer_load_dword v138, off, s[0:3], 0 offset:148
	s_waitcnt vmcnt(23) lgkmcnt(0)
	v_fma_f64 v[107:108], v[119:120], v[111:112], v[107:108]
	s_waitcnt vmcnt(21)
	v_fma_f64 v[118:119], v[121:122], v[113:114], v[107:108]
	ds_read2_b64 v[107:110], v106 offset0:61 offset1:62
	ds_read2_b64 v[111:114], v106 offset0:63 offset1:64
	s_waitcnt vmcnt(19) lgkmcnt(1)
	v_fma_f64 v[107:108], v[123:124], v[107:108], v[118:119]
	buffer_load_dword v118, off, s[0:3], 0 offset:156
	s_waitcnt vmcnt(18)
	v_fma_f64 v[107:108], v[125:126], v[109:110], v[107:108]
	buffer_load_dword v120, off, s[0:3], 0 offset:164
	buffer_load_dword v121, off, s[0:3], 0 offset:184
	;; [unrolled: 1-line block ×8, first 2 shown]
	s_waitcnt vmcnt(24) lgkmcnt(0)
	v_fma_f64 v[107:108], v[127:128], v[111:112], v[107:108]
	s_waitcnt vmcnt(19)
	v_fma_f64 v[127:128], v[129:130], v[113:114], v[107:108]
	ds_read2_b64 v[107:110], v106 offset0:65 offset1:66
	ds_read2_b64 v[111:114], v106 offset0:67 offset1:68
	s_waitcnt vmcnt(18) lgkmcnt(1)
	v_fma_f64 v[107:108], v[135:136], v[107:108], v[127:128]
	s_waitcnt vmcnt(17)
	v_fma_f64 v[107:108], v[133:134], v[109:110], v[107:108]
	buffer_load_dword v128, off, s[0:3], 0 offset:196
	buffer_load_dword v129, off, s[0:3], 0 offset:216
	;; [unrolled: 1-line block ×7, first 2 shown]
	s_waitcnt vmcnt(23) lgkmcnt(0)
	v_fma_f64 v[107:108], v[131:132], v[111:112], v[107:108]
	s_waitcnt vmcnt(18)
	v_fma_f64 v[115:116], v[115:116], v[113:114], v[107:108]
	ds_read2_b64 v[107:110], v106 offset0:69 offset1:70
	ds_read2_b64 v[111:114], v106 offset0:71 offset1:72
	buffer_load_dword v130, off, s[0:3], 0 offset:220
	s_waitcnt vmcnt(18) lgkmcnt(1)
	v_fma_f64 v[107:108], v[139:140], v[107:108], v[115:116]
	s_waitcnt vmcnt(17)
	v_fma_f64 v[107:108], v[137:138], v[109:110], v[107:108]
	buffer_load_dword v116, off, s[0:3], 0 offset:228
	buffer_load_dword v131, off, s[0:3], 0 offset:248
	;; [unrolled: 1-line block ×8, first 2 shown]
	s_waitcnt vmcnt(24) lgkmcnt(0)
	v_fma_f64 v[107:108], v[117:118], v[111:112], v[107:108]
	s_waitcnt vmcnt(19)
	v_fma_f64 v[117:118], v[119:120], v[113:114], v[107:108]
	ds_read2_b64 v[107:110], v106 offset0:73 offset1:74
	ds_read2_b64 v[111:114], v106 offset0:75 offset1:76
	s_waitcnt vmcnt(18) lgkmcnt(1)
	v_fma_f64 v[107:108], v[125:126], v[107:108], v[117:118]
	s_waitcnt vmcnt(17)
	v_fma_f64 v[107:108], v[123:124], v[109:110], v[107:108]
	buffer_load_dword v118, off, s[0:3], 0 offset:260
	buffer_load_dword v119, off, s[0:3], 0 offset:280
	;; [unrolled: 1-line block ×7, first 2 shown]
	s_waitcnt vmcnt(23) lgkmcnt(0)
	v_fma_f64 v[107:108], v[121:122], v[111:112], v[107:108]
	s_waitcnt vmcnt(18)
	v_fma_f64 v[120:121], v[127:128], v[113:114], v[107:108]
	ds_read2_b64 v[107:110], v106 offset0:77 offset1:78
	ds_read2_b64 v[111:114], v106 offset0:79 offset1:80
	s_waitcnt vmcnt(17) lgkmcnt(1)
	v_fma_f64 v[107:108], v[135:136], v[107:108], v[120:121]
	buffer_load_dword v120, off, s[0:3], 0 offset:284
	s_waitcnt vmcnt(17)
	v_fma_f64 v[107:108], v[133:134], v[109:110], v[107:108]
	buffer_load_dword v122, off, s[0:3], 0 offset:292
	buffer_load_dword v127, off, s[0:3], 0 offset:312
	;; [unrolled: 1-line block ×7, first 2 shown]
	s_waitcnt vmcnt(23) lgkmcnt(0)
	v_fma_f64 v[107:108], v[129:130], v[111:112], v[107:108]
	s_waitcnt vmcnt(18)
	v_fma_f64 v[115:116], v[115:116], v[113:114], v[107:108]
	ds_read2_b64 v[107:110], v106 offset0:81 offset1:82
	ds_read2_b64 v[111:114], v106 offset0:83 offset1:84
	buffer_load_dword v128, off, s[0:3], 0 offset:316
	s_waitcnt vmcnt(18) lgkmcnt(1)
	v_fma_f64 v[107:108], v[139:140], v[107:108], v[115:116]
	s_waitcnt vmcnt(17)
	v_fma_f64 v[107:108], v[137:138], v[109:110], v[107:108]
	buffer_load_dword v116, off, s[0:3], 0 offset:324
	buffer_load_dword v129, off, s[0:3], 0 offset:344
	buffer_load_dword v137, off, s[0:3], 0 offset:336
	buffer_load_dword v139, off, s[0:3], 0 offset:328
	buffer_load_dword v115, off, s[0:3], 0 offset:320
	buffer_load_dword v140, off, s[0:3], 0 offset:332
	buffer_load_dword v138, off, s[0:3], 0 offset:340
	buffer_load_dword v130, off, s[0:3], 0 offset:348
	s_waitcnt vmcnt(24) lgkmcnt(0)
	v_fma_f64 v[107:108], v[131:132], v[111:112], v[107:108]
	s_waitcnt vmcnt(19)
	v_fma_f64 v[117:118], v[117:118], v[113:114], v[107:108]
	ds_read2_b64 v[107:110], v106 offset0:85 offset1:86
	ds_read2_b64 v[111:114], v106 offset0:87 offset1:88
	s_waitcnt vmcnt(18) lgkmcnt(1)
	v_fma_f64 v[107:108], v[125:126], v[107:108], v[117:118]
	s_waitcnt vmcnt(17)
	v_fma_f64 v[107:108], v[123:124], v[109:110], v[107:108]
	buffer_load_dword v118, off, s[0:3], 0 offset:356
	buffer_load_dword v123, off, s[0:3], 0 offset:376
	buffer_load_dword v125, off, s[0:3], 0 offset:368
	buffer_load_dword v131, off, s[0:3], 0 offset:360
	buffer_load_dword v117, off, s[0:3], 0 offset:352
	buffer_load_dword v132, off, s[0:3], 0 offset:364
	buffer_load_dword v126, off, s[0:3], 0 offset:372
	buffer_load_dword v124, off, s[0:3], 0 offset:380
	s_waitcnt vmcnt(24) lgkmcnt(0)
	v_fma_f64 v[107:108], v[119:120], v[111:112], v[107:108]
	s_waitcnt vmcnt(19)
	v_fma_f64 v[119:120], v[121:122], v[113:114], v[107:108]
	ds_read2_b64 v[107:110], v106 offset0:89 offset1:90
	ds_read2_b64 v[111:114], v106 offset0:91 offset1:92
	;; [unrolled: 18-line block ×3, first 2 shown]
	s_waitcnt vmcnt(18) lgkmcnt(1)
	v_fma_f64 v[107:108], v[139:140], v[107:108], v[115:116]
	buffer_load_dword v115, off, s[0:3], 0 offset:32
	buffer_load_dword v116, off, s[0:3], 0 offset:36
	s_waitcnt vmcnt(19)
	v_fma_f64 v[107:108], v[137:138], v[109:110], v[107:108]
	s_waitcnt vmcnt(18) lgkmcnt(0)
	v_fma_f64 v[107:108], v[129:130], v[111:112], v[107:108]
	s_waitcnt vmcnt(13)
	v_fma_f64 v[117:118], v[117:118], v[113:114], v[107:108]
	ds_read2_b64 v[107:110], v106 offset0:97 offset1:98
	ds_read2_b64 v[111:114], v106 offset0:99 offset1:100
	s_waitcnt vmcnt(12) lgkmcnt(1)
	v_fma_f64 v[107:108], v[131:132], v[107:108], v[117:118]
	s_waitcnt vmcnt(11)
	v_fma_f64 v[107:108], v[125:126], v[109:110], v[107:108]
	s_waitcnt vmcnt(10) lgkmcnt(0)
	v_fma_f64 v[107:108], v[123:124], v[111:112], v[107:108]
	s_waitcnt vmcnt(5)
	v_fma_f64 v[111:112], v[119:120], v[113:114], v[107:108]
	ds_read2_b64 v[107:110], v106 offset0:101 offset1:102
	ds_read_b64 v[113:114], v106 offset:824
	s_waitcnt vmcnt(4) lgkmcnt(1)
	v_fma_f64 v[107:108], v[135:136], v[107:108], v[111:112]
	s_waitcnt vmcnt(3)
	v_fma_f64 v[107:108], v[133:134], v[109:110], v[107:108]
	s_waitcnt vmcnt(2) lgkmcnt(0)
	v_fma_f64 v[107:108], v[121:122], v[113:114], v[107:108]
	s_waitcnt vmcnt(0)
	v_add_f64 v[107:108], v[115:116], -v[107:108]
	buffer_store_dword v108, off, s[0:3], 0 offset:36
	buffer_store_dword v107, off, s[0:3], 0 offset:32
	s_and_saveexec_b64 s[4:5], vcc
	s_cbranch_execz .LBB115_313
; %bb.312:
	buffer_load_dword v107, off, s[0:3], 0 offset:24
	buffer_load_dword v108, off, s[0:3], 0 offset:28
	s_waitcnt vmcnt(0)
	ds_write_b64 v105, v[107:108]
	buffer_store_dword v106, off, s[0:3], 0 offset:24
	buffer_store_dword v106, off, s[0:3], 0 offset:28
.LBB115_313:
	s_or_b64 exec, exec, s[4:5]
	s_waitcnt lgkmcnt(0)
	; wave barrier
	buffer_load_dword v115, off, s[0:3], 0 offset:32
	buffer_load_dword v116, off, s[0:3], 0 offset:36
	;; [unrolled: 1-line block ×21, first 2 shown]
	ds_read_b128 v[107:110], v106 offset:448
	ds_read_b128 v[111:114], v106 offset:464
	buffer_load_dword v132, off, s[0:3], 0 offset:116
	v_cmp_lt_u32_e32 vcc, 2, v0
	s_waitcnt vmcnt(20) lgkmcnt(1)
	v_fma_f64 v[107:108], v[115:116], v[107:108], 0
	s_waitcnt vmcnt(18)
	v_fma_f64 v[107:108], v[117:118], v[109:110], v[107:108]
	buffer_load_dword v116, off, s[0:3], 0 offset:124
	buffer_load_dword v117, off, s[0:3], 0 offset:144
	buffer_load_dword v137, off, s[0:3], 0 offset:136
	buffer_load_dword v139, off, s[0:3], 0 offset:128
	buffer_load_dword v115, off, s[0:3], 0 offset:120
	buffer_load_dword v140, off, s[0:3], 0 offset:132
	buffer_load_dword v138, off, s[0:3], 0 offset:140
	s_waitcnt vmcnt(23) lgkmcnt(0)
	v_fma_f64 v[107:108], v[119:120], v[111:112], v[107:108]
	s_waitcnt vmcnt(21)
	v_fma_f64 v[118:119], v[121:122], v[113:114], v[107:108]
	ds_read_b128 v[107:110], v106 offset:480
	ds_read_b128 v[111:114], v106 offset:496
	s_waitcnt vmcnt(19) lgkmcnt(1)
	v_fma_f64 v[107:108], v[123:124], v[107:108], v[118:119]
	buffer_load_dword v118, off, s[0:3], 0 offset:148
	s_waitcnt vmcnt(18)
	v_fma_f64 v[107:108], v[125:126], v[109:110], v[107:108]
	buffer_load_dword v120, off, s[0:3], 0 offset:156
	buffer_load_dword v121, off, s[0:3], 0 offset:176
	;; [unrolled: 1-line block ×8, first 2 shown]
	s_waitcnt vmcnt(24) lgkmcnt(0)
	v_fma_f64 v[107:108], v[127:128], v[111:112], v[107:108]
	s_waitcnt vmcnt(19)
	v_fma_f64 v[127:128], v[129:130], v[113:114], v[107:108]
	ds_read_b128 v[107:110], v106 offset:512
	ds_read_b128 v[111:114], v106 offset:528
	s_waitcnt vmcnt(18) lgkmcnt(1)
	v_fma_f64 v[107:108], v[135:136], v[107:108], v[127:128]
	s_waitcnt vmcnt(17)
	v_fma_f64 v[107:108], v[133:134], v[109:110], v[107:108]
	buffer_load_dword v128, off, s[0:3], 0 offset:188
	buffer_load_dword v129, off, s[0:3], 0 offset:208
	;; [unrolled: 1-line block ×7, first 2 shown]
	s_waitcnt vmcnt(23) lgkmcnt(0)
	v_fma_f64 v[107:108], v[131:132], v[111:112], v[107:108]
	s_waitcnt vmcnt(18)
	v_fma_f64 v[115:116], v[115:116], v[113:114], v[107:108]
	ds_read_b128 v[107:110], v106 offset:544
	ds_read_b128 v[111:114], v106 offset:560
	buffer_load_dword v130, off, s[0:3], 0 offset:212
	s_waitcnt vmcnt(18) lgkmcnt(1)
	v_fma_f64 v[107:108], v[139:140], v[107:108], v[115:116]
	s_waitcnt vmcnt(17)
	v_fma_f64 v[107:108], v[137:138], v[109:110], v[107:108]
	buffer_load_dword v116, off, s[0:3], 0 offset:220
	buffer_load_dword v131, off, s[0:3], 0 offset:240
	;; [unrolled: 1-line block ×8, first 2 shown]
	s_waitcnt vmcnt(24) lgkmcnt(0)
	v_fma_f64 v[107:108], v[117:118], v[111:112], v[107:108]
	s_waitcnt vmcnt(19)
	v_fma_f64 v[117:118], v[119:120], v[113:114], v[107:108]
	ds_read_b128 v[107:110], v106 offset:576
	ds_read_b128 v[111:114], v106 offset:592
	s_waitcnt vmcnt(18) lgkmcnt(1)
	v_fma_f64 v[107:108], v[125:126], v[107:108], v[117:118]
	s_waitcnt vmcnt(17)
	v_fma_f64 v[107:108], v[123:124], v[109:110], v[107:108]
	buffer_load_dword v118, off, s[0:3], 0 offset:252
	buffer_load_dword v119, off, s[0:3], 0 offset:272
	;; [unrolled: 1-line block ×7, first 2 shown]
	s_waitcnt vmcnt(23) lgkmcnt(0)
	v_fma_f64 v[107:108], v[121:122], v[111:112], v[107:108]
	s_waitcnt vmcnt(18)
	v_fma_f64 v[120:121], v[127:128], v[113:114], v[107:108]
	ds_read_b128 v[107:110], v106 offset:608
	ds_read_b128 v[111:114], v106 offset:624
	s_waitcnt vmcnt(17) lgkmcnt(1)
	v_fma_f64 v[107:108], v[135:136], v[107:108], v[120:121]
	buffer_load_dword v120, off, s[0:3], 0 offset:276
	s_waitcnt vmcnt(17)
	v_fma_f64 v[107:108], v[133:134], v[109:110], v[107:108]
	buffer_load_dword v122, off, s[0:3], 0 offset:284
	buffer_load_dword v127, off, s[0:3], 0 offset:304
	;; [unrolled: 1-line block ×7, first 2 shown]
	s_waitcnt vmcnt(23) lgkmcnt(0)
	v_fma_f64 v[107:108], v[129:130], v[111:112], v[107:108]
	s_waitcnt vmcnt(18)
	v_fma_f64 v[115:116], v[115:116], v[113:114], v[107:108]
	ds_read_b128 v[107:110], v106 offset:640
	ds_read_b128 v[111:114], v106 offset:656
	buffer_load_dword v128, off, s[0:3], 0 offset:308
	s_waitcnt vmcnt(18) lgkmcnt(1)
	v_fma_f64 v[107:108], v[139:140], v[107:108], v[115:116]
	s_waitcnt vmcnt(17)
	v_fma_f64 v[107:108], v[137:138], v[109:110], v[107:108]
	buffer_load_dword v116, off, s[0:3], 0 offset:316
	buffer_load_dword v129, off, s[0:3], 0 offset:336
	buffer_load_dword v137, off, s[0:3], 0 offset:328
	buffer_load_dword v139, off, s[0:3], 0 offset:320
	buffer_load_dword v115, off, s[0:3], 0 offset:312
	buffer_load_dword v140, off, s[0:3], 0 offset:324
	buffer_load_dword v138, off, s[0:3], 0 offset:332
	buffer_load_dword v130, off, s[0:3], 0 offset:340
	s_waitcnt vmcnt(24) lgkmcnt(0)
	v_fma_f64 v[107:108], v[131:132], v[111:112], v[107:108]
	s_waitcnt vmcnt(19)
	v_fma_f64 v[117:118], v[117:118], v[113:114], v[107:108]
	ds_read_b128 v[107:110], v106 offset:672
	ds_read_b128 v[111:114], v106 offset:688
	s_waitcnt vmcnt(18) lgkmcnt(1)
	v_fma_f64 v[107:108], v[125:126], v[107:108], v[117:118]
	s_waitcnt vmcnt(17)
	v_fma_f64 v[107:108], v[123:124], v[109:110], v[107:108]
	buffer_load_dword v118, off, s[0:3], 0 offset:348
	buffer_load_dword v123, off, s[0:3], 0 offset:368
	buffer_load_dword v125, off, s[0:3], 0 offset:360
	buffer_load_dword v131, off, s[0:3], 0 offset:352
	buffer_load_dword v117, off, s[0:3], 0 offset:344
	buffer_load_dword v132, off, s[0:3], 0 offset:356
	buffer_load_dword v126, off, s[0:3], 0 offset:364
	buffer_load_dword v124, off, s[0:3], 0 offset:372
	s_waitcnt vmcnt(24) lgkmcnt(0)
	v_fma_f64 v[107:108], v[119:120], v[111:112], v[107:108]
	s_waitcnt vmcnt(19)
	v_fma_f64 v[119:120], v[121:122], v[113:114], v[107:108]
	ds_read_b128 v[107:110], v106 offset:704
	ds_read_b128 v[111:114], v106 offset:720
	;; [unrolled: 18-line block ×3, first 2 shown]
	s_waitcnt vmcnt(18) lgkmcnt(1)
	v_fma_f64 v[107:108], v[139:140], v[107:108], v[115:116]
	buffer_load_dword v116, off, s[0:3], 0 offset:412
	buffer_load_dword v115, off, s[0:3], 0 offset:408
	;; [unrolled: 1-line block ×4, first 2 shown]
	s_waitcnt vmcnt(21)
	v_fma_f64 v[107:108], v[137:138], v[109:110], v[107:108]
	s_waitcnt vmcnt(20) lgkmcnt(0)
	v_fma_f64 v[107:108], v[129:130], v[111:112], v[107:108]
	s_waitcnt vmcnt(15)
	v_fma_f64 v[117:118], v[117:118], v[113:114], v[107:108]
	ds_read_b128 v[107:110], v106 offset:768
	ds_read_b128 v[111:114], v106 offset:784
	s_waitcnt vmcnt(14) lgkmcnt(1)
	v_fma_f64 v[107:108], v[131:132], v[107:108], v[117:118]
	s_waitcnt vmcnt(13)
	v_fma_f64 v[107:108], v[125:126], v[109:110], v[107:108]
	s_waitcnt vmcnt(12) lgkmcnt(0)
	v_fma_f64 v[107:108], v[123:124], v[111:112], v[107:108]
	s_waitcnt vmcnt(7)
	v_fma_f64 v[117:118], v[119:120], v[113:114], v[107:108]
	ds_read_b128 v[107:110], v106 offset:800
	ds_read_b128 v[111:114], v106 offset:816
	s_waitcnt vmcnt(6) lgkmcnt(1)
	v_fma_f64 v[106:107], v[135:136], v[107:108], v[117:118]
	s_waitcnt vmcnt(5)
	v_fma_f64 v[106:107], v[133:134], v[109:110], v[106:107]
	s_waitcnt vmcnt(4) lgkmcnt(0)
	v_fma_f64 v[106:107], v[121:122], v[111:112], v[106:107]
	s_waitcnt vmcnt(2)
	v_fma_f64 v[106:107], v[115:116], v[113:114], v[106:107]
	s_waitcnt vmcnt(0)
	v_add_f64 v[106:107], v[127:128], -v[106:107]
	buffer_store_dword v107, off, s[0:3], 0 offset:28
	buffer_store_dword v106, off, s[0:3], 0 offset:24
	s_and_saveexec_b64 s[4:5], vcc
	s_cbranch_execz .LBB115_315
; %bb.314:
	buffer_load_dword v106, off, s[0:3], 0 offset:16
	buffer_load_dword v107, off, s[0:3], 0 offset:20
	v_mov_b32_e32 v108, 0
	buffer_store_dword v108, off, s[0:3], 0 offset:16
	buffer_store_dword v108, off, s[0:3], 0 offset:20
	s_waitcnt vmcnt(2)
	ds_write_b64 v105, v[106:107]
.LBB115_315:
	s_or_b64 exec, exec, s[4:5]
	s_waitcnt lgkmcnt(0)
	; wave barrier
	buffer_load_dword v115, off, s[0:3], 0 offset:24
	buffer_load_dword v116, off, s[0:3], 0 offset:28
	;; [unrolled: 1-line block ×21, first 2 shown]
	v_mov_b32_e32 v106, 0
	ds_read2_b64 v[107:110], v106 offset0:55 offset1:56
	ds_read2_b64 v[111:114], v106 offset0:57 offset1:58
	buffer_load_dword v132, off, s[0:3], 0 offset:108
	v_cmp_lt_u32_e32 vcc, 1, v0
	s_waitcnt vmcnt(20) lgkmcnt(1)
	v_fma_f64 v[107:108], v[115:116], v[107:108], 0
	s_waitcnt vmcnt(18)
	v_fma_f64 v[107:108], v[117:118], v[109:110], v[107:108]
	buffer_load_dword v116, off, s[0:3], 0 offset:116
	buffer_load_dword v117, off, s[0:3], 0 offset:136
	;; [unrolled: 1-line block ×7, first 2 shown]
	s_waitcnt vmcnt(23) lgkmcnt(0)
	v_fma_f64 v[107:108], v[119:120], v[111:112], v[107:108]
	s_waitcnt vmcnt(21)
	v_fma_f64 v[118:119], v[121:122], v[113:114], v[107:108]
	ds_read2_b64 v[107:110], v106 offset0:59 offset1:60
	ds_read2_b64 v[111:114], v106 offset0:61 offset1:62
	s_waitcnt vmcnt(19) lgkmcnt(1)
	v_fma_f64 v[107:108], v[123:124], v[107:108], v[118:119]
	buffer_load_dword v118, off, s[0:3], 0 offset:140
	s_waitcnt vmcnt(18)
	v_fma_f64 v[107:108], v[125:126], v[109:110], v[107:108]
	buffer_load_dword v120, off, s[0:3], 0 offset:148
	buffer_load_dword v121, off, s[0:3], 0 offset:168
	;; [unrolled: 1-line block ×8, first 2 shown]
	s_waitcnt vmcnt(24) lgkmcnt(0)
	v_fma_f64 v[107:108], v[127:128], v[111:112], v[107:108]
	s_waitcnt vmcnt(19)
	v_fma_f64 v[127:128], v[129:130], v[113:114], v[107:108]
	ds_read2_b64 v[107:110], v106 offset0:63 offset1:64
	ds_read2_b64 v[111:114], v106 offset0:65 offset1:66
	s_waitcnt vmcnt(18) lgkmcnt(1)
	v_fma_f64 v[107:108], v[135:136], v[107:108], v[127:128]
	s_waitcnt vmcnt(17)
	v_fma_f64 v[107:108], v[133:134], v[109:110], v[107:108]
	buffer_load_dword v128, off, s[0:3], 0 offset:180
	buffer_load_dword v129, off, s[0:3], 0 offset:200
	;; [unrolled: 1-line block ×7, first 2 shown]
	s_waitcnt vmcnt(23) lgkmcnt(0)
	v_fma_f64 v[107:108], v[131:132], v[111:112], v[107:108]
	s_waitcnt vmcnt(18)
	v_fma_f64 v[115:116], v[115:116], v[113:114], v[107:108]
	ds_read2_b64 v[107:110], v106 offset0:67 offset1:68
	ds_read2_b64 v[111:114], v106 offset0:69 offset1:70
	buffer_load_dword v130, off, s[0:3], 0 offset:204
	s_waitcnt vmcnt(18) lgkmcnt(1)
	v_fma_f64 v[107:108], v[139:140], v[107:108], v[115:116]
	s_waitcnt vmcnt(17)
	v_fma_f64 v[107:108], v[137:138], v[109:110], v[107:108]
	buffer_load_dword v116, off, s[0:3], 0 offset:212
	buffer_load_dword v131, off, s[0:3], 0 offset:232
	;; [unrolled: 1-line block ×7, first 2 shown]
	s_waitcnt vmcnt(23) lgkmcnt(0)
	v_fma_f64 v[107:108], v[117:118], v[111:112], v[107:108]
	s_waitcnt vmcnt(18)
	v_fma_f64 v[117:118], v[119:120], v[113:114], v[107:108]
	ds_read2_b64 v[107:110], v106 offset0:71 offset1:72
	ds_read2_b64 v[111:114], v106 offset0:73 offset1:74
	buffer_load_dword v132, off, s[0:3], 0 offset:236
	s_waitcnt vmcnt(18) lgkmcnt(1)
	v_fma_f64 v[107:108], v[125:126], v[107:108], v[117:118]
	s_waitcnt vmcnt(17)
	v_fma_f64 v[107:108], v[123:124], v[109:110], v[107:108]
	buffer_load_dword v118, off, s[0:3], 0 offset:244
	buffer_load_dword v119, off, s[0:3], 0 offset:264
	;; [unrolled: 1-line block ×7, first 2 shown]
	s_waitcnt vmcnt(23) lgkmcnt(0)
	v_fma_f64 v[107:108], v[121:122], v[111:112], v[107:108]
	s_waitcnt vmcnt(18)
	v_fma_f64 v[120:121], v[127:128], v[113:114], v[107:108]
	ds_read2_b64 v[107:110], v106 offset0:75 offset1:76
	ds_read2_b64 v[111:114], v106 offset0:77 offset1:78
	s_waitcnt vmcnt(17) lgkmcnt(1)
	v_fma_f64 v[107:108], v[135:136], v[107:108], v[120:121]
	buffer_load_dword v120, off, s[0:3], 0 offset:268
	s_waitcnt vmcnt(17)
	v_fma_f64 v[107:108], v[133:134], v[109:110], v[107:108]
	buffer_load_dword v122, off, s[0:3], 0 offset:276
	buffer_load_dword v127, off, s[0:3], 0 offset:296
	buffer_load_dword v133, off, s[0:3], 0 offset:288
	buffer_load_dword v135, off, s[0:3], 0 offset:280
	buffer_load_dword v121, off, s[0:3], 0 offset:272
	buffer_load_dword v136, off, s[0:3], 0 offset:284
	buffer_load_dword v134, off, s[0:3], 0 offset:292
	s_waitcnt vmcnt(23) lgkmcnt(0)
	v_fma_f64 v[107:108], v[129:130], v[111:112], v[107:108]
	s_waitcnt vmcnt(18)
	v_fma_f64 v[115:116], v[115:116], v[113:114], v[107:108]
	ds_read2_b64 v[107:110], v106 offset0:79 offset1:80
	ds_read2_b64 v[111:114], v106 offset0:81 offset1:82
	buffer_load_dword v128, off, s[0:3], 0 offset:300
	s_waitcnt vmcnt(18) lgkmcnt(1)
	v_fma_f64 v[107:108], v[139:140], v[107:108], v[115:116]
	s_waitcnt vmcnt(17)
	v_fma_f64 v[107:108], v[137:138], v[109:110], v[107:108]
	buffer_load_dword v116, off, s[0:3], 0 offset:308
	buffer_load_dword v129, off, s[0:3], 0 offset:328
	;; [unrolled: 1-line block ×7, first 2 shown]
	s_waitcnt vmcnt(23) lgkmcnt(0)
	v_fma_f64 v[107:108], v[131:132], v[111:112], v[107:108]
	s_waitcnt vmcnt(18)
	v_fma_f64 v[117:118], v[117:118], v[113:114], v[107:108]
	ds_read2_b64 v[107:110], v106 offset0:83 offset1:84
	ds_read2_b64 v[111:114], v106 offset0:85 offset1:86
	buffer_load_dword v130, off, s[0:3], 0 offset:332
	s_waitcnt vmcnt(18) lgkmcnt(1)
	v_fma_f64 v[107:108], v[125:126], v[107:108], v[117:118]
	s_waitcnt vmcnt(17)
	v_fma_f64 v[107:108], v[123:124], v[109:110], v[107:108]
	buffer_load_dword v118, off, s[0:3], 0 offset:340
	buffer_load_dword v123, off, s[0:3], 0 offset:360
	;; [unrolled: 1-line block ×8, first 2 shown]
	s_waitcnt vmcnt(24) lgkmcnt(0)
	v_fma_f64 v[107:108], v[119:120], v[111:112], v[107:108]
	s_waitcnt vmcnt(19)
	v_fma_f64 v[119:120], v[121:122], v[113:114], v[107:108]
	ds_read2_b64 v[107:110], v106 offset0:87 offset1:88
	ds_read2_b64 v[111:114], v106 offset0:89 offset1:90
	s_waitcnt vmcnt(18) lgkmcnt(1)
	v_fma_f64 v[107:108], v[135:136], v[107:108], v[119:120]
	s_waitcnt vmcnt(17)
	v_fma_f64 v[107:108], v[133:134], v[109:110], v[107:108]
	buffer_load_dword v120, off, s[0:3], 0 offset:372
	buffer_load_dword v121, off, s[0:3], 0 offset:392
	;; [unrolled: 1-line block ×7, first 2 shown]
	s_waitcnt vmcnt(23) lgkmcnt(0)
	v_fma_f64 v[107:108], v[127:128], v[111:112], v[107:108]
	s_waitcnt vmcnt(18)
	v_fma_f64 v[115:116], v[115:116], v[113:114], v[107:108]
	ds_read2_b64 v[107:110], v106 offset0:91 offset1:92
	ds_read2_b64 v[111:114], v106 offset0:93 offset1:94
	buffer_load_dword v122, off, s[0:3], 0 offset:396
	s_waitcnt vmcnt(18) lgkmcnt(1)
	v_fma_f64 v[107:108], v[139:140], v[107:108], v[115:116]
	buffer_load_dword v116, off, s[0:3], 0 offset:404
	buffer_load_dword v127, off, s[0:3], 0 offset:408
	;; [unrolled: 1-line block ×4, first 2 shown]
	s_waitcnt vmcnt(21)
	v_fma_f64 v[107:108], v[137:138], v[109:110], v[107:108]
	s_waitcnt vmcnt(20) lgkmcnt(0)
	v_fma_f64 v[107:108], v[129:130], v[111:112], v[107:108]
	buffer_load_dword v129, off, s[0:3], 0 offset:16
	buffer_load_dword v130, off, s[0:3], 0 offset:20
	s_waitcnt vmcnt(17)
	v_fma_f64 v[117:118], v[117:118], v[113:114], v[107:108]
	ds_read2_b64 v[107:110], v106 offset0:95 offset1:96
	ds_read2_b64 v[111:114], v106 offset0:97 offset1:98
	s_waitcnt vmcnt(16) lgkmcnt(1)
	v_fma_f64 v[107:108], v[131:132], v[107:108], v[117:118]
	s_waitcnt vmcnt(15)
	v_fma_f64 v[107:108], v[125:126], v[109:110], v[107:108]
	s_waitcnt vmcnt(14) lgkmcnt(0)
	v_fma_f64 v[107:108], v[123:124], v[111:112], v[107:108]
	s_waitcnt vmcnt(9)
	v_fma_f64 v[117:118], v[119:120], v[113:114], v[107:108]
	ds_read2_b64 v[107:110], v106 offset0:99 offset1:100
	ds_read2_b64 v[111:114], v106 offset0:101 offset1:102
	s_waitcnt vmcnt(8) lgkmcnt(1)
	v_fma_f64 v[107:108], v[135:136], v[107:108], v[117:118]
	s_waitcnt vmcnt(7)
	v_fma_f64 v[107:108], v[133:134], v[109:110], v[107:108]
	ds_read_b64 v[109:110], v106 offset:824
	s_waitcnt vmcnt(6) lgkmcnt(1)
	v_fma_f64 v[107:108], v[121:122], v[111:112], v[107:108]
	s_waitcnt vmcnt(3)
	v_fma_f64 v[107:108], v[115:116], v[113:114], v[107:108]
	s_waitcnt vmcnt(2) lgkmcnt(0)
	v_fma_f64 v[107:108], v[127:128], v[109:110], v[107:108]
	s_waitcnt vmcnt(0)
	v_add_f64 v[107:108], v[129:130], -v[107:108]
	buffer_store_dword v108, off, s[0:3], 0 offset:20
	buffer_store_dword v107, off, s[0:3], 0 offset:16
	s_and_saveexec_b64 s[4:5], vcc
	s_cbranch_execz .LBB115_317
; %bb.316:
	buffer_load_dword v107, off, s[0:3], 0 offset:8
	buffer_load_dword v108, off, s[0:3], 0 offset:12
	s_waitcnt vmcnt(0)
	ds_write_b64 v105, v[107:108]
	buffer_store_dword v106, off, s[0:3], 0 offset:8
	buffer_store_dword v106, off, s[0:3], 0 offset:12
.LBB115_317:
	s_or_b64 exec, exec, s[4:5]
	s_waitcnt lgkmcnt(0)
	; wave barrier
	buffer_load_dword v115, off, s[0:3], 0 offset:16
	buffer_load_dword v116, off, s[0:3], 0 offset:20
	;; [unrolled: 1-line block ×22, first 2 shown]
	ds_read_b128 v[107:110], v106 offset:432
	ds_read_b128 v[111:114], v106 offset:448
	v_cmp_ne_u32_e32 vcc, 0, v0
	s_waitcnt vmcnt(20) lgkmcnt(1)
	v_fma_f64 v[107:108], v[115:116], v[107:108], 0
	s_waitcnt vmcnt(18)
	v_fma_f64 v[107:108], v[117:118], v[109:110], v[107:108]
	buffer_load_dword v116, off, s[0:3], 0 offset:108
	buffer_load_dword v117, off, s[0:3], 0 offset:128
	;; [unrolled: 1-line block ×7, first 2 shown]
	s_waitcnt vmcnt(23) lgkmcnt(0)
	v_fma_f64 v[107:108], v[119:120], v[111:112], v[107:108]
	s_waitcnt vmcnt(21)
	v_fma_f64 v[118:119], v[121:122], v[113:114], v[107:108]
	ds_read_b128 v[107:110], v106 offset:464
	ds_read_b128 v[111:114], v106 offset:480
	s_waitcnt vmcnt(19) lgkmcnt(1)
	v_fma_f64 v[107:108], v[123:124], v[107:108], v[118:119]
	buffer_load_dword v118, off, s[0:3], 0 offset:132
	s_waitcnt vmcnt(18)
	v_fma_f64 v[107:108], v[125:126], v[109:110], v[107:108]
	buffer_load_dword v120, off, s[0:3], 0 offset:140
	buffer_load_dword v121, off, s[0:3], 0 offset:160
	buffer_load_dword v123, off, s[0:3], 0 offset:152
	buffer_load_dword v125, off, s[0:3], 0 offset:144
	buffer_load_dword v119, off, s[0:3], 0 offset:136
	buffer_load_dword v126, off, s[0:3], 0 offset:148
	buffer_load_dword v124, off, s[0:3], 0 offset:156
	buffer_load_dword v122, off, s[0:3], 0 offset:164
	s_waitcnt vmcnt(24) lgkmcnt(0)
	v_fma_f64 v[107:108], v[127:128], v[111:112], v[107:108]
	s_waitcnt vmcnt(19)
	v_fma_f64 v[127:128], v[129:130], v[113:114], v[107:108]
	ds_read_b128 v[107:110], v106 offset:496
	ds_read_b128 v[111:114], v106 offset:512
	s_waitcnt vmcnt(18) lgkmcnt(1)
	v_fma_f64 v[107:108], v[135:136], v[107:108], v[127:128]
	s_waitcnt vmcnt(17)
	v_fma_f64 v[107:108], v[133:134], v[109:110], v[107:108]
	buffer_load_dword v128, off, s[0:3], 0 offset:172
	buffer_load_dword v129, off, s[0:3], 0 offset:192
	;; [unrolled: 1-line block ×8, first 2 shown]
	s_waitcnt vmcnt(24) lgkmcnt(0)
	v_fma_f64 v[107:108], v[131:132], v[111:112], v[107:108]
	s_waitcnt vmcnt(19)
	v_fma_f64 v[115:116], v[115:116], v[113:114], v[107:108]
	ds_read_b128 v[107:110], v106 offset:528
	ds_read_b128 v[111:114], v106 offset:544
	s_waitcnt vmcnt(18) lgkmcnt(1)
	v_fma_f64 v[107:108], v[139:140], v[107:108], v[115:116]
	s_waitcnt vmcnt(17)
	v_fma_f64 v[107:108], v[137:138], v[109:110], v[107:108]
	buffer_load_dword v116, off, s[0:3], 0 offset:204
	buffer_load_dword v131, off, s[0:3], 0 offset:224
	;; [unrolled: 1-line block ×7, first 2 shown]
	s_waitcnt vmcnt(23) lgkmcnt(0)
	v_fma_f64 v[107:108], v[117:118], v[111:112], v[107:108]
	s_waitcnt vmcnt(18)
	v_fma_f64 v[117:118], v[119:120], v[113:114], v[107:108]
	ds_read_b128 v[107:110], v106 offset:560
	ds_read_b128 v[111:114], v106 offset:576
	buffer_load_dword v132, off, s[0:3], 0 offset:228
	s_waitcnt vmcnt(18) lgkmcnt(1)
	v_fma_f64 v[107:108], v[125:126], v[107:108], v[117:118]
	s_waitcnt vmcnt(17)
	v_fma_f64 v[107:108], v[123:124], v[109:110], v[107:108]
	buffer_load_dword v118, off, s[0:3], 0 offset:236
	buffer_load_dword v119, off, s[0:3], 0 offset:256
	;; [unrolled: 1-line block ×7, first 2 shown]
	s_waitcnt vmcnt(23) lgkmcnt(0)
	v_fma_f64 v[107:108], v[121:122], v[111:112], v[107:108]
	s_waitcnt vmcnt(18)
	v_fma_f64 v[120:121], v[127:128], v[113:114], v[107:108]
	ds_read_b128 v[107:110], v106 offset:592
	ds_read_b128 v[111:114], v106 offset:608
	s_waitcnt vmcnt(17) lgkmcnt(1)
	v_fma_f64 v[107:108], v[135:136], v[107:108], v[120:121]
	buffer_load_dword v120, off, s[0:3], 0 offset:260
	s_waitcnt vmcnt(17)
	v_fma_f64 v[107:108], v[133:134], v[109:110], v[107:108]
	buffer_load_dword v122, off, s[0:3], 0 offset:268
	buffer_load_dword v127, off, s[0:3], 0 offset:288
	;; [unrolled: 1-line block ×8, first 2 shown]
	s_waitcnt vmcnt(24) lgkmcnt(0)
	v_fma_f64 v[107:108], v[129:130], v[111:112], v[107:108]
	s_waitcnt vmcnt(19)
	v_fma_f64 v[115:116], v[115:116], v[113:114], v[107:108]
	ds_read_b128 v[107:110], v106 offset:624
	ds_read_b128 v[111:114], v106 offset:640
	s_waitcnt vmcnt(18) lgkmcnt(1)
	v_fma_f64 v[107:108], v[139:140], v[107:108], v[115:116]
	s_waitcnt vmcnt(17)
	v_fma_f64 v[107:108], v[137:138], v[109:110], v[107:108]
	buffer_load_dword v116, off, s[0:3], 0 offset:300
	buffer_load_dword v129, off, s[0:3], 0 offset:320
	;; [unrolled: 1-line block ×7, first 2 shown]
	s_waitcnt vmcnt(23) lgkmcnt(0)
	v_fma_f64 v[107:108], v[131:132], v[111:112], v[107:108]
	s_waitcnt vmcnt(18)
	v_fma_f64 v[117:118], v[117:118], v[113:114], v[107:108]
	ds_read_b128 v[107:110], v106 offset:656
	ds_read_b128 v[111:114], v106 offset:672
	buffer_load_dword v130, off, s[0:3], 0 offset:324
	s_waitcnt vmcnt(18) lgkmcnt(1)
	v_fma_f64 v[107:108], v[125:126], v[107:108], v[117:118]
	s_waitcnt vmcnt(17)
	v_fma_f64 v[107:108], v[123:124], v[109:110], v[107:108]
	buffer_load_dword v118, off, s[0:3], 0 offset:332
	buffer_load_dword v123, off, s[0:3], 0 offset:352
	;; [unrolled: 1-line block ×8, first 2 shown]
	s_waitcnt vmcnt(24) lgkmcnt(0)
	v_fma_f64 v[107:108], v[119:120], v[111:112], v[107:108]
	s_waitcnt vmcnt(19)
	v_fma_f64 v[119:120], v[121:122], v[113:114], v[107:108]
	ds_read_b128 v[107:110], v106 offset:688
	ds_read_b128 v[111:114], v106 offset:704
	s_waitcnt vmcnt(18) lgkmcnt(1)
	v_fma_f64 v[107:108], v[135:136], v[107:108], v[119:120]
	s_waitcnt vmcnt(17)
	v_fma_f64 v[107:108], v[133:134], v[109:110], v[107:108]
	buffer_load_dword v120, off, s[0:3], 0 offset:364
	buffer_load_dword v121, off, s[0:3], 0 offset:384
	;; [unrolled: 1-line block ×8, first 2 shown]
	s_waitcnt vmcnt(24) lgkmcnt(0)
	v_fma_f64 v[107:108], v[127:128], v[111:112], v[107:108]
	s_waitcnt vmcnt(19)
	v_fma_f64 v[115:116], v[115:116], v[113:114], v[107:108]
	ds_read_b128 v[107:110], v106 offset:720
	ds_read_b128 v[111:114], v106 offset:736
	s_waitcnt vmcnt(18) lgkmcnt(1)
	v_fma_f64 v[107:108], v[139:140], v[107:108], v[115:116]
	s_waitcnt vmcnt(17)
	v_fma_f64 v[107:108], v[137:138], v[109:110], v[107:108]
	buffer_load_dword v116, off, s[0:3], 0 offset:396
	buffer_load_dword v127, off, s[0:3], 0 offset:408
	buffer_load_dword v137, off, s[0:3], 0 offset:400
	buffer_load_dword v115, off, s[0:3], 0 offset:392
	buffer_load_dword v138, off, s[0:3], 0 offset:404
	buffer_load_dword v128, off, s[0:3], 0 offset:412
	s_waitcnt vmcnt(22) lgkmcnt(0)
	v_fma_f64 v[107:108], v[129:130], v[111:112], v[107:108]
	s_waitcnt vmcnt(17)
	v_fma_f64 v[117:118], v[117:118], v[113:114], v[107:108]
	ds_read_b128 v[107:110], v106 offset:752
	buffer_load_dword v129, off, s[0:3], 0 offset:8
	buffer_load_dword v130, off, s[0:3], 0 offset:12
	ds_read_b128 v[111:114], v106 offset:768
	s_waitcnt vmcnt(18) lgkmcnt(1)
	v_fma_f64 v[107:108], v[131:132], v[107:108], v[117:118]
	s_waitcnt vmcnt(17)
	v_fma_f64 v[107:108], v[125:126], v[109:110], v[107:108]
	s_waitcnt vmcnt(16) lgkmcnt(0)
	v_fma_f64 v[107:108], v[123:124], v[111:112], v[107:108]
	s_waitcnt vmcnt(11)
	v_fma_f64 v[117:118], v[119:120], v[113:114], v[107:108]
	ds_read_b128 v[107:110], v106 offset:784
	ds_read_b128 v[111:114], v106 offset:800
	s_waitcnt vmcnt(10) lgkmcnt(1)
	v_fma_f64 v[107:108], v[135:136], v[107:108], v[117:118]
	s_waitcnt vmcnt(9)
	v_fma_f64 v[107:108], v[133:134], v[109:110], v[107:108]
	s_waitcnt vmcnt(8) lgkmcnt(0)
	v_fma_f64 v[107:108], v[121:122], v[111:112], v[107:108]
	s_waitcnt vmcnt(4)
	v_fma_f64 v[110:111], v[115:116], v[113:114], v[107:108]
	ds_read_b128 v[106:109], v106 offset:816
	s_waitcnt vmcnt(3) lgkmcnt(0)
	v_fma_f64 v[106:107], v[137:138], v[106:107], v[110:111]
	s_waitcnt vmcnt(2)
	v_fma_f64 v[106:107], v[127:128], v[108:109], v[106:107]
	s_waitcnt vmcnt(0)
	v_add_f64 v[106:107], v[129:130], -v[106:107]
	buffer_store_dword v107, off, s[0:3], 0 offset:12
	buffer_store_dword v106, off, s[0:3], 0 offset:8
	s_and_saveexec_b64 s[4:5], vcc
	s_cbranch_execz .LBB115_319
; %bb.318:
	buffer_load_dword v106, off, s[0:3], 0
	buffer_load_dword v107, off, s[0:3], 0 offset:4
	v_mov_b32_e32 v0, 0
	buffer_store_dword v0, off, s[0:3], 0
	buffer_store_dword v0, off, s[0:3], 0 offset:4
	s_waitcnt vmcnt(2)
	ds_write_b64 v105, v[106:107]
.LBB115_319:
	s_or_b64 exec, exec, s[4:5]
	s_waitcnt lgkmcnt(0)
	; wave barrier
	buffer_load_dword v113, off, s[0:3], 0 offset:8
	buffer_load_dword v114, off, s[0:3], 0 offset:12
	buffer_load_dword v115, off, s[0:3], 0 offset:16
	buffer_load_dword v116, off, s[0:3], 0 offset:20
	buffer_load_dword v117, off, s[0:3], 0 offset:24
	buffer_load_dword v118, off, s[0:3], 0 offset:28
	buffer_load_dword v119, off, s[0:3], 0 offset:32
	buffer_load_dword v120, off, s[0:3], 0 offset:36
	buffer_load_dword v121, off, s[0:3], 0 offset:40
	buffer_load_dword v122, off, s[0:3], 0 offset:44
	buffer_load_dword v123, off, s[0:3], 0 offset:48
	buffer_load_dword v124, off, s[0:3], 0 offset:52
	buffer_load_dword v125, off, s[0:3], 0 offset:56
	buffer_load_dword v126, off, s[0:3], 0 offset:60
	buffer_load_dword v128, off, s[0:3], 0 offset:68
	buffer_load_dword v129, off, s[0:3], 0 offset:88
	buffer_load_dword v131, off, s[0:3], 0 offset:80
	buffer_load_dword v133, off, s[0:3], 0 offset:72
	buffer_load_dword v127, off, s[0:3], 0 offset:64
	buffer_load_dword v134, off, s[0:3], 0 offset:76
	buffer_load_dword v132, off, s[0:3], 0 offset:84
	buffer_load_dword v130, off, s[0:3], 0 offset:92
	v_mov_b32_e32 v0, 0
	ds_read2_b64 v[105:108], v0 offset0:53 offset1:54
	ds_read2_b64 v[109:112], v0 offset0:55 offset1:56
	s_and_b64 vcc, exec, s[14:15]
	s_waitcnt vmcnt(20) lgkmcnt(1)
	v_fma_f64 v[105:106], v[113:114], v[105:106], 0
	s_waitcnt vmcnt(18)
	v_fma_f64 v[105:106], v[115:116], v[107:108], v[105:106]
	buffer_load_dword v114, off, s[0:3], 0 offset:100
	buffer_load_dword v115, off, s[0:3], 0 offset:120
	;; [unrolled: 1-line block ×7, first 2 shown]
	s_waitcnt vmcnt(23) lgkmcnt(0)
	v_fma_f64 v[105:106], v[117:118], v[109:110], v[105:106]
	s_waitcnt vmcnt(21)
	v_fma_f64 v[116:117], v[119:120], v[111:112], v[105:106]
	ds_read2_b64 v[105:108], v0 offset0:57 offset1:58
	ds_read2_b64 v[109:112], v0 offset0:59 offset1:60
	s_waitcnt vmcnt(19) lgkmcnt(1)
	v_fma_f64 v[105:106], v[121:122], v[105:106], v[116:117]
	buffer_load_dword v116, off, s[0:3], 0 offset:124
	s_waitcnt vmcnt(18)
	v_fma_f64 v[105:106], v[123:124], v[107:108], v[105:106]
	buffer_load_dword v118, off, s[0:3], 0 offset:132
	buffer_load_dword v119, off, s[0:3], 0 offset:152
	;; [unrolled: 1-line block ×8, first 2 shown]
	s_waitcnt vmcnt(24) lgkmcnt(0)
	v_fma_f64 v[105:106], v[125:126], v[109:110], v[105:106]
	s_waitcnt vmcnt(19)
	v_fma_f64 v[125:126], v[127:128], v[111:112], v[105:106]
	ds_read2_b64 v[105:108], v0 offset0:61 offset1:62
	ds_read2_b64 v[109:112], v0 offset0:63 offset1:64
	s_waitcnt vmcnt(18) lgkmcnt(1)
	v_fma_f64 v[105:106], v[133:134], v[105:106], v[125:126]
	s_waitcnt vmcnt(17)
	v_fma_f64 v[105:106], v[131:132], v[107:108], v[105:106]
	buffer_load_dword v126, off, s[0:3], 0 offset:164
	buffer_load_dword v127, off, s[0:3], 0 offset:184
	;; [unrolled: 1-line block ×8, first 2 shown]
	s_waitcnt vmcnt(24) lgkmcnt(0)
	v_fma_f64 v[105:106], v[129:130], v[109:110], v[105:106]
	s_waitcnt vmcnt(19)
	v_fma_f64 v[113:114], v[113:114], v[111:112], v[105:106]
	ds_read2_b64 v[105:108], v0 offset0:65 offset1:66
	ds_read2_b64 v[109:112], v0 offset0:67 offset1:68
	s_waitcnt vmcnt(18) lgkmcnt(1)
	v_fma_f64 v[105:106], v[137:138], v[105:106], v[113:114]
	s_waitcnt vmcnt(17)
	v_fma_f64 v[105:106], v[135:136], v[107:108], v[105:106]
	buffer_load_dword v114, off, s[0:3], 0 offset:196
	buffer_load_dword v129, off, s[0:3], 0 offset:216
	;; [unrolled: 1-line block ×7, first 2 shown]
	s_waitcnt vmcnt(23) lgkmcnt(0)
	v_fma_f64 v[105:106], v[115:116], v[109:110], v[105:106]
	s_waitcnt vmcnt(18)
	v_fma_f64 v[115:116], v[117:118], v[111:112], v[105:106]
	ds_read2_b64 v[105:108], v0 offset0:69 offset1:70
	ds_read2_b64 v[109:112], v0 offset0:71 offset1:72
	buffer_load_dword v130, off, s[0:3], 0 offset:220
	s_waitcnt vmcnt(18) lgkmcnt(1)
	v_fma_f64 v[105:106], v[123:124], v[105:106], v[115:116]
	s_waitcnt vmcnt(17)
	v_fma_f64 v[105:106], v[121:122], v[107:108], v[105:106]
	buffer_load_dword v116, off, s[0:3], 0 offset:228
	buffer_load_dword v117, off, s[0:3], 0 offset:248
	;; [unrolled: 1-line block ×7, first 2 shown]
	s_waitcnt vmcnt(23) lgkmcnt(0)
	v_fma_f64 v[105:106], v[119:120], v[109:110], v[105:106]
	s_waitcnt vmcnt(18)
	v_fma_f64 v[118:119], v[125:126], v[111:112], v[105:106]
	ds_read2_b64 v[105:108], v0 offset0:73 offset1:74
	ds_read2_b64 v[109:112], v0 offset0:75 offset1:76
	s_waitcnt vmcnt(17) lgkmcnt(1)
	v_fma_f64 v[105:106], v[133:134], v[105:106], v[118:119]
	buffer_load_dword v118, off, s[0:3], 0 offset:252
	s_waitcnt vmcnt(17)
	v_fma_f64 v[105:106], v[131:132], v[107:108], v[105:106]
	buffer_load_dword v120, off, s[0:3], 0 offset:260
	buffer_load_dword v125, off, s[0:3], 0 offset:280
	;; [unrolled: 1-line block ×8, first 2 shown]
	s_waitcnt vmcnt(24) lgkmcnt(0)
	v_fma_f64 v[105:106], v[127:128], v[109:110], v[105:106]
	s_waitcnt vmcnt(19)
	v_fma_f64 v[113:114], v[113:114], v[111:112], v[105:106]
	ds_read2_b64 v[105:108], v0 offset0:77 offset1:78
	ds_read2_b64 v[109:112], v0 offset0:79 offset1:80
	s_waitcnt vmcnt(18) lgkmcnt(1)
	v_fma_f64 v[105:106], v[137:138], v[105:106], v[113:114]
	s_waitcnt vmcnt(17)
	v_fma_f64 v[105:106], v[135:136], v[107:108], v[105:106]
	buffer_load_dword v114, off, s[0:3], 0 offset:292
	buffer_load_dword v127, off, s[0:3], 0 offset:312
	;; [unrolled: 1-line block ×7, first 2 shown]
	s_waitcnt vmcnt(23) lgkmcnt(0)
	v_fma_f64 v[105:106], v[129:130], v[109:110], v[105:106]
	s_waitcnt vmcnt(18)
	v_fma_f64 v[115:116], v[115:116], v[111:112], v[105:106]
	ds_read2_b64 v[105:108], v0 offset0:81 offset1:82
	ds_read2_b64 v[109:112], v0 offset0:83 offset1:84
	buffer_load_dword v128, off, s[0:3], 0 offset:316
	s_waitcnt vmcnt(18) lgkmcnt(1)
	v_fma_f64 v[105:106], v[123:124], v[105:106], v[115:116]
	s_waitcnt vmcnt(17)
	v_fma_f64 v[105:106], v[121:122], v[107:108], v[105:106]
	buffer_load_dword v116, off, s[0:3], 0 offset:324
	buffer_load_dword v121, off, s[0:3], 0 offset:344
	;; [unrolled: 1-line block ×8, first 2 shown]
	s_waitcnt vmcnt(24) lgkmcnt(0)
	v_fma_f64 v[105:106], v[117:118], v[109:110], v[105:106]
	s_waitcnt vmcnt(19)
	v_fma_f64 v[117:118], v[119:120], v[111:112], v[105:106]
	ds_read2_b64 v[105:108], v0 offset0:85 offset1:86
	ds_read2_b64 v[109:112], v0 offset0:87 offset1:88
	s_waitcnt vmcnt(18) lgkmcnt(1)
	v_fma_f64 v[105:106], v[133:134], v[105:106], v[117:118]
	s_waitcnt vmcnt(17)
	v_fma_f64 v[105:106], v[131:132], v[107:108], v[105:106]
	buffer_load_dword v118, off, s[0:3], 0 offset:356
	buffer_load_dword v119, off, s[0:3], 0 offset:376
	;; [unrolled: 1-line block ×8, first 2 shown]
	s_waitcnt vmcnt(24) lgkmcnt(0)
	v_fma_f64 v[105:106], v[125:126], v[109:110], v[105:106]
	s_waitcnt vmcnt(19)
	v_fma_f64 v[113:114], v[113:114], v[111:112], v[105:106]
	ds_read2_b64 v[105:108], v0 offset0:89 offset1:90
	ds_read2_b64 v[109:112], v0 offset0:91 offset1:92
	s_waitcnt vmcnt(18) lgkmcnt(1)
	v_fma_f64 v[105:106], v[137:138], v[105:106], v[113:114]
	s_waitcnt vmcnt(17)
	v_fma_f64 v[106:107], v[135:136], v[107:108], v[105:106]
	buffer_load_dword v126, off, s[0:3], 0 offset:388
	buffer_load_dword v135, off, s[0:3], 0 offset:408
	;; [unrolled: 1-line block ×5, first 2 shown]
	s_waitcnt vmcnt(21) lgkmcnt(0)
	v_fma_f64 v[107:108], v[127:128], v[109:110], v[106:107]
	buffer_load_dword v138, off, s[0:3], 0 offset:396
	buffer_load_dword v106, off, s[0:3], 0 offset:404
	;; [unrolled: 1-line block ×3, first 2 shown]
	s_waitcnt vmcnt(19)
	v_fma_f64 v[115:116], v[115:116], v[111:112], v[107:108]
	ds_read2_b64 v[107:110], v0 offset0:93 offset1:94
	ds_read2_b64 v[111:114], v0 offset0:95 offset1:96
	s_waitcnt vmcnt(18) lgkmcnt(1)
	v_fma_f64 v[107:108], v[129:130], v[107:108], v[115:116]
	buffer_load_dword v115, off, s[0:3], 0
	buffer_load_dword v116, off, s[0:3], 0 offset:4
	s_waitcnt vmcnt(19)
	v_fma_f64 v[107:108], v[123:124], v[109:110], v[107:108]
	s_waitcnt vmcnt(18) lgkmcnt(0)
	v_fma_f64 v[107:108], v[121:122], v[111:112], v[107:108]
	s_waitcnt vmcnt(13)
	v_fma_f64 v[117:118], v[117:118], v[113:114], v[107:108]
	ds_read2_b64 v[107:110], v0 offset0:97 offset1:98
	ds_read2_b64 v[111:114], v0 offset0:99 offset1:100
	s_waitcnt vmcnt(12) lgkmcnt(1)
	v_fma_f64 v[107:108], v[133:134], v[107:108], v[117:118]
	s_waitcnt vmcnt(11)
	v_fma_f64 v[107:108], v[131:132], v[109:110], v[107:108]
	s_waitcnt vmcnt(10) lgkmcnt(0)
	v_fma_f64 v[107:108], v[119:120], v[111:112], v[107:108]
	s_waitcnt vmcnt(5)
	v_fma_f64 v[111:112], v[125:126], v[113:114], v[107:108]
	ds_read2_b64 v[107:110], v0 offset0:101 offset1:102
	ds_read_b64 v[113:114], v0 offset:824
	s_waitcnt vmcnt(4) lgkmcnt(1)
	v_fma_f64 v[107:108], v[137:138], v[107:108], v[111:112]
	s_waitcnt vmcnt(3)
	v_fma_f64 v[107:108], v[105:106], v[109:110], v[107:108]
	s_waitcnt vmcnt(2) lgkmcnt(0)
	v_fma_f64 v[107:108], v[135:136], v[113:114], v[107:108]
	s_waitcnt vmcnt(0)
	v_add_f64 v[107:108], v[115:116], -v[107:108]
	buffer_store_dword v108, off, s[0:3], 0 offset:4
	buffer_store_dword v107, off, s[0:3], 0
	s_cbranch_vccz .LBB115_422
; %bb.320:
	global_load_dword v0, v0, s[12:13] offset:200
	s_waitcnt vmcnt(0)
	v_add_u32_e32 v0, -1, v0
	v_cmp_ne_u32_e32 vcc, 50, v0
	s_cbranch_vccz .LBB115_322
; %bb.321:
	v_lshlrev_b32_e32 v0, 3, v0
	buffer_load_dword v107, v0, s[0:3], 0 offen offset:4
	buffer_load_dword v108, v0, s[0:3], 0 offen
	s_waitcnt vmcnt(1)
	buffer_store_dword v107, off, s[0:3], 0 offset:404
	s_waitcnt vmcnt(1)
	buffer_store_dword v108, off, s[0:3], 0 offset:400
	buffer_store_dword v106, v0, s[0:3], 0 offen offset:4
	buffer_store_dword v105, v0, s[0:3], 0 offen
.LBB115_322:
	v_mov_b32_e32 v0, 0
	global_load_dword v105, v0, s[12:13] offset:196
	s_waitcnt vmcnt(0)
	v_add_u32_e32 v105, -1, v105
	v_cmp_eq_u32_e32 vcc, 49, v105
	s_cbranch_vccnz .LBB115_324
; %bb.323:
	v_lshlrev_b32_e32 v105, 3, v105
	buffer_load_dword v106, v105, s[0:3], 0 offen
	buffer_load_dword v107, v105, s[0:3], 0 offen offset:4
	buffer_load_dword v108, off, s[0:3], 0 offset:392
	buffer_load_dword v109, off, s[0:3], 0 offset:396
	s_waitcnt vmcnt(3)
	buffer_store_dword v106, off, s[0:3], 0 offset:392
	s_waitcnt vmcnt(3)
	buffer_store_dword v107, off, s[0:3], 0 offset:396
	s_waitcnt vmcnt(3)
	buffer_store_dword v108, v105, s[0:3], 0 offen
	s_waitcnt vmcnt(3)
	buffer_store_dword v109, v105, s[0:3], 0 offen offset:4
.LBB115_324:
	global_load_dword v0, v0, s[12:13] offset:192
	s_waitcnt vmcnt(0)
	v_add_u32_e32 v0, -1, v0
	v_cmp_eq_u32_e32 vcc, 48, v0
	s_cbranch_vccnz .LBB115_326
; %bb.325:
	v_lshlrev_b32_e32 v0, 3, v0
	buffer_load_dword v105, v0, s[0:3], 0 offen
	buffer_load_dword v106, v0, s[0:3], 0 offen offset:4
	buffer_load_dword v107, off, s[0:3], 0 offset:388
	buffer_load_dword v108, off, s[0:3], 0 offset:384
	s_waitcnt vmcnt(3)
	buffer_store_dword v105, off, s[0:3], 0 offset:384
	s_waitcnt vmcnt(3)
	buffer_store_dword v106, off, s[0:3], 0 offset:388
	s_waitcnt vmcnt(3)
	buffer_store_dword v107, v0, s[0:3], 0 offen offset:4
	s_waitcnt vmcnt(3)
	buffer_store_dword v108, v0, s[0:3], 0 offen
.LBB115_326:
	v_mov_b32_e32 v0, 0
	global_load_dword v105, v0, s[12:13] offset:188
	s_waitcnt vmcnt(0)
	v_add_u32_e32 v105, -1, v105
	v_cmp_eq_u32_e32 vcc, 47, v105
	s_cbranch_vccnz .LBB115_328
; %bb.327:
	v_lshlrev_b32_e32 v105, 3, v105
	buffer_load_dword v106, v105, s[0:3], 0 offen
	buffer_load_dword v107, v105, s[0:3], 0 offen offset:4
	buffer_load_dword v108, off, s[0:3], 0 offset:376
	buffer_load_dword v109, off, s[0:3], 0 offset:380
	s_waitcnt vmcnt(3)
	buffer_store_dword v106, off, s[0:3], 0 offset:376
	s_waitcnt vmcnt(3)
	buffer_store_dword v107, off, s[0:3], 0 offset:380
	s_waitcnt vmcnt(3)
	buffer_store_dword v108, v105, s[0:3], 0 offen
	s_waitcnt vmcnt(3)
	buffer_store_dword v109, v105, s[0:3], 0 offen offset:4
.LBB115_328:
	global_load_dword v0, v0, s[12:13] offset:184
	s_waitcnt vmcnt(0)
	v_add_u32_e32 v0, -1, v0
	v_cmp_eq_u32_e32 vcc, 46, v0
	s_cbranch_vccnz .LBB115_330
; %bb.329:
	v_lshlrev_b32_e32 v0, 3, v0
	buffer_load_dword v105, v0, s[0:3], 0 offen
	buffer_load_dword v106, v0, s[0:3], 0 offen offset:4
	buffer_load_dword v107, off, s[0:3], 0 offset:372
	buffer_load_dword v108, off, s[0:3], 0 offset:368
	s_waitcnt vmcnt(3)
	buffer_store_dword v105, off, s[0:3], 0 offset:368
	s_waitcnt vmcnt(3)
	buffer_store_dword v106, off, s[0:3], 0 offset:372
	s_waitcnt vmcnt(3)
	buffer_store_dword v107, v0, s[0:3], 0 offen offset:4
	s_waitcnt vmcnt(3)
	buffer_store_dword v108, v0, s[0:3], 0 offen
.LBB115_330:
	;; [unrolled: 41-line block ×24, first 2 shown]
	v_mov_b32_e32 v0, 0
	global_load_dword v105, v0, s[12:13] offset:4
	s_waitcnt vmcnt(0)
	v_add_u32_e32 v105, -1, v105
	v_cmp_eq_u32_e32 vcc, 1, v105
	s_cbranch_vccnz .LBB115_420
; %bb.419:
	v_lshlrev_b32_e32 v105, 3, v105
	buffer_load_dword v106, v105, s[0:3], 0 offen
	buffer_load_dword v107, v105, s[0:3], 0 offen offset:4
	buffer_load_dword v108, off, s[0:3], 0 offset:8
	buffer_load_dword v109, off, s[0:3], 0 offset:12
	s_waitcnt vmcnt(3)
	buffer_store_dword v106, off, s[0:3], 0 offset:8
	s_waitcnt vmcnt(3)
	buffer_store_dword v107, off, s[0:3], 0 offset:12
	s_waitcnt vmcnt(3)
	buffer_store_dword v108, v105, s[0:3], 0 offen
	s_waitcnt vmcnt(3)
	buffer_store_dword v109, v105, s[0:3], 0 offen offset:4
.LBB115_420:
	global_load_dword v0, v0, s[12:13]
	s_nop 0
	buffer_load_dword v107, off, s[0:3], 0
	buffer_load_dword v108, off, s[0:3], 0 offset:4
	s_waitcnt vmcnt(2)
	v_add_u32_e32 v0, -1, v0
	v_cmp_eq_u32_e32 vcc, 0, v0
	s_cbranch_vccnz .LBB115_422
; %bb.421:
	v_lshlrev_b32_e32 v0, 3, v0
	buffer_load_dword v105, v0, s[0:3], 0 offen offset:4
	buffer_load_dword v106, v0, s[0:3], 0 offen
	s_waitcnt vmcnt(1)
	buffer_store_dword v105, off, s[0:3], 0 offset:4
	s_waitcnt vmcnt(1)
	buffer_store_dword v106, off, s[0:3], 0
	buffer_store_dword v108, v0, s[0:3], 0 offen offset:4
	buffer_store_dword v107, v0, s[0:3], 0 offen
	buffer_load_dword v107, off, s[0:3], 0
	s_nop 0
	buffer_load_dword v108, off, s[0:3], 0 offset:4
.LBB115_422:
	s_waitcnt vmcnt(0)
	flat_store_dwordx2 v[1:2], v[107:108]
	buffer_load_dword v0, off, s[0:3], 0 offset:8
	s_nop 0
	buffer_load_dword v1, off, s[0:3], 0 offset:12
	s_waitcnt vmcnt(0)
	flat_store_dwordx2 v[3:4], v[0:1]
	buffer_load_dword v0, off, s[0:3], 0 offset:16
	s_nop 0
	buffer_load_dword v1, off, s[0:3], 0 offset:20
	;; [unrolled: 5-line block ×51, first 2 shown]
	s_waitcnt vmcnt(0)
	flat_store_dwordx2 v[103:104], v[0:1]
	s_endpgm
	.section	.rodata,"a",@progbits
	.p2align	6, 0x0
	.amdhsa_kernel _ZN9rocsolver6v33100L18getri_kernel_smallILi52EdPKPdEEvT1_iilPiilS6_bb
		.amdhsa_group_segment_fixed_size 840
		.amdhsa_private_segment_fixed_size 432
		.amdhsa_kernarg_size 60
		.amdhsa_user_sgpr_count 6
		.amdhsa_user_sgpr_private_segment_buffer 1
		.amdhsa_user_sgpr_dispatch_ptr 0
		.amdhsa_user_sgpr_queue_ptr 0
		.amdhsa_user_sgpr_kernarg_segment_ptr 1
		.amdhsa_user_sgpr_dispatch_id 0
		.amdhsa_user_sgpr_flat_scratch_init 0
		.amdhsa_user_sgpr_private_segment_size 0
		.amdhsa_uses_dynamic_stack 0
		.amdhsa_system_sgpr_private_segment_wavefront_offset 1
		.amdhsa_system_sgpr_workgroup_id_x 1
		.amdhsa_system_sgpr_workgroup_id_y 0
		.amdhsa_system_sgpr_workgroup_id_z 0
		.amdhsa_system_sgpr_workgroup_info 0
		.amdhsa_system_vgpr_workitem_id 0
		.amdhsa_next_free_vgpr 141
		.amdhsa_next_free_sgpr 21
		.amdhsa_reserve_vcc 1
		.amdhsa_reserve_flat_scratch 0
		.amdhsa_float_round_mode_32 0
		.amdhsa_float_round_mode_16_64 0
		.amdhsa_float_denorm_mode_32 3
		.amdhsa_float_denorm_mode_16_64 3
		.amdhsa_dx10_clamp 1
		.amdhsa_ieee_mode 1
		.amdhsa_fp16_overflow 0
		.amdhsa_exception_fp_ieee_invalid_op 0
		.amdhsa_exception_fp_denorm_src 0
		.amdhsa_exception_fp_ieee_div_zero 0
		.amdhsa_exception_fp_ieee_overflow 0
		.amdhsa_exception_fp_ieee_underflow 0
		.amdhsa_exception_fp_ieee_inexact 0
		.amdhsa_exception_int_div_zero 0
	.end_amdhsa_kernel
	.section	.text._ZN9rocsolver6v33100L18getri_kernel_smallILi52EdPKPdEEvT1_iilPiilS6_bb,"axG",@progbits,_ZN9rocsolver6v33100L18getri_kernel_smallILi52EdPKPdEEvT1_iilPiilS6_bb,comdat
.Lfunc_end115:
	.size	_ZN9rocsolver6v33100L18getri_kernel_smallILi52EdPKPdEEvT1_iilPiilS6_bb, .Lfunc_end115-_ZN9rocsolver6v33100L18getri_kernel_smallILi52EdPKPdEEvT1_iilPiilS6_bb
                                        ; -- End function
	.set _ZN9rocsolver6v33100L18getri_kernel_smallILi52EdPKPdEEvT1_iilPiilS6_bb.num_vgpr, 141
	.set _ZN9rocsolver6v33100L18getri_kernel_smallILi52EdPKPdEEvT1_iilPiilS6_bb.num_agpr, 0
	.set _ZN9rocsolver6v33100L18getri_kernel_smallILi52EdPKPdEEvT1_iilPiilS6_bb.numbered_sgpr, 21
	.set _ZN9rocsolver6v33100L18getri_kernel_smallILi52EdPKPdEEvT1_iilPiilS6_bb.num_named_barrier, 0
	.set _ZN9rocsolver6v33100L18getri_kernel_smallILi52EdPKPdEEvT1_iilPiilS6_bb.private_seg_size, 432
	.set _ZN9rocsolver6v33100L18getri_kernel_smallILi52EdPKPdEEvT1_iilPiilS6_bb.uses_vcc, 1
	.set _ZN9rocsolver6v33100L18getri_kernel_smallILi52EdPKPdEEvT1_iilPiilS6_bb.uses_flat_scratch, 0
	.set _ZN9rocsolver6v33100L18getri_kernel_smallILi52EdPKPdEEvT1_iilPiilS6_bb.has_dyn_sized_stack, 0
	.set _ZN9rocsolver6v33100L18getri_kernel_smallILi52EdPKPdEEvT1_iilPiilS6_bb.has_recursion, 0
	.set _ZN9rocsolver6v33100L18getri_kernel_smallILi52EdPKPdEEvT1_iilPiilS6_bb.has_indirect_call, 0
	.section	.AMDGPU.csdata,"",@progbits
; Kernel info:
; codeLenInByte = 68372
; TotalNumSgprs: 25
; NumVgprs: 141
; ScratchSize: 432
; MemoryBound: 1
; FloatMode: 240
; IeeeMode: 1
; LDSByteSize: 840 bytes/workgroup (compile time only)
; SGPRBlocks: 3
; VGPRBlocks: 35
; NumSGPRsForWavesPerEU: 25
; NumVGPRsForWavesPerEU: 141
; Occupancy: 1
; WaveLimiterHint : 1
; COMPUTE_PGM_RSRC2:SCRATCH_EN: 1
; COMPUTE_PGM_RSRC2:USER_SGPR: 6
; COMPUTE_PGM_RSRC2:TRAP_HANDLER: 0
; COMPUTE_PGM_RSRC2:TGID_X_EN: 1
; COMPUTE_PGM_RSRC2:TGID_Y_EN: 0
; COMPUTE_PGM_RSRC2:TGID_Z_EN: 0
; COMPUTE_PGM_RSRC2:TIDIG_COMP_CNT: 0
	.section	.text._ZN9rocsolver6v33100L18getri_kernel_smallILi53EdPKPdEEvT1_iilPiilS6_bb,"axG",@progbits,_ZN9rocsolver6v33100L18getri_kernel_smallILi53EdPKPdEEvT1_iilPiilS6_bb,comdat
	.globl	_ZN9rocsolver6v33100L18getri_kernel_smallILi53EdPKPdEEvT1_iilPiilS6_bb ; -- Begin function _ZN9rocsolver6v33100L18getri_kernel_smallILi53EdPKPdEEvT1_iilPiilS6_bb
	.p2align	8
	.type	_ZN9rocsolver6v33100L18getri_kernel_smallILi53EdPKPdEEvT1_iilPiilS6_bb,@function
_ZN9rocsolver6v33100L18getri_kernel_smallILi53EdPKPdEEvT1_iilPiilS6_bb: ; @_ZN9rocsolver6v33100L18getri_kernel_smallILi53EdPKPdEEvT1_iilPiilS6_bb
; %bb.0:
	s_add_u32 s0, s0, s7
	s_addc_u32 s1, s1, 0
	v_cmp_gt_u32_e32 vcc, 53, v0
	s_and_saveexec_b64 s[8:9], vcc
	s_cbranch_execz .LBB116_220
; %bb.1:
	s_load_dword s18, s[4:5], 0x38
	s_load_dwordx2 s[12:13], s[4:5], 0x0
	s_load_dwordx4 s[8:11], s[4:5], 0x28
	s_waitcnt lgkmcnt(0)
	s_bitcmp1_b32 s18, 8
	s_cselect_b64 s[14:15], -1, 0
	s_ashr_i32 s7, s6, 31
	s_lshl_b64 s[16:17], s[6:7], 3
	s_add_u32 s12, s12, s16
	s_addc_u32 s13, s13, s17
	s_load_dwordx2 s[16:17], s[12:13], 0x0
	s_bfe_u32 s12, s18, 0x10008
	s_cmp_eq_u32 s12, 0
                                        ; implicit-def: $sgpr12_sgpr13
	s_cbranch_scc1 .LBB116_3
; %bb.2:
	s_load_dword s12, s[4:5], 0x20
	s_load_dwordx2 s[18:19], s[4:5], 0x18
	s_mul_i32 s13, s8, s7
	s_mul_hi_u32 s20, s8, s6
	s_add_i32 s20, s20, s13
	s_mul_i32 s9, s9, s6
	s_add_i32 s9, s20, s9
	s_mul_i32 s8, s8, s6
	s_waitcnt lgkmcnt(0)
	s_ashr_i32 s13, s12, 31
	s_lshl_b64 s[8:9], s[8:9], 2
	s_add_u32 s18, s18, s8
	s_addc_u32 s19, s19, s9
	s_lshl_b64 s[8:9], s[12:13], 2
	s_add_u32 s12, s18, s8
	s_addc_u32 s13, s19, s9
.LBB116_3:
	s_load_dwordx2 s[8:9], s[4:5], 0x8
	s_load_dword s18, s[4:5], 0x38
	v_lshlrev_b32_e32 v109, 3, v0
	s_waitcnt lgkmcnt(0)
	s_ashr_i32 s5, s8, 31
	s_mov_b32 s4, s8
	s_lshl_b64 s[4:5], s[4:5], 3
	s_add_u32 s4, s16, s4
	s_addc_u32 s5, s17, s5
	v_mov_b32_e32 v2, s5
	v_add_co_u32_e32 v1, vcc, s4, v109
	v_addc_co_u32_e32 v2, vcc, 0, v2, vcc
	flat_load_dwordx2 v[5:6], v[1:2]
	s_mov_b32 s16, s9
	s_ashr_i32 s17, s9, 31
	s_lshl_b64 s[16:17], s[16:17], 3
	v_mov_b32_e32 v4, s17
	v_add_co_u32_e32 v3, vcc, s16, v1
	v_addc_co_u32_e32 v4, vcc, v2, v4, vcc
	s_add_i32 s8, s9, s9
	v_add_u32_e32 v9, s8, v0
	v_ashrrev_i32_e32 v10, 31, v9
	v_mov_b32_e32 v11, s5
	v_add_u32_e32 v12, s9, v9
	v_ashrrev_i32_e32 v13, 31, v12
	v_mov_b32_e32 v14, s5
	v_mov_b32_e32 v15, s5
	;; [unrolled: 1-line block ×49, first 2 shown]
	s_bitcmp0_b32 s18, 0
	s_waitcnt vmcnt(0) lgkmcnt(0)
	buffer_store_dword v6, off, s[0:3], 0 offset:4
	buffer_store_dword v5, off, s[0:3], 0
	flat_load_dwordx2 v[7:8], v[3:4]
	v_lshlrev_b64 v[5:6], 3, v[9:10]
	s_waitcnt vmcnt(0) lgkmcnt(0)
	buffer_store_dword v8, off, s[0:3], 0 offset:12
	buffer_store_dword v7, off, s[0:3], 0 offset:8
	v_add_co_u32_e32 v5, vcc, s4, v5
	v_addc_co_u32_e32 v6, vcc, v11, v6, vcc
	flat_load_dwordx2 v[10:11], v[5:6]
	v_lshlrev_b64 v[7:8], 3, v[12:13]
	s_waitcnt vmcnt(0) lgkmcnt(0)
	buffer_store_dword v11, off, s[0:3], 0 offset:20
	buffer_store_dword v10, off, s[0:3], 0 offset:16
	v_add_co_u32_e32 v7, vcc, s4, v7
	v_addc_co_u32_e32 v8, vcc, v14, v8, vcc
	flat_load_dwordx2 v[13:14], v[7:8]
	v_add_u32_e32 v11, s9, v12
	v_ashrrev_i32_e32 v12, 31, v11
	v_lshlrev_b64 v[9:10], 3, v[11:12]
	s_waitcnt vmcnt(0) lgkmcnt(0)
	buffer_store_dword v14, off, s[0:3], 0 offset:28
	buffer_store_dword v13, off, s[0:3], 0 offset:24
	v_add_co_u32_e32 v9, vcc, s4, v9
	v_addc_co_u32_e32 v10, vcc, v15, v10, vcc
	flat_load_dwordx2 v[13:14], v[9:10]
	v_add_u32_e32 v15, s9, v11
	v_ashrrev_i32_e32 v16, 31, v15
	v_lshlrev_b64 v[11:12], 3, v[15:16]
	v_add_u32_e32 v18, s9, v15
	v_add_co_u32_e32 v11, vcc, s4, v11
	v_addc_co_u32_e32 v12, vcc, v17, v12, vcc
	v_ashrrev_i32_e32 v19, 31, v18
	s_waitcnt vmcnt(0) lgkmcnt(0)
	buffer_store_dword v14, off, s[0:3], 0 offset:36
	buffer_store_dword v13, off, s[0:3], 0 offset:32
	flat_load_dwordx2 v[16:17], v[11:12]
	v_lshlrev_b64 v[13:14], 3, v[18:19]
	s_waitcnt vmcnt(0) lgkmcnt(0)
	buffer_store_dword v17, off, s[0:3], 0 offset:44
	buffer_store_dword v16, off, s[0:3], 0 offset:40
	v_add_co_u32_e32 v13, vcc, s4, v13
	v_addc_co_u32_e32 v14, vcc, v20, v14, vcc
	flat_load_dwordx2 v[19:20], v[13:14]
	v_add_u32_e32 v17, s9, v18
	v_ashrrev_i32_e32 v18, 31, v17
	v_lshlrev_b64 v[15:16], 3, v[17:18]
	s_waitcnt vmcnt(0) lgkmcnt(0)
	buffer_store_dword v20, off, s[0:3], 0 offset:52
	buffer_store_dword v19, off, s[0:3], 0 offset:48
	v_add_co_u32_e32 v15, vcc, s4, v15
	v_addc_co_u32_e32 v16, vcc, v21, v16, vcc
	flat_load_dwordx2 v[19:20], v[15:16]
	v_add_u32_e32 v21, s9, v17
	v_ashrrev_i32_e32 v22, 31, v21
	v_lshlrev_b64 v[17:18], 3, v[21:22]
	v_add_u32_e32 v24, s9, v21
	v_add_co_u32_e32 v17, vcc, s4, v17
	v_addc_co_u32_e32 v18, vcc, v23, v18, vcc
	v_ashrrev_i32_e32 v25, 31, v24
	s_waitcnt vmcnt(0) lgkmcnt(0)
	buffer_store_dword v20, off, s[0:3], 0 offset:60
	buffer_store_dword v19, off, s[0:3], 0 offset:56
	;; [unrolled: 27-line block ×7, first 2 shown]
	flat_load_dwordx2 v[52:53], v[47:48]
	v_lshlrev_b64 v[49:50], 3, v[54:55]
	s_waitcnt vmcnt(0) lgkmcnt(0)
	buffer_store_dword v53, off, s[0:3], 0 offset:188
	buffer_store_dword v52, off, s[0:3], 0 offset:184
	v_add_co_u32_e32 v49, vcc, s4, v49
	v_addc_co_u32_e32 v50, vcc, v56, v50, vcc
	flat_load_dwordx2 v[55:56], v[49:50]
	v_add_u32_e32 v53, s9, v54
	v_ashrrev_i32_e32 v54, 31, v53
	v_lshlrev_b64 v[51:52], 3, v[53:54]
	s_waitcnt vmcnt(0) lgkmcnt(0)
	buffer_store_dword v56, off, s[0:3], 0 offset:196
	buffer_store_dword v55, off, s[0:3], 0 offset:192
	v_add_co_u32_e32 v51, vcc, s4, v51
	v_addc_co_u32_e32 v52, vcc, v57, v52, vcc
	flat_load_dwordx2 v[55:56], v[51:52]
	v_add_u32_e32 v57, s9, v53
	v_ashrrev_i32_e32 v58, 31, v57
	v_lshlrev_b64 v[53:54], 3, v[57:58]
	v_add_u32_e32 v60, s9, v57
	v_add_co_u32_e32 v53, vcc, s4, v53
	v_addc_co_u32_e32 v54, vcc, v59, v54, vcc
	s_waitcnt vmcnt(0) lgkmcnt(0)
	buffer_store_dword v56, off, s[0:3], 0 offset:204
	buffer_store_dword v55, off, s[0:3], 0 offset:200
	flat_load_dwordx2 v[58:59], v[53:54]
	v_ashrrev_i32_e32 v61, 31, v60
	v_lshlrev_b64 v[55:56], 3, v[60:61]
	s_waitcnt vmcnt(0) lgkmcnt(0)
	buffer_store_dword v59, off, s[0:3], 0 offset:212
	buffer_store_dword v58, off, s[0:3], 0 offset:208
	v_add_co_u32_e32 v55, vcc, s4, v55
	v_addc_co_u32_e32 v56, vcc, v62, v56, vcc
	flat_load_dwordx2 v[61:62], v[55:56]
	v_add_u32_e32 v59, s9, v60
	v_ashrrev_i32_e32 v60, 31, v59
	v_lshlrev_b64 v[57:58], 3, v[59:60]
	s_waitcnt vmcnt(0) lgkmcnt(0)
	buffer_store_dword v62, off, s[0:3], 0 offset:220
	buffer_store_dword v61, off, s[0:3], 0 offset:216
	v_add_co_u32_e32 v57, vcc, s4, v57
	v_addc_co_u32_e32 v58, vcc, v63, v58, vcc
	flat_load_dwordx2 v[61:62], v[57:58]
	v_add_u32_e32 v63, s9, v59
	;; [unrolled: 9-line block ×25, first 2 shown]
	v_ashrrev_i32_e32 v106, 31, v105
	v_lshlrev_b64 v[105:106], 3, v[105:106]
	v_mov_b32_e32 v111, s5
	v_add_co_u32_e32 v105, vcc, s4, v105
	v_addc_co_u32_e32 v106, vcc, v111, v106, vcc
	s_waitcnt vmcnt(0) lgkmcnt(0)
	buffer_store_dword v108, off, s[0:3], 0 offset:412
	buffer_store_dword v107, off, s[0:3], 0 offset:408
	flat_load_dwordx2 v[107:108], v[105:106]
	s_mov_b64 s[8:9], -1
	s_waitcnt vmcnt(0) lgkmcnt(0)
	buffer_store_dword v108, off, s[0:3], 0 offset:420
	buffer_store_dword v107, off, s[0:3], 0 offset:416
	s_cbranch_scc1 .LBB116_218
; %bb.4:
	v_cmp_eq_u32_e64 s[4:5], 0, v0
	s_and_saveexec_b64 s[8:9], s[4:5]
; %bb.5:
	v_mov_b32_e32 v107, 0
	ds_write_b32 v107, v107 offset:424
; %bb.6:
	s_or_b64 exec, exec, s[8:9]
	v_mov_b32_e32 v107, 0
	v_lshl_add_u32 v107, v0, 3, v107
	s_waitcnt lgkmcnt(0)
	; wave barrier
	buffer_load_dword v110, v107, s[0:3], 0 offen
	buffer_load_dword v111, v107, s[0:3], 0 offen offset:4
	s_waitcnt vmcnt(0)
	v_cmp_eq_f64_e32 vcc, 0, v[110:111]
	s_and_saveexec_b64 s[16:17], vcc
	s_cbranch_execz .LBB116_10
; %bb.7:
	v_mov_b32_e32 v108, 0
	ds_read_b32 v111, v108 offset:424
	v_add_u32_e32 v110, 1, v0
	s_waitcnt lgkmcnt(0)
	v_readfirstlane_b32 s8, v111
	s_cmp_eq_u32 s8, 0
	s_cselect_b64 s[18:19], -1, 0
	v_cmp_gt_i32_e32 vcc, s8, v110
	s_or_b64 s[18:19], s[18:19], vcc
	s_and_b64 exec, exec, s[18:19]
	s_cbranch_execz .LBB116_10
; %bb.8:
	s_mov_b64 s[18:19], 0
	v_mov_b32_e32 v111, s8
.LBB116_9:                              ; =>This Inner Loop Header: Depth=1
	ds_cmpst_rtn_b32 v111, v108, v111, v110 offset:424
	s_waitcnt lgkmcnt(0)
	v_cmp_ne_u32_e32 vcc, 0, v111
	v_cmp_le_i32_e64 s[8:9], v111, v110
	s_and_b64 s[8:9], vcc, s[8:9]
	s_and_b64 s[8:9], exec, s[8:9]
	s_or_b64 s[18:19], s[8:9], s[18:19]
	s_andn2_b64 exec, exec, s[18:19]
	s_cbranch_execnz .LBB116_9
.LBB116_10:
	s_or_b64 exec, exec, s[16:17]
	v_mov_b32_e32 v110, 0
	; wave barrier
	ds_read_b32 v108, v110 offset:424
	s_and_saveexec_b64 s[8:9], s[4:5]
	s_cbranch_execz .LBB116_12
; %bb.11:
	s_lshl_b64 s[16:17], s[6:7], 2
	s_add_u32 s16, s10, s16
	s_addc_u32 s17, s11, s17
	s_waitcnt lgkmcnt(0)
	global_store_dword v110, v108, s[16:17]
.LBB116_12:
	s_or_b64 exec, exec, s[8:9]
	s_waitcnt lgkmcnt(0)
	v_cmp_ne_u32_e32 vcc, 0, v108
	s_mov_b64 s[8:9], 0
	s_cbranch_vccnz .LBB116_218
; %bb.13:
	buffer_load_dword v110, v107, s[0:3], 0 offen
	buffer_load_dword v111, v107, s[0:3], 0 offen offset:4
	s_waitcnt vmcnt(0)
	v_div_scale_f64 v[112:113], s[8:9], v[110:111], v[110:111], 1.0
	v_rcp_f64_e32 v[114:115], v[112:113]
	v_fma_f64 v[116:117], -v[112:113], v[114:115], 1.0
	v_fma_f64 v[114:115], v[114:115], v[116:117], v[114:115]
	v_div_scale_f64 v[116:117], vcc, 1.0, v[110:111], 1.0
	v_fma_f64 v[118:119], -v[112:113], v[114:115], 1.0
	v_fma_f64 v[114:115], v[114:115], v[118:119], v[114:115]
	v_mul_f64 v[118:119], v[116:117], v[114:115]
	v_fma_f64 v[112:113], -v[112:113], v[118:119], v[116:117]
	v_div_fmas_f64 v[112:113], v[112:113], v[114:115], v[118:119]
	v_div_fixup_f64 v[111:112], v[112:113], v[110:111], 1.0
	v_add_u32_e32 v110, 0x1b0, v109
	buffer_store_dword v112, v107, s[0:3], 0 offen offset:4
	buffer_store_dword v111, v107, s[0:3], 0 offen
	buffer_load_dword v114, off, s[0:3], 0 offset:12
	buffer_load_dword v113, off, s[0:3], 0 offset:8
	v_xor_b32_e32 v112, 0x80000000, v112
	s_waitcnt vmcnt(0)
	ds_write2_b64 v109, v[111:112], v[113:114] offset1:54
	s_waitcnt lgkmcnt(0)
	; wave barrier
	s_and_saveexec_b64 s[8:9], s[4:5]
	s_cbranch_execz .LBB116_15
; %bb.14:
	buffer_load_dword v111, v107, s[0:3], 0 offen
	buffer_load_dword v112, v107, s[0:3], 0 offen offset:4
	ds_read_b64 v[113:114], v110
	v_mov_b32_e32 v108, 0
	ds_read_b64 v[115:116], v108 offset:8
	s_waitcnt vmcnt(0) lgkmcnt(1)
	v_fma_f64 v[111:112], v[111:112], v[113:114], 0
	s_waitcnt lgkmcnt(0)
	v_mul_f64 v[111:112], v[111:112], v[115:116]
	buffer_store_dword v111, off, s[0:3], 0 offset:8
	buffer_store_dword v112, off, s[0:3], 0 offset:12
.LBB116_15:
	s_or_b64 exec, exec, s[8:9]
	; wave barrier
	buffer_load_dword v111, off, s[0:3], 0 offset:16
	buffer_load_dword v112, off, s[0:3], 0 offset:20
	v_cmp_gt_u32_e32 vcc, 2, v0
	s_waitcnt vmcnt(0)
	ds_write_b64 v110, v[111:112]
	s_waitcnt lgkmcnt(0)
	; wave barrier
	s_and_saveexec_b64 s[8:9], vcc
	s_cbranch_execz .LBB116_17
; %bb.16:
	buffer_load_dword v111, v107, s[0:3], 0 offen
	buffer_load_dword v112, v107, s[0:3], 0 offen offset:4
                                        ; kill: killed $vgpr107
	s_nop 0
	buffer_load_dword v107, off, s[0:3], 0 offset:8
	buffer_load_dword v108, off, s[0:3], 0 offset:12
	ds_read_b64 v[113:114], v110
	s_waitcnt vmcnt(2) lgkmcnt(0)
	v_fma_f64 v[115:116], v[111:112], v[113:114], 0
	v_mov_b32_e32 v111, 0
	ds_read2_b64 v[111:114], v111 offset0:2 offset1:55
	s_waitcnt vmcnt(0) lgkmcnt(0)
	v_fma_f64 v[107:108], v[107:108], v[113:114], v[115:116]
	v_cndmask_b32_e64 v108, v116, v108, s[4:5]
	v_cndmask_b32_e64 v107, v115, v107, s[4:5]
	v_mul_f64 v[107:108], v[107:108], v[111:112]
	buffer_store_dword v108, off, s[0:3], 0 offset:20
	buffer_store_dword v107, off, s[0:3], 0 offset:16
.LBB116_17:
	s_or_b64 exec, exec, s[8:9]
	; wave barrier
	buffer_load_dword v107, off, s[0:3], 0 offset:24
	buffer_load_dword v108, off, s[0:3], 0 offset:28
	v_cmp_gt_u32_e32 vcc, 3, v0
	v_add_u32_e32 v111, -1, v0
	s_waitcnt vmcnt(0)
	ds_write_b64 v110, v[107:108]
	s_waitcnt lgkmcnt(0)
	; wave barrier
	s_and_saveexec_b64 s[4:5], vcc
	s_cbranch_execz .LBB116_21
; %bb.18:
	v_mov_b32_e32 v107, 0
	v_add_u32_e32 v112, -1, v0
	v_add_u32_e32 v113, 0x1b0, v109
	v_mov_b32_e32 v114, v109
	v_mov_b32_e32 v108, 0
	s_mov_b64 s[8:9], 0
.LBB116_19:                             ; =>This Inner Loop Header: Depth=1
	buffer_load_dword v115, v114, s[0:3], 0 offen
	buffer_load_dword v116, v114, s[0:3], 0 offen offset:4
	ds_read_b64 v[117:118], v113
	v_add_u32_e32 v112, 1, v112
	v_cmp_lt_u32_e32 vcc, 1, v112
	v_add_u32_e32 v113, 8, v113
	s_or_b64 s[8:9], vcc, s[8:9]
	v_add_u32_e32 v114, 8, v114
	s_waitcnt vmcnt(0) lgkmcnt(0)
	v_fma_f64 v[107:108], v[115:116], v[117:118], v[107:108]
	s_andn2_b64 exec, exec, s[8:9]
	s_cbranch_execnz .LBB116_19
; %bb.20:
	s_or_b64 exec, exec, s[8:9]
	v_mov_b32_e32 v112, 0
	ds_read_b64 v[112:113], v112 offset:24
	s_waitcnt lgkmcnt(0)
	v_mul_f64 v[107:108], v[107:108], v[112:113]
	buffer_store_dword v108, off, s[0:3], 0 offset:28
	buffer_store_dword v107, off, s[0:3], 0 offset:24
.LBB116_21:
	s_or_b64 exec, exec, s[4:5]
	; wave barrier
	buffer_load_dword v107, off, s[0:3], 0 offset:32
	buffer_load_dword v108, off, s[0:3], 0 offset:36
	v_cmp_gt_u32_e32 vcc, 4, v0
	s_waitcnt vmcnt(0)
	ds_write_b64 v110, v[107:108]
	s_waitcnt lgkmcnt(0)
	; wave barrier
	s_and_saveexec_b64 s[4:5], vcc
	s_cbranch_execz .LBB116_25
; %bb.22:
	v_mov_b32_e32 v107, 0
	v_add_u32_e32 v112, -1, v0
	v_add_u32_e32 v113, 0x1b0, v109
	v_mov_b32_e32 v114, v109
	v_mov_b32_e32 v108, 0
	s_mov_b64 s[8:9], 0
.LBB116_23:                             ; =>This Inner Loop Header: Depth=1
	buffer_load_dword v115, v114, s[0:3], 0 offen
	buffer_load_dword v116, v114, s[0:3], 0 offen offset:4
	ds_read_b64 v[117:118], v113
	v_add_u32_e32 v112, 1, v112
	v_cmp_lt_u32_e32 vcc, 2, v112
	v_add_u32_e32 v113, 8, v113
	s_or_b64 s[8:9], vcc, s[8:9]
	v_add_u32_e32 v114, 8, v114
	s_waitcnt vmcnt(0) lgkmcnt(0)
	v_fma_f64 v[107:108], v[115:116], v[117:118], v[107:108]
	s_andn2_b64 exec, exec, s[8:9]
	s_cbranch_execnz .LBB116_23
; %bb.24:
	s_or_b64 exec, exec, s[8:9]
	v_mov_b32_e32 v112, 0
	ds_read_b64 v[112:113], v112 offset:32
	s_waitcnt lgkmcnt(0)
	v_mul_f64 v[107:108], v[107:108], v[112:113]
	buffer_store_dword v108, off, s[0:3], 0 offset:36
	buffer_store_dword v107, off, s[0:3], 0 offset:32
.LBB116_25:
	s_or_b64 exec, exec, s[4:5]
	; wave barrier
	buffer_load_dword v107, off, s[0:3], 0 offset:40
	buffer_load_dword v108, off, s[0:3], 0 offset:44
	v_cmp_gt_u32_e32 vcc, 5, v0
	;; [unrolled: 40-line block ×21, first 2 shown]
	s_waitcnt vmcnt(0)
	ds_write_b64 v110, v[107:108]
	s_waitcnt lgkmcnt(0)
	; wave barrier
	s_and_saveexec_b64 s[4:5], vcc
	s_cbranch_execz .LBB116_105
; %bb.102:
	v_mov_b32_e32 v107, 0
	v_add_u32_e32 v112, -1, v0
	v_add_u32_e32 v113, 0x1b0, v109
	v_mov_b32_e32 v114, v109
	v_mov_b32_e32 v108, 0
	s_mov_b64 s[8:9], 0
.LBB116_103:                            ; =>This Inner Loop Header: Depth=1
	buffer_load_dword v115, v114, s[0:3], 0 offen
	buffer_load_dword v116, v114, s[0:3], 0 offen offset:4
	ds_read_b64 v[117:118], v113
	v_add_u32_e32 v112, 1, v112
	v_cmp_lt_u32_e32 vcc, 22, v112
	v_add_u32_e32 v113, 8, v113
	s_or_b64 s[8:9], vcc, s[8:9]
	v_add_u32_e32 v114, 8, v114
	s_waitcnt vmcnt(0) lgkmcnt(0)
	v_fma_f64 v[107:108], v[115:116], v[117:118], v[107:108]
	s_andn2_b64 exec, exec, s[8:9]
	s_cbranch_execnz .LBB116_103
; %bb.104:
	s_or_b64 exec, exec, s[8:9]
	v_mov_b32_e32 v112, 0
	ds_read_b64 v[112:113], v112 offset:192
	s_waitcnt lgkmcnt(0)
	v_mul_f64 v[107:108], v[107:108], v[112:113]
	buffer_store_dword v108, off, s[0:3], 0 offset:196
	buffer_store_dword v107, off, s[0:3], 0 offset:192
.LBB116_105:
	s_or_b64 exec, exec, s[4:5]
	; wave barrier
	buffer_load_dword v107, off, s[0:3], 0 offset:200
	buffer_load_dword v108, off, s[0:3], 0 offset:204
	v_cmp_gt_u32_e32 vcc, 25, v0
	s_waitcnt vmcnt(0)
	ds_write_b64 v110, v[107:108]
	s_waitcnt lgkmcnt(0)
	; wave barrier
	s_and_saveexec_b64 s[4:5], vcc
	s_cbranch_execz .LBB116_109
; %bb.106:
	v_mov_b32_e32 v107, 0
	v_add_u32_e32 v112, -1, v0
	v_add_u32_e32 v113, 0x1b0, v109
	v_mov_b32_e32 v114, v109
	v_mov_b32_e32 v108, 0
	s_mov_b64 s[8:9], 0
.LBB116_107:                            ; =>This Inner Loop Header: Depth=1
	buffer_load_dword v115, v114, s[0:3], 0 offen
	buffer_load_dword v116, v114, s[0:3], 0 offen offset:4
	ds_read_b64 v[117:118], v113
	v_add_u32_e32 v112, 1, v112
	v_cmp_lt_u32_e32 vcc, 23, v112
	v_add_u32_e32 v113, 8, v113
	s_or_b64 s[8:9], vcc, s[8:9]
	v_add_u32_e32 v114, 8, v114
	s_waitcnt vmcnt(0) lgkmcnt(0)
	v_fma_f64 v[107:108], v[115:116], v[117:118], v[107:108]
	s_andn2_b64 exec, exec, s[8:9]
	s_cbranch_execnz .LBB116_107
; %bb.108:
	s_or_b64 exec, exec, s[8:9]
	v_mov_b32_e32 v112, 0
	ds_read_b64 v[112:113], v112 offset:200
	s_waitcnt lgkmcnt(0)
	v_mul_f64 v[107:108], v[107:108], v[112:113]
	buffer_store_dword v108, off, s[0:3], 0 offset:204
	buffer_store_dword v107, off, s[0:3], 0 offset:200
.LBB116_109:
	s_or_b64 exec, exec, s[4:5]
	; wave barrier
	buffer_load_dword v107, off, s[0:3], 0 offset:208
	buffer_load_dword v108, off, s[0:3], 0 offset:212
	v_cmp_gt_u32_e32 vcc, 26, v0
	;; [unrolled: 40-line block ×27, first 2 shown]
	s_waitcnt vmcnt(0)
	ds_write_b64 v110, v[107:108]
	s_waitcnt lgkmcnt(0)
	; wave barrier
	s_and_saveexec_b64 s[4:5], vcc
	s_cbranch_execz .LBB116_213
; %bb.210:
	v_mov_b32_e32 v107, 0
	v_add_u32_e32 v112, -1, v0
	v_add_u32_e32 v113, 0x1b0, v109
	v_mov_b32_e32 v114, v109
	v_mov_b32_e32 v108, 0
	s_mov_b64 s[8:9], 0
.LBB116_211:                            ; =>This Inner Loop Header: Depth=1
	buffer_load_dword v115, v114, s[0:3], 0 offen
	buffer_load_dword v116, v114, s[0:3], 0 offen offset:4
	ds_read_b64 v[117:118], v113
	v_add_u32_e32 v112, 1, v112
	v_cmp_lt_u32_e32 vcc, 49, v112
	v_add_u32_e32 v113, 8, v113
	s_or_b64 s[8:9], vcc, s[8:9]
	v_add_u32_e32 v114, 8, v114
	s_waitcnt vmcnt(0) lgkmcnt(0)
	v_fma_f64 v[107:108], v[115:116], v[117:118], v[107:108]
	s_andn2_b64 exec, exec, s[8:9]
	s_cbranch_execnz .LBB116_211
; %bb.212:
	s_or_b64 exec, exec, s[8:9]
	v_mov_b32_e32 v112, 0
	ds_read_b64 v[112:113], v112 offset:408
	s_waitcnt lgkmcnt(0)
	v_mul_f64 v[107:108], v[107:108], v[112:113]
	buffer_store_dword v108, off, s[0:3], 0 offset:412
	buffer_store_dword v107, off, s[0:3], 0 offset:408
.LBB116_213:
	s_or_b64 exec, exec, s[4:5]
	; wave barrier
	buffer_load_dword v107, off, s[0:3], 0 offset:416
	buffer_load_dword v108, off, s[0:3], 0 offset:420
	v_cmp_ne_u32_e32 vcc, 52, v0
	s_waitcnt vmcnt(0)
	ds_write_b64 v110, v[107:108]
	s_waitcnt lgkmcnt(0)
	; wave barrier
	s_and_saveexec_b64 s[4:5], vcc
	s_cbranch_execz .LBB116_217
; %bb.214:
	v_mov_b32_e32 v107, 0
	v_add_u32_e32 v110, 0x1b0, v109
	v_mov_b32_e32 v108, 0
	s_mov_b64 s[8:9], 0
.LBB116_215:                            ; =>This Inner Loop Header: Depth=1
	buffer_load_dword v112, v109, s[0:3], 0 offen
	buffer_load_dword v113, v109, s[0:3], 0 offen offset:4
	ds_read_b64 v[114:115], v110
	v_add_u32_e32 v111, 1, v111
	v_cmp_lt_u32_e32 vcc, 50, v111
	v_add_u32_e32 v110, 8, v110
	s_or_b64 s[8:9], vcc, s[8:9]
	v_add_u32_e32 v109, 8, v109
	s_waitcnt vmcnt(0) lgkmcnt(0)
	v_fma_f64 v[107:108], v[112:113], v[114:115], v[107:108]
	s_andn2_b64 exec, exec, s[8:9]
	s_cbranch_execnz .LBB116_215
; %bb.216:
	s_or_b64 exec, exec, s[8:9]
	v_mov_b32_e32 v109, 0
	ds_read_b64 v[109:110], v109 offset:416
	s_waitcnt lgkmcnt(0)
	v_mul_f64 v[107:108], v[107:108], v[109:110]
	buffer_store_dword v108, off, s[0:3], 0 offset:420
	buffer_store_dword v107, off, s[0:3], 0 offset:416
.LBB116_217:
	s_or_b64 exec, exec, s[4:5]
	s_mov_b64 s[8:9], -1
	; wave barrier
.LBB116_218:
	s_and_b64 vcc, exec, s[8:9]
	s_cbranch_vccz .LBB116_220
; %bb.219:
	s_lshl_b64 s[4:5], s[6:7], 2
	s_add_u32 s4, s10, s4
	s_addc_u32 s5, s11, s5
	v_mov_b32_e32 v107, 0
	global_load_dword v107, v107, s[4:5]
	s_waitcnt vmcnt(0)
	v_cmp_ne_u32_e32 vcc, 0, v107
	s_cbranch_vccz .LBB116_221
.LBB116_220:
	s_endpgm
.LBB116_221:
	v_mov_b32_e32 v107, 0x1b0
	v_lshl_add_u32 v107, v0, 3, v107
	v_cmp_eq_u32_e32 vcc, 52, v0
	s_and_saveexec_b64 s[4:5], vcc
	s_cbranch_execz .LBB116_223
; %bb.222:
	buffer_load_dword v108, off, s[0:3], 0 offset:408
	buffer_load_dword v109, off, s[0:3], 0 offset:412
	v_mov_b32_e32 v110, 0
	buffer_store_dword v110, off, s[0:3], 0 offset:408
	buffer_store_dword v110, off, s[0:3], 0 offset:412
	s_waitcnt vmcnt(2)
	ds_write_b64 v107, v[108:109]
.LBB116_223:
	s_or_b64 exec, exec, s[4:5]
	s_waitcnt lgkmcnt(0)
	; wave barrier
	buffer_load_dword v109, off, s[0:3], 0 offset:416
	buffer_load_dword v110, off, s[0:3], 0 offset:420
	;; [unrolled: 1-line block ×4, first 2 shown]
	v_mov_b32_e32 v108, 0
	ds_read_b64 v[113:114], v108 offset:848
	v_cmp_lt_u32_e32 vcc, 50, v0
	s_waitcnt vmcnt(2) lgkmcnt(0)
	v_fma_f64 v[109:110], v[109:110], v[113:114], 0
	s_waitcnt vmcnt(0)
	v_add_f64 v[109:110], v[111:112], -v[109:110]
	buffer_store_dword v109, off, s[0:3], 0 offset:408
	buffer_store_dword v110, off, s[0:3], 0 offset:412
	s_and_saveexec_b64 s[4:5], vcc
	s_cbranch_execz .LBB116_225
; %bb.224:
	buffer_load_dword v109, off, s[0:3], 0 offset:400
	buffer_load_dword v110, off, s[0:3], 0 offset:404
	s_waitcnt vmcnt(0)
	ds_write_b64 v107, v[109:110]
	buffer_store_dword v108, off, s[0:3], 0 offset:400
	buffer_store_dword v108, off, s[0:3], 0 offset:404
.LBB116_225:
	s_or_b64 exec, exec, s[4:5]
	s_waitcnt lgkmcnt(0)
	; wave barrier
	buffer_load_dword v112, off, s[0:3], 0 offset:408
	buffer_load_dword v113, off, s[0:3], 0 offset:412
	;; [unrolled: 1-line block ×6, first 2 shown]
	ds_read2_b64 v[108:111], v108 offset0:105 offset1:106
	v_cmp_lt_u32_e32 vcc, 49, v0
	s_waitcnt vmcnt(4) lgkmcnt(0)
	v_fma_f64 v[108:109], v[112:113], v[108:109], 0
	s_waitcnt vmcnt(2)
	v_fma_f64 v[108:109], v[114:115], v[110:111], v[108:109]
	s_waitcnt vmcnt(0)
	v_add_f64 v[108:109], v[116:117], -v[108:109]
	buffer_store_dword v108, off, s[0:3], 0 offset:400
	buffer_store_dword v109, off, s[0:3], 0 offset:404
	s_and_saveexec_b64 s[4:5], vcc
	s_cbranch_execz .LBB116_227
; %bb.226:
	buffer_load_dword v108, off, s[0:3], 0 offset:392
	buffer_load_dword v109, off, s[0:3], 0 offset:396
	v_mov_b32_e32 v110, 0
	buffer_store_dword v110, off, s[0:3], 0 offset:392
	buffer_store_dword v110, off, s[0:3], 0 offset:396
	s_waitcnt vmcnt(2)
	ds_write_b64 v107, v[108:109]
.LBB116_227:
	s_or_b64 exec, exec, s[4:5]
	s_waitcnt lgkmcnt(0)
	; wave barrier
	buffer_load_dword v113, off, s[0:3], 0 offset:400
	buffer_load_dword v114, off, s[0:3], 0 offset:404
	;; [unrolled: 1-line block ×8, first 2 shown]
	v_mov_b32_e32 v108, 0
	ds_read_b128 v[109:112], v108 offset:832
	ds_read_b64 v[121:122], v108 offset:848
	v_cmp_lt_u32_e32 vcc, 48, v0
	s_waitcnt vmcnt(6) lgkmcnt(1)
	v_fma_f64 v[109:110], v[113:114], v[109:110], 0
	s_waitcnt vmcnt(4)
	v_fma_f64 v[109:110], v[115:116], v[111:112], v[109:110]
	s_waitcnt vmcnt(2) lgkmcnt(0)
	v_fma_f64 v[109:110], v[117:118], v[121:122], v[109:110]
	s_waitcnt vmcnt(0)
	v_add_f64 v[109:110], v[119:120], -v[109:110]
	buffer_store_dword v109, off, s[0:3], 0 offset:392
	buffer_store_dword v110, off, s[0:3], 0 offset:396
	s_and_saveexec_b64 s[4:5], vcc
	s_cbranch_execz .LBB116_229
; %bb.228:
	buffer_load_dword v109, off, s[0:3], 0 offset:384
	buffer_load_dword v110, off, s[0:3], 0 offset:388
	s_waitcnt vmcnt(0)
	ds_write_b64 v107, v[109:110]
	buffer_store_dword v108, off, s[0:3], 0 offset:384
	buffer_store_dword v108, off, s[0:3], 0 offset:388
.LBB116_229:
	s_or_b64 exec, exec, s[4:5]
	s_waitcnt lgkmcnt(0)
	; wave barrier
	buffer_load_dword v117, off, s[0:3], 0 offset:392
	buffer_load_dword v118, off, s[0:3], 0 offset:396
	;; [unrolled: 1-line block ×10, first 2 shown]
	ds_read2_b64 v[109:112], v108 offset0:103 offset1:104
	ds_read2_b64 v[113:116], v108 offset0:105 offset1:106
	v_cmp_lt_u32_e32 vcc, 47, v0
	s_waitcnt vmcnt(8) lgkmcnt(1)
	v_fma_f64 v[108:109], v[117:118], v[109:110], 0
	s_waitcnt vmcnt(6)
	v_fma_f64 v[108:109], v[119:120], v[111:112], v[108:109]
	s_waitcnt vmcnt(4) lgkmcnt(0)
	v_fma_f64 v[108:109], v[121:122], v[113:114], v[108:109]
	s_waitcnt vmcnt(2)
	v_fma_f64 v[108:109], v[123:124], v[115:116], v[108:109]
	s_waitcnt vmcnt(0)
	v_add_f64 v[108:109], v[125:126], -v[108:109]
	buffer_store_dword v108, off, s[0:3], 0 offset:384
	buffer_store_dword v109, off, s[0:3], 0 offset:388
	s_and_saveexec_b64 s[4:5], vcc
	s_cbranch_execz .LBB116_231
; %bb.230:
	buffer_load_dword v108, off, s[0:3], 0 offset:376
	buffer_load_dword v109, off, s[0:3], 0 offset:380
	v_mov_b32_e32 v110, 0
	buffer_store_dword v110, off, s[0:3], 0 offset:376
	buffer_store_dword v110, off, s[0:3], 0 offset:380
	s_waitcnt vmcnt(2)
	ds_write_b64 v107, v[108:109]
.LBB116_231:
	s_or_b64 exec, exec, s[4:5]
	s_waitcnt lgkmcnt(0)
	; wave barrier
	buffer_load_dword v113, off, s[0:3], 0 offset:384
	buffer_load_dword v114, off, s[0:3], 0 offset:388
	buffer_load_dword v115, off, s[0:3], 0 offset:392
	buffer_load_dword v116, off, s[0:3], 0 offset:396
	buffer_load_dword v117, off, s[0:3], 0 offset:400
	buffer_load_dword v118, off, s[0:3], 0 offset:404
	buffer_load_dword v119, off, s[0:3], 0 offset:408
	buffer_load_dword v120, off, s[0:3], 0 offset:412
	buffer_load_dword v121, off, s[0:3], 0 offset:416
	buffer_load_dword v122, off, s[0:3], 0 offset:420
	buffer_load_dword v123, off, s[0:3], 0 offset:376
	buffer_load_dword v124, off, s[0:3], 0 offset:380
	v_mov_b32_e32 v108, 0
	ds_read_b128 v[109:112], v108 offset:816
	v_cmp_lt_u32_e32 vcc, 46, v0
	s_waitcnt vmcnt(10) lgkmcnt(0)
	v_fma_f64 v[109:110], v[113:114], v[109:110], 0
	s_waitcnt vmcnt(8)
	v_fma_f64 v[113:114], v[115:116], v[111:112], v[109:110]
	ds_read_b128 v[109:112], v108 offset:832
	s_waitcnt vmcnt(6) lgkmcnt(0)
	v_fma_f64 v[109:110], v[117:118], v[109:110], v[113:114]
	s_waitcnt vmcnt(4)
	v_fma_f64 v[109:110], v[119:120], v[111:112], v[109:110]
	ds_read_b64 v[111:112], v108 offset:848
	s_waitcnt vmcnt(2) lgkmcnt(0)
	v_fma_f64 v[109:110], v[121:122], v[111:112], v[109:110]
	s_waitcnt vmcnt(0)
	v_add_f64 v[109:110], v[123:124], -v[109:110]
	buffer_store_dword v109, off, s[0:3], 0 offset:376
	buffer_store_dword v110, off, s[0:3], 0 offset:380
	s_and_saveexec_b64 s[4:5], vcc
	s_cbranch_execz .LBB116_233
; %bb.232:
	buffer_load_dword v109, off, s[0:3], 0 offset:368
	buffer_load_dword v110, off, s[0:3], 0 offset:372
	s_waitcnt vmcnt(0)
	ds_write_b64 v107, v[109:110]
	buffer_store_dword v108, off, s[0:3], 0 offset:368
	buffer_store_dword v108, off, s[0:3], 0 offset:372
.LBB116_233:
	s_or_b64 exec, exec, s[4:5]
	s_waitcnt lgkmcnt(0)
	; wave barrier
	buffer_load_dword v113, off, s[0:3], 0 offset:376
	buffer_load_dword v114, off, s[0:3], 0 offset:380
	;; [unrolled: 1-line block ×14, first 2 shown]
	ds_read2_b64 v[109:112], v108 offset0:101 offset1:102
	v_cmp_lt_u32_e32 vcc, 45, v0
	s_waitcnt vmcnt(12) lgkmcnt(0)
	v_fma_f64 v[109:110], v[113:114], v[109:110], 0
	s_waitcnt vmcnt(10)
	v_fma_f64 v[113:114], v[115:116], v[111:112], v[109:110]
	ds_read2_b64 v[109:112], v108 offset0:103 offset1:104
	s_waitcnt vmcnt(8) lgkmcnt(0)
	v_fma_f64 v[109:110], v[117:118], v[109:110], v[113:114]
	s_waitcnt vmcnt(6)
	v_fma_f64 v[112:113], v[119:120], v[111:112], v[109:110]
	ds_read2_b64 v[108:111], v108 offset0:105 offset1:106
	s_waitcnt vmcnt(4) lgkmcnt(0)
	v_fma_f64 v[108:109], v[121:122], v[108:109], v[112:113]
	s_waitcnt vmcnt(2)
	v_fma_f64 v[108:109], v[123:124], v[110:111], v[108:109]
	s_waitcnt vmcnt(0)
	v_add_f64 v[108:109], v[125:126], -v[108:109]
	buffer_store_dword v108, off, s[0:3], 0 offset:368
	buffer_store_dword v109, off, s[0:3], 0 offset:372
	s_and_saveexec_b64 s[4:5], vcc
	s_cbranch_execz .LBB116_235
; %bb.234:
	buffer_load_dword v108, off, s[0:3], 0 offset:360
	buffer_load_dword v109, off, s[0:3], 0 offset:364
	v_mov_b32_e32 v110, 0
	buffer_store_dword v110, off, s[0:3], 0 offset:360
	buffer_store_dword v110, off, s[0:3], 0 offset:364
	s_waitcnt vmcnt(2)
	ds_write_b64 v107, v[108:109]
.LBB116_235:
	s_or_b64 exec, exec, s[4:5]
	s_waitcnt lgkmcnt(0)
	; wave barrier
	buffer_load_dword v117, off, s[0:3], 0 offset:368
	buffer_load_dword v118, off, s[0:3], 0 offset:372
	;; [unrolled: 1-line block ×16, first 2 shown]
	v_mov_b32_e32 v108, 0
	ds_read_b128 v[109:112], v108 offset:800
	ds_read_b128 v[113:116], v108 offset:816
	v_cmp_lt_u32_e32 vcc, 44, v0
	s_waitcnt vmcnt(14) lgkmcnt(1)
	v_fma_f64 v[109:110], v[117:118], v[109:110], 0
	s_waitcnt vmcnt(12)
	v_fma_f64 v[109:110], v[119:120], v[111:112], v[109:110]
	s_waitcnt vmcnt(10) lgkmcnt(0)
	v_fma_f64 v[109:110], v[121:122], v[113:114], v[109:110]
	s_waitcnt vmcnt(8)
	v_fma_f64 v[113:114], v[123:124], v[115:116], v[109:110]
	ds_read_b128 v[109:112], v108 offset:832
	ds_read_b64 v[115:116], v108 offset:848
	s_waitcnt vmcnt(6) lgkmcnt(1)
	v_fma_f64 v[109:110], v[125:126], v[109:110], v[113:114]
	s_waitcnt vmcnt(4)
	v_fma_f64 v[109:110], v[127:128], v[111:112], v[109:110]
	s_waitcnt vmcnt(2) lgkmcnt(0)
	v_fma_f64 v[109:110], v[129:130], v[115:116], v[109:110]
	s_waitcnt vmcnt(0)
	v_add_f64 v[109:110], v[131:132], -v[109:110]
	buffer_store_dword v109, off, s[0:3], 0 offset:360
	buffer_store_dword v110, off, s[0:3], 0 offset:364
	s_and_saveexec_b64 s[4:5], vcc
	s_cbranch_execz .LBB116_237
; %bb.236:
	buffer_load_dword v109, off, s[0:3], 0 offset:352
	buffer_load_dword v110, off, s[0:3], 0 offset:356
	s_waitcnt vmcnt(0)
	ds_write_b64 v107, v[109:110]
	buffer_store_dword v108, off, s[0:3], 0 offset:352
	buffer_store_dword v108, off, s[0:3], 0 offset:356
.LBB116_237:
	s_or_b64 exec, exec, s[4:5]
	s_waitcnt lgkmcnt(0)
	; wave barrier
	buffer_load_dword v117, off, s[0:3], 0 offset:360
	buffer_load_dword v118, off, s[0:3], 0 offset:364
	;; [unrolled: 1-line block ×18, first 2 shown]
	ds_read2_b64 v[109:112], v108 offset0:99 offset1:100
	ds_read2_b64 v[113:116], v108 offset0:101 offset1:102
	v_cmp_lt_u32_e32 vcc, 43, v0
	s_waitcnt vmcnt(16) lgkmcnt(1)
	v_fma_f64 v[109:110], v[117:118], v[109:110], 0
	s_waitcnt vmcnt(14)
	v_fma_f64 v[109:110], v[119:120], v[111:112], v[109:110]
	s_waitcnt vmcnt(12) lgkmcnt(0)
	v_fma_f64 v[109:110], v[121:122], v[113:114], v[109:110]
	s_waitcnt vmcnt(10)
	v_fma_f64 v[117:118], v[123:124], v[115:116], v[109:110]
	ds_read2_b64 v[109:112], v108 offset0:103 offset1:104
	ds_read2_b64 v[113:116], v108 offset0:105 offset1:106
	s_waitcnt vmcnt(8) lgkmcnt(1)
	v_fma_f64 v[108:109], v[125:126], v[109:110], v[117:118]
	s_waitcnt vmcnt(6)
	v_fma_f64 v[108:109], v[127:128], v[111:112], v[108:109]
	s_waitcnt vmcnt(4) lgkmcnt(0)
	v_fma_f64 v[108:109], v[129:130], v[113:114], v[108:109]
	s_waitcnt vmcnt(2)
	v_fma_f64 v[108:109], v[131:132], v[115:116], v[108:109]
	s_waitcnt vmcnt(0)
	v_add_f64 v[108:109], v[133:134], -v[108:109]
	buffer_store_dword v108, off, s[0:3], 0 offset:352
	buffer_store_dword v109, off, s[0:3], 0 offset:356
	s_and_saveexec_b64 s[4:5], vcc
	s_cbranch_execz .LBB116_239
; %bb.238:
	buffer_load_dword v108, off, s[0:3], 0 offset:344
	buffer_load_dword v109, off, s[0:3], 0 offset:348
	v_mov_b32_e32 v110, 0
	buffer_store_dword v110, off, s[0:3], 0 offset:344
	buffer_store_dword v110, off, s[0:3], 0 offset:348
	s_waitcnt vmcnt(2)
	ds_write_b64 v107, v[108:109]
.LBB116_239:
	s_or_b64 exec, exec, s[4:5]
	s_waitcnt lgkmcnt(0)
	; wave barrier
	buffer_load_dword v117, off, s[0:3], 0 offset:352
	buffer_load_dword v118, off, s[0:3], 0 offset:356
	;; [unrolled: 1-line block ×20, first 2 shown]
	v_mov_b32_e32 v108, 0
	ds_read_b128 v[109:112], v108 offset:784
	ds_read_b128 v[113:116], v108 offset:800
	v_cmp_lt_u32_e32 vcc, 42, v0
	s_waitcnt vmcnt(18) lgkmcnt(1)
	v_fma_f64 v[109:110], v[117:118], v[109:110], 0
	s_waitcnt vmcnt(16)
	v_fma_f64 v[109:110], v[119:120], v[111:112], v[109:110]
	s_waitcnt vmcnt(14) lgkmcnt(0)
	v_fma_f64 v[109:110], v[121:122], v[113:114], v[109:110]
	s_waitcnt vmcnt(12)
	v_fma_f64 v[117:118], v[123:124], v[115:116], v[109:110]
	ds_read_b128 v[109:112], v108 offset:816
	ds_read_b128 v[113:116], v108 offset:832
	s_waitcnt vmcnt(10) lgkmcnt(1)
	v_fma_f64 v[109:110], v[125:126], v[109:110], v[117:118]
	s_waitcnt vmcnt(8)
	v_fma_f64 v[109:110], v[127:128], v[111:112], v[109:110]
	ds_read_b64 v[111:112], v108 offset:848
	s_waitcnt vmcnt(6) lgkmcnt(1)
	v_fma_f64 v[109:110], v[129:130], v[113:114], v[109:110]
	s_waitcnt vmcnt(3)
	v_fma_f64 v[109:110], v[131:132], v[115:116], v[109:110]
	s_waitcnt vmcnt(2) lgkmcnt(0)
	v_fma_f64 v[109:110], v[133:134], v[111:112], v[109:110]
	s_waitcnt vmcnt(0)
	v_add_f64 v[109:110], v[135:136], -v[109:110]
	buffer_store_dword v109, off, s[0:3], 0 offset:344
	buffer_store_dword v110, off, s[0:3], 0 offset:348
	s_and_saveexec_b64 s[4:5], vcc
	s_cbranch_execz .LBB116_241
; %bb.240:
	buffer_load_dword v109, off, s[0:3], 0 offset:336
	buffer_load_dword v110, off, s[0:3], 0 offset:340
	s_waitcnt vmcnt(0)
	ds_write_b64 v107, v[109:110]
	buffer_store_dword v108, off, s[0:3], 0 offset:336
	buffer_store_dword v108, off, s[0:3], 0 offset:340
.LBB116_241:
	s_or_b64 exec, exec, s[4:5]
	s_waitcnt lgkmcnt(0)
	; wave barrier
	buffer_load_dword v117, off, s[0:3], 0 offset:344
	buffer_load_dword v118, off, s[0:3], 0 offset:348
	;; [unrolled: 1-line block ×20, first 2 shown]
	ds_read2_b64 v[109:112], v108 offset0:97 offset1:98
	buffer_load_dword v137, off, s[0:3], 0 offset:336
	buffer_load_dword v138, off, s[0:3], 0 offset:340
	ds_read2_b64 v[113:116], v108 offset0:99 offset1:100
	v_cmp_lt_u32_e32 vcc, 41, v0
	s_waitcnt vmcnt(20) lgkmcnt(1)
	v_fma_f64 v[109:110], v[117:118], v[109:110], 0
	s_waitcnt vmcnt(18)
	v_fma_f64 v[109:110], v[119:120], v[111:112], v[109:110]
	s_waitcnt vmcnt(16) lgkmcnt(0)
	v_fma_f64 v[109:110], v[121:122], v[113:114], v[109:110]
	s_waitcnt vmcnt(14)
	v_fma_f64 v[117:118], v[123:124], v[115:116], v[109:110]
	ds_read2_b64 v[109:112], v108 offset0:101 offset1:102
	ds_read2_b64 v[113:116], v108 offset0:103 offset1:104
	s_waitcnt vmcnt(12) lgkmcnt(1)
	v_fma_f64 v[109:110], v[125:126], v[109:110], v[117:118]
	s_waitcnt vmcnt(10)
	v_fma_f64 v[109:110], v[127:128], v[111:112], v[109:110]
	s_waitcnt vmcnt(8) lgkmcnt(0)
	v_fma_f64 v[109:110], v[129:130], v[113:114], v[109:110]
	s_waitcnt vmcnt(4)
	v_fma_f64 v[112:113], v[131:132], v[115:116], v[109:110]
	ds_read2_b64 v[108:111], v108 offset0:105 offset1:106
	s_waitcnt vmcnt(3) lgkmcnt(0)
	v_fma_f64 v[108:109], v[135:136], v[108:109], v[112:113]
	s_waitcnt vmcnt(2)
	v_fma_f64 v[108:109], v[133:134], v[110:111], v[108:109]
	s_waitcnt vmcnt(0)
	v_add_f64 v[108:109], v[137:138], -v[108:109]
	buffer_store_dword v108, off, s[0:3], 0 offset:336
	buffer_store_dword v109, off, s[0:3], 0 offset:340
	s_and_saveexec_b64 s[4:5], vcc
	s_cbranch_execz .LBB116_243
; %bb.242:
	buffer_load_dword v108, off, s[0:3], 0 offset:328
	buffer_load_dword v109, off, s[0:3], 0 offset:332
	v_mov_b32_e32 v110, 0
	buffer_store_dword v110, off, s[0:3], 0 offset:328
	buffer_store_dword v110, off, s[0:3], 0 offset:332
	s_waitcnt vmcnt(2)
	ds_write_b64 v107, v[108:109]
.LBB116_243:
	s_or_b64 exec, exec, s[4:5]
	s_waitcnt lgkmcnt(0)
	; wave barrier
	buffer_load_dword v117, off, s[0:3], 0 offset:336
	buffer_load_dword v118, off, s[0:3], 0 offset:340
	;; [unrolled: 1-line block ×21, first 2 shown]
	v_mov_b32_e32 v108, 0
	ds_read_b128 v[109:112], v108 offset:768
	ds_read_b128 v[113:116], v108 offset:784
	buffer_load_dword v134, off, s[0:3], 0 offset:420
	v_cmp_lt_u32_e32 vcc, 40, v0
	s_waitcnt vmcnt(20) lgkmcnt(1)
	v_fma_f64 v[109:110], v[117:118], v[109:110], 0
	buffer_load_dword v117, off, s[0:3], 0 offset:328
	buffer_load_dword v118, off, s[0:3], 0 offset:332
	s_waitcnt vmcnt(20)
	v_fma_f64 v[109:110], v[119:120], v[111:112], v[109:110]
	s_waitcnt vmcnt(18) lgkmcnt(0)
	v_fma_f64 v[109:110], v[121:122], v[113:114], v[109:110]
	s_waitcnt vmcnt(16)
	v_fma_f64 v[119:120], v[123:124], v[115:116], v[109:110]
	ds_read_b128 v[109:112], v108 offset:800
	ds_read_b128 v[113:116], v108 offset:816
	s_waitcnt vmcnt(14) lgkmcnt(1)
	v_fma_f64 v[109:110], v[125:126], v[109:110], v[119:120]
	s_waitcnt vmcnt(12)
	v_fma_f64 v[109:110], v[127:128], v[111:112], v[109:110]
	s_waitcnt vmcnt(10) lgkmcnt(0)
	v_fma_f64 v[109:110], v[129:130], v[113:114], v[109:110]
	s_waitcnt vmcnt(5)
	v_fma_f64 v[113:114], v[131:132], v[115:116], v[109:110]
	ds_read_b128 v[109:112], v108 offset:832
	ds_read_b64 v[115:116], v108 offset:848
	s_waitcnt vmcnt(4) lgkmcnt(1)
	v_fma_f64 v[109:110], v[137:138], v[109:110], v[113:114]
	s_waitcnt vmcnt(3)
	v_fma_f64 v[109:110], v[135:136], v[111:112], v[109:110]
	s_waitcnt vmcnt(2) lgkmcnt(0)
	v_fma_f64 v[109:110], v[133:134], v[115:116], v[109:110]
	s_waitcnt vmcnt(0)
	v_add_f64 v[109:110], v[117:118], -v[109:110]
	buffer_store_dword v110, off, s[0:3], 0 offset:332
	buffer_store_dword v109, off, s[0:3], 0 offset:328
	s_and_saveexec_b64 s[4:5], vcc
	s_cbranch_execz .LBB116_245
; %bb.244:
	buffer_load_dword v109, off, s[0:3], 0 offset:320
	buffer_load_dword v110, off, s[0:3], 0 offset:324
	s_waitcnt vmcnt(0)
	ds_write_b64 v107, v[109:110]
	buffer_store_dword v108, off, s[0:3], 0 offset:320
	buffer_store_dword v108, off, s[0:3], 0 offset:324
.LBB116_245:
	s_or_b64 exec, exec, s[4:5]
	s_waitcnt lgkmcnt(0)
	; wave barrier
	buffer_load_dword v117, off, s[0:3], 0 offset:328
	buffer_load_dword v118, off, s[0:3], 0 offset:332
	;; [unrolled: 1-line block ×21, first 2 shown]
	ds_read2_b64 v[109:112], v108 offset0:95 offset1:96
	ds_read2_b64 v[113:116], v108 offset0:97 offset1:98
	buffer_load_dword v134, off, s[0:3], 0 offset:412
	v_cmp_lt_u32_e32 vcc, 39, v0
	s_waitcnt vmcnt(20) lgkmcnt(1)
	v_fma_f64 v[109:110], v[117:118], v[109:110], 0
	buffer_load_dword v118, off, s[0:3], 0 offset:420
	buffer_load_dword v117, off, s[0:3], 0 offset:416
	s_waitcnt vmcnt(20)
	v_fma_f64 v[109:110], v[119:120], v[111:112], v[109:110]
	buffer_load_dword v119, off, s[0:3], 0 offset:320
	buffer_load_dword v120, off, s[0:3], 0 offset:324
	s_waitcnt vmcnt(20) lgkmcnt(0)
	v_fma_f64 v[109:110], v[121:122], v[113:114], v[109:110]
	s_waitcnt vmcnt(18)
	v_fma_f64 v[121:122], v[123:124], v[115:116], v[109:110]
	ds_read2_b64 v[109:112], v108 offset0:99 offset1:100
	ds_read2_b64 v[113:116], v108 offset0:101 offset1:102
	s_waitcnt vmcnt(16) lgkmcnt(1)
	v_fma_f64 v[109:110], v[125:126], v[109:110], v[121:122]
	s_waitcnt vmcnt(14)
	v_fma_f64 v[109:110], v[127:128], v[111:112], v[109:110]
	s_waitcnt vmcnt(12) lgkmcnt(0)
	v_fma_f64 v[109:110], v[129:130], v[113:114], v[109:110]
	s_waitcnt vmcnt(7)
	v_fma_f64 v[121:122], v[131:132], v[115:116], v[109:110]
	ds_read2_b64 v[109:112], v108 offset0:103 offset1:104
	ds_read2_b64 v[113:116], v108 offset0:105 offset1:106
	s_waitcnt vmcnt(6) lgkmcnt(1)
	v_fma_f64 v[108:109], v[137:138], v[109:110], v[121:122]
	s_waitcnt vmcnt(5)
	v_fma_f64 v[108:109], v[135:136], v[111:112], v[108:109]
	s_waitcnt vmcnt(4) lgkmcnt(0)
	v_fma_f64 v[108:109], v[133:134], v[113:114], v[108:109]
	s_waitcnt vmcnt(2)
	v_fma_f64 v[108:109], v[117:118], v[115:116], v[108:109]
	s_waitcnt vmcnt(0)
	v_add_f64 v[108:109], v[119:120], -v[108:109]
	buffer_store_dword v109, off, s[0:3], 0 offset:324
	buffer_store_dword v108, off, s[0:3], 0 offset:320
	s_and_saveexec_b64 s[4:5], vcc
	s_cbranch_execz .LBB116_247
; %bb.246:
	buffer_load_dword v108, off, s[0:3], 0 offset:312
	buffer_load_dword v109, off, s[0:3], 0 offset:316
	v_mov_b32_e32 v110, 0
	buffer_store_dword v110, off, s[0:3], 0 offset:312
	buffer_store_dword v110, off, s[0:3], 0 offset:316
	s_waitcnt vmcnt(2)
	ds_write_b64 v107, v[108:109]
.LBB116_247:
	s_or_b64 exec, exec, s[4:5]
	s_waitcnt lgkmcnt(0)
	; wave barrier
	buffer_load_dword v117, off, s[0:3], 0 offset:320
	buffer_load_dword v118, off, s[0:3], 0 offset:324
	;; [unrolled: 1-line block ×21, first 2 shown]
	v_mov_b32_e32 v108, 0
	ds_read_b128 v[109:112], v108 offset:752
	ds_read_b128 v[113:116], v108 offset:768
	buffer_load_dword v134, off, s[0:3], 0 offset:404
	v_cmp_lt_u32_e32 vcc, 38, v0
	s_waitcnt vmcnt(20) lgkmcnt(1)
	v_fma_f64 v[109:110], v[117:118], v[109:110], 0
	s_waitcnt vmcnt(18)
	v_fma_f64 v[109:110], v[119:120], v[111:112], v[109:110]
	buffer_load_dword v118, off, s[0:3], 0 offset:412
	buffer_load_dword v119, off, s[0:3], 0 offset:416
	buffer_load_dword v117, off, s[0:3], 0 offset:408
	buffer_load_dword v120, off, s[0:3], 0 offset:420
	s_waitcnt vmcnt(20) lgkmcnt(0)
	v_fma_f64 v[109:110], v[121:122], v[113:114], v[109:110]
	buffer_load_dword v121, off, s[0:3], 0 offset:312
	buffer_load_dword v122, off, s[0:3], 0 offset:316
	s_waitcnt vmcnt(20)
	v_fma_f64 v[123:124], v[123:124], v[115:116], v[109:110]
	ds_read_b128 v[109:112], v108 offset:784
	ds_read_b128 v[113:116], v108 offset:800
	s_waitcnt vmcnt(18) lgkmcnt(1)
	v_fma_f64 v[109:110], v[125:126], v[109:110], v[123:124]
	s_waitcnt vmcnt(16)
	v_fma_f64 v[109:110], v[127:128], v[111:112], v[109:110]
	s_waitcnt vmcnt(14) lgkmcnt(0)
	v_fma_f64 v[109:110], v[129:130], v[113:114], v[109:110]
	s_waitcnt vmcnt(9)
	v_fma_f64 v[123:124], v[131:132], v[115:116], v[109:110]
	ds_read_b128 v[109:112], v108 offset:816
	ds_read_b128 v[113:116], v108 offset:832
	s_waitcnt vmcnt(8) lgkmcnt(1)
	v_fma_f64 v[109:110], v[137:138], v[109:110], v[123:124]
	s_waitcnt vmcnt(7)
	v_fma_f64 v[109:110], v[135:136], v[111:112], v[109:110]
	ds_read_b64 v[111:112], v108 offset:848
	s_waitcnt vmcnt(6) lgkmcnt(1)
	v_fma_f64 v[109:110], v[133:134], v[113:114], v[109:110]
	s_waitcnt vmcnt(3)
	v_fma_f64 v[109:110], v[117:118], v[115:116], v[109:110]
	s_waitcnt vmcnt(2) lgkmcnt(0)
	v_fma_f64 v[109:110], v[119:120], v[111:112], v[109:110]
	s_waitcnt vmcnt(0)
	v_add_f64 v[109:110], v[121:122], -v[109:110]
	buffer_store_dword v110, off, s[0:3], 0 offset:316
	buffer_store_dword v109, off, s[0:3], 0 offset:312
	s_and_saveexec_b64 s[4:5], vcc
	s_cbranch_execz .LBB116_249
; %bb.248:
	buffer_load_dword v109, off, s[0:3], 0 offset:304
	buffer_load_dword v110, off, s[0:3], 0 offset:308
	s_waitcnt vmcnt(0)
	ds_write_b64 v107, v[109:110]
	buffer_store_dword v108, off, s[0:3], 0 offset:304
	buffer_store_dword v108, off, s[0:3], 0 offset:308
.LBB116_249:
	s_or_b64 exec, exec, s[4:5]
	s_waitcnt lgkmcnt(0)
	; wave barrier
	buffer_load_dword v117, off, s[0:3], 0 offset:312
	buffer_load_dword v118, off, s[0:3], 0 offset:316
	;; [unrolled: 1-line block ×22, first 2 shown]
	ds_read2_b64 v[109:112], v108 offset0:93 offset1:94
	ds_read2_b64 v[113:116], v108 offset0:95 offset1:96
	v_cmp_lt_u32_e32 vcc, 37, v0
	s_waitcnt vmcnt(20) lgkmcnt(1)
	v_fma_f64 v[109:110], v[117:118], v[109:110], 0
	s_waitcnt vmcnt(18)
	v_fma_f64 v[109:110], v[119:120], v[111:112], v[109:110]
	buffer_load_dword v118, off, s[0:3], 0 offset:404
	buffer_load_dword v119, off, s[0:3], 0 offset:416
	;; [unrolled: 1-line block ×6, first 2 shown]
	s_waitcnt vmcnt(22) lgkmcnt(0)
	v_fma_f64 v[109:110], v[121:122], v[113:114], v[109:110]
	s_waitcnt vmcnt(20)
	v_fma_f64 v[121:122], v[123:124], v[115:116], v[109:110]
	ds_read2_b64 v[109:112], v108 offset0:97 offset1:98
	buffer_load_dword v123, off, s[0:3], 0 offset:304
	buffer_load_dword v124, off, s[0:3], 0 offset:308
	ds_read2_b64 v[113:116], v108 offset0:99 offset1:100
	s_waitcnt vmcnt(20) lgkmcnt(1)
	v_fma_f64 v[109:110], v[125:126], v[109:110], v[121:122]
	s_waitcnt vmcnt(18)
	v_fma_f64 v[109:110], v[127:128], v[111:112], v[109:110]
	s_waitcnt vmcnt(16) lgkmcnt(0)
	v_fma_f64 v[109:110], v[129:130], v[113:114], v[109:110]
	s_waitcnt vmcnt(11)
	v_fma_f64 v[121:122], v[131:132], v[115:116], v[109:110]
	ds_read2_b64 v[109:112], v108 offset0:101 offset1:102
	ds_read2_b64 v[113:116], v108 offset0:103 offset1:104
	s_waitcnt vmcnt(10) lgkmcnt(1)
	v_fma_f64 v[109:110], v[137:138], v[109:110], v[121:122]
	s_waitcnt vmcnt(9)
	v_fma_f64 v[109:110], v[135:136], v[111:112], v[109:110]
	s_waitcnt vmcnt(8) lgkmcnt(0)
	v_fma_f64 v[109:110], v[133:134], v[113:114], v[109:110]
	s_waitcnt vmcnt(4)
	v_fma_f64 v[112:113], v[117:118], v[115:116], v[109:110]
	ds_read2_b64 v[108:111], v108 offset0:105 offset1:106
	s_waitcnt vmcnt(3) lgkmcnt(0)
	v_fma_f64 v[108:109], v[139:140], v[108:109], v[112:113]
	s_waitcnt vmcnt(2)
	v_fma_f64 v[108:109], v[119:120], v[110:111], v[108:109]
	s_waitcnt vmcnt(0)
	v_add_f64 v[108:109], v[123:124], -v[108:109]
	buffer_store_dword v109, off, s[0:3], 0 offset:308
	buffer_store_dword v108, off, s[0:3], 0 offset:304
	s_and_saveexec_b64 s[4:5], vcc
	s_cbranch_execz .LBB116_251
; %bb.250:
	buffer_load_dword v108, off, s[0:3], 0 offset:296
	buffer_load_dword v109, off, s[0:3], 0 offset:300
	v_mov_b32_e32 v110, 0
	buffer_store_dword v110, off, s[0:3], 0 offset:296
	buffer_store_dword v110, off, s[0:3], 0 offset:300
	s_waitcnt vmcnt(2)
	ds_write_b64 v107, v[108:109]
.LBB116_251:
	s_or_b64 exec, exec, s[4:5]
	s_waitcnt lgkmcnt(0)
	; wave barrier
	buffer_load_dword v117, off, s[0:3], 0 offset:304
	buffer_load_dword v118, off, s[0:3], 0 offset:308
	;; [unrolled: 1-line block ×22, first 2 shown]
	v_mov_b32_e32 v108, 0
	ds_read_b128 v[109:112], v108 offset:736
	ds_read_b128 v[113:116], v108 offset:752
	v_cmp_lt_u32_e32 vcc, 36, v0
	s_waitcnt vmcnt(20) lgkmcnt(1)
	v_fma_f64 v[109:110], v[117:118], v[109:110], 0
	s_waitcnt vmcnt(18)
	v_fma_f64 v[109:110], v[119:120], v[111:112], v[109:110]
	buffer_load_dword v118, off, s[0:3], 0 offset:396
	buffer_load_dword v119, off, s[0:3], 0 offset:416
	;; [unrolled: 1-line block ×8, first 2 shown]
	s_waitcnt vmcnt(24) lgkmcnt(0)
	v_fma_f64 v[109:110], v[121:122], v[113:114], v[109:110]
	s_waitcnt vmcnt(22)
	v_fma_f64 v[121:122], v[123:124], v[115:116], v[109:110]
	ds_read_b128 v[109:112], v108 offset:768
	ds_read_b128 v[113:116], v108 offset:784
	s_waitcnt vmcnt(20) lgkmcnt(1)
	v_fma_f64 v[109:110], v[125:126], v[109:110], v[121:122]
	buffer_load_dword v121, off, s[0:3], 0 offset:296
	buffer_load_dword v122, off, s[0:3], 0 offset:300
	s_waitcnt vmcnt(20)
	v_fma_f64 v[109:110], v[127:128], v[111:112], v[109:110]
	s_waitcnt vmcnt(18) lgkmcnt(0)
	v_fma_f64 v[109:110], v[129:130], v[113:114], v[109:110]
	s_waitcnt vmcnt(13)
	v_fma_f64 v[123:124], v[131:132], v[115:116], v[109:110]
	ds_read_b128 v[109:112], v108 offset:800
	ds_read_b128 v[113:116], v108 offset:816
	s_waitcnt vmcnt(12) lgkmcnt(1)
	v_fma_f64 v[109:110], v[137:138], v[109:110], v[123:124]
	s_waitcnt vmcnt(11)
	v_fma_f64 v[109:110], v[135:136], v[111:112], v[109:110]
	s_waitcnt vmcnt(10) lgkmcnt(0)
	v_fma_f64 v[109:110], v[133:134], v[113:114], v[109:110]
	s_waitcnt vmcnt(5)
	v_fma_f64 v[113:114], v[117:118], v[115:116], v[109:110]
	ds_read_b128 v[109:112], v108 offset:832
	ds_read_b64 v[115:116], v108 offset:848
	s_waitcnt vmcnt(4) lgkmcnt(1)
	v_fma_f64 v[109:110], v[141:142], v[109:110], v[113:114]
	s_waitcnt vmcnt(3)
	v_fma_f64 v[109:110], v[139:140], v[111:112], v[109:110]
	s_waitcnt vmcnt(2) lgkmcnt(0)
	v_fma_f64 v[109:110], v[119:120], v[115:116], v[109:110]
	s_waitcnt vmcnt(0)
	v_add_f64 v[109:110], v[121:122], -v[109:110]
	buffer_store_dword v110, off, s[0:3], 0 offset:300
	buffer_store_dword v109, off, s[0:3], 0 offset:296
	s_and_saveexec_b64 s[4:5], vcc
	s_cbranch_execz .LBB116_253
; %bb.252:
	buffer_load_dword v109, off, s[0:3], 0 offset:288
	buffer_load_dword v110, off, s[0:3], 0 offset:292
	s_waitcnt vmcnt(0)
	ds_write_b64 v107, v[109:110]
	buffer_store_dword v108, off, s[0:3], 0 offset:288
	buffer_store_dword v108, off, s[0:3], 0 offset:292
.LBB116_253:
	s_or_b64 exec, exec, s[4:5]
	s_waitcnt lgkmcnt(0)
	; wave barrier
	buffer_load_dword v117, off, s[0:3], 0 offset:296
	buffer_load_dword v118, off, s[0:3], 0 offset:300
	;; [unrolled: 1-line block ×22, first 2 shown]
	ds_read2_b64 v[109:112], v108 offset0:91 offset1:92
	ds_read2_b64 v[113:116], v108 offset0:93 offset1:94
	v_cmp_lt_u32_e32 vcc, 35, v0
	s_waitcnt vmcnt(20) lgkmcnt(1)
	v_fma_f64 v[109:110], v[117:118], v[109:110], 0
	s_waitcnt vmcnt(18)
	v_fma_f64 v[109:110], v[119:120], v[111:112], v[109:110]
	buffer_load_dword v118, off, s[0:3], 0 offset:388
	buffer_load_dword v119, off, s[0:3], 0 offset:408
	buffer_load_dword v139, off, s[0:3], 0 offset:400
	buffer_load_dword v141, off, s[0:3], 0 offset:392
	buffer_load_dword v117, off, s[0:3], 0 offset:384
	buffer_load_dword v142, off, s[0:3], 0 offset:396
	buffer_load_dword v140, off, s[0:3], 0 offset:404
	buffer_load_dword v120, off, s[0:3], 0 offset:412
	s_waitcnt vmcnt(24) lgkmcnt(0)
	v_fma_f64 v[109:110], v[121:122], v[113:114], v[109:110]
	s_waitcnt vmcnt(22)
	v_fma_f64 v[121:122], v[123:124], v[115:116], v[109:110]
	ds_read2_b64 v[109:112], v108 offset0:95 offset1:96
	ds_read2_b64 v[113:116], v108 offset0:97 offset1:98
	s_waitcnt vmcnt(20) lgkmcnt(1)
	v_fma_f64 v[109:110], v[125:126], v[109:110], v[121:122]
	buffer_load_dword v122, off, s[0:3], 0 offset:420
	buffer_load_dword v121, off, s[0:3], 0 offset:416
	;; [unrolled: 1-line block ×4, first 2 shown]
	s_waitcnt vmcnt(22)
	v_fma_f64 v[109:110], v[127:128], v[111:112], v[109:110]
	s_waitcnt vmcnt(20) lgkmcnt(0)
	v_fma_f64 v[109:110], v[129:130], v[113:114], v[109:110]
	s_waitcnt vmcnt(15)
	v_fma_f64 v[125:126], v[131:132], v[115:116], v[109:110]
	ds_read2_b64 v[109:112], v108 offset0:99 offset1:100
	ds_read2_b64 v[113:116], v108 offset0:101 offset1:102
	s_waitcnt vmcnt(14) lgkmcnt(1)
	v_fma_f64 v[109:110], v[137:138], v[109:110], v[125:126]
	s_waitcnt vmcnt(13)
	v_fma_f64 v[109:110], v[135:136], v[111:112], v[109:110]
	s_waitcnt vmcnt(12) lgkmcnt(0)
	v_fma_f64 v[109:110], v[133:134], v[113:114], v[109:110]
	s_waitcnt vmcnt(7)
	v_fma_f64 v[117:118], v[117:118], v[115:116], v[109:110]
	ds_read2_b64 v[109:112], v108 offset0:103 offset1:104
	ds_read2_b64 v[113:116], v108 offset0:105 offset1:106
	s_waitcnt vmcnt(6) lgkmcnt(1)
	v_fma_f64 v[108:109], v[141:142], v[109:110], v[117:118]
	s_waitcnt vmcnt(5)
	v_fma_f64 v[108:109], v[139:140], v[111:112], v[108:109]
	s_waitcnt vmcnt(4) lgkmcnt(0)
	v_fma_f64 v[108:109], v[119:120], v[113:114], v[108:109]
	s_waitcnt vmcnt(2)
	v_fma_f64 v[108:109], v[121:122], v[115:116], v[108:109]
	s_waitcnt vmcnt(0)
	v_add_f64 v[108:109], v[123:124], -v[108:109]
	buffer_store_dword v109, off, s[0:3], 0 offset:292
	buffer_store_dword v108, off, s[0:3], 0 offset:288
	s_and_saveexec_b64 s[4:5], vcc
	s_cbranch_execz .LBB116_255
; %bb.254:
	buffer_load_dword v108, off, s[0:3], 0 offset:280
	buffer_load_dword v109, off, s[0:3], 0 offset:284
	v_mov_b32_e32 v110, 0
	buffer_store_dword v110, off, s[0:3], 0 offset:280
	buffer_store_dword v110, off, s[0:3], 0 offset:284
	s_waitcnt vmcnt(2)
	ds_write_b64 v107, v[108:109]
.LBB116_255:
	s_or_b64 exec, exec, s[4:5]
	s_waitcnt lgkmcnt(0)
	; wave barrier
	buffer_load_dword v117, off, s[0:3], 0 offset:288
	buffer_load_dword v118, off, s[0:3], 0 offset:292
	;; [unrolled: 1-line block ×22, first 2 shown]
	v_mov_b32_e32 v108, 0
	ds_read_b128 v[109:112], v108 offset:720
	ds_read_b128 v[113:116], v108 offset:736
	v_cmp_lt_u32_e32 vcc, 34, v0
	s_waitcnt vmcnt(20) lgkmcnt(1)
	v_fma_f64 v[109:110], v[117:118], v[109:110], 0
	s_waitcnt vmcnt(18)
	v_fma_f64 v[109:110], v[119:120], v[111:112], v[109:110]
	buffer_load_dword v118, off, s[0:3], 0 offset:380
	buffer_load_dword v119, off, s[0:3], 0 offset:400
	;; [unrolled: 1-line block ×7, first 2 shown]
	s_waitcnt vmcnt(23) lgkmcnt(0)
	v_fma_f64 v[109:110], v[121:122], v[113:114], v[109:110]
	s_waitcnt vmcnt(21)
	v_fma_f64 v[120:121], v[123:124], v[115:116], v[109:110]
	ds_read_b128 v[109:112], v108 offset:752
	ds_read_b128 v[113:116], v108 offset:768
	s_waitcnt vmcnt(19) lgkmcnt(1)
	v_fma_f64 v[109:110], v[125:126], v[109:110], v[120:121]
	buffer_load_dword v120, off, s[0:3], 0 offset:404
	buffer_load_dword v122, off, s[0:3], 0 offset:412
	;; [unrolled: 1-line block ×7, first 2 shown]
	s_waitcnt vmcnt(24)
	v_fma_f64 v[109:110], v[127:128], v[111:112], v[109:110]
	s_waitcnt vmcnt(22) lgkmcnt(0)
	v_fma_f64 v[109:110], v[129:130], v[113:114], v[109:110]
	s_waitcnt vmcnt(17)
	v_fma_f64 v[127:128], v[131:132], v[115:116], v[109:110]
	ds_read_b128 v[109:112], v108 offset:784
	ds_read_b128 v[113:116], v108 offset:800
	s_waitcnt vmcnt(16) lgkmcnt(1)
	v_fma_f64 v[109:110], v[137:138], v[109:110], v[127:128]
	s_waitcnt vmcnt(15)
	v_fma_f64 v[109:110], v[135:136], v[111:112], v[109:110]
	s_waitcnt vmcnt(14) lgkmcnt(0)
	v_fma_f64 v[109:110], v[133:134], v[113:114], v[109:110]
	s_waitcnt vmcnt(9)
	v_fma_f64 v[117:118], v[117:118], v[115:116], v[109:110]
	ds_read_b128 v[109:112], v108 offset:816
	ds_read_b128 v[113:116], v108 offset:832
	s_waitcnt vmcnt(8) lgkmcnt(1)
	v_fma_f64 v[109:110], v[141:142], v[109:110], v[117:118]
	s_waitcnt vmcnt(7)
	v_fma_f64 v[109:110], v[139:140], v[111:112], v[109:110]
	ds_read_b64 v[111:112], v108 offset:848
	s_waitcnt vmcnt(6) lgkmcnt(1)
	v_fma_f64 v[109:110], v[119:120], v[113:114], v[109:110]
	s_waitcnt vmcnt(3)
	v_fma_f64 v[109:110], v[121:122], v[115:116], v[109:110]
	s_waitcnt vmcnt(2) lgkmcnt(0)
	v_fma_f64 v[109:110], v[123:124], v[111:112], v[109:110]
	s_waitcnt vmcnt(0)
	v_add_f64 v[109:110], v[125:126], -v[109:110]
	buffer_store_dword v110, off, s[0:3], 0 offset:284
	buffer_store_dword v109, off, s[0:3], 0 offset:280
	s_and_saveexec_b64 s[4:5], vcc
	s_cbranch_execz .LBB116_257
; %bb.256:
	buffer_load_dword v109, off, s[0:3], 0 offset:272
	buffer_load_dword v110, off, s[0:3], 0 offset:276
	s_waitcnt vmcnt(0)
	ds_write_b64 v107, v[109:110]
	buffer_store_dword v108, off, s[0:3], 0 offset:272
	buffer_store_dword v108, off, s[0:3], 0 offset:276
.LBB116_257:
	s_or_b64 exec, exec, s[4:5]
	s_waitcnt lgkmcnt(0)
	; wave barrier
	buffer_load_dword v117, off, s[0:3], 0 offset:280
	buffer_load_dword v118, off, s[0:3], 0 offset:284
	;; [unrolled: 1-line block ×22, first 2 shown]
	ds_read2_b64 v[109:112], v108 offset0:89 offset1:90
	ds_read2_b64 v[113:116], v108 offset0:91 offset1:92
	v_cmp_lt_u32_e32 vcc, 33, v0
	s_waitcnt vmcnt(20) lgkmcnt(1)
	v_fma_f64 v[109:110], v[117:118], v[109:110], 0
	s_waitcnt vmcnt(18)
	v_fma_f64 v[109:110], v[119:120], v[111:112], v[109:110]
	buffer_load_dword v118, off, s[0:3], 0 offset:372
	buffer_load_dword v119, off, s[0:3], 0 offset:392
	buffer_load_dword v139, off, s[0:3], 0 offset:384
	buffer_load_dword v141, off, s[0:3], 0 offset:376
	buffer_load_dword v117, off, s[0:3], 0 offset:368
	buffer_load_dword v142, off, s[0:3], 0 offset:380
	buffer_load_dword v140, off, s[0:3], 0 offset:388
	s_waitcnt vmcnt(23) lgkmcnt(0)
	v_fma_f64 v[109:110], v[121:122], v[113:114], v[109:110]
	s_waitcnt vmcnt(21)
	v_fma_f64 v[120:121], v[123:124], v[115:116], v[109:110]
	ds_read2_b64 v[109:112], v108 offset0:93 offset1:94
	ds_read2_b64 v[113:116], v108 offset0:95 offset1:96
	s_waitcnt vmcnt(19) lgkmcnt(1)
	v_fma_f64 v[109:110], v[125:126], v[109:110], v[120:121]
	buffer_load_dword v120, off, s[0:3], 0 offset:396
	buffer_load_dword v122, off, s[0:3], 0 offset:404
	;; [unrolled: 1-line block ×7, first 2 shown]
	s_waitcnt vmcnt(24)
	v_fma_f64 v[109:110], v[127:128], v[111:112], v[109:110]
	s_waitcnt vmcnt(22) lgkmcnt(0)
	v_fma_f64 v[109:110], v[129:130], v[113:114], v[109:110]
	s_waitcnt vmcnt(17)
	v_fma_f64 v[127:128], v[131:132], v[115:116], v[109:110]
	ds_read2_b64 v[109:112], v108 offset0:97 offset1:98
	buffer_load_dword v129, off, s[0:3], 0 offset:272
	buffer_load_dword v130, off, s[0:3], 0 offset:276
	ds_read2_b64 v[113:116], v108 offset0:99 offset1:100
	s_waitcnt vmcnt(18) lgkmcnt(1)
	v_fma_f64 v[109:110], v[137:138], v[109:110], v[127:128]
	s_waitcnt vmcnt(17)
	v_fma_f64 v[109:110], v[135:136], v[111:112], v[109:110]
	s_waitcnt vmcnt(16) lgkmcnt(0)
	v_fma_f64 v[109:110], v[133:134], v[113:114], v[109:110]
	s_waitcnt vmcnt(11)
	v_fma_f64 v[117:118], v[117:118], v[115:116], v[109:110]
	ds_read2_b64 v[109:112], v108 offset0:101 offset1:102
	ds_read2_b64 v[113:116], v108 offset0:103 offset1:104
	s_waitcnt vmcnt(10) lgkmcnt(1)
	v_fma_f64 v[109:110], v[141:142], v[109:110], v[117:118]
	s_waitcnt vmcnt(9)
	v_fma_f64 v[109:110], v[139:140], v[111:112], v[109:110]
	s_waitcnt vmcnt(8) lgkmcnt(0)
	v_fma_f64 v[109:110], v[119:120], v[113:114], v[109:110]
	s_waitcnt vmcnt(4)
	v_fma_f64 v[112:113], v[121:122], v[115:116], v[109:110]
	ds_read2_b64 v[108:111], v108 offset0:105 offset1:106
	s_waitcnt vmcnt(3) lgkmcnt(0)
	v_fma_f64 v[108:109], v[125:126], v[108:109], v[112:113]
	s_waitcnt vmcnt(2)
	v_fma_f64 v[108:109], v[123:124], v[110:111], v[108:109]
	s_waitcnt vmcnt(0)
	v_add_f64 v[108:109], v[129:130], -v[108:109]
	buffer_store_dword v109, off, s[0:3], 0 offset:276
	buffer_store_dword v108, off, s[0:3], 0 offset:272
	s_and_saveexec_b64 s[4:5], vcc
	s_cbranch_execz .LBB116_259
; %bb.258:
	buffer_load_dword v108, off, s[0:3], 0 offset:264
	buffer_load_dword v109, off, s[0:3], 0 offset:268
	v_mov_b32_e32 v110, 0
	buffer_store_dword v110, off, s[0:3], 0 offset:264
	buffer_store_dword v110, off, s[0:3], 0 offset:268
	s_waitcnt vmcnt(2)
	ds_write_b64 v107, v[108:109]
.LBB116_259:
	s_or_b64 exec, exec, s[4:5]
	s_waitcnt lgkmcnt(0)
	; wave barrier
	buffer_load_dword v117, off, s[0:3], 0 offset:272
	buffer_load_dword v118, off, s[0:3], 0 offset:276
	;; [unrolled: 1-line block ×22, first 2 shown]
	v_mov_b32_e32 v108, 0
	ds_read_b128 v[109:112], v108 offset:704
	ds_read_b128 v[113:116], v108 offset:720
	v_cmp_lt_u32_e32 vcc, 32, v0
	s_waitcnt vmcnt(20) lgkmcnt(1)
	v_fma_f64 v[109:110], v[117:118], v[109:110], 0
	s_waitcnt vmcnt(18)
	v_fma_f64 v[109:110], v[119:120], v[111:112], v[109:110]
	buffer_load_dword v118, off, s[0:3], 0 offset:364
	buffer_load_dword v119, off, s[0:3], 0 offset:384
	;; [unrolled: 1-line block ×7, first 2 shown]
	s_waitcnt vmcnt(23) lgkmcnt(0)
	v_fma_f64 v[109:110], v[121:122], v[113:114], v[109:110]
	s_waitcnt vmcnt(21)
	v_fma_f64 v[120:121], v[123:124], v[115:116], v[109:110]
	ds_read_b128 v[109:112], v108 offset:736
	ds_read_b128 v[113:116], v108 offset:752
	s_waitcnt vmcnt(19) lgkmcnt(1)
	v_fma_f64 v[109:110], v[125:126], v[109:110], v[120:121]
	buffer_load_dword v120, off, s[0:3], 0 offset:388
	s_waitcnt vmcnt(18)
	v_fma_f64 v[109:110], v[127:128], v[111:112], v[109:110]
	buffer_load_dword v122, off, s[0:3], 0 offset:396
	buffer_load_dword v123, off, s[0:3], 0 offset:416
	;; [unrolled: 1-line block ×8, first 2 shown]
	s_waitcnt vmcnt(24) lgkmcnt(0)
	v_fma_f64 v[109:110], v[129:130], v[113:114], v[109:110]
	s_waitcnt vmcnt(19)
	v_fma_f64 v[129:130], v[131:132], v[115:116], v[109:110]
	ds_read_b128 v[109:112], v108 offset:768
	ds_read_b128 v[113:116], v108 offset:784
	s_waitcnt vmcnt(18) lgkmcnt(1)
	v_fma_f64 v[109:110], v[137:138], v[109:110], v[129:130]
	buffer_load_dword v129, off, s[0:3], 0 offset:264
	buffer_load_dword v130, off, s[0:3], 0 offset:268
	s_waitcnt vmcnt(19)
	v_fma_f64 v[109:110], v[135:136], v[111:112], v[109:110]
	s_waitcnt vmcnt(18) lgkmcnt(0)
	v_fma_f64 v[109:110], v[133:134], v[113:114], v[109:110]
	s_waitcnt vmcnt(13)
	v_fma_f64 v[117:118], v[117:118], v[115:116], v[109:110]
	ds_read_b128 v[109:112], v108 offset:800
	ds_read_b128 v[113:116], v108 offset:816
	s_waitcnt vmcnt(12) lgkmcnt(1)
	v_fma_f64 v[109:110], v[141:142], v[109:110], v[117:118]
	s_waitcnt vmcnt(11)
	v_fma_f64 v[109:110], v[139:140], v[111:112], v[109:110]
	s_waitcnt vmcnt(10) lgkmcnt(0)
	v_fma_f64 v[109:110], v[119:120], v[113:114], v[109:110]
	s_waitcnt vmcnt(5)
	v_fma_f64 v[113:114], v[121:122], v[115:116], v[109:110]
	ds_read_b128 v[109:112], v108 offset:832
	ds_read_b64 v[115:116], v108 offset:848
	s_waitcnt vmcnt(4) lgkmcnt(1)
	v_fma_f64 v[109:110], v[127:128], v[109:110], v[113:114]
	s_waitcnt vmcnt(3)
	v_fma_f64 v[109:110], v[125:126], v[111:112], v[109:110]
	s_waitcnt vmcnt(2) lgkmcnt(0)
	v_fma_f64 v[109:110], v[123:124], v[115:116], v[109:110]
	s_waitcnt vmcnt(0)
	v_add_f64 v[109:110], v[129:130], -v[109:110]
	buffer_store_dword v110, off, s[0:3], 0 offset:268
	buffer_store_dword v109, off, s[0:3], 0 offset:264
	s_and_saveexec_b64 s[4:5], vcc
	s_cbranch_execz .LBB116_261
; %bb.260:
	buffer_load_dword v109, off, s[0:3], 0 offset:256
	buffer_load_dword v110, off, s[0:3], 0 offset:260
	s_waitcnt vmcnt(0)
	ds_write_b64 v107, v[109:110]
	buffer_store_dword v108, off, s[0:3], 0 offset:256
	buffer_store_dword v108, off, s[0:3], 0 offset:260
.LBB116_261:
	s_or_b64 exec, exec, s[4:5]
	s_waitcnt lgkmcnt(0)
	; wave barrier
	buffer_load_dword v117, off, s[0:3], 0 offset:264
	buffer_load_dword v118, off, s[0:3], 0 offset:268
	;; [unrolled: 1-line block ×22, first 2 shown]
	ds_read2_b64 v[109:112], v108 offset0:87 offset1:88
	ds_read2_b64 v[113:116], v108 offset0:89 offset1:90
	v_cmp_lt_u32_e32 vcc, 31, v0
	s_waitcnt vmcnt(20) lgkmcnt(1)
	v_fma_f64 v[109:110], v[117:118], v[109:110], 0
	s_waitcnt vmcnt(18)
	v_fma_f64 v[109:110], v[119:120], v[111:112], v[109:110]
	buffer_load_dword v118, off, s[0:3], 0 offset:356
	buffer_load_dword v119, off, s[0:3], 0 offset:376
	;; [unrolled: 1-line block ×7, first 2 shown]
	s_waitcnt vmcnt(23) lgkmcnt(0)
	v_fma_f64 v[109:110], v[121:122], v[113:114], v[109:110]
	s_waitcnt vmcnt(21)
	v_fma_f64 v[120:121], v[123:124], v[115:116], v[109:110]
	ds_read2_b64 v[109:112], v108 offset0:91 offset1:92
	ds_read2_b64 v[113:116], v108 offset0:93 offset1:94
	s_waitcnt vmcnt(19) lgkmcnt(1)
	v_fma_f64 v[109:110], v[125:126], v[109:110], v[120:121]
	buffer_load_dword v120, off, s[0:3], 0 offset:380
	s_waitcnt vmcnt(18)
	v_fma_f64 v[109:110], v[127:128], v[111:112], v[109:110]
	buffer_load_dword v122, off, s[0:3], 0 offset:388
	buffer_load_dword v123, off, s[0:3], 0 offset:408
	buffer_load_dword v125, off, s[0:3], 0 offset:400
	buffer_load_dword v127, off, s[0:3], 0 offset:392
	buffer_load_dword v121, off, s[0:3], 0 offset:384
	buffer_load_dword v128, off, s[0:3], 0 offset:396
	buffer_load_dword v126, off, s[0:3], 0 offset:404
	buffer_load_dword v124, off, s[0:3], 0 offset:412
	s_waitcnt vmcnt(24) lgkmcnt(0)
	v_fma_f64 v[109:110], v[129:130], v[113:114], v[109:110]
	s_waitcnt vmcnt(19)
	v_fma_f64 v[129:130], v[131:132], v[115:116], v[109:110]
	ds_read2_b64 v[109:112], v108 offset0:95 offset1:96
	ds_read2_b64 v[113:116], v108 offset0:97 offset1:98
	s_waitcnt vmcnt(18) lgkmcnt(1)
	v_fma_f64 v[109:110], v[137:138], v[109:110], v[129:130]
	buffer_load_dword v130, off, s[0:3], 0 offset:420
	buffer_load_dword v129, off, s[0:3], 0 offset:416
	;; [unrolled: 1-line block ×4, first 2 shown]
	s_waitcnt vmcnt(21)
	v_fma_f64 v[109:110], v[135:136], v[111:112], v[109:110]
	s_waitcnt vmcnt(20) lgkmcnt(0)
	v_fma_f64 v[109:110], v[133:134], v[113:114], v[109:110]
	s_waitcnt vmcnt(15)
	v_fma_f64 v[117:118], v[117:118], v[115:116], v[109:110]
	ds_read2_b64 v[109:112], v108 offset0:99 offset1:100
	ds_read2_b64 v[113:116], v108 offset0:101 offset1:102
	s_waitcnt vmcnt(14) lgkmcnt(1)
	v_fma_f64 v[109:110], v[141:142], v[109:110], v[117:118]
	s_waitcnt vmcnt(13)
	v_fma_f64 v[109:110], v[139:140], v[111:112], v[109:110]
	s_waitcnt vmcnt(12) lgkmcnt(0)
	v_fma_f64 v[109:110], v[119:120], v[113:114], v[109:110]
	s_waitcnt vmcnt(7)
	v_fma_f64 v[117:118], v[121:122], v[115:116], v[109:110]
	ds_read2_b64 v[109:112], v108 offset0:103 offset1:104
	ds_read2_b64 v[113:116], v108 offset0:105 offset1:106
	s_waitcnt vmcnt(6) lgkmcnt(1)
	v_fma_f64 v[108:109], v[127:128], v[109:110], v[117:118]
	s_waitcnt vmcnt(5)
	v_fma_f64 v[108:109], v[125:126], v[111:112], v[108:109]
	s_waitcnt vmcnt(4) lgkmcnt(0)
	v_fma_f64 v[108:109], v[123:124], v[113:114], v[108:109]
	s_waitcnt vmcnt(2)
	v_fma_f64 v[108:109], v[129:130], v[115:116], v[108:109]
	s_waitcnt vmcnt(0)
	v_add_f64 v[108:109], v[131:132], -v[108:109]
	buffer_store_dword v109, off, s[0:3], 0 offset:260
	buffer_store_dword v108, off, s[0:3], 0 offset:256
	s_and_saveexec_b64 s[4:5], vcc
	s_cbranch_execz .LBB116_263
; %bb.262:
	buffer_load_dword v108, off, s[0:3], 0 offset:248
	buffer_load_dword v109, off, s[0:3], 0 offset:252
	v_mov_b32_e32 v110, 0
	buffer_store_dword v110, off, s[0:3], 0 offset:248
	buffer_store_dword v110, off, s[0:3], 0 offset:252
	s_waitcnt vmcnt(2)
	ds_write_b64 v107, v[108:109]
.LBB116_263:
	s_or_b64 exec, exec, s[4:5]
	s_waitcnt lgkmcnt(0)
	; wave barrier
	buffer_load_dword v117, off, s[0:3], 0 offset:256
	buffer_load_dword v118, off, s[0:3], 0 offset:260
	;; [unrolled: 1-line block ×21, first 2 shown]
	v_mov_b32_e32 v108, 0
	ds_read_b128 v[109:112], v108 offset:688
	ds_read_b128 v[113:116], v108 offset:704
	buffer_load_dword v134, off, s[0:3], 0 offset:340
	v_cmp_lt_u32_e32 vcc, 30, v0
	s_waitcnt vmcnt(20) lgkmcnt(1)
	v_fma_f64 v[109:110], v[117:118], v[109:110], 0
	s_waitcnt vmcnt(18)
	v_fma_f64 v[109:110], v[119:120], v[111:112], v[109:110]
	buffer_load_dword v118, off, s[0:3], 0 offset:348
	buffer_load_dword v119, off, s[0:3], 0 offset:368
	;; [unrolled: 1-line block ×7, first 2 shown]
	s_waitcnt vmcnt(23) lgkmcnt(0)
	v_fma_f64 v[109:110], v[121:122], v[113:114], v[109:110]
	s_waitcnt vmcnt(21)
	v_fma_f64 v[120:121], v[123:124], v[115:116], v[109:110]
	ds_read_b128 v[109:112], v108 offset:720
	ds_read_b128 v[113:116], v108 offset:736
	s_waitcnt vmcnt(19) lgkmcnt(1)
	v_fma_f64 v[109:110], v[125:126], v[109:110], v[120:121]
	buffer_load_dword v120, off, s[0:3], 0 offset:372
	s_waitcnt vmcnt(18)
	v_fma_f64 v[109:110], v[127:128], v[111:112], v[109:110]
	buffer_load_dword v122, off, s[0:3], 0 offset:380
	buffer_load_dword v123, off, s[0:3], 0 offset:400
	;; [unrolled: 1-line block ×7, first 2 shown]
	s_waitcnt vmcnt(23) lgkmcnt(0)
	v_fma_f64 v[109:110], v[129:130], v[113:114], v[109:110]
	s_waitcnt vmcnt(18)
	v_fma_f64 v[129:130], v[131:132], v[115:116], v[109:110]
	ds_read_b128 v[109:112], v108 offset:752
	ds_read_b128 v[113:116], v108 offset:768
	buffer_load_dword v124, off, s[0:3], 0 offset:404
	s_waitcnt vmcnt(18) lgkmcnt(1)
	v_fma_f64 v[109:110], v[137:138], v[109:110], v[129:130]
	buffer_load_dword v130, off, s[0:3], 0 offset:412
	buffer_load_dword v131, off, s[0:3], 0 offset:416
	;; [unrolled: 1-line block ×4, first 2 shown]
	s_waitcnt vmcnt(21)
	v_fma_f64 v[109:110], v[135:136], v[111:112], v[109:110]
	s_waitcnt vmcnt(20) lgkmcnt(0)
	v_fma_f64 v[109:110], v[133:134], v[113:114], v[109:110]
	buffer_load_dword v133, off, s[0:3], 0 offset:248
	buffer_load_dword v134, off, s[0:3], 0 offset:252
	s_waitcnt vmcnt(17)
	v_fma_f64 v[117:118], v[117:118], v[115:116], v[109:110]
	ds_read_b128 v[109:112], v108 offset:784
	ds_read_b128 v[113:116], v108 offset:800
	s_waitcnt vmcnt(16) lgkmcnt(1)
	v_fma_f64 v[109:110], v[141:142], v[109:110], v[117:118]
	s_waitcnt vmcnt(15)
	v_fma_f64 v[109:110], v[139:140], v[111:112], v[109:110]
	s_waitcnt vmcnt(14) lgkmcnt(0)
	v_fma_f64 v[109:110], v[119:120], v[113:114], v[109:110]
	s_waitcnt vmcnt(9)
	v_fma_f64 v[117:118], v[121:122], v[115:116], v[109:110]
	ds_read_b128 v[109:112], v108 offset:816
	ds_read_b128 v[113:116], v108 offset:832
	s_waitcnt vmcnt(8) lgkmcnt(1)
	v_fma_f64 v[109:110], v[127:128], v[109:110], v[117:118]
	s_waitcnt vmcnt(7)
	v_fma_f64 v[109:110], v[125:126], v[111:112], v[109:110]
	ds_read_b64 v[111:112], v108 offset:848
	s_waitcnt vmcnt(6) lgkmcnt(1)
	v_fma_f64 v[109:110], v[123:124], v[113:114], v[109:110]
	s_waitcnt vmcnt(3)
	v_fma_f64 v[109:110], v[129:130], v[115:116], v[109:110]
	s_waitcnt vmcnt(2) lgkmcnt(0)
	v_fma_f64 v[109:110], v[131:132], v[111:112], v[109:110]
	s_waitcnt vmcnt(0)
	v_add_f64 v[109:110], v[133:134], -v[109:110]
	buffer_store_dword v110, off, s[0:3], 0 offset:252
	buffer_store_dword v109, off, s[0:3], 0 offset:248
	s_and_saveexec_b64 s[4:5], vcc
	s_cbranch_execz .LBB116_265
; %bb.264:
	buffer_load_dword v109, off, s[0:3], 0 offset:240
	buffer_load_dword v110, off, s[0:3], 0 offset:244
	s_waitcnt vmcnt(0)
	ds_write_b64 v107, v[109:110]
	buffer_store_dword v108, off, s[0:3], 0 offset:240
	buffer_store_dword v108, off, s[0:3], 0 offset:244
.LBB116_265:
	s_or_b64 exec, exec, s[4:5]
	s_waitcnt lgkmcnt(0)
	; wave barrier
	buffer_load_dword v117, off, s[0:3], 0 offset:248
	buffer_load_dword v118, off, s[0:3], 0 offset:252
	buffer_load_dword v119, off, s[0:3], 0 offset:256
	buffer_load_dword v120, off, s[0:3], 0 offset:260
	buffer_load_dword v121, off, s[0:3], 0 offset:264
	buffer_load_dword v122, off, s[0:3], 0 offset:268
	buffer_load_dword v123, off, s[0:3], 0 offset:272
	buffer_load_dword v124, off, s[0:3], 0 offset:276
	buffer_load_dword v125, off, s[0:3], 0 offset:280
	buffer_load_dword v126, off, s[0:3], 0 offset:284
	buffer_load_dword v127, off, s[0:3], 0 offset:288
	buffer_load_dword v128, off, s[0:3], 0 offset:292
	buffer_load_dword v129, off, s[0:3], 0 offset:296
	buffer_load_dword v130, off, s[0:3], 0 offset:300
	buffer_load_dword v132, off, s[0:3], 0 offset:308
	buffer_load_dword v133, off, s[0:3], 0 offset:328
	buffer_load_dword v135, off, s[0:3], 0 offset:320
	buffer_load_dword v137, off, s[0:3], 0 offset:312
	buffer_load_dword v131, off, s[0:3], 0 offset:304
	buffer_load_dword v138, off, s[0:3], 0 offset:316
	buffer_load_dword v136, off, s[0:3], 0 offset:324
	ds_read2_b64 v[109:112], v108 offset0:85 offset1:86
	ds_read2_b64 v[113:116], v108 offset0:87 offset1:88
	buffer_load_dword v134, off, s[0:3], 0 offset:332
	v_cmp_lt_u32_e32 vcc, 29, v0
	s_waitcnt vmcnt(20) lgkmcnt(1)
	v_fma_f64 v[109:110], v[117:118], v[109:110], 0
	s_waitcnt vmcnt(18)
	v_fma_f64 v[109:110], v[119:120], v[111:112], v[109:110]
	buffer_load_dword v118, off, s[0:3], 0 offset:340
	buffer_load_dword v119, off, s[0:3], 0 offset:360
	;; [unrolled: 1-line block ×7, first 2 shown]
	s_waitcnt vmcnt(23) lgkmcnt(0)
	v_fma_f64 v[109:110], v[121:122], v[113:114], v[109:110]
	s_waitcnt vmcnt(21)
	v_fma_f64 v[120:121], v[123:124], v[115:116], v[109:110]
	ds_read2_b64 v[109:112], v108 offset0:89 offset1:90
	ds_read2_b64 v[113:116], v108 offset0:91 offset1:92
	s_waitcnt vmcnt(19) lgkmcnt(1)
	v_fma_f64 v[109:110], v[125:126], v[109:110], v[120:121]
	buffer_load_dword v120, off, s[0:3], 0 offset:364
	s_waitcnt vmcnt(18)
	v_fma_f64 v[109:110], v[127:128], v[111:112], v[109:110]
	buffer_load_dword v122, off, s[0:3], 0 offset:372
	buffer_load_dword v123, off, s[0:3], 0 offset:392
	;; [unrolled: 1-line block ×8, first 2 shown]
	s_waitcnt vmcnt(24) lgkmcnt(0)
	v_fma_f64 v[109:110], v[129:130], v[113:114], v[109:110]
	s_waitcnt vmcnt(19)
	v_fma_f64 v[129:130], v[131:132], v[115:116], v[109:110]
	ds_read2_b64 v[109:112], v108 offset0:93 offset1:94
	ds_read2_b64 v[113:116], v108 offset0:95 offset1:96
	s_waitcnt vmcnt(18) lgkmcnt(1)
	v_fma_f64 v[109:110], v[137:138], v[109:110], v[129:130]
	s_waitcnt vmcnt(17)
	v_fma_f64 v[109:110], v[135:136], v[111:112], v[109:110]
	buffer_load_dword v130, off, s[0:3], 0 offset:404
	buffer_load_dword v131, off, s[0:3], 0 offset:416
	;; [unrolled: 1-line block ×6, first 2 shown]
	s_waitcnt vmcnt(22) lgkmcnt(0)
	v_fma_f64 v[109:110], v[133:134], v[113:114], v[109:110]
	s_waitcnt vmcnt(17)
	v_fma_f64 v[117:118], v[117:118], v[115:116], v[109:110]
	ds_read2_b64 v[109:112], v108 offset0:97 offset1:98
	buffer_load_dword v133, off, s[0:3], 0 offset:240
	buffer_load_dword v134, off, s[0:3], 0 offset:244
	ds_read2_b64 v[113:116], v108 offset0:99 offset1:100
	s_waitcnt vmcnt(18) lgkmcnt(1)
	v_fma_f64 v[109:110], v[141:142], v[109:110], v[117:118]
	s_waitcnt vmcnt(17)
	v_fma_f64 v[109:110], v[139:140], v[111:112], v[109:110]
	s_waitcnt vmcnt(16) lgkmcnt(0)
	v_fma_f64 v[109:110], v[119:120], v[113:114], v[109:110]
	s_waitcnt vmcnt(11)
	v_fma_f64 v[117:118], v[121:122], v[115:116], v[109:110]
	ds_read2_b64 v[109:112], v108 offset0:101 offset1:102
	ds_read2_b64 v[113:116], v108 offset0:103 offset1:104
	s_waitcnt vmcnt(10) lgkmcnt(1)
	v_fma_f64 v[109:110], v[127:128], v[109:110], v[117:118]
	s_waitcnt vmcnt(9)
	v_fma_f64 v[109:110], v[125:126], v[111:112], v[109:110]
	s_waitcnt vmcnt(8) lgkmcnt(0)
	v_fma_f64 v[109:110], v[123:124], v[113:114], v[109:110]
	s_waitcnt vmcnt(4)
	v_fma_f64 v[112:113], v[129:130], v[115:116], v[109:110]
	ds_read2_b64 v[108:111], v108 offset0:105 offset1:106
	s_waitcnt vmcnt(3) lgkmcnt(0)
	v_fma_f64 v[108:109], v[135:136], v[108:109], v[112:113]
	s_waitcnt vmcnt(2)
	v_fma_f64 v[108:109], v[131:132], v[110:111], v[108:109]
	s_waitcnt vmcnt(0)
	v_add_f64 v[108:109], v[133:134], -v[108:109]
	buffer_store_dword v109, off, s[0:3], 0 offset:244
	buffer_store_dword v108, off, s[0:3], 0 offset:240
	s_and_saveexec_b64 s[4:5], vcc
	s_cbranch_execz .LBB116_267
; %bb.266:
	buffer_load_dword v108, off, s[0:3], 0 offset:232
	buffer_load_dword v109, off, s[0:3], 0 offset:236
	v_mov_b32_e32 v110, 0
	buffer_store_dword v110, off, s[0:3], 0 offset:232
	buffer_store_dword v110, off, s[0:3], 0 offset:236
	s_waitcnt vmcnt(2)
	ds_write_b64 v107, v[108:109]
.LBB116_267:
	s_or_b64 exec, exec, s[4:5]
	s_waitcnt lgkmcnt(0)
	; wave barrier
	buffer_load_dword v117, off, s[0:3], 0 offset:240
	buffer_load_dword v118, off, s[0:3], 0 offset:244
	;; [unrolled: 1-line block ×21, first 2 shown]
	v_mov_b32_e32 v108, 0
	ds_read_b128 v[109:112], v108 offset:672
	ds_read_b128 v[113:116], v108 offset:688
	buffer_load_dword v134, off, s[0:3], 0 offset:324
	v_cmp_lt_u32_e32 vcc, 28, v0
	s_waitcnt vmcnt(20) lgkmcnt(1)
	v_fma_f64 v[109:110], v[117:118], v[109:110], 0
	s_waitcnt vmcnt(18)
	v_fma_f64 v[109:110], v[119:120], v[111:112], v[109:110]
	buffer_load_dword v118, off, s[0:3], 0 offset:332
	buffer_load_dword v119, off, s[0:3], 0 offset:352
	;; [unrolled: 1-line block ×7, first 2 shown]
	s_waitcnt vmcnt(23) lgkmcnt(0)
	v_fma_f64 v[109:110], v[121:122], v[113:114], v[109:110]
	s_waitcnt vmcnt(21)
	v_fma_f64 v[120:121], v[123:124], v[115:116], v[109:110]
	ds_read_b128 v[109:112], v108 offset:704
	ds_read_b128 v[113:116], v108 offset:720
	s_waitcnt vmcnt(19) lgkmcnt(1)
	v_fma_f64 v[109:110], v[125:126], v[109:110], v[120:121]
	buffer_load_dword v120, off, s[0:3], 0 offset:356
	s_waitcnt vmcnt(18)
	v_fma_f64 v[109:110], v[127:128], v[111:112], v[109:110]
	buffer_load_dword v122, off, s[0:3], 0 offset:364
	buffer_load_dword v123, off, s[0:3], 0 offset:384
	buffer_load_dword v125, off, s[0:3], 0 offset:376
	buffer_load_dword v127, off, s[0:3], 0 offset:368
	buffer_load_dword v121, off, s[0:3], 0 offset:360
	buffer_load_dword v128, off, s[0:3], 0 offset:372
	buffer_load_dword v126, off, s[0:3], 0 offset:380
	buffer_load_dword v124, off, s[0:3], 0 offset:388
	s_waitcnt vmcnt(24) lgkmcnt(0)
	v_fma_f64 v[109:110], v[129:130], v[113:114], v[109:110]
	s_waitcnt vmcnt(19)
	v_fma_f64 v[129:130], v[131:132], v[115:116], v[109:110]
	ds_read_b128 v[109:112], v108 offset:736
	ds_read_b128 v[113:116], v108 offset:752
	s_waitcnt vmcnt(18) lgkmcnt(1)
	v_fma_f64 v[109:110], v[137:138], v[109:110], v[129:130]
	s_waitcnt vmcnt(17)
	v_fma_f64 v[109:110], v[135:136], v[111:112], v[109:110]
	buffer_load_dword v130, off, s[0:3], 0 offset:396
	buffer_load_dword v131, off, s[0:3], 0 offset:416
	;; [unrolled: 1-line block ×8, first 2 shown]
	s_waitcnt vmcnt(24) lgkmcnt(0)
	v_fma_f64 v[109:110], v[133:134], v[113:114], v[109:110]
	s_waitcnt vmcnt(19)
	v_fma_f64 v[117:118], v[117:118], v[115:116], v[109:110]
	ds_read_b128 v[109:112], v108 offset:768
	ds_read_b128 v[113:116], v108 offset:784
	s_waitcnt vmcnt(18) lgkmcnt(1)
	v_fma_f64 v[109:110], v[141:142], v[109:110], v[117:118]
	buffer_load_dword v117, off, s[0:3], 0 offset:232
	buffer_load_dword v118, off, s[0:3], 0 offset:236
	s_waitcnt vmcnt(19)
	v_fma_f64 v[109:110], v[139:140], v[111:112], v[109:110]
	s_waitcnt vmcnt(18) lgkmcnt(0)
	v_fma_f64 v[109:110], v[119:120], v[113:114], v[109:110]
	s_waitcnt vmcnt(13)
	v_fma_f64 v[119:120], v[121:122], v[115:116], v[109:110]
	ds_read_b128 v[109:112], v108 offset:800
	ds_read_b128 v[113:116], v108 offset:816
	s_waitcnt vmcnt(12) lgkmcnt(1)
	v_fma_f64 v[109:110], v[127:128], v[109:110], v[119:120]
	s_waitcnt vmcnt(11)
	v_fma_f64 v[109:110], v[125:126], v[111:112], v[109:110]
	s_waitcnt vmcnt(10) lgkmcnt(0)
	v_fma_f64 v[109:110], v[123:124], v[113:114], v[109:110]
	s_waitcnt vmcnt(5)
	v_fma_f64 v[113:114], v[129:130], v[115:116], v[109:110]
	ds_read_b128 v[109:112], v108 offset:832
	ds_read_b64 v[115:116], v108 offset:848
	s_waitcnt vmcnt(4) lgkmcnt(1)
	v_fma_f64 v[109:110], v[137:138], v[109:110], v[113:114]
	s_waitcnt vmcnt(3)
	v_fma_f64 v[109:110], v[135:136], v[111:112], v[109:110]
	s_waitcnt vmcnt(2) lgkmcnt(0)
	v_fma_f64 v[109:110], v[131:132], v[115:116], v[109:110]
	s_waitcnt vmcnt(0)
	v_add_f64 v[109:110], v[117:118], -v[109:110]
	buffer_store_dword v110, off, s[0:3], 0 offset:236
	buffer_store_dword v109, off, s[0:3], 0 offset:232
	s_and_saveexec_b64 s[4:5], vcc
	s_cbranch_execz .LBB116_269
; %bb.268:
	buffer_load_dword v109, off, s[0:3], 0 offset:224
	buffer_load_dword v110, off, s[0:3], 0 offset:228
	s_waitcnt vmcnt(0)
	ds_write_b64 v107, v[109:110]
	buffer_store_dword v108, off, s[0:3], 0 offset:224
	buffer_store_dword v108, off, s[0:3], 0 offset:228
.LBB116_269:
	s_or_b64 exec, exec, s[4:5]
	s_waitcnt lgkmcnt(0)
	; wave barrier
	buffer_load_dword v117, off, s[0:3], 0 offset:232
	buffer_load_dword v118, off, s[0:3], 0 offset:236
	;; [unrolled: 1-line block ×21, first 2 shown]
	ds_read2_b64 v[109:112], v108 offset0:83 offset1:84
	ds_read2_b64 v[113:116], v108 offset0:85 offset1:86
	buffer_load_dword v134, off, s[0:3], 0 offset:316
	v_cmp_lt_u32_e32 vcc, 27, v0
	s_waitcnt vmcnt(20) lgkmcnt(1)
	v_fma_f64 v[109:110], v[117:118], v[109:110], 0
	s_waitcnt vmcnt(18)
	v_fma_f64 v[109:110], v[119:120], v[111:112], v[109:110]
	buffer_load_dword v118, off, s[0:3], 0 offset:324
	buffer_load_dword v119, off, s[0:3], 0 offset:344
	;; [unrolled: 1-line block ×7, first 2 shown]
	s_waitcnt vmcnt(23) lgkmcnt(0)
	v_fma_f64 v[109:110], v[121:122], v[113:114], v[109:110]
	s_waitcnt vmcnt(21)
	v_fma_f64 v[120:121], v[123:124], v[115:116], v[109:110]
	ds_read2_b64 v[109:112], v108 offset0:87 offset1:88
	ds_read2_b64 v[113:116], v108 offset0:89 offset1:90
	s_waitcnt vmcnt(19) lgkmcnt(1)
	v_fma_f64 v[109:110], v[125:126], v[109:110], v[120:121]
	buffer_load_dword v120, off, s[0:3], 0 offset:348
	s_waitcnt vmcnt(18)
	v_fma_f64 v[109:110], v[127:128], v[111:112], v[109:110]
	buffer_load_dword v122, off, s[0:3], 0 offset:356
	buffer_load_dword v123, off, s[0:3], 0 offset:376
	;; [unrolled: 1-line block ×8, first 2 shown]
	s_waitcnt vmcnt(24) lgkmcnt(0)
	v_fma_f64 v[109:110], v[129:130], v[113:114], v[109:110]
	s_waitcnt vmcnt(19)
	v_fma_f64 v[129:130], v[131:132], v[115:116], v[109:110]
	ds_read2_b64 v[109:112], v108 offset0:91 offset1:92
	ds_read2_b64 v[113:116], v108 offset0:93 offset1:94
	s_waitcnt vmcnt(18) lgkmcnt(1)
	v_fma_f64 v[109:110], v[137:138], v[109:110], v[129:130]
	s_waitcnt vmcnt(17)
	v_fma_f64 v[109:110], v[135:136], v[111:112], v[109:110]
	buffer_load_dword v130, off, s[0:3], 0 offset:388
	buffer_load_dword v131, off, s[0:3], 0 offset:408
	;; [unrolled: 1-line block ×8, first 2 shown]
	s_waitcnt vmcnt(24) lgkmcnt(0)
	v_fma_f64 v[109:110], v[133:134], v[113:114], v[109:110]
	s_waitcnt vmcnt(19)
	v_fma_f64 v[117:118], v[117:118], v[115:116], v[109:110]
	ds_read2_b64 v[109:112], v108 offset0:95 offset1:96
	ds_read2_b64 v[113:116], v108 offset0:97 offset1:98
	s_waitcnt vmcnt(18) lgkmcnt(1)
	v_fma_f64 v[109:110], v[141:142], v[109:110], v[117:118]
	buffer_load_dword v118, off, s[0:3], 0 offset:420
	buffer_load_dword v117, off, s[0:3], 0 offset:416
	;; [unrolled: 1-line block ×4, first 2 shown]
	s_waitcnt vmcnt(21)
	v_fma_f64 v[109:110], v[139:140], v[111:112], v[109:110]
	s_waitcnt vmcnt(20) lgkmcnt(0)
	v_fma_f64 v[109:110], v[119:120], v[113:114], v[109:110]
	s_waitcnt vmcnt(15)
	v_fma_f64 v[119:120], v[121:122], v[115:116], v[109:110]
	ds_read2_b64 v[109:112], v108 offset0:99 offset1:100
	ds_read2_b64 v[113:116], v108 offset0:101 offset1:102
	s_waitcnt vmcnt(14) lgkmcnt(1)
	v_fma_f64 v[109:110], v[127:128], v[109:110], v[119:120]
	s_waitcnt vmcnt(13)
	v_fma_f64 v[109:110], v[125:126], v[111:112], v[109:110]
	s_waitcnt vmcnt(12) lgkmcnt(0)
	v_fma_f64 v[109:110], v[123:124], v[113:114], v[109:110]
	s_waitcnt vmcnt(7)
	v_fma_f64 v[119:120], v[129:130], v[115:116], v[109:110]
	ds_read2_b64 v[109:112], v108 offset0:103 offset1:104
	ds_read2_b64 v[113:116], v108 offset0:105 offset1:106
	s_waitcnt vmcnt(6) lgkmcnt(1)
	v_fma_f64 v[108:109], v[137:138], v[109:110], v[119:120]
	s_waitcnt vmcnt(5)
	v_fma_f64 v[108:109], v[135:136], v[111:112], v[108:109]
	s_waitcnt vmcnt(4) lgkmcnt(0)
	v_fma_f64 v[108:109], v[131:132], v[113:114], v[108:109]
	s_waitcnt vmcnt(2)
	v_fma_f64 v[108:109], v[117:118], v[115:116], v[108:109]
	s_waitcnt vmcnt(0)
	v_add_f64 v[108:109], v[133:134], -v[108:109]
	buffer_store_dword v109, off, s[0:3], 0 offset:228
	buffer_store_dword v108, off, s[0:3], 0 offset:224
	s_and_saveexec_b64 s[4:5], vcc
	s_cbranch_execz .LBB116_271
; %bb.270:
	buffer_load_dword v108, off, s[0:3], 0 offset:216
	buffer_load_dword v109, off, s[0:3], 0 offset:220
	v_mov_b32_e32 v110, 0
	buffer_store_dword v110, off, s[0:3], 0 offset:216
	buffer_store_dword v110, off, s[0:3], 0 offset:220
	s_waitcnt vmcnt(2)
	ds_write_b64 v107, v[108:109]
.LBB116_271:
	s_or_b64 exec, exec, s[4:5]
	s_waitcnt lgkmcnt(0)
	; wave barrier
	buffer_load_dword v117, off, s[0:3], 0 offset:224
	buffer_load_dword v118, off, s[0:3], 0 offset:228
	;; [unrolled: 1-line block ×21, first 2 shown]
	v_mov_b32_e32 v108, 0
	ds_read_b128 v[109:112], v108 offset:656
	ds_read_b128 v[113:116], v108 offset:672
	buffer_load_dword v134, off, s[0:3], 0 offset:308
	v_cmp_lt_u32_e32 vcc, 26, v0
	s_waitcnt vmcnt(20) lgkmcnt(1)
	v_fma_f64 v[109:110], v[117:118], v[109:110], 0
	s_waitcnt vmcnt(18)
	v_fma_f64 v[109:110], v[119:120], v[111:112], v[109:110]
	buffer_load_dword v118, off, s[0:3], 0 offset:316
	buffer_load_dword v119, off, s[0:3], 0 offset:336
	;; [unrolled: 1-line block ×7, first 2 shown]
	s_waitcnt vmcnt(23) lgkmcnt(0)
	v_fma_f64 v[109:110], v[121:122], v[113:114], v[109:110]
	s_waitcnt vmcnt(21)
	v_fma_f64 v[120:121], v[123:124], v[115:116], v[109:110]
	ds_read_b128 v[109:112], v108 offset:688
	ds_read_b128 v[113:116], v108 offset:704
	s_waitcnt vmcnt(19) lgkmcnt(1)
	v_fma_f64 v[109:110], v[125:126], v[109:110], v[120:121]
	buffer_load_dword v120, off, s[0:3], 0 offset:340
	s_waitcnt vmcnt(18)
	v_fma_f64 v[109:110], v[127:128], v[111:112], v[109:110]
	buffer_load_dword v122, off, s[0:3], 0 offset:348
	buffer_load_dword v123, off, s[0:3], 0 offset:368
	buffer_load_dword v125, off, s[0:3], 0 offset:360
	buffer_load_dword v127, off, s[0:3], 0 offset:352
	buffer_load_dword v121, off, s[0:3], 0 offset:344
	buffer_load_dword v128, off, s[0:3], 0 offset:356
	buffer_load_dword v126, off, s[0:3], 0 offset:364
	buffer_load_dword v124, off, s[0:3], 0 offset:372
	s_waitcnt vmcnt(24) lgkmcnt(0)
	v_fma_f64 v[109:110], v[129:130], v[113:114], v[109:110]
	s_waitcnt vmcnt(19)
	v_fma_f64 v[129:130], v[131:132], v[115:116], v[109:110]
	ds_read_b128 v[109:112], v108 offset:720
	ds_read_b128 v[113:116], v108 offset:736
	s_waitcnt vmcnt(18) lgkmcnt(1)
	v_fma_f64 v[109:110], v[137:138], v[109:110], v[129:130]
	s_waitcnt vmcnt(17)
	v_fma_f64 v[109:110], v[135:136], v[111:112], v[109:110]
	buffer_load_dword v130, off, s[0:3], 0 offset:380
	buffer_load_dword v131, off, s[0:3], 0 offset:400
	;; [unrolled: 1-line block ×7, first 2 shown]
	s_waitcnt vmcnt(23) lgkmcnt(0)
	v_fma_f64 v[109:110], v[133:134], v[113:114], v[109:110]
	s_waitcnt vmcnt(18)
	v_fma_f64 v[117:118], v[117:118], v[115:116], v[109:110]
	ds_read_b128 v[109:112], v108 offset:752
	ds_read_b128 v[113:116], v108 offset:768
	buffer_load_dword v132, off, s[0:3], 0 offset:404
	s_waitcnt vmcnt(18) lgkmcnt(1)
	v_fma_f64 v[109:110], v[141:142], v[109:110], v[117:118]
	buffer_load_dword v118, off, s[0:3], 0 offset:412
	buffer_load_dword v133, off, s[0:3], 0 offset:416
	;; [unrolled: 1-line block ×4, first 2 shown]
	s_waitcnt vmcnt(21)
	v_fma_f64 v[109:110], v[139:140], v[111:112], v[109:110]
	s_waitcnt vmcnt(20) lgkmcnt(0)
	v_fma_f64 v[109:110], v[119:120], v[113:114], v[109:110]
	buffer_load_dword v119, off, s[0:3], 0 offset:216
	buffer_load_dword v120, off, s[0:3], 0 offset:220
	s_waitcnt vmcnt(17)
	v_fma_f64 v[121:122], v[121:122], v[115:116], v[109:110]
	ds_read_b128 v[109:112], v108 offset:784
	ds_read_b128 v[113:116], v108 offset:800
	s_waitcnt vmcnt(16) lgkmcnt(1)
	v_fma_f64 v[109:110], v[127:128], v[109:110], v[121:122]
	s_waitcnt vmcnt(15)
	v_fma_f64 v[109:110], v[125:126], v[111:112], v[109:110]
	s_waitcnt vmcnt(14) lgkmcnt(0)
	v_fma_f64 v[109:110], v[123:124], v[113:114], v[109:110]
	s_waitcnt vmcnt(9)
	v_fma_f64 v[121:122], v[129:130], v[115:116], v[109:110]
	ds_read_b128 v[109:112], v108 offset:816
	ds_read_b128 v[113:116], v108 offset:832
	s_waitcnt vmcnt(8) lgkmcnt(1)
	v_fma_f64 v[109:110], v[137:138], v[109:110], v[121:122]
	s_waitcnt vmcnt(7)
	v_fma_f64 v[109:110], v[135:136], v[111:112], v[109:110]
	ds_read_b64 v[111:112], v108 offset:848
	s_waitcnt vmcnt(6) lgkmcnt(1)
	v_fma_f64 v[109:110], v[131:132], v[113:114], v[109:110]
	s_waitcnt vmcnt(3)
	v_fma_f64 v[109:110], v[117:118], v[115:116], v[109:110]
	s_waitcnt vmcnt(2) lgkmcnt(0)
	v_fma_f64 v[109:110], v[133:134], v[111:112], v[109:110]
	s_waitcnt vmcnt(0)
	v_add_f64 v[109:110], v[119:120], -v[109:110]
	buffer_store_dword v110, off, s[0:3], 0 offset:220
	buffer_store_dword v109, off, s[0:3], 0 offset:216
	s_and_saveexec_b64 s[4:5], vcc
	s_cbranch_execz .LBB116_273
; %bb.272:
	buffer_load_dword v109, off, s[0:3], 0 offset:208
	buffer_load_dword v110, off, s[0:3], 0 offset:212
	s_waitcnt vmcnt(0)
	ds_write_b64 v107, v[109:110]
	buffer_store_dword v108, off, s[0:3], 0 offset:208
	buffer_store_dword v108, off, s[0:3], 0 offset:212
.LBB116_273:
	s_or_b64 exec, exec, s[4:5]
	s_waitcnt lgkmcnt(0)
	; wave barrier
	buffer_load_dword v117, off, s[0:3], 0 offset:216
	buffer_load_dword v118, off, s[0:3], 0 offset:220
	;; [unrolled: 1-line block ×22, first 2 shown]
	ds_read2_b64 v[109:112], v108 offset0:81 offset1:82
	ds_read2_b64 v[113:116], v108 offset0:83 offset1:84
	v_cmp_lt_u32_e32 vcc, 25, v0
	s_waitcnt vmcnt(20) lgkmcnt(1)
	v_fma_f64 v[109:110], v[117:118], v[109:110], 0
	s_waitcnt vmcnt(18)
	v_fma_f64 v[109:110], v[119:120], v[111:112], v[109:110]
	buffer_load_dword v118, off, s[0:3], 0 offset:308
	buffer_load_dword v119, off, s[0:3], 0 offset:328
	;; [unrolled: 1-line block ×7, first 2 shown]
	s_waitcnt vmcnt(23) lgkmcnt(0)
	v_fma_f64 v[109:110], v[121:122], v[113:114], v[109:110]
	s_waitcnt vmcnt(21)
	v_fma_f64 v[120:121], v[123:124], v[115:116], v[109:110]
	ds_read2_b64 v[109:112], v108 offset0:85 offset1:86
	ds_read2_b64 v[113:116], v108 offset0:87 offset1:88
	s_waitcnt vmcnt(19) lgkmcnt(1)
	v_fma_f64 v[109:110], v[125:126], v[109:110], v[120:121]
	buffer_load_dword v120, off, s[0:3], 0 offset:332
	s_waitcnt vmcnt(18)
	v_fma_f64 v[109:110], v[127:128], v[111:112], v[109:110]
	buffer_load_dword v122, off, s[0:3], 0 offset:340
	buffer_load_dword v123, off, s[0:3], 0 offset:360
	buffer_load_dword v125, off, s[0:3], 0 offset:352
	buffer_load_dword v127, off, s[0:3], 0 offset:344
	buffer_load_dword v121, off, s[0:3], 0 offset:336
	buffer_load_dword v128, off, s[0:3], 0 offset:348
	buffer_load_dword v126, off, s[0:3], 0 offset:356
	buffer_load_dword v124, off, s[0:3], 0 offset:364
	s_waitcnt vmcnt(24) lgkmcnt(0)
	v_fma_f64 v[109:110], v[129:130], v[113:114], v[109:110]
	s_waitcnt vmcnt(19)
	v_fma_f64 v[129:130], v[131:132], v[115:116], v[109:110]
	ds_read2_b64 v[109:112], v108 offset0:89 offset1:90
	ds_read2_b64 v[113:116], v108 offset0:91 offset1:92
	s_waitcnt vmcnt(18) lgkmcnt(1)
	v_fma_f64 v[109:110], v[137:138], v[109:110], v[129:130]
	s_waitcnt vmcnt(17)
	v_fma_f64 v[109:110], v[135:136], v[111:112], v[109:110]
	buffer_load_dword v130, off, s[0:3], 0 offset:372
	buffer_load_dword v131, off, s[0:3], 0 offset:392
	;; [unrolled: 1-line block ×8, first 2 shown]
	s_waitcnt vmcnt(24) lgkmcnt(0)
	v_fma_f64 v[109:110], v[133:134], v[113:114], v[109:110]
	s_waitcnt vmcnt(19)
	v_fma_f64 v[117:118], v[117:118], v[115:116], v[109:110]
	ds_read2_b64 v[109:112], v108 offset0:93 offset1:94
	ds_read2_b64 v[113:116], v108 offset0:95 offset1:96
	s_waitcnt vmcnt(18) lgkmcnt(1)
	v_fma_f64 v[109:110], v[141:142], v[109:110], v[117:118]
	s_waitcnt vmcnt(17)
	v_fma_f64 v[109:110], v[139:140], v[111:112], v[109:110]
	buffer_load_dword v118, off, s[0:3], 0 offset:404
	buffer_load_dword v133, off, s[0:3], 0 offset:416
	;; [unrolled: 1-line block ×6, first 2 shown]
	s_waitcnt vmcnt(22) lgkmcnt(0)
	v_fma_f64 v[109:110], v[119:120], v[113:114], v[109:110]
	s_waitcnt vmcnt(17)
	v_fma_f64 v[119:120], v[121:122], v[115:116], v[109:110]
	ds_read2_b64 v[109:112], v108 offset0:97 offset1:98
	buffer_load_dword v121, off, s[0:3], 0 offset:208
	buffer_load_dword v122, off, s[0:3], 0 offset:212
	ds_read2_b64 v[113:116], v108 offset0:99 offset1:100
	s_waitcnt vmcnt(18) lgkmcnt(1)
	v_fma_f64 v[109:110], v[127:128], v[109:110], v[119:120]
	s_waitcnt vmcnt(17)
	v_fma_f64 v[109:110], v[125:126], v[111:112], v[109:110]
	s_waitcnt vmcnt(16) lgkmcnt(0)
	v_fma_f64 v[109:110], v[123:124], v[113:114], v[109:110]
	s_waitcnt vmcnt(11)
	v_fma_f64 v[119:120], v[129:130], v[115:116], v[109:110]
	ds_read2_b64 v[109:112], v108 offset0:101 offset1:102
	ds_read2_b64 v[113:116], v108 offset0:103 offset1:104
	s_waitcnt vmcnt(10) lgkmcnt(1)
	v_fma_f64 v[109:110], v[137:138], v[109:110], v[119:120]
	s_waitcnt vmcnt(9)
	v_fma_f64 v[109:110], v[135:136], v[111:112], v[109:110]
	s_waitcnt vmcnt(8) lgkmcnt(0)
	v_fma_f64 v[109:110], v[131:132], v[113:114], v[109:110]
	s_waitcnt vmcnt(4)
	v_fma_f64 v[112:113], v[117:118], v[115:116], v[109:110]
	ds_read2_b64 v[108:111], v108 offset0:105 offset1:106
	s_waitcnt vmcnt(3) lgkmcnt(0)
	v_fma_f64 v[108:109], v[139:140], v[108:109], v[112:113]
	s_waitcnt vmcnt(2)
	v_fma_f64 v[108:109], v[133:134], v[110:111], v[108:109]
	s_waitcnt vmcnt(0)
	v_add_f64 v[108:109], v[121:122], -v[108:109]
	buffer_store_dword v109, off, s[0:3], 0 offset:212
	buffer_store_dword v108, off, s[0:3], 0 offset:208
	s_and_saveexec_b64 s[4:5], vcc
	s_cbranch_execz .LBB116_275
; %bb.274:
	buffer_load_dword v108, off, s[0:3], 0 offset:200
	buffer_load_dword v109, off, s[0:3], 0 offset:204
	v_mov_b32_e32 v110, 0
	buffer_store_dword v110, off, s[0:3], 0 offset:200
	buffer_store_dword v110, off, s[0:3], 0 offset:204
	s_waitcnt vmcnt(2)
	ds_write_b64 v107, v[108:109]
.LBB116_275:
	s_or_b64 exec, exec, s[4:5]
	s_waitcnt lgkmcnt(0)
	; wave barrier
	buffer_load_dword v117, off, s[0:3], 0 offset:208
	buffer_load_dword v118, off, s[0:3], 0 offset:212
	;; [unrolled: 1-line block ×22, first 2 shown]
	v_mov_b32_e32 v108, 0
	ds_read_b128 v[109:112], v108 offset:640
	ds_read_b128 v[113:116], v108 offset:656
	v_cmp_lt_u32_e32 vcc, 24, v0
	s_waitcnt vmcnt(20) lgkmcnt(1)
	v_fma_f64 v[109:110], v[117:118], v[109:110], 0
	s_waitcnt vmcnt(18)
	v_fma_f64 v[109:110], v[119:120], v[111:112], v[109:110]
	buffer_load_dword v118, off, s[0:3], 0 offset:300
	buffer_load_dword v119, off, s[0:3], 0 offset:320
	;; [unrolled: 1-line block ×7, first 2 shown]
	s_waitcnt vmcnt(23) lgkmcnt(0)
	v_fma_f64 v[109:110], v[121:122], v[113:114], v[109:110]
	s_waitcnt vmcnt(21)
	v_fma_f64 v[120:121], v[123:124], v[115:116], v[109:110]
	ds_read_b128 v[109:112], v108 offset:672
	ds_read_b128 v[113:116], v108 offset:688
	s_waitcnt vmcnt(19) lgkmcnt(1)
	v_fma_f64 v[109:110], v[125:126], v[109:110], v[120:121]
	buffer_load_dword v120, off, s[0:3], 0 offset:324
	s_waitcnt vmcnt(18)
	v_fma_f64 v[109:110], v[127:128], v[111:112], v[109:110]
	buffer_load_dword v122, off, s[0:3], 0 offset:332
	buffer_load_dword v123, off, s[0:3], 0 offset:352
	buffer_load_dword v125, off, s[0:3], 0 offset:344
	buffer_load_dword v127, off, s[0:3], 0 offset:336
	buffer_load_dword v121, off, s[0:3], 0 offset:328
	buffer_load_dword v128, off, s[0:3], 0 offset:340
	buffer_load_dword v126, off, s[0:3], 0 offset:348
	buffer_load_dword v124, off, s[0:3], 0 offset:356
	s_waitcnt vmcnt(24) lgkmcnt(0)
	v_fma_f64 v[109:110], v[129:130], v[113:114], v[109:110]
	s_waitcnt vmcnt(19)
	v_fma_f64 v[129:130], v[131:132], v[115:116], v[109:110]
	ds_read_b128 v[109:112], v108 offset:704
	ds_read_b128 v[113:116], v108 offset:720
	s_waitcnt vmcnt(18) lgkmcnt(1)
	v_fma_f64 v[109:110], v[137:138], v[109:110], v[129:130]
	s_waitcnt vmcnt(17)
	v_fma_f64 v[109:110], v[135:136], v[111:112], v[109:110]
	buffer_load_dword v130, off, s[0:3], 0 offset:364
	buffer_load_dword v131, off, s[0:3], 0 offset:384
	buffer_load_dword v135, off, s[0:3], 0 offset:376
	buffer_load_dword v137, off, s[0:3], 0 offset:368
	buffer_load_dword v129, off, s[0:3], 0 offset:360
	buffer_load_dword v138, off, s[0:3], 0 offset:372
	buffer_load_dword v136, off, s[0:3], 0 offset:380
	buffer_load_dword v132, off, s[0:3], 0 offset:388
	s_waitcnt vmcnt(24) lgkmcnt(0)
	v_fma_f64 v[109:110], v[133:134], v[113:114], v[109:110]
	s_waitcnt vmcnt(19)
	v_fma_f64 v[117:118], v[117:118], v[115:116], v[109:110]
	ds_read_b128 v[109:112], v108 offset:736
	ds_read_b128 v[113:116], v108 offset:752
	s_waitcnt vmcnt(18) lgkmcnt(1)
	v_fma_f64 v[109:110], v[141:142], v[109:110], v[117:118]
	;; [unrolled: 18-line block ×3, first 2 shown]
	buffer_load_dword v119, off, s[0:3], 0 offset:200
	buffer_load_dword v120, off, s[0:3], 0 offset:204
	s_waitcnt vmcnt(19)
	v_fma_f64 v[109:110], v[125:126], v[111:112], v[109:110]
	s_waitcnt vmcnt(18) lgkmcnt(0)
	v_fma_f64 v[109:110], v[123:124], v[113:114], v[109:110]
	s_waitcnt vmcnt(13)
	v_fma_f64 v[121:122], v[129:130], v[115:116], v[109:110]
	ds_read_b128 v[109:112], v108 offset:800
	ds_read_b128 v[113:116], v108 offset:816
	s_waitcnt vmcnt(12) lgkmcnt(1)
	v_fma_f64 v[109:110], v[137:138], v[109:110], v[121:122]
	s_waitcnt vmcnt(11)
	v_fma_f64 v[109:110], v[135:136], v[111:112], v[109:110]
	s_waitcnt vmcnt(10) lgkmcnt(0)
	v_fma_f64 v[109:110], v[131:132], v[113:114], v[109:110]
	s_waitcnt vmcnt(5)
	v_fma_f64 v[113:114], v[117:118], v[115:116], v[109:110]
	ds_read_b128 v[109:112], v108 offset:832
	ds_read_b64 v[115:116], v108 offset:848
	s_waitcnt vmcnt(4) lgkmcnt(1)
	v_fma_f64 v[109:110], v[141:142], v[109:110], v[113:114]
	s_waitcnt vmcnt(3)
	v_fma_f64 v[109:110], v[139:140], v[111:112], v[109:110]
	s_waitcnt vmcnt(2) lgkmcnt(0)
	v_fma_f64 v[109:110], v[133:134], v[115:116], v[109:110]
	s_waitcnt vmcnt(0)
	v_add_f64 v[109:110], v[119:120], -v[109:110]
	buffer_store_dword v110, off, s[0:3], 0 offset:204
	buffer_store_dword v109, off, s[0:3], 0 offset:200
	s_and_saveexec_b64 s[4:5], vcc
	s_cbranch_execz .LBB116_277
; %bb.276:
	buffer_load_dword v109, off, s[0:3], 0 offset:192
	buffer_load_dword v110, off, s[0:3], 0 offset:196
	s_waitcnt vmcnt(0)
	ds_write_b64 v107, v[109:110]
	buffer_store_dword v108, off, s[0:3], 0 offset:192
	buffer_store_dword v108, off, s[0:3], 0 offset:196
.LBB116_277:
	s_or_b64 exec, exec, s[4:5]
	s_waitcnt lgkmcnt(0)
	; wave barrier
	buffer_load_dword v117, off, s[0:3], 0 offset:200
	buffer_load_dword v118, off, s[0:3], 0 offset:204
	;; [unrolled: 1-line block ×22, first 2 shown]
	ds_read2_b64 v[109:112], v108 offset0:79 offset1:80
	ds_read2_b64 v[113:116], v108 offset0:81 offset1:82
	v_cmp_lt_u32_e32 vcc, 23, v0
	s_waitcnt vmcnt(20) lgkmcnt(1)
	v_fma_f64 v[109:110], v[117:118], v[109:110], 0
	s_waitcnt vmcnt(18)
	v_fma_f64 v[109:110], v[119:120], v[111:112], v[109:110]
	buffer_load_dword v118, off, s[0:3], 0 offset:292
	buffer_load_dword v119, off, s[0:3], 0 offset:312
	;; [unrolled: 1-line block ×7, first 2 shown]
	s_waitcnt vmcnt(23) lgkmcnt(0)
	v_fma_f64 v[109:110], v[121:122], v[113:114], v[109:110]
	s_waitcnt vmcnt(21)
	v_fma_f64 v[120:121], v[123:124], v[115:116], v[109:110]
	ds_read2_b64 v[109:112], v108 offset0:83 offset1:84
	ds_read2_b64 v[113:116], v108 offset0:85 offset1:86
	s_waitcnt vmcnt(19) lgkmcnt(1)
	v_fma_f64 v[109:110], v[125:126], v[109:110], v[120:121]
	buffer_load_dword v120, off, s[0:3], 0 offset:316
	s_waitcnt vmcnt(18)
	v_fma_f64 v[109:110], v[127:128], v[111:112], v[109:110]
	buffer_load_dword v122, off, s[0:3], 0 offset:324
	buffer_load_dword v123, off, s[0:3], 0 offset:344
	buffer_load_dword v125, off, s[0:3], 0 offset:336
	buffer_load_dword v127, off, s[0:3], 0 offset:328
	buffer_load_dword v121, off, s[0:3], 0 offset:320
	buffer_load_dword v128, off, s[0:3], 0 offset:332
	buffer_load_dword v126, off, s[0:3], 0 offset:340
	buffer_load_dword v124, off, s[0:3], 0 offset:348
	s_waitcnt vmcnt(24) lgkmcnt(0)
	v_fma_f64 v[109:110], v[129:130], v[113:114], v[109:110]
	s_waitcnt vmcnt(19)
	v_fma_f64 v[129:130], v[131:132], v[115:116], v[109:110]
	ds_read2_b64 v[109:112], v108 offset0:87 offset1:88
	ds_read2_b64 v[113:116], v108 offset0:89 offset1:90
	s_waitcnt vmcnt(18) lgkmcnt(1)
	v_fma_f64 v[109:110], v[137:138], v[109:110], v[129:130]
	s_waitcnt vmcnt(17)
	v_fma_f64 v[109:110], v[135:136], v[111:112], v[109:110]
	buffer_load_dword v130, off, s[0:3], 0 offset:356
	buffer_load_dword v131, off, s[0:3], 0 offset:376
	buffer_load_dword v135, off, s[0:3], 0 offset:368
	buffer_load_dword v137, off, s[0:3], 0 offset:360
	buffer_load_dword v129, off, s[0:3], 0 offset:352
	buffer_load_dword v138, off, s[0:3], 0 offset:364
	buffer_load_dword v136, off, s[0:3], 0 offset:372
	buffer_load_dword v132, off, s[0:3], 0 offset:380
	s_waitcnt vmcnt(24) lgkmcnt(0)
	v_fma_f64 v[109:110], v[133:134], v[113:114], v[109:110]
	s_waitcnt vmcnt(19)
	v_fma_f64 v[117:118], v[117:118], v[115:116], v[109:110]
	ds_read2_b64 v[109:112], v108 offset0:91 offset1:92
	ds_read2_b64 v[113:116], v108 offset0:93 offset1:94
	s_waitcnt vmcnt(18) lgkmcnt(1)
	v_fma_f64 v[109:110], v[141:142], v[109:110], v[117:118]
	;; [unrolled: 18-line block ×3, first 2 shown]
	buffer_load_dword v120, off, s[0:3], 0 offset:420
	buffer_load_dword v119, off, s[0:3], 0 offset:416
	;; [unrolled: 1-line block ×4, first 2 shown]
	s_waitcnt vmcnt(21)
	v_fma_f64 v[109:110], v[125:126], v[111:112], v[109:110]
	s_waitcnt vmcnt(20) lgkmcnt(0)
	v_fma_f64 v[109:110], v[123:124], v[113:114], v[109:110]
	s_waitcnt vmcnt(15)
	v_fma_f64 v[123:124], v[129:130], v[115:116], v[109:110]
	ds_read2_b64 v[109:112], v108 offset0:99 offset1:100
	ds_read2_b64 v[113:116], v108 offset0:101 offset1:102
	s_waitcnt vmcnt(14) lgkmcnt(1)
	v_fma_f64 v[109:110], v[137:138], v[109:110], v[123:124]
	s_waitcnt vmcnt(13)
	v_fma_f64 v[109:110], v[135:136], v[111:112], v[109:110]
	s_waitcnt vmcnt(12) lgkmcnt(0)
	v_fma_f64 v[109:110], v[131:132], v[113:114], v[109:110]
	s_waitcnt vmcnt(7)
	v_fma_f64 v[117:118], v[117:118], v[115:116], v[109:110]
	ds_read2_b64 v[109:112], v108 offset0:103 offset1:104
	ds_read2_b64 v[113:116], v108 offset0:105 offset1:106
	s_waitcnt vmcnt(6) lgkmcnt(1)
	v_fma_f64 v[108:109], v[141:142], v[109:110], v[117:118]
	s_waitcnt vmcnt(5)
	v_fma_f64 v[108:109], v[139:140], v[111:112], v[108:109]
	s_waitcnt vmcnt(4) lgkmcnt(0)
	v_fma_f64 v[108:109], v[133:134], v[113:114], v[108:109]
	s_waitcnt vmcnt(2)
	v_fma_f64 v[108:109], v[119:120], v[115:116], v[108:109]
	s_waitcnt vmcnt(0)
	v_add_f64 v[108:109], v[121:122], -v[108:109]
	buffer_store_dword v109, off, s[0:3], 0 offset:196
	buffer_store_dword v108, off, s[0:3], 0 offset:192
	s_and_saveexec_b64 s[4:5], vcc
	s_cbranch_execz .LBB116_279
; %bb.278:
	buffer_load_dword v108, off, s[0:3], 0 offset:184
	buffer_load_dword v109, off, s[0:3], 0 offset:188
	v_mov_b32_e32 v110, 0
	buffer_store_dword v110, off, s[0:3], 0 offset:184
	buffer_store_dword v110, off, s[0:3], 0 offset:188
	s_waitcnt vmcnt(2)
	ds_write_b64 v107, v[108:109]
.LBB116_279:
	s_or_b64 exec, exec, s[4:5]
	s_waitcnt lgkmcnt(0)
	; wave barrier
	buffer_load_dword v117, off, s[0:3], 0 offset:192
	buffer_load_dword v118, off, s[0:3], 0 offset:196
	;; [unrolled: 1-line block ×22, first 2 shown]
	v_mov_b32_e32 v108, 0
	ds_read_b128 v[109:112], v108 offset:624
	ds_read_b128 v[113:116], v108 offset:640
	v_cmp_lt_u32_e32 vcc, 22, v0
	s_waitcnt vmcnt(20) lgkmcnt(1)
	v_fma_f64 v[109:110], v[117:118], v[109:110], 0
	s_waitcnt vmcnt(18)
	v_fma_f64 v[109:110], v[119:120], v[111:112], v[109:110]
	buffer_load_dword v118, off, s[0:3], 0 offset:284
	buffer_load_dword v119, off, s[0:3], 0 offset:304
	;; [unrolled: 1-line block ×7, first 2 shown]
	s_waitcnt vmcnt(23) lgkmcnt(0)
	v_fma_f64 v[109:110], v[121:122], v[113:114], v[109:110]
	s_waitcnt vmcnt(21)
	v_fma_f64 v[120:121], v[123:124], v[115:116], v[109:110]
	ds_read_b128 v[109:112], v108 offset:656
	ds_read_b128 v[113:116], v108 offset:672
	s_waitcnt vmcnt(19) lgkmcnt(1)
	v_fma_f64 v[109:110], v[125:126], v[109:110], v[120:121]
	buffer_load_dword v120, off, s[0:3], 0 offset:308
	s_waitcnt vmcnt(18)
	v_fma_f64 v[109:110], v[127:128], v[111:112], v[109:110]
	buffer_load_dword v122, off, s[0:3], 0 offset:316
	buffer_load_dword v123, off, s[0:3], 0 offset:336
	;; [unrolled: 1-line block ×7, first 2 shown]
	s_waitcnt vmcnt(23) lgkmcnt(0)
	v_fma_f64 v[109:110], v[129:130], v[113:114], v[109:110]
	s_waitcnt vmcnt(18)
	v_fma_f64 v[129:130], v[131:132], v[115:116], v[109:110]
	ds_read_b128 v[109:112], v108 offset:688
	ds_read_b128 v[113:116], v108 offset:704
	buffer_load_dword v124, off, s[0:3], 0 offset:340
	s_waitcnt vmcnt(18) lgkmcnt(1)
	v_fma_f64 v[109:110], v[137:138], v[109:110], v[129:130]
	s_waitcnt vmcnt(17)
	v_fma_f64 v[109:110], v[135:136], v[111:112], v[109:110]
	buffer_load_dword v130, off, s[0:3], 0 offset:348
	buffer_load_dword v131, off, s[0:3], 0 offset:368
	;; [unrolled: 1-line block ×8, first 2 shown]
	s_waitcnt vmcnt(24) lgkmcnt(0)
	v_fma_f64 v[109:110], v[133:134], v[113:114], v[109:110]
	s_waitcnt vmcnt(19)
	v_fma_f64 v[117:118], v[117:118], v[115:116], v[109:110]
	ds_read_b128 v[109:112], v108 offset:720
	ds_read_b128 v[113:116], v108 offset:736
	s_waitcnt vmcnt(18) lgkmcnt(1)
	v_fma_f64 v[109:110], v[141:142], v[109:110], v[117:118]
	s_waitcnt vmcnt(17)
	v_fma_f64 v[109:110], v[139:140], v[111:112], v[109:110]
	buffer_load_dword v118, off, s[0:3], 0 offset:380
	buffer_load_dword v133, off, s[0:3], 0 offset:400
	;; [unrolled: 1-line block ×7, first 2 shown]
	s_waitcnt vmcnt(23) lgkmcnt(0)
	v_fma_f64 v[109:110], v[119:120], v[113:114], v[109:110]
	s_waitcnt vmcnt(18)
	v_fma_f64 v[119:120], v[121:122], v[115:116], v[109:110]
	ds_read_b128 v[109:112], v108 offset:752
	ds_read_b128 v[113:116], v108 offset:768
	buffer_load_dword v134, off, s[0:3], 0 offset:404
	s_waitcnt vmcnt(18) lgkmcnt(1)
	v_fma_f64 v[109:110], v[127:128], v[109:110], v[119:120]
	buffer_load_dword v120, off, s[0:3], 0 offset:412
	buffer_load_dword v121, off, s[0:3], 0 offset:416
	;; [unrolled: 1-line block ×4, first 2 shown]
	s_waitcnt vmcnt(21)
	v_fma_f64 v[109:110], v[125:126], v[111:112], v[109:110]
	s_waitcnt vmcnt(20) lgkmcnt(0)
	v_fma_f64 v[109:110], v[123:124], v[113:114], v[109:110]
	buffer_load_dword v123, off, s[0:3], 0 offset:184
	buffer_load_dword v124, off, s[0:3], 0 offset:188
	s_waitcnt vmcnt(17)
	v_fma_f64 v[125:126], v[129:130], v[115:116], v[109:110]
	ds_read_b128 v[109:112], v108 offset:784
	ds_read_b128 v[113:116], v108 offset:800
	s_waitcnt vmcnt(16) lgkmcnt(1)
	v_fma_f64 v[109:110], v[137:138], v[109:110], v[125:126]
	s_waitcnt vmcnt(15)
	v_fma_f64 v[109:110], v[135:136], v[111:112], v[109:110]
	s_waitcnt vmcnt(14) lgkmcnt(0)
	v_fma_f64 v[109:110], v[131:132], v[113:114], v[109:110]
	s_waitcnt vmcnt(9)
	v_fma_f64 v[117:118], v[117:118], v[115:116], v[109:110]
	ds_read_b128 v[109:112], v108 offset:816
	ds_read_b128 v[113:116], v108 offset:832
	s_waitcnt vmcnt(8) lgkmcnt(1)
	v_fma_f64 v[109:110], v[141:142], v[109:110], v[117:118]
	s_waitcnt vmcnt(7)
	v_fma_f64 v[109:110], v[139:140], v[111:112], v[109:110]
	ds_read_b64 v[111:112], v108 offset:848
	s_waitcnt vmcnt(6) lgkmcnt(1)
	v_fma_f64 v[109:110], v[133:134], v[113:114], v[109:110]
	s_waitcnt vmcnt(3)
	v_fma_f64 v[109:110], v[119:120], v[115:116], v[109:110]
	s_waitcnt vmcnt(2) lgkmcnt(0)
	v_fma_f64 v[109:110], v[121:122], v[111:112], v[109:110]
	s_waitcnt vmcnt(0)
	v_add_f64 v[109:110], v[123:124], -v[109:110]
	buffer_store_dword v110, off, s[0:3], 0 offset:188
	buffer_store_dword v109, off, s[0:3], 0 offset:184
	s_and_saveexec_b64 s[4:5], vcc
	s_cbranch_execz .LBB116_281
; %bb.280:
	buffer_load_dword v109, off, s[0:3], 0 offset:176
	buffer_load_dword v110, off, s[0:3], 0 offset:180
	s_waitcnt vmcnt(0)
	ds_write_b64 v107, v[109:110]
	buffer_store_dword v108, off, s[0:3], 0 offset:176
	buffer_store_dword v108, off, s[0:3], 0 offset:180
.LBB116_281:
	s_or_b64 exec, exec, s[4:5]
	s_waitcnt lgkmcnt(0)
	; wave barrier
	buffer_load_dword v117, off, s[0:3], 0 offset:184
	buffer_load_dword v118, off, s[0:3], 0 offset:188
	buffer_load_dword v119, off, s[0:3], 0 offset:192
	buffer_load_dword v120, off, s[0:3], 0 offset:196
	buffer_load_dword v121, off, s[0:3], 0 offset:200
	buffer_load_dword v122, off, s[0:3], 0 offset:204
	buffer_load_dword v123, off, s[0:3], 0 offset:208
	buffer_load_dword v124, off, s[0:3], 0 offset:212
	buffer_load_dword v125, off, s[0:3], 0 offset:216
	buffer_load_dword v126, off, s[0:3], 0 offset:220
	buffer_load_dword v127, off, s[0:3], 0 offset:224
	buffer_load_dword v128, off, s[0:3], 0 offset:228
	buffer_load_dword v129, off, s[0:3], 0 offset:232
	buffer_load_dword v130, off, s[0:3], 0 offset:236
	buffer_load_dword v132, off, s[0:3], 0 offset:244
	buffer_load_dword v133, off, s[0:3], 0 offset:264
	buffer_load_dword v135, off, s[0:3], 0 offset:256
	buffer_load_dword v137, off, s[0:3], 0 offset:248
	buffer_load_dword v131, off, s[0:3], 0 offset:240
	buffer_load_dword v138, off, s[0:3], 0 offset:252
	buffer_load_dword v136, off, s[0:3], 0 offset:260
	buffer_load_dword v134, off, s[0:3], 0 offset:268
	ds_read2_b64 v[109:112], v108 offset0:77 offset1:78
	ds_read2_b64 v[113:116], v108 offset0:79 offset1:80
	v_cmp_lt_u32_e32 vcc, 21, v0
	s_waitcnt vmcnt(20) lgkmcnt(1)
	v_fma_f64 v[109:110], v[117:118], v[109:110], 0
	s_waitcnt vmcnt(18)
	v_fma_f64 v[109:110], v[119:120], v[111:112], v[109:110]
	buffer_load_dword v118, off, s[0:3], 0 offset:276
	buffer_load_dword v119, off, s[0:3], 0 offset:296
	;; [unrolled: 1-line block ×7, first 2 shown]
	s_waitcnt vmcnt(23) lgkmcnt(0)
	v_fma_f64 v[109:110], v[121:122], v[113:114], v[109:110]
	s_waitcnt vmcnt(21)
	v_fma_f64 v[120:121], v[123:124], v[115:116], v[109:110]
	ds_read2_b64 v[109:112], v108 offset0:81 offset1:82
	ds_read2_b64 v[113:116], v108 offset0:83 offset1:84
	s_waitcnt vmcnt(19) lgkmcnt(1)
	v_fma_f64 v[109:110], v[125:126], v[109:110], v[120:121]
	buffer_load_dword v120, off, s[0:3], 0 offset:300
	s_waitcnt vmcnt(18)
	v_fma_f64 v[109:110], v[127:128], v[111:112], v[109:110]
	buffer_load_dword v122, off, s[0:3], 0 offset:308
	buffer_load_dword v123, off, s[0:3], 0 offset:328
	;; [unrolled: 1-line block ×7, first 2 shown]
	s_waitcnt vmcnt(23) lgkmcnt(0)
	v_fma_f64 v[109:110], v[129:130], v[113:114], v[109:110]
	s_waitcnt vmcnt(18)
	v_fma_f64 v[129:130], v[131:132], v[115:116], v[109:110]
	ds_read2_b64 v[109:112], v108 offset0:85 offset1:86
	ds_read2_b64 v[113:116], v108 offset0:87 offset1:88
	buffer_load_dword v124, off, s[0:3], 0 offset:332
	s_waitcnt vmcnt(18) lgkmcnt(1)
	v_fma_f64 v[109:110], v[137:138], v[109:110], v[129:130]
	s_waitcnt vmcnt(17)
	v_fma_f64 v[109:110], v[135:136], v[111:112], v[109:110]
	buffer_load_dword v130, off, s[0:3], 0 offset:340
	buffer_load_dword v131, off, s[0:3], 0 offset:360
	;; [unrolled: 1-line block ×8, first 2 shown]
	s_waitcnt vmcnt(24) lgkmcnt(0)
	v_fma_f64 v[109:110], v[133:134], v[113:114], v[109:110]
	s_waitcnt vmcnt(19)
	v_fma_f64 v[117:118], v[117:118], v[115:116], v[109:110]
	ds_read2_b64 v[109:112], v108 offset0:89 offset1:90
	ds_read2_b64 v[113:116], v108 offset0:91 offset1:92
	s_waitcnt vmcnt(18) lgkmcnt(1)
	v_fma_f64 v[109:110], v[141:142], v[109:110], v[117:118]
	s_waitcnt vmcnt(17)
	v_fma_f64 v[109:110], v[139:140], v[111:112], v[109:110]
	buffer_load_dword v118, off, s[0:3], 0 offset:372
	buffer_load_dword v133, off, s[0:3], 0 offset:392
	;; [unrolled: 1-line block ×8, first 2 shown]
	s_waitcnt vmcnt(24) lgkmcnt(0)
	v_fma_f64 v[109:110], v[119:120], v[113:114], v[109:110]
	s_waitcnt vmcnt(19)
	v_fma_f64 v[119:120], v[121:122], v[115:116], v[109:110]
	ds_read2_b64 v[109:112], v108 offset0:93 offset1:94
	ds_read2_b64 v[113:116], v108 offset0:95 offset1:96
	s_waitcnt vmcnt(18) lgkmcnt(1)
	v_fma_f64 v[109:110], v[127:128], v[109:110], v[119:120]
	s_waitcnt vmcnt(17)
	v_fma_f64 v[109:110], v[125:126], v[111:112], v[109:110]
	buffer_load_dword v120, off, s[0:3], 0 offset:404
	buffer_load_dword v121, off, s[0:3], 0 offset:416
	;; [unrolled: 1-line block ×6, first 2 shown]
	s_waitcnt vmcnt(22) lgkmcnt(0)
	v_fma_f64 v[109:110], v[123:124], v[113:114], v[109:110]
	s_waitcnt vmcnt(17)
	v_fma_f64 v[123:124], v[129:130], v[115:116], v[109:110]
	ds_read2_b64 v[109:112], v108 offset0:97 offset1:98
	buffer_load_dword v127, off, s[0:3], 0 offset:176
	buffer_load_dword v128, off, s[0:3], 0 offset:180
	ds_read2_b64 v[113:116], v108 offset0:99 offset1:100
	s_waitcnt vmcnt(18) lgkmcnt(1)
	v_fma_f64 v[109:110], v[137:138], v[109:110], v[123:124]
	s_waitcnt vmcnt(17)
	v_fma_f64 v[109:110], v[135:136], v[111:112], v[109:110]
	s_waitcnt vmcnt(16) lgkmcnt(0)
	v_fma_f64 v[109:110], v[131:132], v[113:114], v[109:110]
	s_waitcnt vmcnt(11)
	v_fma_f64 v[117:118], v[117:118], v[115:116], v[109:110]
	ds_read2_b64 v[109:112], v108 offset0:101 offset1:102
	ds_read2_b64 v[113:116], v108 offset0:103 offset1:104
	s_waitcnt vmcnt(10) lgkmcnt(1)
	v_fma_f64 v[109:110], v[141:142], v[109:110], v[117:118]
	s_waitcnt vmcnt(9)
	v_fma_f64 v[109:110], v[139:140], v[111:112], v[109:110]
	s_waitcnt vmcnt(8) lgkmcnt(0)
	v_fma_f64 v[109:110], v[133:134], v[113:114], v[109:110]
	s_waitcnt vmcnt(4)
	v_fma_f64 v[112:113], v[119:120], v[115:116], v[109:110]
	ds_read2_b64 v[108:111], v108 offset0:105 offset1:106
	s_waitcnt vmcnt(3) lgkmcnt(0)
	v_fma_f64 v[108:109], v[125:126], v[108:109], v[112:113]
	s_waitcnt vmcnt(2)
	v_fma_f64 v[108:109], v[121:122], v[110:111], v[108:109]
	s_waitcnt vmcnt(0)
	v_add_f64 v[108:109], v[127:128], -v[108:109]
	buffer_store_dword v109, off, s[0:3], 0 offset:180
	buffer_store_dword v108, off, s[0:3], 0 offset:176
	s_and_saveexec_b64 s[4:5], vcc
	s_cbranch_execz .LBB116_283
; %bb.282:
	buffer_load_dword v108, off, s[0:3], 0 offset:168
	buffer_load_dword v109, off, s[0:3], 0 offset:172
	v_mov_b32_e32 v110, 0
	buffer_store_dword v110, off, s[0:3], 0 offset:168
	buffer_store_dword v110, off, s[0:3], 0 offset:172
	s_waitcnt vmcnt(2)
	ds_write_b64 v107, v[108:109]
.LBB116_283:
	s_or_b64 exec, exec, s[4:5]
	s_waitcnt lgkmcnt(0)
	; wave barrier
	buffer_load_dword v117, off, s[0:3], 0 offset:176
	buffer_load_dword v118, off, s[0:3], 0 offset:180
	;; [unrolled: 1-line block ×22, first 2 shown]
	v_mov_b32_e32 v108, 0
	ds_read_b128 v[109:112], v108 offset:608
	ds_read_b128 v[113:116], v108 offset:624
	v_cmp_lt_u32_e32 vcc, 20, v0
	s_waitcnt vmcnt(20) lgkmcnt(1)
	v_fma_f64 v[109:110], v[117:118], v[109:110], 0
	s_waitcnt vmcnt(18)
	v_fma_f64 v[109:110], v[119:120], v[111:112], v[109:110]
	buffer_load_dword v118, off, s[0:3], 0 offset:268
	buffer_load_dword v119, off, s[0:3], 0 offset:288
	;; [unrolled: 1-line block ×7, first 2 shown]
	s_waitcnt vmcnt(23) lgkmcnt(0)
	v_fma_f64 v[109:110], v[121:122], v[113:114], v[109:110]
	s_waitcnt vmcnt(21)
	v_fma_f64 v[120:121], v[123:124], v[115:116], v[109:110]
	ds_read_b128 v[109:112], v108 offset:640
	ds_read_b128 v[113:116], v108 offset:656
	s_waitcnt vmcnt(19) lgkmcnt(1)
	v_fma_f64 v[109:110], v[125:126], v[109:110], v[120:121]
	buffer_load_dword v120, off, s[0:3], 0 offset:292
	s_waitcnt vmcnt(18)
	v_fma_f64 v[109:110], v[127:128], v[111:112], v[109:110]
	buffer_load_dword v122, off, s[0:3], 0 offset:300
	buffer_load_dword v123, off, s[0:3], 0 offset:320
	buffer_load_dword v125, off, s[0:3], 0 offset:312
	buffer_load_dword v127, off, s[0:3], 0 offset:304
	buffer_load_dword v121, off, s[0:3], 0 offset:296
	buffer_load_dword v128, off, s[0:3], 0 offset:308
	buffer_load_dword v126, off, s[0:3], 0 offset:316
	s_waitcnt vmcnt(23) lgkmcnt(0)
	v_fma_f64 v[109:110], v[129:130], v[113:114], v[109:110]
	s_waitcnt vmcnt(18)
	v_fma_f64 v[129:130], v[131:132], v[115:116], v[109:110]
	ds_read_b128 v[109:112], v108 offset:672
	ds_read_b128 v[113:116], v108 offset:688
	buffer_load_dword v124, off, s[0:3], 0 offset:324
	s_waitcnt vmcnt(18) lgkmcnt(1)
	v_fma_f64 v[109:110], v[137:138], v[109:110], v[129:130]
	s_waitcnt vmcnt(17)
	v_fma_f64 v[109:110], v[135:136], v[111:112], v[109:110]
	buffer_load_dword v130, off, s[0:3], 0 offset:332
	buffer_load_dword v131, off, s[0:3], 0 offset:352
	buffer_load_dword v135, off, s[0:3], 0 offset:344
	buffer_load_dword v137, off, s[0:3], 0 offset:336
	buffer_load_dword v129, off, s[0:3], 0 offset:328
	buffer_load_dword v138, off, s[0:3], 0 offset:340
	buffer_load_dword v136, off, s[0:3], 0 offset:348
	buffer_load_dword v132, off, s[0:3], 0 offset:356
	s_waitcnt vmcnt(24) lgkmcnt(0)
	v_fma_f64 v[109:110], v[133:134], v[113:114], v[109:110]
	s_waitcnt vmcnt(19)
	v_fma_f64 v[117:118], v[117:118], v[115:116], v[109:110]
	ds_read_b128 v[109:112], v108 offset:704
	ds_read_b128 v[113:116], v108 offset:720
	s_waitcnt vmcnt(18) lgkmcnt(1)
	v_fma_f64 v[109:110], v[141:142], v[109:110], v[117:118]
	s_waitcnt vmcnt(17)
	v_fma_f64 v[109:110], v[139:140], v[111:112], v[109:110]
	buffer_load_dword v118, off, s[0:3], 0 offset:364
	buffer_load_dword v133, off, s[0:3], 0 offset:384
	buffer_load_dword v139, off, s[0:3], 0 offset:376
	buffer_load_dword v141, off, s[0:3], 0 offset:368
	buffer_load_dword v117, off, s[0:3], 0 offset:360
	buffer_load_dword v142, off, s[0:3], 0 offset:372
	buffer_load_dword v140, off, s[0:3], 0 offset:380
	buffer_load_dword v134, off, s[0:3], 0 offset:388
	s_waitcnt vmcnt(24) lgkmcnt(0)
	v_fma_f64 v[109:110], v[119:120], v[113:114], v[109:110]
	s_waitcnt vmcnt(19)
	v_fma_f64 v[119:120], v[121:122], v[115:116], v[109:110]
	ds_read_b128 v[109:112], v108 offset:736
	ds_read_b128 v[113:116], v108 offset:752
	;; [unrolled: 18-line block ×3, first 2 shown]
	s_waitcnt vmcnt(18) lgkmcnt(1)
	v_fma_f64 v[109:110], v[137:138], v[109:110], v[123:124]
	buffer_load_dword v123, off, s[0:3], 0 offset:168
	buffer_load_dword v124, off, s[0:3], 0 offset:172
	s_waitcnt vmcnt(19)
	v_fma_f64 v[109:110], v[135:136], v[111:112], v[109:110]
	s_waitcnt vmcnt(18) lgkmcnt(0)
	v_fma_f64 v[109:110], v[131:132], v[113:114], v[109:110]
	s_waitcnt vmcnt(13)
	v_fma_f64 v[117:118], v[117:118], v[115:116], v[109:110]
	ds_read_b128 v[109:112], v108 offset:800
	ds_read_b128 v[113:116], v108 offset:816
	s_waitcnt vmcnt(12) lgkmcnt(1)
	v_fma_f64 v[109:110], v[141:142], v[109:110], v[117:118]
	s_waitcnt vmcnt(11)
	v_fma_f64 v[109:110], v[139:140], v[111:112], v[109:110]
	s_waitcnt vmcnt(10) lgkmcnt(0)
	v_fma_f64 v[109:110], v[133:134], v[113:114], v[109:110]
	s_waitcnt vmcnt(5)
	v_fma_f64 v[113:114], v[119:120], v[115:116], v[109:110]
	ds_read_b128 v[109:112], v108 offset:832
	ds_read_b64 v[115:116], v108 offset:848
	s_waitcnt vmcnt(4) lgkmcnt(1)
	v_fma_f64 v[109:110], v[127:128], v[109:110], v[113:114]
	s_waitcnt vmcnt(3)
	v_fma_f64 v[109:110], v[125:126], v[111:112], v[109:110]
	s_waitcnt vmcnt(2) lgkmcnt(0)
	v_fma_f64 v[109:110], v[121:122], v[115:116], v[109:110]
	s_waitcnt vmcnt(0)
	v_add_f64 v[109:110], v[123:124], -v[109:110]
	buffer_store_dword v110, off, s[0:3], 0 offset:172
	buffer_store_dword v109, off, s[0:3], 0 offset:168
	s_and_saveexec_b64 s[4:5], vcc
	s_cbranch_execz .LBB116_285
; %bb.284:
	buffer_load_dword v109, off, s[0:3], 0 offset:160
	buffer_load_dword v110, off, s[0:3], 0 offset:164
	s_waitcnt vmcnt(0)
	ds_write_b64 v107, v[109:110]
	buffer_store_dword v108, off, s[0:3], 0 offset:160
	buffer_store_dword v108, off, s[0:3], 0 offset:164
.LBB116_285:
	s_or_b64 exec, exec, s[4:5]
	s_waitcnt lgkmcnt(0)
	; wave barrier
	buffer_load_dword v117, off, s[0:3], 0 offset:168
	buffer_load_dword v118, off, s[0:3], 0 offset:172
	;; [unrolled: 1-line block ×22, first 2 shown]
	ds_read2_b64 v[109:112], v108 offset0:75 offset1:76
	ds_read2_b64 v[113:116], v108 offset0:77 offset1:78
	v_cmp_lt_u32_e32 vcc, 19, v0
	s_waitcnt vmcnt(20) lgkmcnt(1)
	v_fma_f64 v[109:110], v[117:118], v[109:110], 0
	s_waitcnt vmcnt(18)
	v_fma_f64 v[109:110], v[119:120], v[111:112], v[109:110]
	buffer_load_dword v118, off, s[0:3], 0 offset:260
	buffer_load_dword v119, off, s[0:3], 0 offset:280
	;; [unrolled: 1-line block ×7, first 2 shown]
	s_waitcnt vmcnt(23) lgkmcnt(0)
	v_fma_f64 v[109:110], v[121:122], v[113:114], v[109:110]
	s_waitcnt vmcnt(21)
	v_fma_f64 v[120:121], v[123:124], v[115:116], v[109:110]
	ds_read2_b64 v[109:112], v108 offset0:79 offset1:80
	ds_read2_b64 v[113:116], v108 offset0:81 offset1:82
	s_waitcnt vmcnt(19) lgkmcnt(1)
	v_fma_f64 v[109:110], v[125:126], v[109:110], v[120:121]
	buffer_load_dword v120, off, s[0:3], 0 offset:284
	s_waitcnt vmcnt(18)
	v_fma_f64 v[109:110], v[127:128], v[111:112], v[109:110]
	buffer_load_dword v122, off, s[0:3], 0 offset:292
	buffer_load_dword v123, off, s[0:3], 0 offset:312
	;; [unrolled: 1-line block ×7, first 2 shown]
	s_waitcnt vmcnt(23) lgkmcnt(0)
	v_fma_f64 v[109:110], v[129:130], v[113:114], v[109:110]
	s_waitcnt vmcnt(18)
	v_fma_f64 v[129:130], v[131:132], v[115:116], v[109:110]
	ds_read2_b64 v[109:112], v108 offset0:83 offset1:84
	ds_read2_b64 v[113:116], v108 offset0:85 offset1:86
	buffer_load_dword v124, off, s[0:3], 0 offset:316
	s_waitcnt vmcnt(18) lgkmcnt(1)
	v_fma_f64 v[109:110], v[137:138], v[109:110], v[129:130]
	s_waitcnt vmcnt(17)
	v_fma_f64 v[109:110], v[135:136], v[111:112], v[109:110]
	buffer_load_dword v130, off, s[0:3], 0 offset:324
	buffer_load_dword v131, off, s[0:3], 0 offset:344
	buffer_load_dword v135, off, s[0:3], 0 offset:336
	buffer_load_dword v137, off, s[0:3], 0 offset:328
	buffer_load_dword v129, off, s[0:3], 0 offset:320
	buffer_load_dword v138, off, s[0:3], 0 offset:332
	buffer_load_dword v136, off, s[0:3], 0 offset:340
	buffer_load_dword v132, off, s[0:3], 0 offset:348
	s_waitcnt vmcnt(24) lgkmcnt(0)
	v_fma_f64 v[109:110], v[133:134], v[113:114], v[109:110]
	s_waitcnt vmcnt(19)
	v_fma_f64 v[117:118], v[117:118], v[115:116], v[109:110]
	ds_read2_b64 v[109:112], v108 offset0:87 offset1:88
	ds_read2_b64 v[113:116], v108 offset0:89 offset1:90
	s_waitcnt vmcnt(18) lgkmcnt(1)
	v_fma_f64 v[109:110], v[141:142], v[109:110], v[117:118]
	s_waitcnt vmcnt(17)
	v_fma_f64 v[109:110], v[139:140], v[111:112], v[109:110]
	buffer_load_dword v118, off, s[0:3], 0 offset:356
	buffer_load_dword v133, off, s[0:3], 0 offset:376
	buffer_load_dword v139, off, s[0:3], 0 offset:368
	buffer_load_dword v141, off, s[0:3], 0 offset:360
	buffer_load_dword v117, off, s[0:3], 0 offset:352
	buffer_load_dword v142, off, s[0:3], 0 offset:364
	buffer_load_dword v140, off, s[0:3], 0 offset:372
	buffer_load_dword v134, off, s[0:3], 0 offset:380
	s_waitcnt vmcnt(24) lgkmcnt(0)
	v_fma_f64 v[109:110], v[119:120], v[113:114], v[109:110]
	s_waitcnt vmcnt(19)
	v_fma_f64 v[119:120], v[121:122], v[115:116], v[109:110]
	ds_read2_b64 v[109:112], v108 offset0:91 offset1:92
	ds_read2_b64 v[113:116], v108 offset0:93 offset1:94
	;; [unrolled: 18-line block ×3, first 2 shown]
	s_waitcnt vmcnt(18) lgkmcnt(1)
	v_fma_f64 v[109:110], v[137:138], v[109:110], v[123:124]
	buffer_load_dword v124, off, s[0:3], 0 offset:420
	buffer_load_dword v123, off, s[0:3], 0 offset:416
	;; [unrolled: 1-line block ×4, first 2 shown]
	s_waitcnt vmcnt(21)
	v_fma_f64 v[109:110], v[135:136], v[111:112], v[109:110]
	s_waitcnt vmcnt(20) lgkmcnt(0)
	v_fma_f64 v[109:110], v[131:132], v[113:114], v[109:110]
	s_waitcnt vmcnt(15)
	v_fma_f64 v[117:118], v[117:118], v[115:116], v[109:110]
	ds_read2_b64 v[109:112], v108 offset0:99 offset1:100
	ds_read2_b64 v[113:116], v108 offset0:101 offset1:102
	s_waitcnt vmcnt(14) lgkmcnt(1)
	v_fma_f64 v[109:110], v[141:142], v[109:110], v[117:118]
	s_waitcnt vmcnt(13)
	v_fma_f64 v[109:110], v[139:140], v[111:112], v[109:110]
	s_waitcnt vmcnt(12) lgkmcnt(0)
	v_fma_f64 v[109:110], v[133:134], v[113:114], v[109:110]
	s_waitcnt vmcnt(7)
	v_fma_f64 v[117:118], v[119:120], v[115:116], v[109:110]
	ds_read2_b64 v[109:112], v108 offset0:103 offset1:104
	ds_read2_b64 v[113:116], v108 offset0:105 offset1:106
	s_waitcnt vmcnt(6) lgkmcnt(1)
	v_fma_f64 v[108:109], v[127:128], v[109:110], v[117:118]
	s_waitcnt vmcnt(5)
	v_fma_f64 v[108:109], v[125:126], v[111:112], v[108:109]
	s_waitcnt vmcnt(4) lgkmcnt(0)
	v_fma_f64 v[108:109], v[121:122], v[113:114], v[108:109]
	s_waitcnt vmcnt(2)
	v_fma_f64 v[108:109], v[123:124], v[115:116], v[108:109]
	s_waitcnt vmcnt(0)
	v_add_f64 v[108:109], v[129:130], -v[108:109]
	buffer_store_dword v109, off, s[0:3], 0 offset:164
	buffer_store_dword v108, off, s[0:3], 0 offset:160
	s_and_saveexec_b64 s[4:5], vcc
	s_cbranch_execz .LBB116_287
; %bb.286:
	buffer_load_dword v108, off, s[0:3], 0 offset:152
	buffer_load_dword v109, off, s[0:3], 0 offset:156
	v_mov_b32_e32 v110, 0
	buffer_store_dword v110, off, s[0:3], 0 offset:152
	buffer_store_dword v110, off, s[0:3], 0 offset:156
	s_waitcnt vmcnt(2)
	ds_write_b64 v107, v[108:109]
.LBB116_287:
	s_or_b64 exec, exec, s[4:5]
	s_waitcnt lgkmcnt(0)
	; wave barrier
	buffer_load_dword v117, off, s[0:3], 0 offset:160
	buffer_load_dword v118, off, s[0:3], 0 offset:164
	;; [unrolled: 1-line block ×21, first 2 shown]
	v_mov_b32_e32 v108, 0
	ds_read_b128 v[109:112], v108 offset:592
	ds_read_b128 v[113:116], v108 offset:608
	buffer_load_dword v134, off, s[0:3], 0 offset:244
	v_cmp_lt_u32_e32 vcc, 18, v0
	s_waitcnt vmcnt(20) lgkmcnt(1)
	v_fma_f64 v[109:110], v[117:118], v[109:110], 0
	s_waitcnt vmcnt(18)
	v_fma_f64 v[109:110], v[119:120], v[111:112], v[109:110]
	buffer_load_dword v118, off, s[0:3], 0 offset:252
	buffer_load_dword v119, off, s[0:3], 0 offset:272
	;; [unrolled: 1-line block ×7, first 2 shown]
	s_waitcnt vmcnt(23) lgkmcnt(0)
	v_fma_f64 v[109:110], v[121:122], v[113:114], v[109:110]
	s_waitcnt vmcnt(21)
	v_fma_f64 v[120:121], v[123:124], v[115:116], v[109:110]
	ds_read_b128 v[109:112], v108 offset:624
	ds_read_b128 v[113:116], v108 offset:640
	s_waitcnt vmcnt(19) lgkmcnt(1)
	v_fma_f64 v[109:110], v[125:126], v[109:110], v[120:121]
	buffer_load_dword v120, off, s[0:3], 0 offset:276
	s_waitcnt vmcnt(18)
	v_fma_f64 v[109:110], v[127:128], v[111:112], v[109:110]
	buffer_load_dword v122, off, s[0:3], 0 offset:284
	buffer_load_dword v123, off, s[0:3], 0 offset:304
	;; [unrolled: 1-line block ×7, first 2 shown]
	s_waitcnt vmcnt(23) lgkmcnt(0)
	v_fma_f64 v[109:110], v[129:130], v[113:114], v[109:110]
	s_waitcnt vmcnt(18)
	v_fma_f64 v[129:130], v[131:132], v[115:116], v[109:110]
	ds_read_b128 v[109:112], v108 offset:656
	ds_read_b128 v[113:116], v108 offset:672
	buffer_load_dword v124, off, s[0:3], 0 offset:308
	s_waitcnt vmcnt(18) lgkmcnt(1)
	v_fma_f64 v[109:110], v[137:138], v[109:110], v[129:130]
	s_waitcnt vmcnt(17)
	v_fma_f64 v[109:110], v[135:136], v[111:112], v[109:110]
	buffer_load_dword v130, off, s[0:3], 0 offset:316
	buffer_load_dword v131, off, s[0:3], 0 offset:336
	;; [unrolled: 1-line block ×7, first 2 shown]
	s_waitcnt vmcnt(23) lgkmcnt(0)
	v_fma_f64 v[109:110], v[133:134], v[113:114], v[109:110]
	s_waitcnt vmcnt(18)
	v_fma_f64 v[117:118], v[117:118], v[115:116], v[109:110]
	ds_read_b128 v[109:112], v108 offset:688
	ds_read_b128 v[113:116], v108 offset:704
	buffer_load_dword v132, off, s[0:3], 0 offset:340
	s_waitcnt vmcnt(18) lgkmcnt(1)
	v_fma_f64 v[109:110], v[141:142], v[109:110], v[117:118]
	s_waitcnt vmcnt(17)
	v_fma_f64 v[109:110], v[139:140], v[111:112], v[109:110]
	buffer_load_dword v118, off, s[0:3], 0 offset:348
	buffer_load_dword v133, off, s[0:3], 0 offset:368
	;; [unrolled: 1-line block ×8, first 2 shown]
	s_waitcnt vmcnt(24) lgkmcnt(0)
	v_fma_f64 v[109:110], v[119:120], v[113:114], v[109:110]
	s_waitcnt vmcnt(19)
	v_fma_f64 v[119:120], v[121:122], v[115:116], v[109:110]
	ds_read_b128 v[109:112], v108 offset:720
	ds_read_b128 v[113:116], v108 offset:736
	s_waitcnt vmcnt(18) lgkmcnt(1)
	v_fma_f64 v[109:110], v[127:128], v[109:110], v[119:120]
	s_waitcnt vmcnt(17)
	v_fma_f64 v[109:110], v[125:126], v[111:112], v[109:110]
	buffer_load_dword v120, off, s[0:3], 0 offset:380
	buffer_load_dword v121, off, s[0:3], 0 offset:400
	;; [unrolled: 1-line block ×7, first 2 shown]
	s_waitcnt vmcnt(23) lgkmcnt(0)
	v_fma_f64 v[109:110], v[123:124], v[113:114], v[109:110]
	s_waitcnt vmcnt(18)
	v_fma_f64 v[122:123], v[129:130], v[115:116], v[109:110]
	ds_read_b128 v[109:112], v108 offset:752
	ds_read_b128 v[113:116], v108 offset:768
	s_waitcnt vmcnt(17) lgkmcnt(1)
	v_fma_f64 v[109:110], v[137:138], v[109:110], v[122:123]
	buffer_load_dword v122, off, s[0:3], 0 offset:404
	buffer_load_dword v124, off, s[0:3], 0 offset:412
	;; [unrolled: 1-line block ×5, first 2 shown]
	s_waitcnt vmcnt(21)
	v_fma_f64 v[109:110], v[135:136], v[111:112], v[109:110]
	s_waitcnt vmcnt(20) lgkmcnt(0)
	v_fma_f64 v[109:110], v[131:132], v[113:114], v[109:110]
	buffer_load_dword v131, off, s[0:3], 0 offset:152
	buffer_load_dword v132, off, s[0:3], 0 offset:156
	s_waitcnt vmcnt(17)
	v_fma_f64 v[117:118], v[117:118], v[115:116], v[109:110]
	ds_read_b128 v[109:112], v108 offset:784
	ds_read_b128 v[113:116], v108 offset:800
	s_waitcnt vmcnt(16) lgkmcnt(1)
	v_fma_f64 v[109:110], v[141:142], v[109:110], v[117:118]
	s_waitcnt vmcnt(15)
	v_fma_f64 v[109:110], v[139:140], v[111:112], v[109:110]
	s_waitcnt vmcnt(14) lgkmcnt(0)
	v_fma_f64 v[109:110], v[133:134], v[113:114], v[109:110]
	s_waitcnt vmcnt(9)
	v_fma_f64 v[117:118], v[119:120], v[115:116], v[109:110]
	ds_read_b128 v[109:112], v108 offset:816
	ds_read_b128 v[113:116], v108 offset:832
	s_waitcnt vmcnt(8) lgkmcnt(1)
	v_fma_f64 v[109:110], v[127:128], v[109:110], v[117:118]
	s_waitcnt vmcnt(7)
	v_fma_f64 v[109:110], v[125:126], v[111:112], v[109:110]
	ds_read_b64 v[111:112], v108 offset:848
	s_waitcnt vmcnt(6) lgkmcnt(1)
	v_fma_f64 v[109:110], v[121:122], v[113:114], v[109:110]
	s_waitcnt vmcnt(3)
	v_fma_f64 v[109:110], v[123:124], v[115:116], v[109:110]
	s_waitcnt vmcnt(2) lgkmcnt(0)
	v_fma_f64 v[109:110], v[129:130], v[111:112], v[109:110]
	s_waitcnt vmcnt(0)
	v_add_f64 v[109:110], v[131:132], -v[109:110]
	buffer_store_dword v110, off, s[0:3], 0 offset:156
	buffer_store_dword v109, off, s[0:3], 0 offset:152
	s_and_saveexec_b64 s[4:5], vcc
	s_cbranch_execz .LBB116_289
; %bb.288:
	buffer_load_dword v109, off, s[0:3], 0 offset:144
	buffer_load_dword v110, off, s[0:3], 0 offset:148
	s_waitcnt vmcnt(0)
	ds_write_b64 v107, v[109:110]
	buffer_store_dword v108, off, s[0:3], 0 offset:144
	buffer_store_dword v108, off, s[0:3], 0 offset:148
.LBB116_289:
	s_or_b64 exec, exec, s[4:5]
	s_waitcnt lgkmcnt(0)
	; wave barrier
	buffer_load_dword v117, off, s[0:3], 0 offset:152
	buffer_load_dword v118, off, s[0:3], 0 offset:156
	;; [unrolled: 1-line block ×21, first 2 shown]
	ds_read2_b64 v[109:112], v108 offset0:73 offset1:74
	ds_read2_b64 v[113:116], v108 offset0:75 offset1:76
	buffer_load_dword v134, off, s[0:3], 0 offset:236
	v_cmp_lt_u32_e32 vcc, 17, v0
	s_waitcnt vmcnt(20) lgkmcnt(1)
	v_fma_f64 v[109:110], v[117:118], v[109:110], 0
	s_waitcnt vmcnt(18)
	v_fma_f64 v[109:110], v[119:120], v[111:112], v[109:110]
	buffer_load_dword v118, off, s[0:3], 0 offset:244
	buffer_load_dword v119, off, s[0:3], 0 offset:264
	;; [unrolled: 1-line block ×7, first 2 shown]
	s_waitcnt vmcnt(23) lgkmcnt(0)
	v_fma_f64 v[109:110], v[121:122], v[113:114], v[109:110]
	s_waitcnt vmcnt(21)
	v_fma_f64 v[120:121], v[123:124], v[115:116], v[109:110]
	ds_read2_b64 v[109:112], v108 offset0:77 offset1:78
	ds_read2_b64 v[113:116], v108 offset0:79 offset1:80
	s_waitcnt vmcnt(19) lgkmcnt(1)
	v_fma_f64 v[109:110], v[125:126], v[109:110], v[120:121]
	buffer_load_dword v120, off, s[0:3], 0 offset:268
	s_waitcnt vmcnt(18)
	v_fma_f64 v[109:110], v[127:128], v[111:112], v[109:110]
	buffer_load_dword v122, off, s[0:3], 0 offset:276
	buffer_load_dword v123, off, s[0:3], 0 offset:296
	;; [unrolled: 1-line block ×8, first 2 shown]
	s_waitcnt vmcnt(24) lgkmcnt(0)
	v_fma_f64 v[109:110], v[129:130], v[113:114], v[109:110]
	s_waitcnt vmcnt(19)
	v_fma_f64 v[129:130], v[131:132], v[115:116], v[109:110]
	ds_read2_b64 v[109:112], v108 offset0:81 offset1:82
	ds_read2_b64 v[113:116], v108 offset0:83 offset1:84
	s_waitcnt vmcnt(18) lgkmcnt(1)
	v_fma_f64 v[109:110], v[137:138], v[109:110], v[129:130]
	s_waitcnt vmcnt(17)
	v_fma_f64 v[109:110], v[135:136], v[111:112], v[109:110]
	buffer_load_dword v130, off, s[0:3], 0 offset:308
	buffer_load_dword v131, off, s[0:3], 0 offset:328
	;; [unrolled: 1-line block ×7, first 2 shown]
	s_waitcnt vmcnt(23) lgkmcnt(0)
	v_fma_f64 v[109:110], v[133:134], v[113:114], v[109:110]
	s_waitcnt vmcnt(18)
	v_fma_f64 v[117:118], v[117:118], v[115:116], v[109:110]
	ds_read2_b64 v[109:112], v108 offset0:85 offset1:86
	ds_read2_b64 v[113:116], v108 offset0:87 offset1:88
	buffer_load_dword v132, off, s[0:3], 0 offset:332
	s_waitcnt vmcnt(18) lgkmcnt(1)
	v_fma_f64 v[109:110], v[141:142], v[109:110], v[117:118]
	s_waitcnt vmcnt(17)
	v_fma_f64 v[109:110], v[139:140], v[111:112], v[109:110]
	buffer_load_dword v118, off, s[0:3], 0 offset:340
	buffer_load_dword v133, off, s[0:3], 0 offset:360
	;; [unrolled: 1-line block ×8, first 2 shown]
	s_waitcnt vmcnt(24) lgkmcnt(0)
	v_fma_f64 v[109:110], v[119:120], v[113:114], v[109:110]
	s_waitcnt vmcnt(19)
	v_fma_f64 v[119:120], v[121:122], v[115:116], v[109:110]
	ds_read2_b64 v[109:112], v108 offset0:89 offset1:90
	ds_read2_b64 v[113:116], v108 offset0:91 offset1:92
	s_waitcnt vmcnt(18) lgkmcnt(1)
	v_fma_f64 v[109:110], v[127:128], v[109:110], v[119:120]
	s_waitcnt vmcnt(17)
	v_fma_f64 v[109:110], v[125:126], v[111:112], v[109:110]
	buffer_load_dword v120, off, s[0:3], 0 offset:372
	buffer_load_dword v121, off, s[0:3], 0 offset:392
	;; [unrolled: 1-line block ×7, first 2 shown]
	s_waitcnt vmcnt(23) lgkmcnt(0)
	v_fma_f64 v[109:110], v[123:124], v[113:114], v[109:110]
	s_waitcnt vmcnt(18)
	v_fma_f64 v[122:123], v[129:130], v[115:116], v[109:110]
	ds_read2_b64 v[109:112], v108 offset0:93 offset1:94
	ds_read2_b64 v[113:116], v108 offset0:95 offset1:96
	s_waitcnt vmcnt(17) lgkmcnt(1)
	v_fma_f64 v[109:110], v[137:138], v[109:110], v[122:123]
	buffer_load_dword v122, off, s[0:3], 0 offset:396
	s_waitcnt vmcnt(17)
	v_fma_f64 v[109:110], v[135:136], v[111:112], v[109:110]
	buffer_load_dword v124, off, s[0:3], 0 offset:404
	buffer_load_dword v129, off, s[0:3], 0 offset:416
	;; [unrolled: 1-line block ×6, first 2 shown]
	s_waitcnt vmcnt(22) lgkmcnt(0)
	v_fma_f64 v[109:110], v[131:132], v[113:114], v[109:110]
	s_waitcnt vmcnt(17)
	v_fma_f64 v[117:118], v[117:118], v[115:116], v[109:110]
	ds_read2_b64 v[109:112], v108 offset0:97 offset1:98
	buffer_load_dword v131, off, s[0:3], 0 offset:144
	buffer_load_dword v132, off, s[0:3], 0 offset:148
	ds_read2_b64 v[113:116], v108 offset0:99 offset1:100
	s_waitcnt vmcnt(18) lgkmcnt(1)
	v_fma_f64 v[109:110], v[141:142], v[109:110], v[117:118]
	s_waitcnt vmcnt(17)
	v_fma_f64 v[109:110], v[139:140], v[111:112], v[109:110]
	s_waitcnt vmcnt(16) lgkmcnt(0)
	v_fma_f64 v[109:110], v[133:134], v[113:114], v[109:110]
	s_waitcnt vmcnt(11)
	v_fma_f64 v[117:118], v[119:120], v[115:116], v[109:110]
	ds_read2_b64 v[109:112], v108 offset0:101 offset1:102
	ds_read2_b64 v[113:116], v108 offset0:103 offset1:104
	s_waitcnt vmcnt(10) lgkmcnt(1)
	v_fma_f64 v[109:110], v[127:128], v[109:110], v[117:118]
	s_waitcnt vmcnt(9)
	v_fma_f64 v[109:110], v[125:126], v[111:112], v[109:110]
	s_waitcnt vmcnt(8) lgkmcnt(0)
	v_fma_f64 v[109:110], v[121:122], v[113:114], v[109:110]
	s_waitcnt vmcnt(4)
	v_fma_f64 v[112:113], v[123:124], v[115:116], v[109:110]
	ds_read2_b64 v[108:111], v108 offset0:105 offset1:106
	s_waitcnt vmcnt(3) lgkmcnt(0)
	v_fma_f64 v[108:109], v[135:136], v[108:109], v[112:113]
	s_waitcnt vmcnt(2)
	v_fma_f64 v[108:109], v[129:130], v[110:111], v[108:109]
	s_waitcnt vmcnt(0)
	v_add_f64 v[108:109], v[131:132], -v[108:109]
	buffer_store_dword v109, off, s[0:3], 0 offset:148
	buffer_store_dword v108, off, s[0:3], 0 offset:144
	s_and_saveexec_b64 s[4:5], vcc
	s_cbranch_execz .LBB116_291
; %bb.290:
	buffer_load_dword v108, off, s[0:3], 0 offset:136
	buffer_load_dword v109, off, s[0:3], 0 offset:140
	v_mov_b32_e32 v110, 0
	buffer_store_dword v110, off, s[0:3], 0 offset:136
	buffer_store_dword v110, off, s[0:3], 0 offset:140
	s_waitcnt vmcnt(2)
	ds_write_b64 v107, v[108:109]
.LBB116_291:
	s_or_b64 exec, exec, s[4:5]
	s_waitcnt lgkmcnt(0)
	; wave barrier
	buffer_load_dword v117, off, s[0:3], 0 offset:144
	buffer_load_dword v118, off, s[0:3], 0 offset:148
	;; [unrolled: 1-line block ×21, first 2 shown]
	v_mov_b32_e32 v108, 0
	ds_read_b128 v[109:112], v108 offset:576
	ds_read_b128 v[113:116], v108 offset:592
	buffer_load_dword v134, off, s[0:3], 0 offset:228
	v_cmp_lt_u32_e32 vcc, 16, v0
	s_waitcnt vmcnt(20) lgkmcnt(1)
	v_fma_f64 v[109:110], v[117:118], v[109:110], 0
	s_waitcnt vmcnt(18)
	v_fma_f64 v[109:110], v[119:120], v[111:112], v[109:110]
	buffer_load_dword v118, off, s[0:3], 0 offset:236
	buffer_load_dword v119, off, s[0:3], 0 offset:256
	;; [unrolled: 1-line block ×7, first 2 shown]
	s_waitcnt vmcnt(23) lgkmcnt(0)
	v_fma_f64 v[109:110], v[121:122], v[113:114], v[109:110]
	s_waitcnt vmcnt(21)
	v_fma_f64 v[120:121], v[123:124], v[115:116], v[109:110]
	ds_read_b128 v[109:112], v108 offset:608
	ds_read_b128 v[113:116], v108 offset:624
	s_waitcnt vmcnt(19) lgkmcnt(1)
	v_fma_f64 v[109:110], v[125:126], v[109:110], v[120:121]
	buffer_load_dword v120, off, s[0:3], 0 offset:260
	s_waitcnt vmcnt(18)
	v_fma_f64 v[109:110], v[127:128], v[111:112], v[109:110]
	buffer_load_dword v122, off, s[0:3], 0 offset:268
	buffer_load_dword v123, off, s[0:3], 0 offset:288
	;; [unrolled: 1-line block ×8, first 2 shown]
	s_waitcnt vmcnt(24) lgkmcnt(0)
	v_fma_f64 v[109:110], v[129:130], v[113:114], v[109:110]
	s_waitcnt vmcnt(19)
	v_fma_f64 v[129:130], v[131:132], v[115:116], v[109:110]
	ds_read_b128 v[109:112], v108 offset:640
	ds_read_b128 v[113:116], v108 offset:656
	s_waitcnt vmcnt(18) lgkmcnt(1)
	v_fma_f64 v[109:110], v[137:138], v[109:110], v[129:130]
	s_waitcnt vmcnt(17)
	v_fma_f64 v[109:110], v[135:136], v[111:112], v[109:110]
	buffer_load_dword v130, off, s[0:3], 0 offset:300
	buffer_load_dword v131, off, s[0:3], 0 offset:320
	;; [unrolled: 1-line block ×7, first 2 shown]
	s_waitcnt vmcnt(23) lgkmcnt(0)
	v_fma_f64 v[109:110], v[133:134], v[113:114], v[109:110]
	s_waitcnt vmcnt(18)
	v_fma_f64 v[117:118], v[117:118], v[115:116], v[109:110]
	ds_read_b128 v[109:112], v108 offset:672
	ds_read_b128 v[113:116], v108 offset:688
	buffer_load_dword v132, off, s[0:3], 0 offset:324
	s_waitcnt vmcnt(18) lgkmcnt(1)
	v_fma_f64 v[109:110], v[141:142], v[109:110], v[117:118]
	s_waitcnt vmcnt(17)
	v_fma_f64 v[109:110], v[139:140], v[111:112], v[109:110]
	buffer_load_dword v118, off, s[0:3], 0 offset:332
	buffer_load_dword v133, off, s[0:3], 0 offset:352
	;; [unrolled: 1-line block ×8, first 2 shown]
	s_waitcnt vmcnt(24) lgkmcnt(0)
	v_fma_f64 v[109:110], v[119:120], v[113:114], v[109:110]
	s_waitcnt vmcnt(19)
	v_fma_f64 v[119:120], v[121:122], v[115:116], v[109:110]
	ds_read_b128 v[109:112], v108 offset:704
	ds_read_b128 v[113:116], v108 offset:720
	s_waitcnt vmcnt(18) lgkmcnt(1)
	v_fma_f64 v[109:110], v[127:128], v[109:110], v[119:120]
	s_waitcnt vmcnt(17)
	v_fma_f64 v[109:110], v[125:126], v[111:112], v[109:110]
	buffer_load_dword v120, off, s[0:3], 0 offset:364
	buffer_load_dword v121, off, s[0:3], 0 offset:384
	;; [unrolled: 1-line block ×7, first 2 shown]
	s_waitcnt vmcnt(23) lgkmcnt(0)
	v_fma_f64 v[109:110], v[123:124], v[113:114], v[109:110]
	s_waitcnt vmcnt(18)
	v_fma_f64 v[122:123], v[129:130], v[115:116], v[109:110]
	ds_read_b128 v[109:112], v108 offset:736
	ds_read_b128 v[113:116], v108 offset:752
	s_waitcnt vmcnt(17) lgkmcnt(1)
	v_fma_f64 v[109:110], v[137:138], v[109:110], v[122:123]
	buffer_load_dword v122, off, s[0:3], 0 offset:388
	s_waitcnt vmcnt(17)
	v_fma_f64 v[109:110], v[135:136], v[111:112], v[109:110]
	buffer_load_dword v124, off, s[0:3], 0 offset:396
	buffer_load_dword v129, off, s[0:3], 0 offset:416
	;; [unrolled: 1-line block ×8, first 2 shown]
	s_waitcnt vmcnt(24) lgkmcnt(0)
	v_fma_f64 v[109:110], v[131:132], v[113:114], v[109:110]
	s_waitcnt vmcnt(19)
	v_fma_f64 v[117:118], v[117:118], v[115:116], v[109:110]
	ds_read_b128 v[109:112], v108 offset:768
	ds_read_b128 v[113:116], v108 offset:784
	s_waitcnt vmcnt(18) lgkmcnt(1)
	v_fma_f64 v[109:110], v[141:142], v[109:110], v[117:118]
	buffer_load_dword v117, off, s[0:3], 0 offset:136
	buffer_load_dword v118, off, s[0:3], 0 offset:140
	s_waitcnt vmcnt(19)
	v_fma_f64 v[109:110], v[139:140], v[111:112], v[109:110]
	s_waitcnt vmcnt(18) lgkmcnt(0)
	v_fma_f64 v[109:110], v[133:134], v[113:114], v[109:110]
	s_waitcnt vmcnt(13)
	v_fma_f64 v[119:120], v[119:120], v[115:116], v[109:110]
	ds_read_b128 v[109:112], v108 offset:800
	ds_read_b128 v[113:116], v108 offset:816
	s_waitcnt vmcnt(12) lgkmcnt(1)
	v_fma_f64 v[109:110], v[127:128], v[109:110], v[119:120]
	s_waitcnt vmcnt(11)
	v_fma_f64 v[109:110], v[125:126], v[111:112], v[109:110]
	s_waitcnt vmcnt(10) lgkmcnt(0)
	v_fma_f64 v[109:110], v[121:122], v[113:114], v[109:110]
	s_waitcnt vmcnt(5)
	v_fma_f64 v[113:114], v[123:124], v[115:116], v[109:110]
	ds_read_b128 v[109:112], v108 offset:832
	ds_read_b64 v[115:116], v108 offset:848
	s_waitcnt vmcnt(4) lgkmcnt(1)
	v_fma_f64 v[109:110], v[137:138], v[109:110], v[113:114]
	s_waitcnt vmcnt(3)
	v_fma_f64 v[109:110], v[135:136], v[111:112], v[109:110]
	s_waitcnt vmcnt(2) lgkmcnt(0)
	v_fma_f64 v[109:110], v[129:130], v[115:116], v[109:110]
	s_waitcnt vmcnt(0)
	v_add_f64 v[109:110], v[117:118], -v[109:110]
	buffer_store_dword v110, off, s[0:3], 0 offset:140
	buffer_store_dword v109, off, s[0:3], 0 offset:136
	s_and_saveexec_b64 s[4:5], vcc
	s_cbranch_execz .LBB116_293
; %bb.292:
	buffer_load_dword v109, off, s[0:3], 0 offset:128
	buffer_load_dword v110, off, s[0:3], 0 offset:132
	s_waitcnt vmcnt(0)
	ds_write_b64 v107, v[109:110]
	buffer_store_dword v108, off, s[0:3], 0 offset:128
	buffer_store_dword v108, off, s[0:3], 0 offset:132
.LBB116_293:
	s_or_b64 exec, exec, s[4:5]
	s_waitcnt lgkmcnt(0)
	; wave barrier
	buffer_load_dword v117, off, s[0:3], 0 offset:136
	buffer_load_dword v118, off, s[0:3], 0 offset:140
	;; [unrolled: 1-line block ×21, first 2 shown]
	ds_read2_b64 v[109:112], v108 offset0:71 offset1:72
	ds_read2_b64 v[113:116], v108 offset0:73 offset1:74
	buffer_load_dword v134, off, s[0:3], 0 offset:220
	v_cmp_lt_u32_e32 vcc, 15, v0
	s_waitcnt vmcnt(20) lgkmcnt(1)
	v_fma_f64 v[109:110], v[117:118], v[109:110], 0
	s_waitcnt vmcnt(18)
	v_fma_f64 v[109:110], v[119:120], v[111:112], v[109:110]
	buffer_load_dword v118, off, s[0:3], 0 offset:228
	buffer_load_dword v119, off, s[0:3], 0 offset:248
	;; [unrolled: 1-line block ×7, first 2 shown]
	s_waitcnt vmcnt(23) lgkmcnt(0)
	v_fma_f64 v[109:110], v[121:122], v[113:114], v[109:110]
	s_waitcnt vmcnt(21)
	v_fma_f64 v[120:121], v[123:124], v[115:116], v[109:110]
	ds_read2_b64 v[109:112], v108 offset0:75 offset1:76
	ds_read2_b64 v[113:116], v108 offset0:77 offset1:78
	s_waitcnt vmcnt(19) lgkmcnt(1)
	v_fma_f64 v[109:110], v[125:126], v[109:110], v[120:121]
	buffer_load_dword v120, off, s[0:3], 0 offset:252
	s_waitcnt vmcnt(18)
	v_fma_f64 v[109:110], v[127:128], v[111:112], v[109:110]
	buffer_load_dword v122, off, s[0:3], 0 offset:260
	buffer_load_dword v123, off, s[0:3], 0 offset:280
	;; [unrolled: 1-line block ×8, first 2 shown]
	s_waitcnt vmcnt(24) lgkmcnt(0)
	v_fma_f64 v[109:110], v[129:130], v[113:114], v[109:110]
	s_waitcnt vmcnt(19)
	v_fma_f64 v[129:130], v[131:132], v[115:116], v[109:110]
	ds_read2_b64 v[109:112], v108 offset0:79 offset1:80
	ds_read2_b64 v[113:116], v108 offset0:81 offset1:82
	s_waitcnt vmcnt(18) lgkmcnt(1)
	v_fma_f64 v[109:110], v[137:138], v[109:110], v[129:130]
	s_waitcnt vmcnt(17)
	v_fma_f64 v[109:110], v[135:136], v[111:112], v[109:110]
	buffer_load_dword v130, off, s[0:3], 0 offset:292
	buffer_load_dword v131, off, s[0:3], 0 offset:312
	;; [unrolled: 1-line block ×7, first 2 shown]
	s_waitcnt vmcnt(23) lgkmcnt(0)
	v_fma_f64 v[109:110], v[133:134], v[113:114], v[109:110]
	s_waitcnt vmcnt(18)
	v_fma_f64 v[117:118], v[117:118], v[115:116], v[109:110]
	ds_read2_b64 v[109:112], v108 offset0:83 offset1:84
	ds_read2_b64 v[113:116], v108 offset0:85 offset1:86
	buffer_load_dword v132, off, s[0:3], 0 offset:316
	s_waitcnt vmcnt(18) lgkmcnt(1)
	v_fma_f64 v[109:110], v[141:142], v[109:110], v[117:118]
	s_waitcnt vmcnt(17)
	v_fma_f64 v[109:110], v[139:140], v[111:112], v[109:110]
	buffer_load_dword v118, off, s[0:3], 0 offset:324
	buffer_load_dword v133, off, s[0:3], 0 offset:344
	;; [unrolled: 1-line block ×8, first 2 shown]
	s_waitcnt vmcnt(24) lgkmcnt(0)
	v_fma_f64 v[109:110], v[119:120], v[113:114], v[109:110]
	s_waitcnt vmcnt(19)
	v_fma_f64 v[119:120], v[121:122], v[115:116], v[109:110]
	ds_read2_b64 v[109:112], v108 offset0:87 offset1:88
	ds_read2_b64 v[113:116], v108 offset0:89 offset1:90
	s_waitcnt vmcnt(18) lgkmcnt(1)
	v_fma_f64 v[109:110], v[127:128], v[109:110], v[119:120]
	s_waitcnt vmcnt(17)
	v_fma_f64 v[109:110], v[125:126], v[111:112], v[109:110]
	buffer_load_dword v120, off, s[0:3], 0 offset:356
	buffer_load_dword v121, off, s[0:3], 0 offset:376
	;; [unrolled: 1-line block ×7, first 2 shown]
	s_waitcnt vmcnt(23) lgkmcnt(0)
	v_fma_f64 v[109:110], v[123:124], v[113:114], v[109:110]
	s_waitcnt vmcnt(18)
	v_fma_f64 v[122:123], v[129:130], v[115:116], v[109:110]
	ds_read2_b64 v[109:112], v108 offset0:91 offset1:92
	ds_read2_b64 v[113:116], v108 offset0:93 offset1:94
	s_waitcnt vmcnt(17) lgkmcnt(1)
	v_fma_f64 v[109:110], v[137:138], v[109:110], v[122:123]
	buffer_load_dword v122, off, s[0:3], 0 offset:380
	s_waitcnt vmcnt(17)
	v_fma_f64 v[109:110], v[135:136], v[111:112], v[109:110]
	buffer_load_dword v124, off, s[0:3], 0 offset:388
	buffer_load_dword v129, off, s[0:3], 0 offset:408
	;; [unrolled: 1-line block ×8, first 2 shown]
	s_waitcnt vmcnt(24) lgkmcnt(0)
	v_fma_f64 v[109:110], v[131:132], v[113:114], v[109:110]
	s_waitcnt vmcnt(19)
	v_fma_f64 v[117:118], v[117:118], v[115:116], v[109:110]
	ds_read2_b64 v[109:112], v108 offset0:95 offset1:96
	ds_read2_b64 v[113:116], v108 offset0:97 offset1:98
	s_waitcnt vmcnt(18) lgkmcnt(1)
	v_fma_f64 v[109:110], v[141:142], v[109:110], v[117:118]
	buffer_load_dword v118, off, s[0:3], 0 offset:420
	buffer_load_dword v117, off, s[0:3], 0 offset:416
	buffer_load_dword v131, off, s[0:3], 0 offset:128
	buffer_load_dword v132, off, s[0:3], 0 offset:132
	s_waitcnt vmcnt(21)
	v_fma_f64 v[109:110], v[139:140], v[111:112], v[109:110]
	s_waitcnt vmcnt(20) lgkmcnt(0)
	v_fma_f64 v[109:110], v[133:134], v[113:114], v[109:110]
	s_waitcnt vmcnt(15)
	v_fma_f64 v[119:120], v[119:120], v[115:116], v[109:110]
	ds_read2_b64 v[109:112], v108 offset0:99 offset1:100
	ds_read2_b64 v[113:116], v108 offset0:101 offset1:102
	s_waitcnt vmcnt(14) lgkmcnt(1)
	v_fma_f64 v[109:110], v[127:128], v[109:110], v[119:120]
	s_waitcnt vmcnt(13)
	v_fma_f64 v[109:110], v[125:126], v[111:112], v[109:110]
	s_waitcnt vmcnt(12) lgkmcnt(0)
	v_fma_f64 v[109:110], v[121:122], v[113:114], v[109:110]
	s_waitcnt vmcnt(7)
	v_fma_f64 v[119:120], v[123:124], v[115:116], v[109:110]
	ds_read2_b64 v[109:112], v108 offset0:103 offset1:104
	ds_read2_b64 v[113:116], v108 offset0:105 offset1:106
	s_waitcnt vmcnt(6) lgkmcnt(1)
	v_fma_f64 v[108:109], v[137:138], v[109:110], v[119:120]
	s_waitcnt vmcnt(5)
	v_fma_f64 v[108:109], v[135:136], v[111:112], v[108:109]
	s_waitcnt vmcnt(4) lgkmcnt(0)
	v_fma_f64 v[108:109], v[129:130], v[113:114], v[108:109]
	s_waitcnt vmcnt(2)
	v_fma_f64 v[108:109], v[117:118], v[115:116], v[108:109]
	s_waitcnt vmcnt(0)
	v_add_f64 v[108:109], v[131:132], -v[108:109]
	buffer_store_dword v109, off, s[0:3], 0 offset:132
	buffer_store_dword v108, off, s[0:3], 0 offset:128
	s_and_saveexec_b64 s[4:5], vcc
	s_cbranch_execz .LBB116_295
; %bb.294:
	buffer_load_dword v108, off, s[0:3], 0 offset:120
	buffer_load_dword v109, off, s[0:3], 0 offset:124
	v_mov_b32_e32 v110, 0
	buffer_store_dword v110, off, s[0:3], 0 offset:120
	buffer_store_dword v110, off, s[0:3], 0 offset:124
	s_waitcnt vmcnt(2)
	ds_write_b64 v107, v[108:109]
.LBB116_295:
	s_or_b64 exec, exec, s[4:5]
	s_waitcnt lgkmcnt(0)
	; wave barrier
	buffer_load_dword v117, off, s[0:3], 0 offset:128
	buffer_load_dword v118, off, s[0:3], 0 offset:132
	;; [unrolled: 1-line block ×21, first 2 shown]
	v_mov_b32_e32 v108, 0
	ds_read_b128 v[109:112], v108 offset:560
	ds_read_b128 v[113:116], v108 offset:576
	buffer_load_dword v134, off, s[0:3], 0 offset:212
	v_cmp_lt_u32_e32 vcc, 14, v0
	s_waitcnt vmcnt(20) lgkmcnt(1)
	v_fma_f64 v[109:110], v[117:118], v[109:110], 0
	s_waitcnt vmcnt(18)
	v_fma_f64 v[109:110], v[119:120], v[111:112], v[109:110]
	buffer_load_dword v118, off, s[0:3], 0 offset:220
	buffer_load_dword v119, off, s[0:3], 0 offset:240
	;; [unrolled: 1-line block ×7, first 2 shown]
	s_waitcnt vmcnt(23) lgkmcnt(0)
	v_fma_f64 v[109:110], v[121:122], v[113:114], v[109:110]
	s_waitcnt vmcnt(21)
	v_fma_f64 v[120:121], v[123:124], v[115:116], v[109:110]
	ds_read_b128 v[109:112], v108 offset:592
	ds_read_b128 v[113:116], v108 offset:608
	s_waitcnt vmcnt(19) lgkmcnt(1)
	v_fma_f64 v[109:110], v[125:126], v[109:110], v[120:121]
	buffer_load_dword v120, off, s[0:3], 0 offset:244
	s_waitcnt vmcnt(18)
	v_fma_f64 v[109:110], v[127:128], v[111:112], v[109:110]
	buffer_load_dword v122, off, s[0:3], 0 offset:252
	buffer_load_dword v123, off, s[0:3], 0 offset:272
	;; [unrolled: 1-line block ×8, first 2 shown]
	s_waitcnt vmcnt(24) lgkmcnt(0)
	v_fma_f64 v[109:110], v[129:130], v[113:114], v[109:110]
	s_waitcnt vmcnt(19)
	v_fma_f64 v[129:130], v[131:132], v[115:116], v[109:110]
	ds_read_b128 v[109:112], v108 offset:624
	ds_read_b128 v[113:116], v108 offset:640
	s_waitcnt vmcnt(18) lgkmcnt(1)
	v_fma_f64 v[109:110], v[137:138], v[109:110], v[129:130]
	s_waitcnt vmcnt(17)
	v_fma_f64 v[109:110], v[135:136], v[111:112], v[109:110]
	buffer_load_dword v130, off, s[0:3], 0 offset:284
	buffer_load_dword v131, off, s[0:3], 0 offset:304
	;; [unrolled: 1-line block ×7, first 2 shown]
	s_waitcnt vmcnt(23) lgkmcnt(0)
	v_fma_f64 v[109:110], v[133:134], v[113:114], v[109:110]
	s_waitcnt vmcnt(18)
	v_fma_f64 v[117:118], v[117:118], v[115:116], v[109:110]
	ds_read_b128 v[109:112], v108 offset:656
	ds_read_b128 v[113:116], v108 offset:672
	buffer_load_dword v132, off, s[0:3], 0 offset:308
	s_waitcnt vmcnt(18) lgkmcnt(1)
	v_fma_f64 v[109:110], v[141:142], v[109:110], v[117:118]
	s_waitcnt vmcnt(17)
	v_fma_f64 v[109:110], v[139:140], v[111:112], v[109:110]
	buffer_load_dword v118, off, s[0:3], 0 offset:316
	buffer_load_dword v133, off, s[0:3], 0 offset:336
	buffer_load_dword v139, off, s[0:3], 0 offset:328
	buffer_load_dword v141, off, s[0:3], 0 offset:320
	buffer_load_dword v117, off, s[0:3], 0 offset:312
	buffer_load_dword v142, off, s[0:3], 0 offset:324
	buffer_load_dword v140, off, s[0:3], 0 offset:332
	s_waitcnt vmcnt(23) lgkmcnt(0)
	v_fma_f64 v[109:110], v[119:120], v[113:114], v[109:110]
	s_waitcnt vmcnt(18)
	v_fma_f64 v[119:120], v[121:122], v[115:116], v[109:110]
	ds_read_b128 v[109:112], v108 offset:688
	ds_read_b128 v[113:116], v108 offset:704
	buffer_load_dword v134, off, s[0:3], 0 offset:340
	s_waitcnt vmcnt(18) lgkmcnt(1)
	v_fma_f64 v[109:110], v[127:128], v[109:110], v[119:120]
	s_waitcnt vmcnt(17)
	v_fma_f64 v[109:110], v[125:126], v[111:112], v[109:110]
	buffer_load_dword v120, off, s[0:3], 0 offset:348
	buffer_load_dword v121, off, s[0:3], 0 offset:368
	;; [unrolled: 1-line block ×7, first 2 shown]
	s_waitcnt vmcnt(23) lgkmcnt(0)
	v_fma_f64 v[109:110], v[123:124], v[113:114], v[109:110]
	s_waitcnt vmcnt(18)
	v_fma_f64 v[122:123], v[129:130], v[115:116], v[109:110]
	ds_read_b128 v[109:112], v108 offset:720
	ds_read_b128 v[113:116], v108 offset:736
	s_waitcnt vmcnt(17) lgkmcnt(1)
	v_fma_f64 v[109:110], v[137:138], v[109:110], v[122:123]
	buffer_load_dword v122, off, s[0:3], 0 offset:372
	s_waitcnt vmcnt(17)
	v_fma_f64 v[109:110], v[135:136], v[111:112], v[109:110]
	buffer_load_dword v124, off, s[0:3], 0 offset:380
	buffer_load_dword v129, off, s[0:3], 0 offset:400
	;; [unrolled: 1-line block ×7, first 2 shown]
	s_waitcnt vmcnt(23) lgkmcnt(0)
	v_fma_f64 v[109:110], v[131:132], v[113:114], v[109:110]
	s_waitcnt vmcnt(18)
	v_fma_f64 v[117:118], v[117:118], v[115:116], v[109:110]
	ds_read_b128 v[109:112], v108 offset:752
	ds_read_b128 v[113:116], v108 offset:768
	buffer_load_dword v130, off, s[0:3], 0 offset:404
	s_waitcnt vmcnt(18) lgkmcnt(1)
	v_fma_f64 v[109:110], v[141:142], v[109:110], v[117:118]
	buffer_load_dword v118, off, s[0:3], 0 offset:412
	buffer_load_dword v131, off, s[0:3], 0 offset:416
	;; [unrolled: 1-line block ×4, first 2 shown]
	s_waitcnt vmcnt(21)
	v_fma_f64 v[109:110], v[139:140], v[111:112], v[109:110]
	s_waitcnt vmcnt(20) lgkmcnt(0)
	v_fma_f64 v[109:110], v[133:134], v[113:114], v[109:110]
	buffer_load_dword v133, off, s[0:3], 0 offset:120
	buffer_load_dword v134, off, s[0:3], 0 offset:124
	s_waitcnt vmcnt(17)
	v_fma_f64 v[119:120], v[119:120], v[115:116], v[109:110]
	ds_read_b128 v[109:112], v108 offset:784
	ds_read_b128 v[113:116], v108 offset:800
	s_waitcnt vmcnt(16) lgkmcnt(1)
	v_fma_f64 v[109:110], v[127:128], v[109:110], v[119:120]
	s_waitcnt vmcnt(15)
	v_fma_f64 v[109:110], v[125:126], v[111:112], v[109:110]
	s_waitcnt vmcnt(14) lgkmcnt(0)
	v_fma_f64 v[109:110], v[121:122], v[113:114], v[109:110]
	s_waitcnt vmcnt(9)
	v_fma_f64 v[119:120], v[123:124], v[115:116], v[109:110]
	ds_read_b128 v[109:112], v108 offset:816
	ds_read_b128 v[113:116], v108 offset:832
	s_waitcnt vmcnt(8) lgkmcnt(1)
	v_fma_f64 v[109:110], v[137:138], v[109:110], v[119:120]
	s_waitcnt vmcnt(7)
	v_fma_f64 v[109:110], v[135:136], v[111:112], v[109:110]
	ds_read_b64 v[111:112], v108 offset:848
	s_waitcnt vmcnt(6) lgkmcnt(1)
	v_fma_f64 v[109:110], v[129:130], v[113:114], v[109:110]
	s_waitcnt vmcnt(3)
	v_fma_f64 v[109:110], v[117:118], v[115:116], v[109:110]
	s_waitcnt vmcnt(2) lgkmcnt(0)
	v_fma_f64 v[109:110], v[131:132], v[111:112], v[109:110]
	s_waitcnt vmcnt(0)
	v_add_f64 v[109:110], v[133:134], -v[109:110]
	buffer_store_dword v110, off, s[0:3], 0 offset:124
	buffer_store_dword v109, off, s[0:3], 0 offset:120
	s_and_saveexec_b64 s[4:5], vcc
	s_cbranch_execz .LBB116_297
; %bb.296:
	buffer_load_dword v109, off, s[0:3], 0 offset:112
	buffer_load_dword v110, off, s[0:3], 0 offset:116
	s_waitcnt vmcnt(0)
	ds_write_b64 v107, v[109:110]
	buffer_store_dword v108, off, s[0:3], 0 offset:112
	buffer_store_dword v108, off, s[0:3], 0 offset:116
.LBB116_297:
	s_or_b64 exec, exec, s[4:5]
	s_waitcnt lgkmcnt(0)
	; wave barrier
	buffer_load_dword v117, off, s[0:3], 0 offset:120
	buffer_load_dword v118, off, s[0:3], 0 offset:124
	;; [unrolled: 1-line block ×22, first 2 shown]
	ds_read2_b64 v[109:112], v108 offset0:69 offset1:70
	ds_read2_b64 v[113:116], v108 offset0:71 offset1:72
	v_cmp_lt_u32_e32 vcc, 13, v0
	s_waitcnt vmcnt(20) lgkmcnt(1)
	v_fma_f64 v[109:110], v[117:118], v[109:110], 0
	s_waitcnt vmcnt(18)
	v_fma_f64 v[109:110], v[119:120], v[111:112], v[109:110]
	buffer_load_dword v118, off, s[0:3], 0 offset:212
	buffer_load_dword v119, off, s[0:3], 0 offset:232
	;; [unrolled: 1-line block ×7, first 2 shown]
	s_waitcnt vmcnt(23) lgkmcnt(0)
	v_fma_f64 v[109:110], v[121:122], v[113:114], v[109:110]
	s_waitcnt vmcnt(21)
	v_fma_f64 v[120:121], v[123:124], v[115:116], v[109:110]
	ds_read2_b64 v[109:112], v108 offset0:73 offset1:74
	ds_read2_b64 v[113:116], v108 offset0:75 offset1:76
	s_waitcnt vmcnt(19) lgkmcnt(1)
	v_fma_f64 v[109:110], v[125:126], v[109:110], v[120:121]
	buffer_load_dword v120, off, s[0:3], 0 offset:236
	s_waitcnt vmcnt(18)
	v_fma_f64 v[109:110], v[127:128], v[111:112], v[109:110]
	buffer_load_dword v122, off, s[0:3], 0 offset:244
	buffer_load_dword v123, off, s[0:3], 0 offset:264
	;; [unrolled: 1-line block ×8, first 2 shown]
	s_waitcnt vmcnt(24) lgkmcnt(0)
	v_fma_f64 v[109:110], v[129:130], v[113:114], v[109:110]
	s_waitcnt vmcnt(19)
	v_fma_f64 v[129:130], v[131:132], v[115:116], v[109:110]
	ds_read2_b64 v[109:112], v108 offset0:77 offset1:78
	ds_read2_b64 v[113:116], v108 offset0:79 offset1:80
	s_waitcnt vmcnt(18) lgkmcnt(1)
	v_fma_f64 v[109:110], v[137:138], v[109:110], v[129:130]
	s_waitcnt vmcnt(17)
	v_fma_f64 v[109:110], v[135:136], v[111:112], v[109:110]
	buffer_load_dword v130, off, s[0:3], 0 offset:276
	buffer_load_dword v131, off, s[0:3], 0 offset:296
	;; [unrolled: 1-line block ×8, first 2 shown]
	s_waitcnt vmcnt(24) lgkmcnt(0)
	v_fma_f64 v[109:110], v[133:134], v[113:114], v[109:110]
	s_waitcnt vmcnt(19)
	v_fma_f64 v[117:118], v[117:118], v[115:116], v[109:110]
	ds_read2_b64 v[109:112], v108 offset0:81 offset1:82
	ds_read2_b64 v[113:116], v108 offset0:83 offset1:84
	s_waitcnt vmcnt(18) lgkmcnt(1)
	v_fma_f64 v[109:110], v[141:142], v[109:110], v[117:118]
	s_waitcnt vmcnt(17)
	v_fma_f64 v[109:110], v[139:140], v[111:112], v[109:110]
	buffer_load_dword v118, off, s[0:3], 0 offset:308
	buffer_load_dword v133, off, s[0:3], 0 offset:328
	buffer_load_dword v139, off, s[0:3], 0 offset:320
	buffer_load_dword v141, off, s[0:3], 0 offset:312
	buffer_load_dword v117, off, s[0:3], 0 offset:304
	buffer_load_dword v142, off, s[0:3], 0 offset:316
	buffer_load_dword v140, off, s[0:3], 0 offset:324
	s_waitcnt vmcnt(23) lgkmcnt(0)
	v_fma_f64 v[109:110], v[119:120], v[113:114], v[109:110]
	s_waitcnt vmcnt(18)
	v_fma_f64 v[119:120], v[121:122], v[115:116], v[109:110]
	ds_read2_b64 v[109:112], v108 offset0:85 offset1:86
	ds_read2_b64 v[113:116], v108 offset0:87 offset1:88
	buffer_load_dword v134, off, s[0:3], 0 offset:332
	s_waitcnt vmcnt(18) lgkmcnt(1)
	v_fma_f64 v[109:110], v[127:128], v[109:110], v[119:120]
	s_waitcnt vmcnt(17)
	v_fma_f64 v[109:110], v[125:126], v[111:112], v[109:110]
	buffer_load_dword v120, off, s[0:3], 0 offset:340
	buffer_load_dword v121, off, s[0:3], 0 offset:360
	;; [unrolled: 1-line block ×7, first 2 shown]
	s_waitcnt vmcnt(23) lgkmcnt(0)
	v_fma_f64 v[109:110], v[123:124], v[113:114], v[109:110]
	s_waitcnt vmcnt(18)
	v_fma_f64 v[122:123], v[129:130], v[115:116], v[109:110]
	ds_read2_b64 v[109:112], v108 offset0:89 offset1:90
	ds_read2_b64 v[113:116], v108 offset0:91 offset1:92
	s_waitcnt vmcnt(17) lgkmcnt(1)
	v_fma_f64 v[109:110], v[137:138], v[109:110], v[122:123]
	buffer_load_dword v122, off, s[0:3], 0 offset:364
	s_waitcnt vmcnt(17)
	v_fma_f64 v[109:110], v[135:136], v[111:112], v[109:110]
	buffer_load_dword v124, off, s[0:3], 0 offset:372
	buffer_load_dword v129, off, s[0:3], 0 offset:392
	;; [unrolled: 1-line block ×8, first 2 shown]
	s_waitcnt vmcnt(24) lgkmcnt(0)
	v_fma_f64 v[109:110], v[131:132], v[113:114], v[109:110]
	s_waitcnt vmcnt(19)
	v_fma_f64 v[117:118], v[117:118], v[115:116], v[109:110]
	ds_read2_b64 v[109:112], v108 offset0:93 offset1:94
	ds_read2_b64 v[113:116], v108 offset0:95 offset1:96
	s_waitcnt vmcnt(18) lgkmcnt(1)
	v_fma_f64 v[109:110], v[141:142], v[109:110], v[117:118]
	s_waitcnt vmcnt(17)
	v_fma_f64 v[109:110], v[139:140], v[111:112], v[109:110]
	buffer_load_dword v118, off, s[0:3], 0 offset:404
	buffer_load_dword v131, off, s[0:3], 0 offset:416
	;; [unrolled: 1-line block ×6, first 2 shown]
	s_waitcnt vmcnt(22) lgkmcnt(0)
	v_fma_f64 v[109:110], v[133:134], v[113:114], v[109:110]
	s_waitcnt vmcnt(17)
	v_fma_f64 v[119:120], v[119:120], v[115:116], v[109:110]
	ds_read2_b64 v[109:112], v108 offset0:97 offset1:98
	buffer_load_dword v133, off, s[0:3], 0 offset:112
	buffer_load_dword v134, off, s[0:3], 0 offset:116
	ds_read2_b64 v[113:116], v108 offset0:99 offset1:100
	s_waitcnt vmcnt(18) lgkmcnt(1)
	v_fma_f64 v[109:110], v[127:128], v[109:110], v[119:120]
	s_waitcnt vmcnt(17)
	v_fma_f64 v[109:110], v[125:126], v[111:112], v[109:110]
	s_waitcnt vmcnt(16) lgkmcnt(0)
	v_fma_f64 v[109:110], v[121:122], v[113:114], v[109:110]
	s_waitcnt vmcnt(11)
	v_fma_f64 v[119:120], v[123:124], v[115:116], v[109:110]
	ds_read2_b64 v[109:112], v108 offset0:101 offset1:102
	ds_read2_b64 v[113:116], v108 offset0:103 offset1:104
	s_waitcnt vmcnt(10) lgkmcnt(1)
	v_fma_f64 v[109:110], v[137:138], v[109:110], v[119:120]
	s_waitcnt vmcnt(9)
	v_fma_f64 v[109:110], v[135:136], v[111:112], v[109:110]
	s_waitcnt vmcnt(8) lgkmcnt(0)
	v_fma_f64 v[109:110], v[129:130], v[113:114], v[109:110]
	s_waitcnt vmcnt(4)
	v_fma_f64 v[112:113], v[117:118], v[115:116], v[109:110]
	ds_read2_b64 v[108:111], v108 offset0:105 offset1:106
	s_waitcnt vmcnt(3) lgkmcnt(0)
	v_fma_f64 v[108:109], v[139:140], v[108:109], v[112:113]
	s_waitcnt vmcnt(2)
	v_fma_f64 v[108:109], v[131:132], v[110:111], v[108:109]
	s_waitcnt vmcnt(0)
	v_add_f64 v[108:109], v[133:134], -v[108:109]
	buffer_store_dword v109, off, s[0:3], 0 offset:116
	buffer_store_dword v108, off, s[0:3], 0 offset:112
	s_and_saveexec_b64 s[4:5], vcc
	s_cbranch_execz .LBB116_299
; %bb.298:
	buffer_load_dword v108, off, s[0:3], 0 offset:104
	buffer_load_dword v109, off, s[0:3], 0 offset:108
	v_mov_b32_e32 v110, 0
	buffer_store_dword v110, off, s[0:3], 0 offset:104
	buffer_store_dword v110, off, s[0:3], 0 offset:108
	s_waitcnt vmcnt(2)
	ds_write_b64 v107, v[108:109]
.LBB116_299:
	s_or_b64 exec, exec, s[4:5]
	s_waitcnt lgkmcnt(0)
	; wave barrier
	buffer_load_dword v117, off, s[0:3], 0 offset:112
	buffer_load_dword v118, off, s[0:3], 0 offset:116
	buffer_load_dword v119, off, s[0:3], 0 offset:120
	buffer_load_dword v120, off, s[0:3], 0 offset:124
	buffer_load_dword v121, off, s[0:3], 0 offset:128
	buffer_load_dword v122, off, s[0:3], 0 offset:132
	buffer_load_dword v123, off, s[0:3], 0 offset:136
	buffer_load_dword v124, off, s[0:3], 0 offset:140
	buffer_load_dword v125, off, s[0:3], 0 offset:144
	buffer_load_dword v126, off, s[0:3], 0 offset:148
	buffer_load_dword v127, off, s[0:3], 0 offset:152
	buffer_load_dword v128, off, s[0:3], 0 offset:156
	buffer_load_dword v129, off, s[0:3], 0 offset:160
	buffer_load_dword v130, off, s[0:3], 0 offset:164
	buffer_load_dword v132, off, s[0:3], 0 offset:172
	buffer_load_dword v133, off, s[0:3], 0 offset:192
	buffer_load_dword v135, off, s[0:3], 0 offset:184
	buffer_load_dword v137, off, s[0:3], 0 offset:176
	buffer_load_dword v131, off, s[0:3], 0 offset:168
	buffer_load_dword v138, off, s[0:3], 0 offset:180
	buffer_load_dword v136, off, s[0:3], 0 offset:188
	buffer_load_dword v134, off, s[0:3], 0 offset:196
	v_mov_b32_e32 v108, 0
	ds_read_b128 v[109:112], v108 offset:544
	ds_read_b128 v[113:116], v108 offset:560
	v_cmp_lt_u32_e32 vcc, 12, v0
	s_waitcnt vmcnt(20) lgkmcnt(1)
	v_fma_f64 v[109:110], v[117:118], v[109:110], 0
	s_waitcnt vmcnt(18)
	v_fma_f64 v[109:110], v[119:120], v[111:112], v[109:110]
	buffer_load_dword v118, off, s[0:3], 0 offset:204
	buffer_load_dword v119, off, s[0:3], 0 offset:224
	;; [unrolled: 1-line block ×7, first 2 shown]
	s_waitcnt vmcnt(23) lgkmcnt(0)
	v_fma_f64 v[109:110], v[121:122], v[113:114], v[109:110]
	s_waitcnt vmcnt(21)
	v_fma_f64 v[120:121], v[123:124], v[115:116], v[109:110]
	ds_read_b128 v[109:112], v108 offset:576
	ds_read_b128 v[113:116], v108 offset:592
	s_waitcnt vmcnt(19) lgkmcnt(1)
	v_fma_f64 v[109:110], v[125:126], v[109:110], v[120:121]
	buffer_load_dword v120, off, s[0:3], 0 offset:228
	s_waitcnt vmcnt(18)
	v_fma_f64 v[109:110], v[127:128], v[111:112], v[109:110]
	buffer_load_dword v122, off, s[0:3], 0 offset:236
	buffer_load_dword v123, off, s[0:3], 0 offset:256
	;; [unrolled: 1-line block ×8, first 2 shown]
	s_waitcnt vmcnt(24) lgkmcnt(0)
	v_fma_f64 v[109:110], v[129:130], v[113:114], v[109:110]
	s_waitcnt vmcnt(19)
	v_fma_f64 v[129:130], v[131:132], v[115:116], v[109:110]
	ds_read_b128 v[109:112], v108 offset:608
	ds_read_b128 v[113:116], v108 offset:624
	s_waitcnt vmcnt(18) lgkmcnt(1)
	v_fma_f64 v[109:110], v[137:138], v[109:110], v[129:130]
	s_waitcnt vmcnt(17)
	v_fma_f64 v[109:110], v[135:136], v[111:112], v[109:110]
	buffer_load_dword v130, off, s[0:3], 0 offset:268
	buffer_load_dword v131, off, s[0:3], 0 offset:288
	;; [unrolled: 1-line block ×8, first 2 shown]
	s_waitcnt vmcnt(24) lgkmcnt(0)
	v_fma_f64 v[109:110], v[133:134], v[113:114], v[109:110]
	s_waitcnt vmcnt(19)
	v_fma_f64 v[117:118], v[117:118], v[115:116], v[109:110]
	ds_read_b128 v[109:112], v108 offset:640
	ds_read_b128 v[113:116], v108 offset:656
	s_waitcnt vmcnt(18) lgkmcnt(1)
	v_fma_f64 v[109:110], v[141:142], v[109:110], v[117:118]
	s_waitcnt vmcnt(17)
	v_fma_f64 v[109:110], v[139:140], v[111:112], v[109:110]
	buffer_load_dword v118, off, s[0:3], 0 offset:300
	buffer_load_dword v133, off, s[0:3], 0 offset:320
	;; [unrolled: 1-line block ×7, first 2 shown]
	s_waitcnt vmcnt(23) lgkmcnt(0)
	v_fma_f64 v[109:110], v[119:120], v[113:114], v[109:110]
	s_waitcnt vmcnt(18)
	v_fma_f64 v[119:120], v[121:122], v[115:116], v[109:110]
	ds_read_b128 v[109:112], v108 offset:672
	ds_read_b128 v[113:116], v108 offset:688
	buffer_load_dword v134, off, s[0:3], 0 offset:324
	s_waitcnt vmcnt(18) lgkmcnt(1)
	v_fma_f64 v[109:110], v[127:128], v[109:110], v[119:120]
	s_waitcnt vmcnt(17)
	v_fma_f64 v[109:110], v[125:126], v[111:112], v[109:110]
	buffer_load_dword v120, off, s[0:3], 0 offset:332
	buffer_load_dword v121, off, s[0:3], 0 offset:352
	;; [unrolled: 1-line block ×7, first 2 shown]
	s_waitcnt vmcnt(23) lgkmcnt(0)
	v_fma_f64 v[109:110], v[123:124], v[113:114], v[109:110]
	s_waitcnt vmcnt(18)
	v_fma_f64 v[122:123], v[129:130], v[115:116], v[109:110]
	ds_read_b128 v[109:112], v108 offset:704
	ds_read_b128 v[113:116], v108 offset:720
	s_waitcnt vmcnt(17) lgkmcnt(1)
	v_fma_f64 v[109:110], v[137:138], v[109:110], v[122:123]
	buffer_load_dword v122, off, s[0:3], 0 offset:356
	s_waitcnt vmcnt(17)
	v_fma_f64 v[109:110], v[135:136], v[111:112], v[109:110]
	buffer_load_dword v124, off, s[0:3], 0 offset:364
	buffer_load_dword v129, off, s[0:3], 0 offset:384
	;; [unrolled: 1-line block ×8, first 2 shown]
	s_waitcnt vmcnt(24) lgkmcnt(0)
	v_fma_f64 v[109:110], v[131:132], v[113:114], v[109:110]
	s_waitcnt vmcnt(19)
	v_fma_f64 v[117:118], v[117:118], v[115:116], v[109:110]
	ds_read_b128 v[109:112], v108 offset:736
	ds_read_b128 v[113:116], v108 offset:752
	s_waitcnt vmcnt(18) lgkmcnt(1)
	v_fma_f64 v[109:110], v[141:142], v[109:110], v[117:118]
	s_waitcnt vmcnt(17)
	v_fma_f64 v[109:110], v[139:140], v[111:112], v[109:110]
	buffer_load_dword v118, off, s[0:3], 0 offset:396
	buffer_load_dword v131, off, s[0:3], 0 offset:416
	;; [unrolled: 1-line block ×8, first 2 shown]
	s_waitcnt vmcnt(24) lgkmcnt(0)
	v_fma_f64 v[109:110], v[133:134], v[113:114], v[109:110]
	s_waitcnt vmcnt(19)
	v_fma_f64 v[119:120], v[119:120], v[115:116], v[109:110]
	ds_read_b128 v[109:112], v108 offset:768
	ds_read_b128 v[113:116], v108 offset:784
	s_waitcnt vmcnt(18) lgkmcnt(1)
	v_fma_f64 v[109:110], v[127:128], v[109:110], v[119:120]
	buffer_load_dword v119, off, s[0:3], 0 offset:104
	buffer_load_dword v120, off, s[0:3], 0 offset:108
	s_waitcnt vmcnt(19)
	v_fma_f64 v[109:110], v[125:126], v[111:112], v[109:110]
	s_waitcnt vmcnt(18) lgkmcnt(0)
	v_fma_f64 v[109:110], v[121:122], v[113:114], v[109:110]
	s_waitcnt vmcnt(13)
	v_fma_f64 v[121:122], v[123:124], v[115:116], v[109:110]
	ds_read_b128 v[109:112], v108 offset:800
	ds_read_b128 v[113:116], v108 offset:816
	s_waitcnt vmcnt(12) lgkmcnt(1)
	v_fma_f64 v[109:110], v[137:138], v[109:110], v[121:122]
	s_waitcnt vmcnt(11)
	v_fma_f64 v[109:110], v[135:136], v[111:112], v[109:110]
	s_waitcnt vmcnt(10) lgkmcnt(0)
	v_fma_f64 v[109:110], v[129:130], v[113:114], v[109:110]
	s_waitcnt vmcnt(5)
	v_fma_f64 v[113:114], v[117:118], v[115:116], v[109:110]
	ds_read_b128 v[109:112], v108 offset:832
	ds_read_b64 v[115:116], v108 offset:848
	s_waitcnt vmcnt(4) lgkmcnt(1)
	v_fma_f64 v[109:110], v[141:142], v[109:110], v[113:114]
	s_waitcnt vmcnt(3)
	v_fma_f64 v[109:110], v[139:140], v[111:112], v[109:110]
	s_waitcnt vmcnt(2) lgkmcnt(0)
	v_fma_f64 v[109:110], v[131:132], v[115:116], v[109:110]
	s_waitcnt vmcnt(0)
	v_add_f64 v[109:110], v[119:120], -v[109:110]
	buffer_store_dword v110, off, s[0:3], 0 offset:108
	buffer_store_dword v109, off, s[0:3], 0 offset:104
	s_and_saveexec_b64 s[4:5], vcc
	s_cbranch_execz .LBB116_301
; %bb.300:
	buffer_load_dword v109, off, s[0:3], 0 offset:96
	buffer_load_dword v110, off, s[0:3], 0 offset:100
	s_waitcnt vmcnt(0)
	ds_write_b64 v107, v[109:110]
	buffer_store_dword v108, off, s[0:3], 0 offset:96
	buffer_store_dword v108, off, s[0:3], 0 offset:100
.LBB116_301:
	s_or_b64 exec, exec, s[4:5]
	s_waitcnt lgkmcnt(0)
	; wave barrier
	buffer_load_dword v117, off, s[0:3], 0 offset:104
	buffer_load_dword v118, off, s[0:3], 0 offset:108
	buffer_load_dword v119, off, s[0:3], 0 offset:112
	buffer_load_dword v120, off, s[0:3], 0 offset:116
	buffer_load_dword v121, off, s[0:3], 0 offset:120
	buffer_load_dword v122, off, s[0:3], 0 offset:124
	buffer_load_dword v123, off, s[0:3], 0 offset:128
	buffer_load_dword v124, off, s[0:3], 0 offset:132
	buffer_load_dword v125, off, s[0:3], 0 offset:136
	buffer_load_dword v126, off, s[0:3], 0 offset:140
	buffer_load_dword v127, off, s[0:3], 0 offset:144
	buffer_load_dword v128, off, s[0:3], 0 offset:148
	buffer_load_dword v129, off, s[0:3], 0 offset:152
	buffer_load_dword v130, off, s[0:3], 0 offset:156
	buffer_load_dword v132, off, s[0:3], 0 offset:164
	buffer_load_dword v133, off, s[0:3], 0 offset:184
	buffer_load_dword v135, off, s[0:3], 0 offset:176
	buffer_load_dword v137, off, s[0:3], 0 offset:168
	buffer_load_dword v131, off, s[0:3], 0 offset:160
	buffer_load_dword v138, off, s[0:3], 0 offset:172
	buffer_load_dword v136, off, s[0:3], 0 offset:180
	buffer_load_dword v134, off, s[0:3], 0 offset:188
	ds_read2_b64 v[109:112], v108 offset0:67 offset1:68
	ds_read2_b64 v[113:116], v108 offset0:69 offset1:70
	v_cmp_lt_u32_e32 vcc, 11, v0
	s_waitcnt vmcnt(20) lgkmcnt(1)
	v_fma_f64 v[109:110], v[117:118], v[109:110], 0
	s_waitcnt vmcnt(18)
	v_fma_f64 v[109:110], v[119:120], v[111:112], v[109:110]
	buffer_load_dword v118, off, s[0:3], 0 offset:196
	buffer_load_dword v119, off, s[0:3], 0 offset:216
	;; [unrolled: 1-line block ×7, first 2 shown]
	s_waitcnt vmcnt(23) lgkmcnt(0)
	v_fma_f64 v[109:110], v[121:122], v[113:114], v[109:110]
	s_waitcnt vmcnt(21)
	v_fma_f64 v[120:121], v[123:124], v[115:116], v[109:110]
	ds_read2_b64 v[109:112], v108 offset0:71 offset1:72
	ds_read2_b64 v[113:116], v108 offset0:73 offset1:74
	s_waitcnt vmcnt(19) lgkmcnt(1)
	v_fma_f64 v[109:110], v[125:126], v[109:110], v[120:121]
	buffer_load_dword v120, off, s[0:3], 0 offset:220
	s_waitcnt vmcnt(18)
	v_fma_f64 v[109:110], v[127:128], v[111:112], v[109:110]
	buffer_load_dword v122, off, s[0:3], 0 offset:228
	buffer_load_dword v123, off, s[0:3], 0 offset:248
	;; [unrolled: 1-line block ×8, first 2 shown]
	s_waitcnt vmcnt(24) lgkmcnt(0)
	v_fma_f64 v[109:110], v[129:130], v[113:114], v[109:110]
	s_waitcnt vmcnt(19)
	v_fma_f64 v[129:130], v[131:132], v[115:116], v[109:110]
	ds_read2_b64 v[109:112], v108 offset0:75 offset1:76
	ds_read2_b64 v[113:116], v108 offset0:77 offset1:78
	s_waitcnt vmcnt(18) lgkmcnt(1)
	v_fma_f64 v[109:110], v[137:138], v[109:110], v[129:130]
	s_waitcnt vmcnt(17)
	v_fma_f64 v[109:110], v[135:136], v[111:112], v[109:110]
	buffer_load_dword v130, off, s[0:3], 0 offset:260
	buffer_load_dword v131, off, s[0:3], 0 offset:280
	;; [unrolled: 1-line block ×8, first 2 shown]
	s_waitcnt vmcnt(24) lgkmcnt(0)
	v_fma_f64 v[109:110], v[133:134], v[113:114], v[109:110]
	s_waitcnt vmcnt(19)
	v_fma_f64 v[117:118], v[117:118], v[115:116], v[109:110]
	ds_read2_b64 v[109:112], v108 offset0:79 offset1:80
	ds_read2_b64 v[113:116], v108 offset0:81 offset1:82
	s_waitcnt vmcnt(18) lgkmcnt(1)
	v_fma_f64 v[109:110], v[141:142], v[109:110], v[117:118]
	s_waitcnt vmcnt(17)
	v_fma_f64 v[109:110], v[139:140], v[111:112], v[109:110]
	buffer_load_dword v118, off, s[0:3], 0 offset:292
	buffer_load_dword v133, off, s[0:3], 0 offset:312
	;; [unrolled: 1-line block ×7, first 2 shown]
	s_waitcnt vmcnt(23) lgkmcnt(0)
	v_fma_f64 v[109:110], v[119:120], v[113:114], v[109:110]
	s_waitcnt vmcnt(18)
	v_fma_f64 v[119:120], v[121:122], v[115:116], v[109:110]
	ds_read2_b64 v[109:112], v108 offset0:83 offset1:84
	ds_read2_b64 v[113:116], v108 offset0:85 offset1:86
	buffer_load_dword v134, off, s[0:3], 0 offset:316
	s_waitcnt vmcnt(18) lgkmcnt(1)
	v_fma_f64 v[109:110], v[127:128], v[109:110], v[119:120]
	s_waitcnt vmcnt(17)
	v_fma_f64 v[109:110], v[125:126], v[111:112], v[109:110]
	buffer_load_dword v120, off, s[0:3], 0 offset:324
	buffer_load_dword v121, off, s[0:3], 0 offset:344
	;; [unrolled: 1-line block ×7, first 2 shown]
	s_waitcnt vmcnt(23) lgkmcnt(0)
	v_fma_f64 v[109:110], v[123:124], v[113:114], v[109:110]
	s_waitcnt vmcnt(18)
	v_fma_f64 v[122:123], v[129:130], v[115:116], v[109:110]
	ds_read2_b64 v[109:112], v108 offset0:87 offset1:88
	ds_read2_b64 v[113:116], v108 offset0:89 offset1:90
	s_waitcnt vmcnt(17) lgkmcnt(1)
	v_fma_f64 v[109:110], v[137:138], v[109:110], v[122:123]
	buffer_load_dword v122, off, s[0:3], 0 offset:348
	s_waitcnt vmcnt(17)
	v_fma_f64 v[109:110], v[135:136], v[111:112], v[109:110]
	buffer_load_dword v124, off, s[0:3], 0 offset:356
	buffer_load_dword v129, off, s[0:3], 0 offset:376
	;; [unrolled: 1-line block ×8, first 2 shown]
	s_waitcnt vmcnt(24) lgkmcnt(0)
	v_fma_f64 v[109:110], v[131:132], v[113:114], v[109:110]
	s_waitcnt vmcnt(19)
	v_fma_f64 v[117:118], v[117:118], v[115:116], v[109:110]
	ds_read2_b64 v[109:112], v108 offset0:91 offset1:92
	ds_read2_b64 v[113:116], v108 offset0:93 offset1:94
	s_waitcnt vmcnt(18) lgkmcnt(1)
	v_fma_f64 v[109:110], v[141:142], v[109:110], v[117:118]
	s_waitcnt vmcnt(17)
	v_fma_f64 v[109:110], v[139:140], v[111:112], v[109:110]
	buffer_load_dword v118, off, s[0:3], 0 offset:388
	buffer_load_dword v131, off, s[0:3], 0 offset:408
	;; [unrolled: 1-line block ×8, first 2 shown]
	s_waitcnt vmcnt(24) lgkmcnt(0)
	v_fma_f64 v[109:110], v[133:134], v[113:114], v[109:110]
	s_waitcnt vmcnt(19)
	v_fma_f64 v[119:120], v[119:120], v[115:116], v[109:110]
	ds_read2_b64 v[109:112], v108 offset0:95 offset1:96
	ds_read2_b64 v[113:116], v108 offset0:97 offset1:98
	s_waitcnt vmcnt(18) lgkmcnt(1)
	v_fma_f64 v[109:110], v[127:128], v[109:110], v[119:120]
	buffer_load_dword v120, off, s[0:3], 0 offset:420
	buffer_load_dword v119, off, s[0:3], 0 offset:416
	s_waitcnt vmcnt(19)
	v_fma_f64 v[109:110], v[125:126], v[111:112], v[109:110]
	buffer_load_dword v125, off, s[0:3], 0 offset:96
	buffer_load_dword v126, off, s[0:3], 0 offset:100
	s_waitcnt vmcnt(20) lgkmcnt(0)
	v_fma_f64 v[109:110], v[121:122], v[113:114], v[109:110]
	s_waitcnt vmcnt(15)
	v_fma_f64 v[121:122], v[123:124], v[115:116], v[109:110]
	ds_read2_b64 v[109:112], v108 offset0:99 offset1:100
	ds_read2_b64 v[113:116], v108 offset0:101 offset1:102
	s_waitcnt vmcnt(14) lgkmcnt(1)
	v_fma_f64 v[109:110], v[137:138], v[109:110], v[121:122]
	s_waitcnt vmcnt(13)
	v_fma_f64 v[109:110], v[135:136], v[111:112], v[109:110]
	s_waitcnt vmcnt(12) lgkmcnt(0)
	v_fma_f64 v[109:110], v[129:130], v[113:114], v[109:110]
	s_waitcnt vmcnt(7)
	v_fma_f64 v[117:118], v[117:118], v[115:116], v[109:110]
	ds_read2_b64 v[109:112], v108 offset0:103 offset1:104
	ds_read2_b64 v[113:116], v108 offset0:105 offset1:106
	s_waitcnt vmcnt(6) lgkmcnt(1)
	v_fma_f64 v[108:109], v[141:142], v[109:110], v[117:118]
	s_waitcnt vmcnt(5)
	v_fma_f64 v[108:109], v[139:140], v[111:112], v[108:109]
	s_waitcnt vmcnt(4) lgkmcnt(0)
	v_fma_f64 v[108:109], v[131:132], v[113:114], v[108:109]
	s_waitcnt vmcnt(2)
	v_fma_f64 v[108:109], v[119:120], v[115:116], v[108:109]
	s_waitcnt vmcnt(0)
	v_add_f64 v[108:109], v[125:126], -v[108:109]
	buffer_store_dword v109, off, s[0:3], 0 offset:100
	buffer_store_dword v108, off, s[0:3], 0 offset:96
	s_and_saveexec_b64 s[4:5], vcc
	s_cbranch_execz .LBB116_303
; %bb.302:
	buffer_load_dword v108, off, s[0:3], 0 offset:88
	buffer_load_dword v109, off, s[0:3], 0 offset:92
	v_mov_b32_e32 v110, 0
	buffer_store_dword v110, off, s[0:3], 0 offset:88
	buffer_store_dword v110, off, s[0:3], 0 offset:92
	s_waitcnt vmcnt(2)
	ds_write_b64 v107, v[108:109]
.LBB116_303:
	s_or_b64 exec, exec, s[4:5]
	s_waitcnt lgkmcnt(0)
	; wave barrier
	buffer_load_dword v117, off, s[0:3], 0 offset:96
	buffer_load_dword v118, off, s[0:3], 0 offset:100
	;; [unrolled: 1-line block ×22, first 2 shown]
	v_mov_b32_e32 v108, 0
	ds_read_b128 v[109:112], v108 offset:528
	ds_read_b128 v[113:116], v108 offset:544
	v_cmp_lt_u32_e32 vcc, 10, v0
	s_waitcnt vmcnt(20) lgkmcnt(1)
	v_fma_f64 v[109:110], v[117:118], v[109:110], 0
	s_waitcnt vmcnt(18)
	v_fma_f64 v[109:110], v[119:120], v[111:112], v[109:110]
	buffer_load_dword v118, off, s[0:3], 0 offset:188
	buffer_load_dword v119, off, s[0:3], 0 offset:208
	;; [unrolled: 1-line block ×7, first 2 shown]
	s_waitcnt vmcnt(23) lgkmcnt(0)
	v_fma_f64 v[109:110], v[121:122], v[113:114], v[109:110]
	s_waitcnt vmcnt(21)
	v_fma_f64 v[120:121], v[123:124], v[115:116], v[109:110]
	ds_read_b128 v[109:112], v108 offset:560
	ds_read_b128 v[113:116], v108 offset:576
	s_waitcnt vmcnt(19) lgkmcnt(1)
	v_fma_f64 v[109:110], v[125:126], v[109:110], v[120:121]
	buffer_load_dword v120, off, s[0:3], 0 offset:212
	s_waitcnt vmcnt(18)
	v_fma_f64 v[109:110], v[127:128], v[111:112], v[109:110]
	buffer_load_dword v122, off, s[0:3], 0 offset:220
	buffer_load_dword v123, off, s[0:3], 0 offset:240
	;; [unrolled: 1-line block ×7, first 2 shown]
	s_waitcnt vmcnt(23) lgkmcnt(0)
	v_fma_f64 v[109:110], v[129:130], v[113:114], v[109:110]
	s_waitcnt vmcnt(18)
	v_fma_f64 v[129:130], v[131:132], v[115:116], v[109:110]
	ds_read_b128 v[109:112], v108 offset:592
	ds_read_b128 v[113:116], v108 offset:608
	buffer_load_dword v124, off, s[0:3], 0 offset:244
	s_waitcnt vmcnt(18) lgkmcnt(1)
	v_fma_f64 v[109:110], v[137:138], v[109:110], v[129:130]
	s_waitcnt vmcnt(17)
	v_fma_f64 v[109:110], v[135:136], v[111:112], v[109:110]
	buffer_load_dword v130, off, s[0:3], 0 offset:252
	buffer_load_dword v131, off, s[0:3], 0 offset:272
	;; [unrolled: 1-line block ×8, first 2 shown]
	s_waitcnt vmcnt(24) lgkmcnt(0)
	v_fma_f64 v[109:110], v[133:134], v[113:114], v[109:110]
	s_waitcnt vmcnt(19)
	v_fma_f64 v[117:118], v[117:118], v[115:116], v[109:110]
	ds_read_b128 v[109:112], v108 offset:624
	ds_read_b128 v[113:116], v108 offset:640
	s_waitcnt vmcnt(18) lgkmcnt(1)
	v_fma_f64 v[109:110], v[141:142], v[109:110], v[117:118]
	s_waitcnt vmcnt(17)
	v_fma_f64 v[109:110], v[139:140], v[111:112], v[109:110]
	buffer_load_dword v118, off, s[0:3], 0 offset:284
	buffer_load_dword v133, off, s[0:3], 0 offset:304
	;; [unrolled: 1-line block ×7, first 2 shown]
	s_waitcnt vmcnt(23) lgkmcnt(0)
	v_fma_f64 v[109:110], v[119:120], v[113:114], v[109:110]
	s_waitcnt vmcnt(18)
	v_fma_f64 v[119:120], v[121:122], v[115:116], v[109:110]
	ds_read_b128 v[109:112], v108 offset:656
	ds_read_b128 v[113:116], v108 offset:672
	buffer_load_dword v134, off, s[0:3], 0 offset:308
	s_waitcnt vmcnt(18) lgkmcnt(1)
	v_fma_f64 v[109:110], v[127:128], v[109:110], v[119:120]
	s_waitcnt vmcnt(17)
	v_fma_f64 v[109:110], v[125:126], v[111:112], v[109:110]
	buffer_load_dword v120, off, s[0:3], 0 offset:316
	buffer_load_dword v121, off, s[0:3], 0 offset:336
	buffer_load_dword v125, off, s[0:3], 0 offset:328
	buffer_load_dword v127, off, s[0:3], 0 offset:320
	buffer_load_dword v119, off, s[0:3], 0 offset:312
	buffer_load_dword v128, off, s[0:3], 0 offset:324
	buffer_load_dword v126, off, s[0:3], 0 offset:332
	s_waitcnt vmcnt(23) lgkmcnt(0)
	v_fma_f64 v[109:110], v[123:124], v[113:114], v[109:110]
	s_waitcnt vmcnt(18)
	v_fma_f64 v[122:123], v[129:130], v[115:116], v[109:110]
	ds_read_b128 v[109:112], v108 offset:688
	ds_read_b128 v[113:116], v108 offset:704
	s_waitcnt vmcnt(17) lgkmcnt(1)
	v_fma_f64 v[109:110], v[137:138], v[109:110], v[122:123]
	buffer_load_dword v122, off, s[0:3], 0 offset:340
	s_waitcnt vmcnt(17)
	v_fma_f64 v[109:110], v[135:136], v[111:112], v[109:110]
	buffer_load_dword v124, off, s[0:3], 0 offset:348
	buffer_load_dword v129, off, s[0:3], 0 offset:368
	;; [unrolled: 1-line block ×8, first 2 shown]
	s_waitcnt vmcnt(24) lgkmcnt(0)
	v_fma_f64 v[109:110], v[131:132], v[113:114], v[109:110]
	s_waitcnt vmcnt(19)
	v_fma_f64 v[117:118], v[117:118], v[115:116], v[109:110]
	ds_read_b128 v[109:112], v108 offset:720
	ds_read_b128 v[113:116], v108 offset:736
	s_waitcnt vmcnt(18) lgkmcnt(1)
	v_fma_f64 v[109:110], v[141:142], v[109:110], v[117:118]
	s_waitcnt vmcnt(17)
	v_fma_f64 v[109:110], v[139:140], v[111:112], v[109:110]
	buffer_load_dword v118, off, s[0:3], 0 offset:380
	buffer_load_dword v131, off, s[0:3], 0 offset:400
	;; [unrolled: 1-line block ×7, first 2 shown]
	s_waitcnt vmcnt(23) lgkmcnt(0)
	v_fma_f64 v[109:110], v[133:134], v[113:114], v[109:110]
	s_waitcnt vmcnt(18)
	v_fma_f64 v[119:120], v[119:120], v[115:116], v[109:110]
	ds_read_b128 v[109:112], v108 offset:752
	ds_read_b128 v[113:116], v108 offset:768
	buffer_load_dword v132, off, s[0:3], 0 offset:404
	s_waitcnt vmcnt(18) lgkmcnt(1)
	v_fma_f64 v[109:110], v[127:128], v[109:110], v[119:120]
	s_waitcnt vmcnt(17)
	v_fma_f64 v[109:110], v[125:126], v[111:112], v[109:110]
	buffer_load_dword v120, off, s[0:3], 0 offset:412
	buffer_load_dword v125, off, s[0:3], 0 offset:416
	;; [unrolled: 1-line block ×4, first 2 shown]
	s_waitcnt vmcnt(20) lgkmcnt(0)
	v_fma_f64 v[109:110], v[121:122], v[113:114], v[109:110]
	buffer_load_dword v121, off, s[0:3], 0 offset:88
	buffer_load_dword v122, off, s[0:3], 0 offset:92
	s_waitcnt vmcnt(17)
	v_fma_f64 v[123:124], v[123:124], v[115:116], v[109:110]
	ds_read_b128 v[109:112], v108 offset:784
	ds_read_b128 v[113:116], v108 offset:800
	s_waitcnt vmcnt(16) lgkmcnt(1)
	v_fma_f64 v[109:110], v[137:138], v[109:110], v[123:124]
	s_waitcnt vmcnt(15)
	v_fma_f64 v[109:110], v[135:136], v[111:112], v[109:110]
	s_waitcnt vmcnt(14) lgkmcnt(0)
	v_fma_f64 v[109:110], v[129:130], v[113:114], v[109:110]
	s_waitcnt vmcnt(9)
	v_fma_f64 v[117:118], v[117:118], v[115:116], v[109:110]
	ds_read_b128 v[109:112], v108 offset:816
	ds_read_b128 v[113:116], v108 offset:832
	s_waitcnt vmcnt(8) lgkmcnt(1)
	v_fma_f64 v[109:110], v[141:142], v[109:110], v[117:118]
	s_waitcnt vmcnt(7)
	v_fma_f64 v[109:110], v[139:140], v[111:112], v[109:110]
	ds_read_b64 v[111:112], v108 offset:848
	s_waitcnt vmcnt(6) lgkmcnt(1)
	v_fma_f64 v[109:110], v[131:132], v[113:114], v[109:110]
	s_waitcnt vmcnt(3)
	v_fma_f64 v[109:110], v[119:120], v[115:116], v[109:110]
	s_waitcnt vmcnt(2) lgkmcnt(0)
	v_fma_f64 v[109:110], v[125:126], v[111:112], v[109:110]
	s_waitcnt vmcnt(0)
	v_add_f64 v[109:110], v[121:122], -v[109:110]
	buffer_store_dword v110, off, s[0:3], 0 offset:92
	buffer_store_dword v109, off, s[0:3], 0 offset:88
	s_and_saveexec_b64 s[4:5], vcc
	s_cbranch_execz .LBB116_305
; %bb.304:
	buffer_load_dword v109, off, s[0:3], 0 offset:80
	buffer_load_dword v110, off, s[0:3], 0 offset:84
	s_waitcnt vmcnt(0)
	ds_write_b64 v107, v[109:110]
	buffer_store_dword v108, off, s[0:3], 0 offset:80
	buffer_store_dword v108, off, s[0:3], 0 offset:84
.LBB116_305:
	s_or_b64 exec, exec, s[4:5]
	s_waitcnt lgkmcnt(0)
	; wave barrier
	buffer_load_dword v117, off, s[0:3], 0 offset:88
	buffer_load_dword v118, off, s[0:3], 0 offset:92
	;; [unrolled: 1-line block ×22, first 2 shown]
	ds_read2_b64 v[109:112], v108 offset0:65 offset1:66
	ds_read2_b64 v[113:116], v108 offset0:67 offset1:68
	v_cmp_lt_u32_e32 vcc, 9, v0
	s_waitcnt vmcnt(20) lgkmcnt(1)
	v_fma_f64 v[109:110], v[117:118], v[109:110], 0
	s_waitcnt vmcnt(18)
	v_fma_f64 v[109:110], v[119:120], v[111:112], v[109:110]
	buffer_load_dword v118, off, s[0:3], 0 offset:180
	buffer_load_dword v119, off, s[0:3], 0 offset:200
	;; [unrolled: 1-line block ×7, first 2 shown]
	s_waitcnt vmcnt(23) lgkmcnt(0)
	v_fma_f64 v[109:110], v[121:122], v[113:114], v[109:110]
	s_waitcnt vmcnt(21)
	v_fma_f64 v[120:121], v[123:124], v[115:116], v[109:110]
	ds_read2_b64 v[109:112], v108 offset0:69 offset1:70
	ds_read2_b64 v[113:116], v108 offset0:71 offset1:72
	s_waitcnt vmcnt(19) lgkmcnt(1)
	v_fma_f64 v[109:110], v[125:126], v[109:110], v[120:121]
	buffer_load_dword v120, off, s[0:3], 0 offset:204
	s_waitcnt vmcnt(18)
	v_fma_f64 v[109:110], v[127:128], v[111:112], v[109:110]
	buffer_load_dword v122, off, s[0:3], 0 offset:212
	buffer_load_dword v123, off, s[0:3], 0 offset:232
	;; [unrolled: 1-line block ×7, first 2 shown]
	s_waitcnt vmcnt(23) lgkmcnt(0)
	v_fma_f64 v[109:110], v[129:130], v[113:114], v[109:110]
	s_waitcnt vmcnt(18)
	v_fma_f64 v[129:130], v[131:132], v[115:116], v[109:110]
	ds_read2_b64 v[109:112], v108 offset0:73 offset1:74
	ds_read2_b64 v[113:116], v108 offset0:75 offset1:76
	buffer_load_dword v124, off, s[0:3], 0 offset:236
	s_waitcnt vmcnt(18) lgkmcnt(1)
	v_fma_f64 v[109:110], v[137:138], v[109:110], v[129:130]
	s_waitcnt vmcnt(17)
	v_fma_f64 v[109:110], v[135:136], v[111:112], v[109:110]
	buffer_load_dword v130, off, s[0:3], 0 offset:244
	buffer_load_dword v131, off, s[0:3], 0 offset:264
	;; [unrolled: 1-line block ×8, first 2 shown]
	s_waitcnt vmcnt(24) lgkmcnt(0)
	v_fma_f64 v[109:110], v[133:134], v[113:114], v[109:110]
	s_waitcnt vmcnt(19)
	v_fma_f64 v[117:118], v[117:118], v[115:116], v[109:110]
	ds_read2_b64 v[109:112], v108 offset0:77 offset1:78
	ds_read2_b64 v[113:116], v108 offset0:79 offset1:80
	s_waitcnt vmcnt(18) lgkmcnt(1)
	v_fma_f64 v[109:110], v[141:142], v[109:110], v[117:118]
	s_waitcnt vmcnt(17)
	v_fma_f64 v[109:110], v[139:140], v[111:112], v[109:110]
	buffer_load_dword v118, off, s[0:3], 0 offset:276
	buffer_load_dword v133, off, s[0:3], 0 offset:296
	;; [unrolled: 1-line block ×8, first 2 shown]
	s_waitcnt vmcnt(24) lgkmcnt(0)
	v_fma_f64 v[109:110], v[119:120], v[113:114], v[109:110]
	s_waitcnt vmcnt(19)
	v_fma_f64 v[119:120], v[121:122], v[115:116], v[109:110]
	ds_read2_b64 v[109:112], v108 offset0:81 offset1:82
	ds_read2_b64 v[113:116], v108 offset0:83 offset1:84
	s_waitcnt vmcnt(18) lgkmcnt(1)
	v_fma_f64 v[109:110], v[127:128], v[109:110], v[119:120]
	s_waitcnt vmcnt(17)
	v_fma_f64 v[109:110], v[125:126], v[111:112], v[109:110]
	buffer_load_dword v120, off, s[0:3], 0 offset:308
	buffer_load_dword v121, off, s[0:3], 0 offset:328
	;; [unrolled: 1-line block ×7, first 2 shown]
	s_waitcnt vmcnt(23) lgkmcnt(0)
	v_fma_f64 v[109:110], v[123:124], v[113:114], v[109:110]
	s_waitcnt vmcnt(18)
	v_fma_f64 v[122:123], v[129:130], v[115:116], v[109:110]
	ds_read2_b64 v[109:112], v108 offset0:85 offset1:86
	ds_read2_b64 v[113:116], v108 offset0:87 offset1:88
	s_waitcnt vmcnt(17) lgkmcnt(1)
	v_fma_f64 v[109:110], v[137:138], v[109:110], v[122:123]
	buffer_load_dword v122, off, s[0:3], 0 offset:332
	s_waitcnt vmcnt(17)
	v_fma_f64 v[109:110], v[135:136], v[111:112], v[109:110]
	buffer_load_dword v124, off, s[0:3], 0 offset:340
	buffer_load_dword v129, off, s[0:3], 0 offset:360
	;; [unrolled: 1-line block ×8, first 2 shown]
	s_waitcnt vmcnt(24) lgkmcnt(0)
	v_fma_f64 v[109:110], v[131:132], v[113:114], v[109:110]
	s_waitcnt vmcnt(19)
	v_fma_f64 v[117:118], v[117:118], v[115:116], v[109:110]
	ds_read2_b64 v[109:112], v108 offset0:89 offset1:90
	ds_read2_b64 v[113:116], v108 offset0:91 offset1:92
	s_waitcnt vmcnt(18) lgkmcnt(1)
	v_fma_f64 v[109:110], v[141:142], v[109:110], v[117:118]
	s_waitcnt vmcnt(17)
	v_fma_f64 v[109:110], v[139:140], v[111:112], v[109:110]
	buffer_load_dword v118, off, s[0:3], 0 offset:372
	buffer_load_dword v131, off, s[0:3], 0 offset:392
	;; [unrolled: 1-line block ×8, first 2 shown]
	s_waitcnt vmcnt(24) lgkmcnt(0)
	v_fma_f64 v[109:110], v[133:134], v[113:114], v[109:110]
	s_waitcnt vmcnt(19)
	v_fma_f64 v[119:120], v[119:120], v[115:116], v[109:110]
	ds_read2_b64 v[109:112], v108 offset0:93 offset1:94
	ds_read2_b64 v[113:116], v108 offset0:95 offset1:96
	s_waitcnt vmcnt(18) lgkmcnt(1)
	v_fma_f64 v[109:110], v[127:128], v[109:110], v[119:120]
	s_waitcnt vmcnt(17)
	v_fma_f64 v[109:110], v[125:126], v[111:112], v[109:110]
	buffer_load_dword v120, off, s[0:3], 0 offset:404
	buffer_load_dword v125, off, s[0:3], 0 offset:416
	;; [unrolled: 1-line block ×6, first 2 shown]
	s_waitcnt vmcnt(22) lgkmcnt(0)
	v_fma_f64 v[109:110], v[121:122], v[113:114], v[109:110]
	s_waitcnt vmcnt(17)
	v_fma_f64 v[121:122], v[123:124], v[115:116], v[109:110]
	ds_read2_b64 v[109:112], v108 offset0:97 offset1:98
	buffer_load_dword v123, off, s[0:3], 0 offset:80
	buffer_load_dword v124, off, s[0:3], 0 offset:84
	ds_read2_b64 v[113:116], v108 offset0:99 offset1:100
	s_waitcnt vmcnt(18) lgkmcnt(1)
	v_fma_f64 v[109:110], v[137:138], v[109:110], v[121:122]
	s_waitcnt vmcnt(17)
	v_fma_f64 v[109:110], v[135:136], v[111:112], v[109:110]
	s_waitcnt vmcnt(16) lgkmcnt(0)
	v_fma_f64 v[109:110], v[129:130], v[113:114], v[109:110]
	s_waitcnt vmcnt(11)
	v_fma_f64 v[117:118], v[117:118], v[115:116], v[109:110]
	ds_read2_b64 v[109:112], v108 offset0:101 offset1:102
	ds_read2_b64 v[113:116], v108 offset0:103 offset1:104
	s_waitcnt vmcnt(10) lgkmcnt(1)
	v_fma_f64 v[109:110], v[141:142], v[109:110], v[117:118]
	s_waitcnt vmcnt(9)
	v_fma_f64 v[109:110], v[139:140], v[111:112], v[109:110]
	s_waitcnt vmcnt(8) lgkmcnt(0)
	v_fma_f64 v[109:110], v[131:132], v[113:114], v[109:110]
	s_waitcnt vmcnt(4)
	v_fma_f64 v[112:113], v[119:120], v[115:116], v[109:110]
	ds_read2_b64 v[108:111], v108 offset0:105 offset1:106
	s_waitcnt vmcnt(3) lgkmcnt(0)
	v_fma_f64 v[108:109], v[127:128], v[108:109], v[112:113]
	s_waitcnt vmcnt(2)
	v_fma_f64 v[108:109], v[125:126], v[110:111], v[108:109]
	s_waitcnt vmcnt(0)
	v_add_f64 v[108:109], v[123:124], -v[108:109]
	buffer_store_dword v109, off, s[0:3], 0 offset:84
	buffer_store_dword v108, off, s[0:3], 0 offset:80
	s_and_saveexec_b64 s[4:5], vcc
	s_cbranch_execz .LBB116_307
; %bb.306:
	buffer_load_dword v108, off, s[0:3], 0 offset:72
	buffer_load_dword v109, off, s[0:3], 0 offset:76
	v_mov_b32_e32 v110, 0
	buffer_store_dword v110, off, s[0:3], 0 offset:72
	buffer_store_dword v110, off, s[0:3], 0 offset:76
	s_waitcnt vmcnt(2)
	ds_write_b64 v107, v[108:109]
.LBB116_307:
	s_or_b64 exec, exec, s[4:5]
	s_waitcnt lgkmcnt(0)
	; wave barrier
	buffer_load_dword v117, off, s[0:3], 0 offset:80
	buffer_load_dword v118, off, s[0:3], 0 offset:84
	;; [unrolled: 1-line block ×22, first 2 shown]
	v_mov_b32_e32 v108, 0
	ds_read_b128 v[109:112], v108 offset:512
	ds_read_b128 v[113:116], v108 offset:528
	v_cmp_lt_u32_e32 vcc, 8, v0
	s_waitcnt vmcnt(20) lgkmcnt(1)
	v_fma_f64 v[109:110], v[117:118], v[109:110], 0
	s_waitcnt vmcnt(18)
	v_fma_f64 v[109:110], v[119:120], v[111:112], v[109:110]
	buffer_load_dword v118, off, s[0:3], 0 offset:172
	buffer_load_dword v119, off, s[0:3], 0 offset:192
	;; [unrolled: 1-line block ×7, first 2 shown]
	s_waitcnt vmcnt(23) lgkmcnt(0)
	v_fma_f64 v[109:110], v[121:122], v[113:114], v[109:110]
	s_waitcnt vmcnt(21)
	v_fma_f64 v[120:121], v[123:124], v[115:116], v[109:110]
	ds_read_b128 v[109:112], v108 offset:544
	ds_read_b128 v[113:116], v108 offset:560
	s_waitcnt vmcnt(19) lgkmcnt(1)
	v_fma_f64 v[109:110], v[125:126], v[109:110], v[120:121]
	buffer_load_dword v120, off, s[0:3], 0 offset:196
	s_waitcnt vmcnt(18)
	v_fma_f64 v[109:110], v[127:128], v[111:112], v[109:110]
	buffer_load_dword v122, off, s[0:3], 0 offset:204
	buffer_load_dword v123, off, s[0:3], 0 offset:224
	;; [unrolled: 1-line block ×7, first 2 shown]
	s_waitcnt vmcnt(23) lgkmcnt(0)
	v_fma_f64 v[109:110], v[129:130], v[113:114], v[109:110]
	s_waitcnt vmcnt(18)
	v_fma_f64 v[129:130], v[131:132], v[115:116], v[109:110]
	ds_read_b128 v[109:112], v108 offset:576
	ds_read_b128 v[113:116], v108 offset:592
	buffer_load_dword v124, off, s[0:3], 0 offset:228
	s_waitcnt vmcnt(18) lgkmcnt(1)
	v_fma_f64 v[109:110], v[137:138], v[109:110], v[129:130]
	s_waitcnt vmcnt(17)
	v_fma_f64 v[109:110], v[135:136], v[111:112], v[109:110]
	buffer_load_dword v130, off, s[0:3], 0 offset:236
	buffer_load_dword v131, off, s[0:3], 0 offset:256
	;; [unrolled: 1-line block ×8, first 2 shown]
	s_waitcnt vmcnt(24) lgkmcnt(0)
	v_fma_f64 v[109:110], v[133:134], v[113:114], v[109:110]
	s_waitcnt vmcnt(19)
	v_fma_f64 v[117:118], v[117:118], v[115:116], v[109:110]
	ds_read_b128 v[109:112], v108 offset:608
	ds_read_b128 v[113:116], v108 offset:624
	s_waitcnt vmcnt(18) lgkmcnt(1)
	v_fma_f64 v[109:110], v[141:142], v[109:110], v[117:118]
	s_waitcnt vmcnt(17)
	v_fma_f64 v[109:110], v[139:140], v[111:112], v[109:110]
	buffer_load_dword v118, off, s[0:3], 0 offset:268
	buffer_load_dword v133, off, s[0:3], 0 offset:288
	;; [unrolled: 1-line block ×8, first 2 shown]
	s_waitcnt vmcnt(24) lgkmcnt(0)
	v_fma_f64 v[109:110], v[119:120], v[113:114], v[109:110]
	s_waitcnt vmcnt(19)
	v_fma_f64 v[119:120], v[121:122], v[115:116], v[109:110]
	ds_read_b128 v[109:112], v108 offset:640
	ds_read_b128 v[113:116], v108 offset:656
	s_waitcnt vmcnt(18) lgkmcnt(1)
	v_fma_f64 v[109:110], v[127:128], v[109:110], v[119:120]
	s_waitcnt vmcnt(17)
	v_fma_f64 v[109:110], v[125:126], v[111:112], v[109:110]
	buffer_load_dword v120, off, s[0:3], 0 offset:300
	buffer_load_dword v121, off, s[0:3], 0 offset:320
	;; [unrolled: 1-line block ×7, first 2 shown]
	s_waitcnt vmcnt(23) lgkmcnt(0)
	v_fma_f64 v[109:110], v[123:124], v[113:114], v[109:110]
	s_waitcnt vmcnt(18)
	v_fma_f64 v[122:123], v[129:130], v[115:116], v[109:110]
	ds_read_b128 v[109:112], v108 offset:672
	ds_read_b128 v[113:116], v108 offset:688
	s_waitcnt vmcnt(17) lgkmcnt(1)
	v_fma_f64 v[109:110], v[137:138], v[109:110], v[122:123]
	buffer_load_dword v122, off, s[0:3], 0 offset:324
	s_waitcnt vmcnt(17)
	v_fma_f64 v[109:110], v[135:136], v[111:112], v[109:110]
	buffer_load_dword v124, off, s[0:3], 0 offset:332
	buffer_load_dword v129, off, s[0:3], 0 offset:352
	buffer_load_dword v135, off, s[0:3], 0 offset:344
	buffer_load_dword v137, off, s[0:3], 0 offset:336
	buffer_load_dword v123, off, s[0:3], 0 offset:328
	buffer_load_dword v138, off, s[0:3], 0 offset:340
	buffer_load_dword v136, off, s[0:3], 0 offset:348
	buffer_load_dword v130, off, s[0:3], 0 offset:356
	s_waitcnt vmcnt(24) lgkmcnt(0)
	v_fma_f64 v[109:110], v[131:132], v[113:114], v[109:110]
	s_waitcnt vmcnt(19)
	v_fma_f64 v[117:118], v[117:118], v[115:116], v[109:110]
	ds_read_b128 v[109:112], v108 offset:704
	ds_read_b128 v[113:116], v108 offset:720
	s_waitcnt vmcnt(18) lgkmcnt(1)
	v_fma_f64 v[109:110], v[141:142], v[109:110], v[117:118]
	s_waitcnt vmcnt(17)
	v_fma_f64 v[109:110], v[139:140], v[111:112], v[109:110]
	buffer_load_dword v118, off, s[0:3], 0 offset:364
	buffer_load_dword v131, off, s[0:3], 0 offset:384
	buffer_load_dword v139, off, s[0:3], 0 offset:376
	buffer_load_dword v141, off, s[0:3], 0 offset:368
	buffer_load_dword v117, off, s[0:3], 0 offset:360
	buffer_load_dword v142, off, s[0:3], 0 offset:372
	buffer_load_dword v140, off, s[0:3], 0 offset:380
	buffer_load_dword v132, off, s[0:3], 0 offset:388
	s_waitcnt vmcnt(24) lgkmcnt(0)
	v_fma_f64 v[109:110], v[133:134], v[113:114], v[109:110]
	s_waitcnt vmcnt(19)
	v_fma_f64 v[119:120], v[119:120], v[115:116], v[109:110]
	ds_read_b128 v[109:112], v108 offset:736
	ds_read_b128 v[113:116], v108 offset:752
	s_waitcnt vmcnt(18) lgkmcnt(1)
	v_fma_f64 v[109:110], v[127:128], v[109:110], v[119:120]
	;; [unrolled: 18-line block ×3, first 2 shown]
	buffer_load_dword v121, off, s[0:3], 0 offset:72
	buffer_load_dword v122, off, s[0:3], 0 offset:76
	s_waitcnt vmcnt(19)
	v_fma_f64 v[109:110], v[135:136], v[111:112], v[109:110]
	s_waitcnt vmcnt(18) lgkmcnt(0)
	v_fma_f64 v[109:110], v[129:130], v[113:114], v[109:110]
	s_waitcnt vmcnt(13)
	v_fma_f64 v[117:118], v[117:118], v[115:116], v[109:110]
	ds_read_b128 v[109:112], v108 offset:800
	ds_read_b128 v[113:116], v108 offset:816
	s_waitcnt vmcnt(12) lgkmcnt(1)
	v_fma_f64 v[109:110], v[141:142], v[109:110], v[117:118]
	s_waitcnt vmcnt(11)
	v_fma_f64 v[109:110], v[139:140], v[111:112], v[109:110]
	s_waitcnt vmcnt(10) lgkmcnt(0)
	v_fma_f64 v[109:110], v[131:132], v[113:114], v[109:110]
	s_waitcnt vmcnt(5)
	v_fma_f64 v[113:114], v[119:120], v[115:116], v[109:110]
	ds_read_b128 v[109:112], v108 offset:832
	ds_read_b64 v[115:116], v108 offset:848
	s_waitcnt vmcnt(4) lgkmcnt(1)
	v_fma_f64 v[109:110], v[133:134], v[109:110], v[113:114]
	s_waitcnt vmcnt(3)
	v_fma_f64 v[109:110], v[127:128], v[111:112], v[109:110]
	s_waitcnt vmcnt(2) lgkmcnt(0)
	v_fma_f64 v[109:110], v[125:126], v[115:116], v[109:110]
	s_waitcnt vmcnt(0)
	v_add_f64 v[109:110], v[121:122], -v[109:110]
	buffer_store_dword v110, off, s[0:3], 0 offset:76
	buffer_store_dword v109, off, s[0:3], 0 offset:72
	s_and_saveexec_b64 s[4:5], vcc
	s_cbranch_execz .LBB116_309
; %bb.308:
	buffer_load_dword v109, off, s[0:3], 0 offset:64
	buffer_load_dword v110, off, s[0:3], 0 offset:68
	s_waitcnt vmcnt(0)
	ds_write_b64 v107, v[109:110]
	buffer_store_dword v108, off, s[0:3], 0 offset:64
	buffer_store_dword v108, off, s[0:3], 0 offset:68
.LBB116_309:
	s_or_b64 exec, exec, s[4:5]
	s_waitcnt lgkmcnt(0)
	; wave barrier
	buffer_load_dword v117, off, s[0:3], 0 offset:72
	buffer_load_dword v118, off, s[0:3], 0 offset:76
	;; [unrolled: 1-line block ×22, first 2 shown]
	ds_read2_b64 v[109:112], v108 offset0:63 offset1:64
	ds_read2_b64 v[113:116], v108 offset0:65 offset1:66
	v_cmp_lt_u32_e32 vcc, 7, v0
	s_waitcnt vmcnt(20) lgkmcnt(1)
	v_fma_f64 v[109:110], v[117:118], v[109:110], 0
	s_waitcnt vmcnt(18)
	v_fma_f64 v[109:110], v[119:120], v[111:112], v[109:110]
	buffer_load_dword v118, off, s[0:3], 0 offset:164
	buffer_load_dword v119, off, s[0:3], 0 offset:184
	;; [unrolled: 1-line block ×7, first 2 shown]
	s_waitcnt vmcnt(23) lgkmcnt(0)
	v_fma_f64 v[109:110], v[121:122], v[113:114], v[109:110]
	s_waitcnt vmcnt(21)
	v_fma_f64 v[120:121], v[123:124], v[115:116], v[109:110]
	ds_read2_b64 v[109:112], v108 offset0:67 offset1:68
	ds_read2_b64 v[113:116], v108 offset0:69 offset1:70
	s_waitcnt vmcnt(19) lgkmcnt(1)
	v_fma_f64 v[109:110], v[125:126], v[109:110], v[120:121]
	buffer_load_dword v120, off, s[0:3], 0 offset:188
	s_waitcnt vmcnt(18)
	v_fma_f64 v[109:110], v[127:128], v[111:112], v[109:110]
	buffer_load_dword v122, off, s[0:3], 0 offset:196
	buffer_load_dword v123, off, s[0:3], 0 offset:216
	buffer_load_dword v125, off, s[0:3], 0 offset:208
	buffer_load_dword v127, off, s[0:3], 0 offset:200
	buffer_load_dword v121, off, s[0:3], 0 offset:192
	buffer_load_dword v128, off, s[0:3], 0 offset:204
	buffer_load_dword v126, off, s[0:3], 0 offset:212
	s_waitcnt vmcnt(23) lgkmcnt(0)
	v_fma_f64 v[109:110], v[129:130], v[113:114], v[109:110]
	s_waitcnt vmcnt(18)
	v_fma_f64 v[129:130], v[131:132], v[115:116], v[109:110]
	ds_read2_b64 v[109:112], v108 offset0:71 offset1:72
	ds_read2_b64 v[113:116], v108 offset0:73 offset1:74
	buffer_load_dword v124, off, s[0:3], 0 offset:220
	s_waitcnt vmcnt(18) lgkmcnt(1)
	v_fma_f64 v[109:110], v[137:138], v[109:110], v[129:130]
	s_waitcnt vmcnt(17)
	v_fma_f64 v[109:110], v[135:136], v[111:112], v[109:110]
	buffer_load_dword v130, off, s[0:3], 0 offset:228
	buffer_load_dword v131, off, s[0:3], 0 offset:248
	;; [unrolled: 1-line block ×8, first 2 shown]
	s_waitcnt vmcnt(24) lgkmcnt(0)
	v_fma_f64 v[109:110], v[133:134], v[113:114], v[109:110]
	s_waitcnt vmcnt(19)
	v_fma_f64 v[117:118], v[117:118], v[115:116], v[109:110]
	ds_read2_b64 v[109:112], v108 offset0:75 offset1:76
	ds_read2_b64 v[113:116], v108 offset0:77 offset1:78
	s_waitcnt vmcnt(18) lgkmcnt(1)
	v_fma_f64 v[109:110], v[141:142], v[109:110], v[117:118]
	s_waitcnt vmcnt(17)
	v_fma_f64 v[109:110], v[139:140], v[111:112], v[109:110]
	buffer_load_dword v118, off, s[0:3], 0 offset:260
	buffer_load_dword v133, off, s[0:3], 0 offset:280
	;; [unrolled: 1-line block ×8, first 2 shown]
	s_waitcnt vmcnt(24) lgkmcnt(0)
	v_fma_f64 v[109:110], v[119:120], v[113:114], v[109:110]
	s_waitcnt vmcnt(19)
	v_fma_f64 v[119:120], v[121:122], v[115:116], v[109:110]
	ds_read2_b64 v[109:112], v108 offset0:79 offset1:80
	ds_read2_b64 v[113:116], v108 offset0:81 offset1:82
	s_waitcnt vmcnt(18) lgkmcnt(1)
	v_fma_f64 v[109:110], v[127:128], v[109:110], v[119:120]
	s_waitcnt vmcnt(17)
	v_fma_f64 v[109:110], v[125:126], v[111:112], v[109:110]
	buffer_load_dword v120, off, s[0:3], 0 offset:292
	buffer_load_dword v121, off, s[0:3], 0 offset:312
	;; [unrolled: 1-line block ×7, first 2 shown]
	s_waitcnt vmcnt(23) lgkmcnt(0)
	v_fma_f64 v[109:110], v[123:124], v[113:114], v[109:110]
	s_waitcnt vmcnt(18)
	v_fma_f64 v[122:123], v[129:130], v[115:116], v[109:110]
	ds_read2_b64 v[109:112], v108 offset0:83 offset1:84
	ds_read2_b64 v[113:116], v108 offset0:85 offset1:86
	s_waitcnt vmcnt(17) lgkmcnt(1)
	v_fma_f64 v[109:110], v[137:138], v[109:110], v[122:123]
	buffer_load_dword v122, off, s[0:3], 0 offset:316
	s_waitcnt vmcnt(17)
	v_fma_f64 v[109:110], v[135:136], v[111:112], v[109:110]
	buffer_load_dword v124, off, s[0:3], 0 offset:324
	buffer_load_dword v129, off, s[0:3], 0 offset:344
	buffer_load_dword v135, off, s[0:3], 0 offset:336
	buffer_load_dword v137, off, s[0:3], 0 offset:328
	buffer_load_dword v123, off, s[0:3], 0 offset:320
	buffer_load_dword v138, off, s[0:3], 0 offset:332
	buffer_load_dword v136, off, s[0:3], 0 offset:340
	buffer_load_dword v130, off, s[0:3], 0 offset:348
	s_waitcnt vmcnt(24) lgkmcnt(0)
	v_fma_f64 v[109:110], v[131:132], v[113:114], v[109:110]
	s_waitcnt vmcnt(19)
	v_fma_f64 v[117:118], v[117:118], v[115:116], v[109:110]
	ds_read2_b64 v[109:112], v108 offset0:87 offset1:88
	ds_read2_b64 v[113:116], v108 offset0:89 offset1:90
	s_waitcnt vmcnt(18) lgkmcnt(1)
	v_fma_f64 v[109:110], v[141:142], v[109:110], v[117:118]
	s_waitcnt vmcnt(17)
	v_fma_f64 v[109:110], v[139:140], v[111:112], v[109:110]
	buffer_load_dword v118, off, s[0:3], 0 offset:356
	buffer_load_dword v131, off, s[0:3], 0 offset:376
	buffer_load_dword v139, off, s[0:3], 0 offset:368
	buffer_load_dword v141, off, s[0:3], 0 offset:360
	buffer_load_dword v117, off, s[0:3], 0 offset:352
	buffer_load_dword v142, off, s[0:3], 0 offset:364
	buffer_load_dword v140, off, s[0:3], 0 offset:372
	buffer_load_dword v132, off, s[0:3], 0 offset:380
	s_waitcnt vmcnt(24) lgkmcnt(0)
	v_fma_f64 v[109:110], v[133:134], v[113:114], v[109:110]
	s_waitcnt vmcnt(19)
	v_fma_f64 v[119:120], v[119:120], v[115:116], v[109:110]
	ds_read2_b64 v[109:112], v108 offset0:91 offset1:92
	ds_read2_b64 v[113:116], v108 offset0:93 offset1:94
	s_waitcnt vmcnt(18) lgkmcnt(1)
	v_fma_f64 v[109:110], v[127:128], v[109:110], v[119:120]
	;; [unrolled: 18-line block ×3, first 2 shown]
	buffer_load_dword v122, off, s[0:3], 0 offset:420
	buffer_load_dword v121, off, s[0:3], 0 offset:416
	;; [unrolled: 1-line block ×4, first 2 shown]
	s_waitcnt vmcnt(21)
	v_fma_f64 v[109:110], v[135:136], v[111:112], v[109:110]
	s_waitcnt vmcnt(20) lgkmcnt(0)
	v_fma_f64 v[109:110], v[129:130], v[113:114], v[109:110]
	s_waitcnt vmcnt(15)
	v_fma_f64 v[117:118], v[117:118], v[115:116], v[109:110]
	ds_read2_b64 v[109:112], v108 offset0:99 offset1:100
	ds_read2_b64 v[113:116], v108 offset0:101 offset1:102
	s_waitcnt vmcnt(14) lgkmcnt(1)
	v_fma_f64 v[109:110], v[141:142], v[109:110], v[117:118]
	s_waitcnt vmcnt(13)
	v_fma_f64 v[109:110], v[139:140], v[111:112], v[109:110]
	s_waitcnt vmcnt(12) lgkmcnt(0)
	v_fma_f64 v[109:110], v[131:132], v[113:114], v[109:110]
	s_waitcnt vmcnt(7)
	v_fma_f64 v[117:118], v[119:120], v[115:116], v[109:110]
	ds_read2_b64 v[109:112], v108 offset0:103 offset1:104
	ds_read2_b64 v[113:116], v108 offset0:105 offset1:106
	s_waitcnt vmcnt(6) lgkmcnt(1)
	v_fma_f64 v[108:109], v[133:134], v[109:110], v[117:118]
	s_waitcnt vmcnt(5)
	v_fma_f64 v[108:109], v[127:128], v[111:112], v[108:109]
	s_waitcnt vmcnt(4) lgkmcnt(0)
	v_fma_f64 v[108:109], v[125:126], v[113:114], v[108:109]
	s_waitcnt vmcnt(2)
	v_fma_f64 v[108:109], v[121:122], v[115:116], v[108:109]
	s_waitcnt vmcnt(0)
	v_add_f64 v[108:109], v[123:124], -v[108:109]
	buffer_store_dword v109, off, s[0:3], 0 offset:68
	buffer_store_dword v108, off, s[0:3], 0 offset:64
	s_and_saveexec_b64 s[4:5], vcc
	s_cbranch_execz .LBB116_311
; %bb.310:
	buffer_load_dword v108, off, s[0:3], 0 offset:56
	buffer_load_dword v109, off, s[0:3], 0 offset:60
	v_mov_b32_e32 v110, 0
	buffer_store_dword v110, off, s[0:3], 0 offset:56
	buffer_store_dword v110, off, s[0:3], 0 offset:60
	s_waitcnt vmcnt(2)
	ds_write_b64 v107, v[108:109]
.LBB116_311:
	s_or_b64 exec, exec, s[4:5]
	s_waitcnt lgkmcnt(0)
	; wave barrier
	buffer_load_dword v117, off, s[0:3], 0 offset:64
	buffer_load_dword v118, off, s[0:3], 0 offset:68
	;; [unrolled: 1-line block ×21, first 2 shown]
	v_mov_b32_e32 v108, 0
	ds_read_b128 v[109:112], v108 offset:496
	ds_read_b128 v[113:116], v108 offset:512
	buffer_load_dword v134, off, s[0:3], 0 offset:148
	v_cmp_lt_u32_e32 vcc, 6, v0
	s_waitcnt vmcnt(20) lgkmcnt(1)
	v_fma_f64 v[109:110], v[117:118], v[109:110], 0
	s_waitcnt vmcnt(18)
	v_fma_f64 v[109:110], v[119:120], v[111:112], v[109:110]
	buffer_load_dword v118, off, s[0:3], 0 offset:156
	buffer_load_dword v119, off, s[0:3], 0 offset:176
	;; [unrolled: 1-line block ×7, first 2 shown]
	s_waitcnt vmcnt(23) lgkmcnt(0)
	v_fma_f64 v[109:110], v[121:122], v[113:114], v[109:110]
	s_waitcnt vmcnt(21)
	v_fma_f64 v[120:121], v[123:124], v[115:116], v[109:110]
	ds_read_b128 v[109:112], v108 offset:528
	ds_read_b128 v[113:116], v108 offset:544
	s_waitcnt vmcnt(19) lgkmcnt(1)
	v_fma_f64 v[109:110], v[125:126], v[109:110], v[120:121]
	buffer_load_dword v120, off, s[0:3], 0 offset:180
	s_waitcnt vmcnt(18)
	v_fma_f64 v[109:110], v[127:128], v[111:112], v[109:110]
	buffer_load_dword v122, off, s[0:3], 0 offset:188
	buffer_load_dword v123, off, s[0:3], 0 offset:208
	;; [unrolled: 1-line block ×7, first 2 shown]
	s_waitcnt vmcnt(23) lgkmcnt(0)
	v_fma_f64 v[109:110], v[129:130], v[113:114], v[109:110]
	s_waitcnt vmcnt(18)
	v_fma_f64 v[129:130], v[131:132], v[115:116], v[109:110]
	ds_read_b128 v[109:112], v108 offset:560
	ds_read_b128 v[113:116], v108 offset:576
	buffer_load_dword v124, off, s[0:3], 0 offset:212
	s_waitcnt vmcnt(18) lgkmcnt(1)
	v_fma_f64 v[109:110], v[137:138], v[109:110], v[129:130]
	s_waitcnt vmcnt(17)
	v_fma_f64 v[109:110], v[135:136], v[111:112], v[109:110]
	buffer_load_dword v130, off, s[0:3], 0 offset:220
	buffer_load_dword v131, off, s[0:3], 0 offset:240
	;; [unrolled: 1-line block ×7, first 2 shown]
	s_waitcnt vmcnt(23) lgkmcnt(0)
	v_fma_f64 v[109:110], v[133:134], v[113:114], v[109:110]
	s_waitcnt vmcnt(18)
	v_fma_f64 v[117:118], v[117:118], v[115:116], v[109:110]
	ds_read_b128 v[109:112], v108 offset:592
	ds_read_b128 v[113:116], v108 offset:608
	buffer_load_dword v132, off, s[0:3], 0 offset:244
	s_waitcnt vmcnt(18) lgkmcnt(1)
	v_fma_f64 v[109:110], v[141:142], v[109:110], v[117:118]
	s_waitcnt vmcnt(17)
	v_fma_f64 v[109:110], v[139:140], v[111:112], v[109:110]
	buffer_load_dword v118, off, s[0:3], 0 offset:252
	buffer_load_dword v133, off, s[0:3], 0 offset:272
	buffer_load_dword v139, off, s[0:3], 0 offset:264
	buffer_load_dword v141, off, s[0:3], 0 offset:256
	buffer_load_dword v117, off, s[0:3], 0 offset:248
	buffer_load_dword v142, off, s[0:3], 0 offset:260
	buffer_load_dword v140, off, s[0:3], 0 offset:268
	buffer_load_dword v134, off, s[0:3], 0 offset:276
	s_waitcnt vmcnt(24) lgkmcnt(0)
	v_fma_f64 v[109:110], v[119:120], v[113:114], v[109:110]
	s_waitcnt vmcnt(19)
	v_fma_f64 v[119:120], v[121:122], v[115:116], v[109:110]
	ds_read_b128 v[109:112], v108 offset:624
	ds_read_b128 v[113:116], v108 offset:640
	s_waitcnt vmcnt(18) lgkmcnt(1)
	v_fma_f64 v[109:110], v[127:128], v[109:110], v[119:120]
	s_waitcnt vmcnt(17)
	v_fma_f64 v[109:110], v[125:126], v[111:112], v[109:110]
	buffer_load_dword v120, off, s[0:3], 0 offset:284
	buffer_load_dword v121, off, s[0:3], 0 offset:304
	;; [unrolled: 1-line block ×7, first 2 shown]
	s_waitcnt vmcnt(23) lgkmcnt(0)
	v_fma_f64 v[109:110], v[123:124], v[113:114], v[109:110]
	s_waitcnt vmcnt(18)
	v_fma_f64 v[122:123], v[129:130], v[115:116], v[109:110]
	ds_read_b128 v[109:112], v108 offset:656
	ds_read_b128 v[113:116], v108 offset:672
	s_waitcnt vmcnt(17) lgkmcnt(1)
	v_fma_f64 v[109:110], v[137:138], v[109:110], v[122:123]
	buffer_load_dword v122, off, s[0:3], 0 offset:308
	s_waitcnt vmcnt(17)
	v_fma_f64 v[109:110], v[135:136], v[111:112], v[109:110]
	buffer_load_dword v124, off, s[0:3], 0 offset:316
	buffer_load_dword v129, off, s[0:3], 0 offset:336
	;; [unrolled: 1-line block ×7, first 2 shown]
	s_waitcnt vmcnt(23) lgkmcnt(0)
	v_fma_f64 v[109:110], v[131:132], v[113:114], v[109:110]
	s_waitcnt vmcnt(18)
	v_fma_f64 v[117:118], v[117:118], v[115:116], v[109:110]
	ds_read_b128 v[109:112], v108 offset:688
	ds_read_b128 v[113:116], v108 offset:704
	buffer_load_dword v130, off, s[0:3], 0 offset:340
	s_waitcnt vmcnt(18) lgkmcnt(1)
	v_fma_f64 v[109:110], v[141:142], v[109:110], v[117:118]
	s_waitcnt vmcnt(17)
	v_fma_f64 v[109:110], v[139:140], v[111:112], v[109:110]
	buffer_load_dword v118, off, s[0:3], 0 offset:348
	buffer_load_dword v131, off, s[0:3], 0 offset:368
	;; [unrolled: 1-line block ×8, first 2 shown]
	s_waitcnt vmcnt(24) lgkmcnt(0)
	v_fma_f64 v[109:110], v[133:134], v[113:114], v[109:110]
	s_waitcnt vmcnt(19)
	v_fma_f64 v[119:120], v[119:120], v[115:116], v[109:110]
	ds_read_b128 v[109:112], v108 offset:720
	ds_read_b128 v[113:116], v108 offset:736
	s_waitcnt vmcnt(18) lgkmcnt(1)
	v_fma_f64 v[109:110], v[127:128], v[109:110], v[119:120]
	s_waitcnt vmcnt(17)
	v_fma_f64 v[109:110], v[125:126], v[111:112], v[109:110]
	buffer_load_dword v120, off, s[0:3], 0 offset:380
	buffer_load_dword v125, off, s[0:3], 0 offset:400
	;; [unrolled: 1-line block ×7, first 2 shown]
	s_waitcnt vmcnt(23) lgkmcnt(0)
	v_fma_f64 v[109:110], v[121:122], v[113:114], v[109:110]
	s_waitcnt vmcnt(18)
	v_fma_f64 v[121:122], v[123:124], v[115:116], v[109:110]
	ds_read_b128 v[109:112], v108 offset:752
	ds_read_b128 v[113:116], v108 offset:768
	buffer_load_dword v126, off, s[0:3], 0 offset:404
	s_waitcnt vmcnt(18) lgkmcnt(1)
	v_fma_f64 v[109:110], v[137:138], v[109:110], v[121:122]
	buffer_load_dword v122, off, s[0:3], 0 offset:412
	buffer_load_dword v123, off, s[0:3], 0 offset:416
	;; [unrolled: 1-line block ×4, first 2 shown]
	s_waitcnt vmcnt(21)
	v_fma_f64 v[109:110], v[135:136], v[111:112], v[109:110]
	s_waitcnt vmcnt(20) lgkmcnt(0)
	v_fma_f64 v[109:110], v[129:130], v[113:114], v[109:110]
	buffer_load_dword v129, off, s[0:3], 0 offset:56
	buffer_load_dword v130, off, s[0:3], 0 offset:60
	s_waitcnt vmcnt(17)
	v_fma_f64 v[117:118], v[117:118], v[115:116], v[109:110]
	ds_read_b128 v[109:112], v108 offset:784
	ds_read_b128 v[113:116], v108 offset:800
	s_waitcnt vmcnt(16) lgkmcnt(1)
	v_fma_f64 v[109:110], v[141:142], v[109:110], v[117:118]
	s_waitcnt vmcnt(15)
	v_fma_f64 v[109:110], v[139:140], v[111:112], v[109:110]
	s_waitcnt vmcnt(14) lgkmcnt(0)
	v_fma_f64 v[109:110], v[131:132], v[113:114], v[109:110]
	s_waitcnt vmcnt(9)
	v_fma_f64 v[117:118], v[119:120], v[115:116], v[109:110]
	ds_read_b128 v[109:112], v108 offset:816
	ds_read_b128 v[113:116], v108 offset:832
	s_waitcnt vmcnt(8) lgkmcnt(1)
	v_fma_f64 v[109:110], v[133:134], v[109:110], v[117:118]
	s_waitcnt vmcnt(7)
	v_fma_f64 v[109:110], v[127:128], v[111:112], v[109:110]
	ds_read_b64 v[111:112], v108 offset:848
	s_waitcnt vmcnt(6) lgkmcnt(1)
	v_fma_f64 v[109:110], v[125:126], v[113:114], v[109:110]
	s_waitcnt vmcnt(3)
	v_fma_f64 v[109:110], v[121:122], v[115:116], v[109:110]
	s_waitcnt vmcnt(2) lgkmcnt(0)
	v_fma_f64 v[109:110], v[123:124], v[111:112], v[109:110]
	s_waitcnt vmcnt(0)
	v_add_f64 v[109:110], v[129:130], -v[109:110]
	buffer_store_dword v110, off, s[0:3], 0 offset:60
	buffer_store_dword v109, off, s[0:3], 0 offset:56
	s_and_saveexec_b64 s[4:5], vcc
	s_cbranch_execz .LBB116_313
; %bb.312:
	buffer_load_dword v109, off, s[0:3], 0 offset:48
	buffer_load_dword v110, off, s[0:3], 0 offset:52
	s_waitcnt vmcnt(0)
	ds_write_b64 v107, v[109:110]
	buffer_store_dword v108, off, s[0:3], 0 offset:48
	buffer_store_dword v108, off, s[0:3], 0 offset:52
.LBB116_313:
	s_or_b64 exec, exec, s[4:5]
	s_waitcnt lgkmcnt(0)
	; wave barrier
	buffer_load_dword v117, off, s[0:3], 0 offset:56
	buffer_load_dword v118, off, s[0:3], 0 offset:60
	buffer_load_dword v119, off, s[0:3], 0 offset:64
	buffer_load_dword v120, off, s[0:3], 0 offset:68
	buffer_load_dword v121, off, s[0:3], 0 offset:72
	buffer_load_dword v122, off, s[0:3], 0 offset:76
	buffer_load_dword v123, off, s[0:3], 0 offset:80
	buffer_load_dword v124, off, s[0:3], 0 offset:84
	buffer_load_dword v125, off, s[0:3], 0 offset:88
	buffer_load_dword v126, off, s[0:3], 0 offset:92
	buffer_load_dword v127, off, s[0:3], 0 offset:96
	buffer_load_dword v128, off, s[0:3], 0 offset:100
	buffer_load_dword v129, off, s[0:3], 0 offset:104
	buffer_load_dword v130, off, s[0:3], 0 offset:108
	buffer_load_dword v132, off, s[0:3], 0 offset:116
	buffer_load_dword v133, off, s[0:3], 0 offset:136
	buffer_load_dword v135, off, s[0:3], 0 offset:128
	buffer_load_dword v137, off, s[0:3], 0 offset:120
	buffer_load_dword v131, off, s[0:3], 0 offset:112
	buffer_load_dword v138, off, s[0:3], 0 offset:124
	buffer_load_dword v136, off, s[0:3], 0 offset:132
	ds_read2_b64 v[109:112], v108 offset0:61 offset1:62
	ds_read2_b64 v[113:116], v108 offset0:63 offset1:64
	buffer_load_dword v134, off, s[0:3], 0 offset:140
	v_cmp_lt_u32_e32 vcc, 5, v0
	s_waitcnt vmcnt(20) lgkmcnt(1)
	v_fma_f64 v[109:110], v[117:118], v[109:110], 0
	s_waitcnt vmcnt(18)
	v_fma_f64 v[109:110], v[119:120], v[111:112], v[109:110]
	buffer_load_dword v118, off, s[0:3], 0 offset:148
	buffer_load_dword v119, off, s[0:3], 0 offset:168
	;; [unrolled: 1-line block ×7, first 2 shown]
	s_waitcnt vmcnt(23) lgkmcnt(0)
	v_fma_f64 v[109:110], v[121:122], v[113:114], v[109:110]
	s_waitcnt vmcnt(21)
	v_fma_f64 v[120:121], v[123:124], v[115:116], v[109:110]
	ds_read2_b64 v[109:112], v108 offset0:65 offset1:66
	ds_read2_b64 v[113:116], v108 offset0:67 offset1:68
	s_waitcnt vmcnt(19) lgkmcnt(1)
	v_fma_f64 v[109:110], v[125:126], v[109:110], v[120:121]
	buffer_load_dword v120, off, s[0:3], 0 offset:172
	s_waitcnt vmcnt(18)
	v_fma_f64 v[109:110], v[127:128], v[111:112], v[109:110]
	buffer_load_dword v122, off, s[0:3], 0 offset:180
	buffer_load_dword v123, off, s[0:3], 0 offset:200
	;; [unrolled: 1-line block ×8, first 2 shown]
	s_waitcnt vmcnt(24) lgkmcnt(0)
	v_fma_f64 v[109:110], v[129:130], v[113:114], v[109:110]
	s_waitcnt vmcnt(19)
	v_fma_f64 v[129:130], v[131:132], v[115:116], v[109:110]
	ds_read2_b64 v[109:112], v108 offset0:69 offset1:70
	ds_read2_b64 v[113:116], v108 offset0:71 offset1:72
	s_waitcnt vmcnt(18) lgkmcnt(1)
	v_fma_f64 v[109:110], v[137:138], v[109:110], v[129:130]
	s_waitcnt vmcnt(17)
	v_fma_f64 v[109:110], v[135:136], v[111:112], v[109:110]
	buffer_load_dword v130, off, s[0:3], 0 offset:212
	buffer_load_dword v131, off, s[0:3], 0 offset:232
	;; [unrolled: 1-line block ×7, first 2 shown]
	s_waitcnt vmcnt(23) lgkmcnt(0)
	v_fma_f64 v[109:110], v[133:134], v[113:114], v[109:110]
	s_waitcnt vmcnt(18)
	v_fma_f64 v[117:118], v[117:118], v[115:116], v[109:110]
	ds_read2_b64 v[109:112], v108 offset0:73 offset1:74
	ds_read2_b64 v[113:116], v108 offset0:75 offset1:76
	buffer_load_dword v132, off, s[0:3], 0 offset:236
	s_waitcnt vmcnt(18) lgkmcnt(1)
	v_fma_f64 v[109:110], v[141:142], v[109:110], v[117:118]
	s_waitcnt vmcnt(17)
	v_fma_f64 v[109:110], v[139:140], v[111:112], v[109:110]
	buffer_load_dword v118, off, s[0:3], 0 offset:244
	buffer_load_dword v133, off, s[0:3], 0 offset:264
	;; [unrolled: 1-line block ×8, first 2 shown]
	s_waitcnt vmcnt(24) lgkmcnt(0)
	v_fma_f64 v[109:110], v[119:120], v[113:114], v[109:110]
	s_waitcnt vmcnt(19)
	v_fma_f64 v[119:120], v[121:122], v[115:116], v[109:110]
	ds_read2_b64 v[109:112], v108 offset0:77 offset1:78
	ds_read2_b64 v[113:116], v108 offset0:79 offset1:80
	s_waitcnt vmcnt(18) lgkmcnt(1)
	v_fma_f64 v[109:110], v[127:128], v[109:110], v[119:120]
	s_waitcnt vmcnt(17)
	v_fma_f64 v[109:110], v[125:126], v[111:112], v[109:110]
	buffer_load_dword v120, off, s[0:3], 0 offset:276
	buffer_load_dword v121, off, s[0:3], 0 offset:296
	;; [unrolled: 1-line block ×7, first 2 shown]
	s_waitcnt vmcnt(23) lgkmcnt(0)
	v_fma_f64 v[109:110], v[123:124], v[113:114], v[109:110]
	s_waitcnt vmcnt(18)
	v_fma_f64 v[122:123], v[129:130], v[115:116], v[109:110]
	ds_read2_b64 v[109:112], v108 offset0:81 offset1:82
	ds_read2_b64 v[113:116], v108 offset0:83 offset1:84
	s_waitcnt vmcnt(17) lgkmcnt(1)
	v_fma_f64 v[109:110], v[137:138], v[109:110], v[122:123]
	buffer_load_dword v122, off, s[0:3], 0 offset:300
	s_waitcnt vmcnt(17)
	v_fma_f64 v[109:110], v[135:136], v[111:112], v[109:110]
	buffer_load_dword v124, off, s[0:3], 0 offset:308
	buffer_load_dword v129, off, s[0:3], 0 offset:328
	;; [unrolled: 1-line block ×7, first 2 shown]
	s_waitcnt vmcnt(23) lgkmcnt(0)
	v_fma_f64 v[109:110], v[131:132], v[113:114], v[109:110]
	s_waitcnt vmcnt(18)
	v_fma_f64 v[117:118], v[117:118], v[115:116], v[109:110]
	ds_read2_b64 v[109:112], v108 offset0:85 offset1:86
	ds_read2_b64 v[113:116], v108 offset0:87 offset1:88
	buffer_load_dword v130, off, s[0:3], 0 offset:332
	s_waitcnt vmcnt(18) lgkmcnt(1)
	v_fma_f64 v[109:110], v[141:142], v[109:110], v[117:118]
	s_waitcnt vmcnt(17)
	v_fma_f64 v[109:110], v[139:140], v[111:112], v[109:110]
	buffer_load_dword v118, off, s[0:3], 0 offset:340
	buffer_load_dword v131, off, s[0:3], 0 offset:360
	;; [unrolled: 1-line block ×8, first 2 shown]
	s_waitcnt vmcnt(24) lgkmcnt(0)
	v_fma_f64 v[109:110], v[133:134], v[113:114], v[109:110]
	s_waitcnt vmcnt(19)
	v_fma_f64 v[119:120], v[119:120], v[115:116], v[109:110]
	ds_read2_b64 v[109:112], v108 offset0:89 offset1:90
	ds_read2_b64 v[113:116], v108 offset0:91 offset1:92
	s_waitcnt vmcnt(18) lgkmcnt(1)
	v_fma_f64 v[109:110], v[127:128], v[109:110], v[119:120]
	s_waitcnt vmcnt(17)
	v_fma_f64 v[109:110], v[125:126], v[111:112], v[109:110]
	buffer_load_dword v120, off, s[0:3], 0 offset:372
	buffer_load_dword v125, off, s[0:3], 0 offset:392
	;; [unrolled: 1-line block ×8, first 2 shown]
	s_waitcnt vmcnt(24) lgkmcnt(0)
	v_fma_f64 v[109:110], v[121:122], v[113:114], v[109:110]
	s_waitcnt vmcnt(19)
	v_fma_f64 v[121:122], v[123:124], v[115:116], v[109:110]
	ds_read2_b64 v[109:112], v108 offset0:93 offset1:94
	ds_read2_b64 v[113:116], v108 offset0:95 offset1:96
	s_waitcnt vmcnt(18) lgkmcnt(1)
	v_fma_f64 v[109:110], v[137:138], v[109:110], v[121:122]
	s_waitcnt vmcnt(17)
	v_fma_f64 v[109:110], v[135:136], v[111:112], v[109:110]
	buffer_load_dword v122, off, s[0:3], 0 offset:404
	buffer_load_dword v123, off, s[0:3], 0 offset:416
	;; [unrolled: 1-line block ×6, first 2 shown]
	s_waitcnt vmcnt(22) lgkmcnt(0)
	v_fma_f64 v[109:110], v[129:130], v[113:114], v[109:110]
	s_waitcnt vmcnt(17)
	v_fma_f64 v[117:118], v[117:118], v[115:116], v[109:110]
	ds_read2_b64 v[109:112], v108 offset0:97 offset1:98
	buffer_load_dword v129, off, s[0:3], 0 offset:48
	buffer_load_dword v130, off, s[0:3], 0 offset:52
	ds_read2_b64 v[113:116], v108 offset0:99 offset1:100
	s_waitcnt vmcnt(18) lgkmcnt(1)
	v_fma_f64 v[109:110], v[141:142], v[109:110], v[117:118]
	s_waitcnt vmcnt(17)
	v_fma_f64 v[109:110], v[139:140], v[111:112], v[109:110]
	s_waitcnt vmcnt(16) lgkmcnt(0)
	v_fma_f64 v[109:110], v[131:132], v[113:114], v[109:110]
	s_waitcnt vmcnt(11)
	v_fma_f64 v[117:118], v[119:120], v[115:116], v[109:110]
	ds_read2_b64 v[109:112], v108 offset0:101 offset1:102
	ds_read2_b64 v[113:116], v108 offset0:103 offset1:104
	s_waitcnt vmcnt(10) lgkmcnt(1)
	v_fma_f64 v[109:110], v[133:134], v[109:110], v[117:118]
	s_waitcnt vmcnt(9)
	v_fma_f64 v[109:110], v[127:128], v[111:112], v[109:110]
	s_waitcnt vmcnt(8) lgkmcnt(0)
	v_fma_f64 v[109:110], v[125:126], v[113:114], v[109:110]
	s_waitcnt vmcnt(4)
	v_fma_f64 v[112:113], v[121:122], v[115:116], v[109:110]
	ds_read2_b64 v[108:111], v108 offset0:105 offset1:106
	s_waitcnt vmcnt(3) lgkmcnt(0)
	v_fma_f64 v[108:109], v[135:136], v[108:109], v[112:113]
	s_waitcnt vmcnt(2)
	v_fma_f64 v[108:109], v[123:124], v[110:111], v[108:109]
	s_waitcnt vmcnt(0)
	v_add_f64 v[108:109], v[129:130], -v[108:109]
	buffer_store_dword v109, off, s[0:3], 0 offset:52
	buffer_store_dword v108, off, s[0:3], 0 offset:48
	s_and_saveexec_b64 s[4:5], vcc
	s_cbranch_execz .LBB116_315
; %bb.314:
	buffer_load_dword v108, off, s[0:3], 0 offset:40
	buffer_load_dword v109, off, s[0:3], 0 offset:44
	v_mov_b32_e32 v110, 0
	buffer_store_dword v110, off, s[0:3], 0 offset:40
	buffer_store_dword v110, off, s[0:3], 0 offset:44
	s_waitcnt vmcnt(2)
	ds_write_b64 v107, v[108:109]
.LBB116_315:
	s_or_b64 exec, exec, s[4:5]
	s_waitcnt lgkmcnt(0)
	; wave barrier
	buffer_load_dword v117, off, s[0:3], 0 offset:48
	buffer_load_dword v118, off, s[0:3], 0 offset:52
	;; [unrolled: 1-line block ×21, first 2 shown]
	v_mov_b32_e32 v108, 0
	ds_read_b128 v[109:112], v108 offset:480
	ds_read_b128 v[113:116], v108 offset:496
	buffer_load_dword v134, off, s[0:3], 0 offset:132
	v_cmp_lt_u32_e32 vcc, 4, v0
	s_waitcnt vmcnt(20) lgkmcnt(1)
	v_fma_f64 v[109:110], v[117:118], v[109:110], 0
	s_waitcnt vmcnt(18)
	v_fma_f64 v[109:110], v[119:120], v[111:112], v[109:110]
	buffer_load_dword v118, off, s[0:3], 0 offset:140
	buffer_load_dword v119, off, s[0:3], 0 offset:160
	;; [unrolled: 1-line block ×7, first 2 shown]
	s_waitcnt vmcnt(23) lgkmcnt(0)
	v_fma_f64 v[109:110], v[121:122], v[113:114], v[109:110]
	s_waitcnt vmcnt(21)
	v_fma_f64 v[120:121], v[123:124], v[115:116], v[109:110]
	ds_read_b128 v[109:112], v108 offset:512
	ds_read_b128 v[113:116], v108 offset:528
	s_waitcnt vmcnt(19) lgkmcnt(1)
	v_fma_f64 v[109:110], v[125:126], v[109:110], v[120:121]
	buffer_load_dword v120, off, s[0:3], 0 offset:164
	s_waitcnt vmcnt(18)
	v_fma_f64 v[109:110], v[127:128], v[111:112], v[109:110]
	buffer_load_dword v122, off, s[0:3], 0 offset:172
	buffer_load_dword v123, off, s[0:3], 0 offset:192
	;; [unrolled: 1-line block ×8, first 2 shown]
	s_waitcnt vmcnt(24) lgkmcnt(0)
	v_fma_f64 v[109:110], v[129:130], v[113:114], v[109:110]
	s_waitcnt vmcnt(19)
	v_fma_f64 v[129:130], v[131:132], v[115:116], v[109:110]
	ds_read_b128 v[109:112], v108 offset:544
	ds_read_b128 v[113:116], v108 offset:560
	s_waitcnt vmcnt(18) lgkmcnt(1)
	v_fma_f64 v[109:110], v[137:138], v[109:110], v[129:130]
	s_waitcnt vmcnt(17)
	v_fma_f64 v[109:110], v[135:136], v[111:112], v[109:110]
	buffer_load_dword v130, off, s[0:3], 0 offset:204
	buffer_load_dword v131, off, s[0:3], 0 offset:224
	;; [unrolled: 1-line block ×7, first 2 shown]
	s_waitcnt vmcnt(23) lgkmcnt(0)
	v_fma_f64 v[109:110], v[133:134], v[113:114], v[109:110]
	s_waitcnt vmcnt(18)
	v_fma_f64 v[117:118], v[117:118], v[115:116], v[109:110]
	ds_read_b128 v[109:112], v108 offset:576
	ds_read_b128 v[113:116], v108 offset:592
	buffer_load_dword v132, off, s[0:3], 0 offset:228
	s_waitcnt vmcnt(18) lgkmcnt(1)
	v_fma_f64 v[109:110], v[141:142], v[109:110], v[117:118]
	s_waitcnt vmcnt(17)
	v_fma_f64 v[109:110], v[139:140], v[111:112], v[109:110]
	buffer_load_dword v118, off, s[0:3], 0 offset:236
	buffer_load_dword v133, off, s[0:3], 0 offset:256
	;; [unrolled: 1-line block ×8, first 2 shown]
	s_waitcnt vmcnt(24) lgkmcnt(0)
	v_fma_f64 v[109:110], v[119:120], v[113:114], v[109:110]
	s_waitcnt vmcnt(19)
	v_fma_f64 v[119:120], v[121:122], v[115:116], v[109:110]
	ds_read_b128 v[109:112], v108 offset:608
	ds_read_b128 v[113:116], v108 offset:624
	s_waitcnt vmcnt(18) lgkmcnt(1)
	v_fma_f64 v[109:110], v[127:128], v[109:110], v[119:120]
	s_waitcnt vmcnt(17)
	v_fma_f64 v[109:110], v[125:126], v[111:112], v[109:110]
	buffer_load_dword v120, off, s[0:3], 0 offset:268
	buffer_load_dword v121, off, s[0:3], 0 offset:288
	buffer_load_dword v125, off, s[0:3], 0 offset:280
	buffer_load_dword v127, off, s[0:3], 0 offset:272
	buffer_load_dword v119, off, s[0:3], 0 offset:264
	buffer_load_dword v128, off, s[0:3], 0 offset:276
	buffer_load_dword v126, off, s[0:3], 0 offset:284
	s_waitcnt vmcnt(23) lgkmcnt(0)
	v_fma_f64 v[109:110], v[123:124], v[113:114], v[109:110]
	s_waitcnt vmcnt(18)
	v_fma_f64 v[122:123], v[129:130], v[115:116], v[109:110]
	ds_read_b128 v[109:112], v108 offset:640
	ds_read_b128 v[113:116], v108 offset:656
	s_waitcnt vmcnt(17) lgkmcnt(1)
	v_fma_f64 v[109:110], v[137:138], v[109:110], v[122:123]
	buffer_load_dword v122, off, s[0:3], 0 offset:292
	s_waitcnt vmcnt(17)
	v_fma_f64 v[109:110], v[135:136], v[111:112], v[109:110]
	buffer_load_dword v124, off, s[0:3], 0 offset:300
	buffer_load_dword v129, off, s[0:3], 0 offset:320
	;; [unrolled: 1-line block ×7, first 2 shown]
	s_waitcnt vmcnt(23) lgkmcnt(0)
	v_fma_f64 v[109:110], v[131:132], v[113:114], v[109:110]
	s_waitcnt vmcnt(18)
	v_fma_f64 v[117:118], v[117:118], v[115:116], v[109:110]
	ds_read_b128 v[109:112], v108 offset:672
	ds_read_b128 v[113:116], v108 offset:688
	buffer_load_dword v130, off, s[0:3], 0 offset:324
	s_waitcnt vmcnt(18) lgkmcnt(1)
	v_fma_f64 v[109:110], v[141:142], v[109:110], v[117:118]
	s_waitcnt vmcnt(17)
	v_fma_f64 v[109:110], v[139:140], v[111:112], v[109:110]
	buffer_load_dword v118, off, s[0:3], 0 offset:332
	buffer_load_dword v131, off, s[0:3], 0 offset:352
	buffer_load_dword v139, off, s[0:3], 0 offset:344
	buffer_load_dword v141, off, s[0:3], 0 offset:336
	buffer_load_dword v117, off, s[0:3], 0 offset:328
	buffer_load_dword v142, off, s[0:3], 0 offset:340
	buffer_load_dword v140, off, s[0:3], 0 offset:348
	buffer_load_dword v132, off, s[0:3], 0 offset:356
	s_waitcnt vmcnt(24) lgkmcnt(0)
	v_fma_f64 v[109:110], v[133:134], v[113:114], v[109:110]
	s_waitcnt vmcnt(19)
	v_fma_f64 v[119:120], v[119:120], v[115:116], v[109:110]
	ds_read_b128 v[109:112], v108 offset:704
	ds_read_b128 v[113:116], v108 offset:720
	s_waitcnt vmcnt(18) lgkmcnt(1)
	v_fma_f64 v[109:110], v[127:128], v[109:110], v[119:120]
	s_waitcnt vmcnt(17)
	v_fma_f64 v[109:110], v[125:126], v[111:112], v[109:110]
	buffer_load_dword v120, off, s[0:3], 0 offset:364
	buffer_load_dword v125, off, s[0:3], 0 offset:384
	buffer_load_dword v127, off, s[0:3], 0 offset:376
	buffer_load_dword v133, off, s[0:3], 0 offset:368
	buffer_load_dword v119, off, s[0:3], 0 offset:360
	buffer_load_dword v134, off, s[0:3], 0 offset:372
	buffer_load_dword v128, off, s[0:3], 0 offset:380
	buffer_load_dword v126, off, s[0:3], 0 offset:388
	s_waitcnt vmcnt(24) lgkmcnt(0)
	v_fma_f64 v[109:110], v[121:122], v[113:114], v[109:110]
	s_waitcnt vmcnt(19)
	v_fma_f64 v[121:122], v[123:124], v[115:116], v[109:110]
	ds_read_b128 v[109:112], v108 offset:736
	ds_read_b128 v[113:116], v108 offset:752
	;; [unrolled: 18-line block ×3, first 2 shown]
	s_waitcnt vmcnt(18) lgkmcnt(1)
	v_fma_f64 v[109:110], v[141:142], v[109:110], v[117:118]
	buffer_load_dword v117, off, s[0:3], 0 offset:40
	buffer_load_dword v118, off, s[0:3], 0 offset:44
	s_waitcnt vmcnt(19)
	v_fma_f64 v[109:110], v[139:140], v[111:112], v[109:110]
	s_waitcnt vmcnt(18) lgkmcnt(0)
	v_fma_f64 v[109:110], v[131:132], v[113:114], v[109:110]
	s_waitcnt vmcnt(13)
	v_fma_f64 v[119:120], v[119:120], v[115:116], v[109:110]
	ds_read_b128 v[109:112], v108 offset:800
	ds_read_b128 v[113:116], v108 offset:816
	s_waitcnt vmcnt(12) lgkmcnt(1)
	v_fma_f64 v[109:110], v[133:134], v[109:110], v[119:120]
	s_waitcnt vmcnt(11)
	v_fma_f64 v[109:110], v[127:128], v[111:112], v[109:110]
	s_waitcnt vmcnt(10) lgkmcnt(0)
	v_fma_f64 v[109:110], v[125:126], v[113:114], v[109:110]
	s_waitcnt vmcnt(5)
	v_fma_f64 v[113:114], v[121:122], v[115:116], v[109:110]
	ds_read_b128 v[109:112], v108 offset:832
	ds_read_b64 v[115:116], v108 offset:848
	s_waitcnt vmcnt(4) lgkmcnt(1)
	v_fma_f64 v[109:110], v[137:138], v[109:110], v[113:114]
	s_waitcnt vmcnt(3)
	v_fma_f64 v[109:110], v[135:136], v[111:112], v[109:110]
	s_waitcnt vmcnt(2) lgkmcnt(0)
	v_fma_f64 v[109:110], v[123:124], v[115:116], v[109:110]
	s_waitcnt vmcnt(0)
	v_add_f64 v[109:110], v[117:118], -v[109:110]
	buffer_store_dword v110, off, s[0:3], 0 offset:44
	buffer_store_dword v109, off, s[0:3], 0 offset:40
	s_and_saveexec_b64 s[4:5], vcc
	s_cbranch_execz .LBB116_317
; %bb.316:
	buffer_load_dword v109, off, s[0:3], 0 offset:32
	buffer_load_dword v110, off, s[0:3], 0 offset:36
	s_waitcnt vmcnt(0)
	ds_write_b64 v107, v[109:110]
	buffer_store_dword v108, off, s[0:3], 0 offset:32
	buffer_store_dword v108, off, s[0:3], 0 offset:36
.LBB116_317:
	s_or_b64 exec, exec, s[4:5]
	s_waitcnt lgkmcnt(0)
	; wave barrier
	buffer_load_dword v117, off, s[0:3], 0 offset:40
	buffer_load_dword v118, off, s[0:3], 0 offset:44
	;; [unrolled: 1-line block ×21, first 2 shown]
	ds_read2_b64 v[109:112], v108 offset0:59 offset1:60
	ds_read2_b64 v[113:116], v108 offset0:61 offset1:62
	buffer_load_dword v134, off, s[0:3], 0 offset:124
	v_cmp_lt_u32_e32 vcc, 3, v0
	s_waitcnt vmcnt(20) lgkmcnt(1)
	v_fma_f64 v[109:110], v[117:118], v[109:110], 0
	s_waitcnt vmcnt(18)
	v_fma_f64 v[109:110], v[119:120], v[111:112], v[109:110]
	buffer_load_dword v118, off, s[0:3], 0 offset:132
	buffer_load_dword v119, off, s[0:3], 0 offset:152
	;; [unrolled: 1-line block ×7, first 2 shown]
	s_waitcnt vmcnt(23) lgkmcnt(0)
	v_fma_f64 v[109:110], v[121:122], v[113:114], v[109:110]
	s_waitcnt vmcnt(21)
	v_fma_f64 v[120:121], v[123:124], v[115:116], v[109:110]
	ds_read2_b64 v[109:112], v108 offset0:63 offset1:64
	ds_read2_b64 v[113:116], v108 offset0:65 offset1:66
	s_waitcnt vmcnt(19) lgkmcnt(1)
	v_fma_f64 v[109:110], v[125:126], v[109:110], v[120:121]
	buffer_load_dword v120, off, s[0:3], 0 offset:156
	s_waitcnt vmcnt(18)
	v_fma_f64 v[109:110], v[127:128], v[111:112], v[109:110]
	buffer_load_dword v122, off, s[0:3], 0 offset:164
	buffer_load_dword v123, off, s[0:3], 0 offset:184
	;; [unrolled: 1-line block ×8, first 2 shown]
	s_waitcnt vmcnt(24) lgkmcnt(0)
	v_fma_f64 v[109:110], v[129:130], v[113:114], v[109:110]
	s_waitcnt vmcnt(19)
	v_fma_f64 v[129:130], v[131:132], v[115:116], v[109:110]
	ds_read2_b64 v[109:112], v108 offset0:67 offset1:68
	ds_read2_b64 v[113:116], v108 offset0:69 offset1:70
	s_waitcnt vmcnt(18) lgkmcnt(1)
	v_fma_f64 v[109:110], v[137:138], v[109:110], v[129:130]
	s_waitcnt vmcnt(17)
	v_fma_f64 v[109:110], v[135:136], v[111:112], v[109:110]
	buffer_load_dword v130, off, s[0:3], 0 offset:196
	buffer_load_dword v131, off, s[0:3], 0 offset:216
	;; [unrolled: 1-line block ×7, first 2 shown]
	s_waitcnt vmcnt(23) lgkmcnt(0)
	v_fma_f64 v[109:110], v[133:134], v[113:114], v[109:110]
	s_waitcnt vmcnt(18)
	v_fma_f64 v[117:118], v[117:118], v[115:116], v[109:110]
	ds_read2_b64 v[109:112], v108 offset0:71 offset1:72
	ds_read2_b64 v[113:116], v108 offset0:73 offset1:74
	buffer_load_dword v132, off, s[0:3], 0 offset:220
	s_waitcnt vmcnt(18) lgkmcnt(1)
	v_fma_f64 v[109:110], v[141:142], v[109:110], v[117:118]
	s_waitcnt vmcnt(17)
	v_fma_f64 v[109:110], v[139:140], v[111:112], v[109:110]
	buffer_load_dword v118, off, s[0:3], 0 offset:228
	buffer_load_dword v133, off, s[0:3], 0 offset:248
	;; [unrolled: 1-line block ×8, first 2 shown]
	s_waitcnt vmcnt(24) lgkmcnt(0)
	v_fma_f64 v[109:110], v[119:120], v[113:114], v[109:110]
	s_waitcnt vmcnt(19)
	v_fma_f64 v[119:120], v[121:122], v[115:116], v[109:110]
	ds_read2_b64 v[109:112], v108 offset0:75 offset1:76
	ds_read2_b64 v[113:116], v108 offset0:77 offset1:78
	s_waitcnt vmcnt(18) lgkmcnt(1)
	v_fma_f64 v[109:110], v[127:128], v[109:110], v[119:120]
	s_waitcnt vmcnt(17)
	v_fma_f64 v[109:110], v[125:126], v[111:112], v[109:110]
	buffer_load_dword v120, off, s[0:3], 0 offset:260
	buffer_load_dword v121, off, s[0:3], 0 offset:280
	;; [unrolled: 1-line block ×7, first 2 shown]
	s_waitcnt vmcnt(23) lgkmcnt(0)
	v_fma_f64 v[109:110], v[123:124], v[113:114], v[109:110]
	s_waitcnt vmcnt(18)
	v_fma_f64 v[122:123], v[129:130], v[115:116], v[109:110]
	ds_read2_b64 v[109:112], v108 offset0:79 offset1:80
	ds_read2_b64 v[113:116], v108 offset0:81 offset1:82
	s_waitcnt vmcnt(17) lgkmcnt(1)
	v_fma_f64 v[109:110], v[137:138], v[109:110], v[122:123]
	buffer_load_dword v122, off, s[0:3], 0 offset:284
	s_waitcnt vmcnt(17)
	v_fma_f64 v[109:110], v[135:136], v[111:112], v[109:110]
	buffer_load_dword v124, off, s[0:3], 0 offset:292
	buffer_load_dword v129, off, s[0:3], 0 offset:312
	;; [unrolled: 1-line block ×7, first 2 shown]
	s_waitcnt vmcnt(23) lgkmcnt(0)
	v_fma_f64 v[109:110], v[131:132], v[113:114], v[109:110]
	s_waitcnt vmcnt(18)
	v_fma_f64 v[117:118], v[117:118], v[115:116], v[109:110]
	ds_read2_b64 v[109:112], v108 offset0:83 offset1:84
	ds_read2_b64 v[113:116], v108 offset0:85 offset1:86
	buffer_load_dword v130, off, s[0:3], 0 offset:316
	s_waitcnt vmcnt(18) lgkmcnt(1)
	v_fma_f64 v[109:110], v[141:142], v[109:110], v[117:118]
	s_waitcnt vmcnt(17)
	v_fma_f64 v[109:110], v[139:140], v[111:112], v[109:110]
	buffer_load_dword v118, off, s[0:3], 0 offset:324
	buffer_load_dword v131, off, s[0:3], 0 offset:344
	buffer_load_dword v139, off, s[0:3], 0 offset:336
	buffer_load_dword v141, off, s[0:3], 0 offset:328
	buffer_load_dword v117, off, s[0:3], 0 offset:320
	buffer_load_dword v142, off, s[0:3], 0 offset:332
	buffer_load_dword v140, off, s[0:3], 0 offset:340
	buffer_load_dword v132, off, s[0:3], 0 offset:348
	s_waitcnt vmcnt(24) lgkmcnt(0)
	v_fma_f64 v[109:110], v[133:134], v[113:114], v[109:110]
	s_waitcnt vmcnt(19)
	v_fma_f64 v[119:120], v[119:120], v[115:116], v[109:110]
	ds_read2_b64 v[109:112], v108 offset0:87 offset1:88
	ds_read2_b64 v[113:116], v108 offset0:89 offset1:90
	s_waitcnt vmcnt(18) lgkmcnt(1)
	v_fma_f64 v[109:110], v[127:128], v[109:110], v[119:120]
	s_waitcnt vmcnt(17)
	v_fma_f64 v[109:110], v[125:126], v[111:112], v[109:110]
	buffer_load_dword v120, off, s[0:3], 0 offset:356
	buffer_load_dword v125, off, s[0:3], 0 offset:376
	buffer_load_dword v127, off, s[0:3], 0 offset:368
	buffer_load_dword v133, off, s[0:3], 0 offset:360
	buffer_load_dword v119, off, s[0:3], 0 offset:352
	buffer_load_dword v134, off, s[0:3], 0 offset:364
	buffer_load_dword v128, off, s[0:3], 0 offset:372
	buffer_load_dword v126, off, s[0:3], 0 offset:380
	s_waitcnt vmcnt(24) lgkmcnt(0)
	v_fma_f64 v[109:110], v[121:122], v[113:114], v[109:110]
	s_waitcnt vmcnt(19)
	v_fma_f64 v[121:122], v[123:124], v[115:116], v[109:110]
	ds_read2_b64 v[109:112], v108 offset0:91 offset1:92
	ds_read2_b64 v[113:116], v108 offset0:93 offset1:94
	s_waitcnt vmcnt(18) lgkmcnt(1)
	v_fma_f64 v[109:110], v[137:138], v[109:110], v[121:122]
	s_waitcnt vmcnt(17)
	v_fma_f64 v[109:110], v[135:136], v[111:112], v[109:110]
	buffer_load_dword v122, off, s[0:3], 0 offset:388
	buffer_load_dword v123, off, s[0:3], 0 offset:408
	buffer_load_dword v135, off, s[0:3], 0 offset:400
	buffer_load_dword v137, off, s[0:3], 0 offset:392
	buffer_load_dword v121, off, s[0:3], 0 offset:384
	buffer_load_dword v138, off, s[0:3], 0 offset:396
	buffer_load_dword v136, off, s[0:3], 0 offset:404
	buffer_load_dword v124, off, s[0:3], 0 offset:412
	s_waitcnt vmcnt(24) lgkmcnt(0)
	v_fma_f64 v[109:110], v[129:130], v[113:114], v[109:110]
	s_waitcnt vmcnt(19)
	v_fma_f64 v[117:118], v[117:118], v[115:116], v[109:110]
	ds_read2_b64 v[109:112], v108 offset0:95 offset1:96
	ds_read2_b64 v[113:116], v108 offset0:97 offset1:98
	s_waitcnt vmcnt(18) lgkmcnt(1)
	v_fma_f64 v[109:110], v[141:142], v[109:110], v[117:118]
	buffer_load_dword v118, off, s[0:3], 0 offset:420
	buffer_load_dword v117, off, s[0:3], 0 offset:416
	;; [unrolled: 1-line block ×4, first 2 shown]
	s_waitcnt vmcnt(21)
	v_fma_f64 v[109:110], v[139:140], v[111:112], v[109:110]
	s_waitcnt vmcnt(20) lgkmcnt(0)
	v_fma_f64 v[109:110], v[131:132], v[113:114], v[109:110]
	s_waitcnt vmcnt(15)
	v_fma_f64 v[119:120], v[119:120], v[115:116], v[109:110]
	ds_read2_b64 v[109:112], v108 offset0:99 offset1:100
	ds_read2_b64 v[113:116], v108 offset0:101 offset1:102
	s_waitcnt vmcnt(14) lgkmcnt(1)
	v_fma_f64 v[109:110], v[133:134], v[109:110], v[119:120]
	s_waitcnt vmcnt(13)
	v_fma_f64 v[109:110], v[127:128], v[111:112], v[109:110]
	s_waitcnt vmcnt(12) lgkmcnt(0)
	v_fma_f64 v[109:110], v[125:126], v[113:114], v[109:110]
	s_waitcnt vmcnt(7)
	v_fma_f64 v[119:120], v[121:122], v[115:116], v[109:110]
	ds_read2_b64 v[109:112], v108 offset0:103 offset1:104
	ds_read2_b64 v[113:116], v108 offset0:105 offset1:106
	s_waitcnt vmcnt(6) lgkmcnt(1)
	v_fma_f64 v[108:109], v[137:138], v[109:110], v[119:120]
	s_waitcnt vmcnt(5)
	v_fma_f64 v[108:109], v[135:136], v[111:112], v[108:109]
	s_waitcnt vmcnt(4) lgkmcnt(0)
	v_fma_f64 v[108:109], v[123:124], v[113:114], v[108:109]
	s_waitcnt vmcnt(2)
	v_fma_f64 v[108:109], v[117:118], v[115:116], v[108:109]
	s_waitcnt vmcnt(0)
	v_add_f64 v[108:109], v[129:130], -v[108:109]
	buffer_store_dword v109, off, s[0:3], 0 offset:36
	buffer_store_dword v108, off, s[0:3], 0 offset:32
	s_and_saveexec_b64 s[4:5], vcc
	s_cbranch_execz .LBB116_319
; %bb.318:
	buffer_load_dword v108, off, s[0:3], 0 offset:24
	buffer_load_dword v109, off, s[0:3], 0 offset:28
	v_mov_b32_e32 v110, 0
	buffer_store_dword v110, off, s[0:3], 0 offset:24
	buffer_store_dword v110, off, s[0:3], 0 offset:28
	s_waitcnt vmcnt(2)
	ds_write_b64 v107, v[108:109]
.LBB116_319:
	s_or_b64 exec, exec, s[4:5]
	s_waitcnt lgkmcnt(0)
	; wave barrier
	buffer_load_dword v117, off, s[0:3], 0 offset:32
	buffer_load_dword v118, off, s[0:3], 0 offset:36
	;; [unrolled: 1-line block ×21, first 2 shown]
	v_mov_b32_e32 v108, 0
	ds_read_b128 v[109:112], v108 offset:464
	ds_read_b128 v[113:116], v108 offset:480
	buffer_load_dword v134, off, s[0:3], 0 offset:116
	v_cmp_lt_u32_e32 vcc, 2, v0
	s_waitcnt vmcnt(20) lgkmcnt(1)
	v_fma_f64 v[109:110], v[117:118], v[109:110], 0
	s_waitcnt vmcnt(18)
	v_fma_f64 v[109:110], v[119:120], v[111:112], v[109:110]
	buffer_load_dword v118, off, s[0:3], 0 offset:124
	buffer_load_dword v119, off, s[0:3], 0 offset:144
	;; [unrolled: 1-line block ×7, first 2 shown]
	s_waitcnt vmcnt(23) lgkmcnt(0)
	v_fma_f64 v[109:110], v[121:122], v[113:114], v[109:110]
	s_waitcnt vmcnt(21)
	v_fma_f64 v[120:121], v[123:124], v[115:116], v[109:110]
	ds_read_b128 v[109:112], v108 offset:496
	ds_read_b128 v[113:116], v108 offset:512
	s_waitcnt vmcnt(19) lgkmcnt(1)
	v_fma_f64 v[109:110], v[125:126], v[109:110], v[120:121]
	buffer_load_dword v120, off, s[0:3], 0 offset:148
	s_waitcnt vmcnt(18)
	v_fma_f64 v[109:110], v[127:128], v[111:112], v[109:110]
	buffer_load_dword v122, off, s[0:3], 0 offset:156
	buffer_load_dword v123, off, s[0:3], 0 offset:176
	;; [unrolled: 1-line block ×8, first 2 shown]
	s_waitcnt vmcnt(24) lgkmcnt(0)
	v_fma_f64 v[109:110], v[129:130], v[113:114], v[109:110]
	s_waitcnt vmcnt(19)
	v_fma_f64 v[129:130], v[131:132], v[115:116], v[109:110]
	ds_read_b128 v[109:112], v108 offset:528
	ds_read_b128 v[113:116], v108 offset:544
	s_waitcnt vmcnt(18) lgkmcnt(1)
	v_fma_f64 v[109:110], v[137:138], v[109:110], v[129:130]
	s_waitcnt vmcnt(17)
	v_fma_f64 v[109:110], v[135:136], v[111:112], v[109:110]
	buffer_load_dword v130, off, s[0:3], 0 offset:188
	buffer_load_dword v131, off, s[0:3], 0 offset:208
	;; [unrolled: 1-line block ×7, first 2 shown]
	s_waitcnt vmcnt(23) lgkmcnt(0)
	v_fma_f64 v[109:110], v[133:134], v[113:114], v[109:110]
	s_waitcnt vmcnt(18)
	v_fma_f64 v[117:118], v[117:118], v[115:116], v[109:110]
	ds_read_b128 v[109:112], v108 offset:560
	ds_read_b128 v[113:116], v108 offset:576
	buffer_load_dword v132, off, s[0:3], 0 offset:212
	s_waitcnt vmcnt(18) lgkmcnt(1)
	v_fma_f64 v[109:110], v[141:142], v[109:110], v[117:118]
	s_waitcnt vmcnt(17)
	v_fma_f64 v[109:110], v[139:140], v[111:112], v[109:110]
	buffer_load_dword v118, off, s[0:3], 0 offset:220
	buffer_load_dword v133, off, s[0:3], 0 offset:240
	;; [unrolled: 1-line block ×7, first 2 shown]
	s_waitcnt vmcnt(23) lgkmcnt(0)
	v_fma_f64 v[109:110], v[119:120], v[113:114], v[109:110]
	s_waitcnt vmcnt(18)
	v_fma_f64 v[119:120], v[121:122], v[115:116], v[109:110]
	ds_read_b128 v[109:112], v108 offset:592
	ds_read_b128 v[113:116], v108 offset:608
	buffer_load_dword v134, off, s[0:3], 0 offset:244
	s_waitcnt vmcnt(18) lgkmcnt(1)
	v_fma_f64 v[109:110], v[127:128], v[109:110], v[119:120]
	s_waitcnt vmcnt(17)
	v_fma_f64 v[109:110], v[125:126], v[111:112], v[109:110]
	buffer_load_dword v120, off, s[0:3], 0 offset:252
	buffer_load_dword v121, off, s[0:3], 0 offset:272
	;; [unrolled: 1-line block ×7, first 2 shown]
	s_waitcnt vmcnt(23) lgkmcnt(0)
	v_fma_f64 v[109:110], v[123:124], v[113:114], v[109:110]
	s_waitcnt vmcnt(18)
	v_fma_f64 v[122:123], v[129:130], v[115:116], v[109:110]
	ds_read_b128 v[109:112], v108 offset:624
	ds_read_b128 v[113:116], v108 offset:640
	s_waitcnt vmcnt(17) lgkmcnt(1)
	v_fma_f64 v[109:110], v[137:138], v[109:110], v[122:123]
	buffer_load_dword v122, off, s[0:3], 0 offset:276
	s_waitcnt vmcnt(17)
	v_fma_f64 v[109:110], v[135:136], v[111:112], v[109:110]
	buffer_load_dword v124, off, s[0:3], 0 offset:284
	buffer_load_dword v129, off, s[0:3], 0 offset:304
	buffer_load_dword v135, off, s[0:3], 0 offset:296
	buffer_load_dword v137, off, s[0:3], 0 offset:288
	buffer_load_dword v123, off, s[0:3], 0 offset:280
	buffer_load_dword v138, off, s[0:3], 0 offset:292
	buffer_load_dword v136, off, s[0:3], 0 offset:300
	s_waitcnt vmcnt(23) lgkmcnt(0)
	v_fma_f64 v[109:110], v[131:132], v[113:114], v[109:110]
	s_waitcnt vmcnt(18)
	v_fma_f64 v[117:118], v[117:118], v[115:116], v[109:110]
	ds_read_b128 v[109:112], v108 offset:656
	ds_read_b128 v[113:116], v108 offset:672
	buffer_load_dword v130, off, s[0:3], 0 offset:308
	s_waitcnt vmcnt(18) lgkmcnt(1)
	v_fma_f64 v[109:110], v[141:142], v[109:110], v[117:118]
	s_waitcnt vmcnt(17)
	v_fma_f64 v[109:110], v[139:140], v[111:112], v[109:110]
	buffer_load_dword v118, off, s[0:3], 0 offset:316
	buffer_load_dword v131, off, s[0:3], 0 offset:336
	buffer_load_dword v139, off, s[0:3], 0 offset:328
	buffer_load_dword v141, off, s[0:3], 0 offset:320
	buffer_load_dword v117, off, s[0:3], 0 offset:312
	buffer_load_dword v142, off, s[0:3], 0 offset:324
	buffer_load_dword v140, off, s[0:3], 0 offset:332
	s_waitcnt vmcnt(23) lgkmcnt(0)
	v_fma_f64 v[109:110], v[133:134], v[113:114], v[109:110]
	s_waitcnt vmcnt(18)
	v_fma_f64 v[119:120], v[119:120], v[115:116], v[109:110]
	ds_read_b128 v[109:112], v108 offset:688
	ds_read_b128 v[113:116], v108 offset:704
	buffer_load_dword v132, off, s[0:3], 0 offset:340
	s_waitcnt vmcnt(18) lgkmcnt(1)
	v_fma_f64 v[109:110], v[127:128], v[109:110], v[119:120]
	s_waitcnt vmcnt(17)
	v_fma_f64 v[109:110], v[125:126], v[111:112], v[109:110]
	buffer_load_dword v120, off, s[0:3], 0 offset:348
	buffer_load_dword v125, off, s[0:3], 0 offset:368
	;; [unrolled: 1-line block ×8, first 2 shown]
	s_waitcnt vmcnt(24) lgkmcnt(0)
	v_fma_f64 v[109:110], v[121:122], v[113:114], v[109:110]
	s_waitcnt vmcnt(19)
	v_fma_f64 v[121:122], v[123:124], v[115:116], v[109:110]
	ds_read_b128 v[109:112], v108 offset:720
	ds_read_b128 v[113:116], v108 offset:736
	s_waitcnt vmcnt(18) lgkmcnt(1)
	v_fma_f64 v[109:110], v[137:138], v[109:110], v[121:122]
	s_waitcnt vmcnt(17)
	v_fma_f64 v[109:110], v[135:136], v[111:112], v[109:110]
	buffer_load_dword v122, off, s[0:3], 0 offset:380
	buffer_load_dword v123, off, s[0:3], 0 offset:400
	;; [unrolled: 1-line block ×7, first 2 shown]
	s_waitcnt vmcnt(23) lgkmcnt(0)
	v_fma_f64 v[109:110], v[129:130], v[113:114], v[109:110]
	s_waitcnt vmcnt(18)
	v_fma_f64 v[117:118], v[117:118], v[115:116], v[109:110]
	ds_read_b128 v[109:112], v108 offset:752
	ds_read_b128 v[113:116], v108 offset:768
	buffer_load_dword v124, off, s[0:3], 0 offset:404
	s_waitcnt vmcnt(18) lgkmcnt(1)
	v_fma_f64 v[109:110], v[141:142], v[109:110], v[117:118]
	buffer_load_dword v118, off, s[0:3], 0 offset:412
	buffer_load_dword v129, off, s[0:3], 0 offset:416
	;; [unrolled: 1-line block ×4, first 2 shown]
	s_waitcnt vmcnt(21)
	v_fma_f64 v[109:110], v[139:140], v[111:112], v[109:110]
	s_waitcnt vmcnt(20) lgkmcnt(0)
	v_fma_f64 v[109:110], v[131:132], v[113:114], v[109:110]
	buffer_load_dword v131, off, s[0:3], 0 offset:24
	buffer_load_dword v132, off, s[0:3], 0 offset:28
	s_waitcnt vmcnt(17)
	v_fma_f64 v[119:120], v[119:120], v[115:116], v[109:110]
	ds_read_b128 v[109:112], v108 offset:784
	ds_read_b128 v[113:116], v108 offset:800
	s_waitcnt vmcnt(16) lgkmcnt(1)
	v_fma_f64 v[109:110], v[133:134], v[109:110], v[119:120]
	s_waitcnt vmcnt(15)
	v_fma_f64 v[109:110], v[127:128], v[111:112], v[109:110]
	s_waitcnt vmcnt(14) lgkmcnt(0)
	v_fma_f64 v[109:110], v[125:126], v[113:114], v[109:110]
	s_waitcnt vmcnt(9)
	v_fma_f64 v[119:120], v[121:122], v[115:116], v[109:110]
	ds_read_b128 v[109:112], v108 offset:816
	ds_read_b128 v[113:116], v108 offset:832
	s_waitcnt vmcnt(8) lgkmcnt(1)
	v_fma_f64 v[109:110], v[137:138], v[109:110], v[119:120]
	s_waitcnt vmcnt(7)
	v_fma_f64 v[109:110], v[135:136], v[111:112], v[109:110]
	ds_read_b64 v[111:112], v108 offset:848
	s_waitcnt vmcnt(6) lgkmcnt(1)
	v_fma_f64 v[109:110], v[123:124], v[113:114], v[109:110]
	s_waitcnt vmcnt(3)
	v_fma_f64 v[109:110], v[117:118], v[115:116], v[109:110]
	s_waitcnt vmcnt(2) lgkmcnt(0)
	v_fma_f64 v[109:110], v[129:130], v[111:112], v[109:110]
	s_waitcnt vmcnt(0)
	v_add_f64 v[109:110], v[131:132], -v[109:110]
	buffer_store_dword v110, off, s[0:3], 0 offset:28
	buffer_store_dword v109, off, s[0:3], 0 offset:24
	s_and_saveexec_b64 s[4:5], vcc
	s_cbranch_execz .LBB116_321
; %bb.320:
	buffer_load_dword v109, off, s[0:3], 0 offset:16
	buffer_load_dword v110, off, s[0:3], 0 offset:20
	s_waitcnt vmcnt(0)
	ds_write_b64 v107, v[109:110]
	buffer_store_dword v108, off, s[0:3], 0 offset:16
	buffer_store_dword v108, off, s[0:3], 0 offset:20
.LBB116_321:
	s_or_b64 exec, exec, s[4:5]
	s_waitcnt lgkmcnt(0)
	; wave barrier
	buffer_load_dword v117, off, s[0:3], 0 offset:24
	buffer_load_dword v118, off, s[0:3], 0 offset:28
	;; [unrolled: 1-line block ×22, first 2 shown]
	ds_read2_b64 v[109:112], v108 offset0:57 offset1:58
	ds_read2_b64 v[113:116], v108 offset0:59 offset1:60
	v_cmp_lt_u32_e32 vcc, 1, v0
	s_waitcnt vmcnt(20) lgkmcnt(1)
	v_fma_f64 v[109:110], v[117:118], v[109:110], 0
	s_waitcnt vmcnt(18)
	v_fma_f64 v[109:110], v[119:120], v[111:112], v[109:110]
	buffer_load_dword v118, off, s[0:3], 0 offset:116
	buffer_load_dword v119, off, s[0:3], 0 offset:136
	;; [unrolled: 1-line block ×7, first 2 shown]
	s_waitcnt vmcnt(23) lgkmcnt(0)
	v_fma_f64 v[109:110], v[121:122], v[113:114], v[109:110]
	s_waitcnt vmcnt(21)
	v_fma_f64 v[120:121], v[123:124], v[115:116], v[109:110]
	ds_read2_b64 v[109:112], v108 offset0:61 offset1:62
	ds_read2_b64 v[113:116], v108 offset0:63 offset1:64
	s_waitcnt vmcnt(19) lgkmcnt(1)
	v_fma_f64 v[109:110], v[125:126], v[109:110], v[120:121]
	buffer_load_dword v120, off, s[0:3], 0 offset:140
	s_waitcnt vmcnt(18)
	v_fma_f64 v[109:110], v[127:128], v[111:112], v[109:110]
	buffer_load_dword v122, off, s[0:3], 0 offset:148
	buffer_load_dword v123, off, s[0:3], 0 offset:168
	;; [unrolled: 1-line block ×8, first 2 shown]
	s_waitcnt vmcnt(24) lgkmcnt(0)
	v_fma_f64 v[109:110], v[129:130], v[113:114], v[109:110]
	s_waitcnt vmcnt(19)
	v_fma_f64 v[129:130], v[131:132], v[115:116], v[109:110]
	ds_read2_b64 v[109:112], v108 offset0:65 offset1:66
	ds_read2_b64 v[113:116], v108 offset0:67 offset1:68
	s_waitcnt vmcnt(18) lgkmcnt(1)
	v_fma_f64 v[109:110], v[137:138], v[109:110], v[129:130]
	s_waitcnt vmcnt(17)
	v_fma_f64 v[109:110], v[135:136], v[111:112], v[109:110]
	buffer_load_dword v130, off, s[0:3], 0 offset:180
	buffer_load_dword v131, off, s[0:3], 0 offset:200
	;; [unrolled: 1-line block ×8, first 2 shown]
	s_waitcnt vmcnt(24) lgkmcnt(0)
	v_fma_f64 v[109:110], v[133:134], v[113:114], v[109:110]
	s_waitcnt vmcnt(19)
	v_fma_f64 v[117:118], v[117:118], v[115:116], v[109:110]
	ds_read2_b64 v[109:112], v108 offset0:69 offset1:70
	ds_read2_b64 v[113:116], v108 offset0:71 offset1:72
	s_waitcnt vmcnt(18) lgkmcnt(1)
	v_fma_f64 v[109:110], v[141:142], v[109:110], v[117:118]
	s_waitcnt vmcnt(17)
	v_fma_f64 v[109:110], v[139:140], v[111:112], v[109:110]
	buffer_load_dword v118, off, s[0:3], 0 offset:212
	buffer_load_dword v133, off, s[0:3], 0 offset:232
	;; [unrolled: 1-line block ×7, first 2 shown]
	s_waitcnt vmcnt(23) lgkmcnt(0)
	v_fma_f64 v[109:110], v[119:120], v[113:114], v[109:110]
	s_waitcnt vmcnt(18)
	v_fma_f64 v[119:120], v[121:122], v[115:116], v[109:110]
	ds_read2_b64 v[109:112], v108 offset0:73 offset1:74
	ds_read2_b64 v[113:116], v108 offset0:75 offset1:76
	buffer_load_dword v134, off, s[0:3], 0 offset:236
	s_waitcnt vmcnt(18) lgkmcnt(1)
	v_fma_f64 v[109:110], v[127:128], v[109:110], v[119:120]
	s_waitcnt vmcnt(17)
	v_fma_f64 v[109:110], v[125:126], v[111:112], v[109:110]
	buffer_load_dword v120, off, s[0:3], 0 offset:244
	buffer_load_dword v121, off, s[0:3], 0 offset:264
	;; [unrolled: 1-line block ×7, first 2 shown]
	s_waitcnt vmcnt(23) lgkmcnt(0)
	v_fma_f64 v[109:110], v[123:124], v[113:114], v[109:110]
	s_waitcnt vmcnt(18)
	v_fma_f64 v[122:123], v[129:130], v[115:116], v[109:110]
	ds_read2_b64 v[109:112], v108 offset0:77 offset1:78
	ds_read2_b64 v[113:116], v108 offset0:79 offset1:80
	s_waitcnt vmcnt(17) lgkmcnt(1)
	v_fma_f64 v[109:110], v[137:138], v[109:110], v[122:123]
	buffer_load_dword v122, off, s[0:3], 0 offset:268
	s_waitcnt vmcnt(17)
	v_fma_f64 v[109:110], v[135:136], v[111:112], v[109:110]
	buffer_load_dword v124, off, s[0:3], 0 offset:276
	buffer_load_dword v129, off, s[0:3], 0 offset:296
	;; [unrolled: 1-line block ×8, first 2 shown]
	s_waitcnt vmcnt(24) lgkmcnt(0)
	v_fma_f64 v[109:110], v[131:132], v[113:114], v[109:110]
	s_waitcnt vmcnt(19)
	v_fma_f64 v[117:118], v[117:118], v[115:116], v[109:110]
	ds_read2_b64 v[109:112], v108 offset0:81 offset1:82
	ds_read2_b64 v[113:116], v108 offset0:83 offset1:84
	s_waitcnt vmcnt(18) lgkmcnt(1)
	v_fma_f64 v[109:110], v[141:142], v[109:110], v[117:118]
	s_waitcnt vmcnt(17)
	v_fma_f64 v[109:110], v[139:140], v[111:112], v[109:110]
	buffer_load_dword v118, off, s[0:3], 0 offset:308
	buffer_load_dword v131, off, s[0:3], 0 offset:328
	;; [unrolled: 1-line block ×7, first 2 shown]
	s_waitcnt vmcnt(23) lgkmcnt(0)
	v_fma_f64 v[109:110], v[133:134], v[113:114], v[109:110]
	s_waitcnt vmcnt(18)
	v_fma_f64 v[119:120], v[119:120], v[115:116], v[109:110]
	ds_read2_b64 v[109:112], v108 offset0:85 offset1:86
	ds_read2_b64 v[113:116], v108 offset0:87 offset1:88
	buffer_load_dword v132, off, s[0:3], 0 offset:332
	s_waitcnt vmcnt(18) lgkmcnt(1)
	v_fma_f64 v[109:110], v[127:128], v[109:110], v[119:120]
	s_waitcnt vmcnt(17)
	v_fma_f64 v[109:110], v[125:126], v[111:112], v[109:110]
	buffer_load_dword v120, off, s[0:3], 0 offset:340
	buffer_load_dword v125, off, s[0:3], 0 offset:360
	;; [unrolled: 1-line block ×8, first 2 shown]
	s_waitcnt vmcnt(24) lgkmcnt(0)
	v_fma_f64 v[109:110], v[121:122], v[113:114], v[109:110]
	s_waitcnt vmcnt(19)
	v_fma_f64 v[121:122], v[123:124], v[115:116], v[109:110]
	ds_read2_b64 v[109:112], v108 offset0:89 offset1:90
	ds_read2_b64 v[113:116], v108 offset0:91 offset1:92
	s_waitcnt vmcnt(18) lgkmcnt(1)
	v_fma_f64 v[109:110], v[137:138], v[109:110], v[121:122]
	s_waitcnt vmcnt(17)
	v_fma_f64 v[109:110], v[135:136], v[111:112], v[109:110]
	buffer_load_dword v122, off, s[0:3], 0 offset:372
	buffer_load_dword v123, off, s[0:3], 0 offset:392
	;; [unrolled: 1-line block ×8, first 2 shown]
	s_waitcnt vmcnt(24) lgkmcnt(0)
	v_fma_f64 v[109:110], v[129:130], v[113:114], v[109:110]
	s_waitcnt vmcnt(19)
	v_fma_f64 v[117:118], v[117:118], v[115:116], v[109:110]
	ds_read2_b64 v[109:112], v108 offset0:93 offset1:94
	ds_read2_b64 v[113:116], v108 offset0:95 offset1:96
	s_waitcnt vmcnt(18) lgkmcnt(1)
	v_fma_f64 v[109:110], v[141:142], v[109:110], v[117:118]
	s_waitcnt vmcnt(17)
	v_fma_f64 v[109:110], v[139:140], v[111:112], v[109:110]
	buffer_load_dword v118, off, s[0:3], 0 offset:404
	buffer_load_dword v129, off, s[0:3], 0 offset:416
	;; [unrolled: 1-line block ×6, first 2 shown]
	s_waitcnt vmcnt(22) lgkmcnt(0)
	v_fma_f64 v[109:110], v[131:132], v[113:114], v[109:110]
	s_waitcnt vmcnt(17)
	v_fma_f64 v[119:120], v[119:120], v[115:116], v[109:110]
	ds_read2_b64 v[109:112], v108 offset0:97 offset1:98
	buffer_load_dword v131, off, s[0:3], 0 offset:16
	buffer_load_dword v132, off, s[0:3], 0 offset:20
	ds_read2_b64 v[113:116], v108 offset0:99 offset1:100
	s_waitcnt vmcnt(18) lgkmcnt(1)
	v_fma_f64 v[109:110], v[133:134], v[109:110], v[119:120]
	s_waitcnt vmcnt(17)
	v_fma_f64 v[109:110], v[127:128], v[111:112], v[109:110]
	s_waitcnt vmcnt(16) lgkmcnt(0)
	v_fma_f64 v[109:110], v[125:126], v[113:114], v[109:110]
	s_waitcnt vmcnt(11)
	v_fma_f64 v[119:120], v[121:122], v[115:116], v[109:110]
	ds_read2_b64 v[109:112], v108 offset0:101 offset1:102
	ds_read2_b64 v[113:116], v108 offset0:103 offset1:104
	s_waitcnt vmcnt(10) lgkmcnt(1)
	v_fma_f64 v[109:110], v[137:138], v[109:110], v[119:120]
	s_waitcnt vmcnt(9)
	v_fma_f64 v[109:110], v[135:136], v[111:112], v[109:110]
	s_waitcnt vmcnt(8) lgkmcnt(0)
	v_fma_f64 v[109:110], v[123:124], v[113:114], v[109:110]
	s_waitcnt vmcnt(4)
	v_fma_f64 v[112:113], v[117:118], v[115:116], v[109:110]
	ds_read2_b64 v[108:111], v108 offset0:105 offset1:106
	s_waitcnt vmcnt(3) lgkmcnt(0)
	v_fma_f64 v[108:109], v[139:140], v[108:109], v[112:113]
	s_waitcnt vmcnt(2)
	v_fma_f64 v[108:109], v[129:130], v[110:111], v[108:109]
	s_waitcnt vmcnt(0)
	v_add_f64 v[108:109], v[131:132], -v[108:109]
	buffer_store_dword v109, off, s[0:3], 0 offset:20
	buffer_store_dword v108, off, s[0:3], 0 offset:16
	s_and_saveexec_b64 s[4:5], vcc
	s_cbranch_execz .LBB116_323
; %bb.322:
	buffer_load_dword v108, off, s[0:3], 0 offset:8
	buffer_load_dword v109, off, s[0:3], 0 offset:12
	v_mov_b32_e32 v110, 0
	buffer_store_dword v110, off, s[0:3], 0 offset:8
	buffer_store_dword v110, off, s[0:3], 0 offset:12
	s_waitcnt vmcnt(2)
	ds_write_b64 v107, v[108:109]
.LBB116_323:
	s_or_b64 exec, exec, s[4:5]
	s_waitcnt lgkmcnt(0)
	; wave barrier
	buffer_load_dword v118, off, s[0:3], 0 offset:16
	buffer_load_dword v119, off, s[0:3], 0 offset:20
	;; [unrolled: 1-line block ×22, first 2 shown]
	v_mov_b32_e32 v109, 0
	ds_read_b128 v[110:113], v109 offset:448
	ds_read_b128 v[114:117], v109 offset:464
	v_cmp_ne_u32_e32 vcc, 0, v0
	s_waitcnt vmcnt(20) lgkmcnt(1)
	v_fma_f64 v[110:111], v[118:119], v[110:111], 0
	s_waitcnt vmcnt(18)
	v_fma_f64 v[110:111], v[120:121], v[112:113], v[110:111]
	buffer_load_dword v119, off, s[0:3], 0 offset:108
	buffer_load_dword v120, off, s[0:3], 0 offset:128
	;; [unrolled: 1-line block ×7, first 2 shown]
	s_waitcnt vmcnt(23) lgkmcnt(0)
	v_fma_f64 v[110:111], v[122:123], v[114:115], v[110:111]
	s_waitcnt vmcnt(21)
	v_fma_f64 v[121:122], v[124:125], v[116:117], v[110:111]
	ds_read_b128 v[110:113], v109 offset:480
	ds_read_b128 v[114:117], v109 offset:496
	s_waitcnt vmcnt(19) lgkmcnt(1)
	v_fma_f64 v[110:111], v[126:127], v[110:111], v[121:122]
	buffer_load_dword v121, off, s[0:3], 0 offset:132
	s_waitcnt vmcnt(18)
	v_fma_f64 v[110:111], v[128:129], v[112:113], v[110:111]
	buffer_load_dword v123, off, s[0:3], 0 offset:140
	buffer_load_dword v124, off, s[0:3], 0 offset:160
	;; [unrolled: 1-line block ×8, first 2 shown]
	s_waitcnt vmcnt(24) lgkmcnt(0)
	v_fma_f64 v[110:111], v[130:131], v[114:115], v[110:111]
	s_waitcnt vmcnt(19)
	v_fma_f64 v[130:131], v[132:133], v[116:117], v[110:111]
	ds_read_b128 v[110:113], v109 offset:512
	ds_read_b128 v[114:117], v109 offset:528
	s_waitcnt vmcnt(18) lgkmcnt(1)
	v_fma_f64 v[110:111], v[138:139], v[110:111], v[130:131]
	s_waitcnt vmcnt(17)
	v_fma_f64 v[110:111], v[136:137], v[112:113], v[110:111]
	buffer_load_dword v131, off, s[0:3], 0 offset:172
	buffer_load_dword v132, off, s[0:3], 0 offset:192
	;; [unrolled: 1-line block ×8, first 2 shown]
	s_waitcnt vmcnt(24) lgkmcnt(0)
	v_fma_f64 v[110:111], v[134:135], v[114:115], v[110:111]
	s_waitcnt vmcnt(19)
	v_fma_f64 v[118:119], v[118:119], v[116:117], v[110:111]
	ds_read_b128 v[110:113], v109 offset:544
	ds_read_b128 v[114:117], v109 offset:560
	s_waitcnt vmcnt(18) lgkmcnt(1)
	v_fma_f64 v[110:111], v[142:143], v[110:111], v[118:119]
	s_waitcnt vmcnt(17)
	v_fma_f64 v[110:111], v[140:141], v[112:113], v[110:111]
	buffer_load_dword v119, off, s[0:3], 0 offset:204
	buffer_load_dword v134, off, s[0:3], 0 offset:224
	;; [unrolled: 1-line block ×7, first 2 shown]
	s_waitcnt vmcnt(23) lgkmcnt(0)
	v_fma_f64 v[110:111], v[120:121], v[114:115], v[110:111]
	s_waitcnt vmcnt(18)
	v_fma_f64 v[120:121], v[122:123], v[116:117], v[110:111]
	ds_read_b128 v[110:113], v109 offset:576
	ds_read_b128 v[114:117], v109 offset:592
	buffer_load_dword v135, off, s[0:3], 0 offset:228
	s_waitcnt vmcnt(18) lgkmcnt(1)
	v_fma_f64 v[110:111], v[128:129], v[110:111], v[120:121]
	s_waitcnt vmcnt(17)
	v_fma_f64 v[110:111], v[126:127], v[112:113], v[110:111]
	buffer_load_dword v121, off, s[0:3], 0 offset:236
	buffer_load_dword v122, off, s[0:3], 0 offset:256
	;; [unrolled: 1-line block ×7, first 2 shown]
	s_waitcnt vmcnt(23) lgkmcnt(0)
	v_fma_f64 v[110:111], v[124:125], v[114:115], v[110:111]
	s_waitcnt vmcnt(18)
	v_fma_f64 v[123:124], v[130:131], v[116:117], v[110:111]
	ds_read_b128 v[110:113], v109 offset:608
	ds_read_b128 v[114:117], v109 offset:624
	s_waitcnt vmcnt(17) lgkmcnt(1)
	v_fma_f64 v[110:111], v[138:139], v[110:111], v[123:124]
	buffer_load_dword v123, off, s[0:3], 0 offset:260
	s_waitcnt vmcnt(17)
	v_fma_f64 v[110:111], v[136:137], v[112:113], v[110:111]
	buffer_load_dword v125, off, s[0:3], 0 offset:268
	buffer_load_dword v130, off, s[0:3], 0 offset:288
	;; [unrolled: 1-line block ×8, first 2 shown]
	s_waitcnt vmcnt(24) lgkmcnt(0)
	v_fma_f64 v[110:111], v[132:133], v[114:115], v[110:111]
	s_waitcnt vmcnt(19)
	v_fma_f64 v[118:119], v[118:119], v[116:117], v[110:111]
	ds_read_b128 v[110:113], v109 offset:640
	ds_read_b128 v[114:117], v109 offset:656
	s_waitcnt vmcnt(18) lgkmcnt(1)
	v_fma_f64 v[110:111], v[142:143], v[110:111], v[118:119]
	s_waitcnt vmcnt(17)
	v_fma_f64 v[110:111], v[140:141], v[112:113], v[110:111]
	buffer_load_dword v119, off, s[0:3], 0 offset:300
	buffer_load_dword v132, off, s[0:3], 0 offset:320
	;; [unrolled: 1-line block ×7, first 2 shown]
	s_waitcnt vmcnt(23) lgkmcnt(0)
	v_fma_f64 v[110:111], v[134:135], v[114:115], v[110:111]
	s_waitcnt vmcnt(18)
	v_fma_f64 v[120:121], v[120:121], v[116:117], v[110:111]
	ds_read_b128 v[110:113], v109 offset:672
	ds_read_b128 v[114:117], v109 offset:688
	buffer_load_dword v133, off, s[0:3], 0 offset:324
	s_waitcnt vmcnt(18) lgkmcnt(1)
	v_fma_f64 v[110:111], v[128:129], v[110:111], v[120:121]
	s_waitcnt vmcnt(17)
	v_fma_f64 v[110:111], v[126:127], v[112:113], v[110:111]
	buffer_load_dword v121, off, s[0:3], 0 offset:332
	buffer_load_dword v126, off, s[0:3], 0 offset:352
	buffer_load_dword v128, off, s[0:3], 0 offset:344
	buffer_load_dword v134, off, s[0:3], 0 offset:336
	buffer_load_dword v120, off, s[0:3], 0 offset:328
	buffer_load_dword v135, off, s[0:3], 0 offset:340
	buffer_load_dword v129, off, s[0:3], 0 offset:348
	buffer_load_dword v127, off, s[0:3], 0 offset:356
	s_waitcnt vmcnt(24) lgkmcnt(0)
	v_fma_f64 v[110:111], v[122:123], v[114:115], v[110:111]
	s_waitcnt vmcnt(19)
	v_fma_f64 v[122:123], v[124:125], v[116:117], v[110:111]
	ds_read_b128 v[110:113], v109 offset:704
	ds_read_b128 v[114:117], v109 offset:720
	s_waitcnt vmcnt(18) lgkmcnt(1)
	v_fma_f64 v[110:111], v[138:139], v[110:111], v[122:123]
	s_waitcnt vmcnt(17)
	v_fma_f64 v[110:111], v[136:137], v[112:113], v[110:111]
	buffer_load_dword v123, off, s[0:3], 0 offset:364
	buffer_load_dword v124, off, s[0:3], 0 offset:384
	buffer_load_dword v136, off, s[0:3], 0 offset:376
	buffer_load_dword v138, off, s[0:3], 0 offset:368
	buffer_load_dword v122, off, s[0:3], 0 offset:360
	buffer_load_dword v139, off, s[0:3], 0 offset:372
	buffer_load_dword v137, off, s[0:3], 0 offset:380
	buffer_load_dword v125, off, s[0:3], 0 offset:388
	s_waitcnt vmcnt(24) lgkmcnt(0)
	v_fma_f64 v[110:111], v[130:131], v[114:115], v[110:111]
	s_waitcnt vmcnt(19)
	v_fma_f64 v[118:119], v[118:119], v[116:117], v[110:111]
	ds_read_b128 v[110:113], v109 offset:736
	ds_read_b128 v[114:117], v109 offset:752
	;; [unrolled: 18-line block ×3, first 2 shown]
	s_waitcnt vmcnt(18) lgkmcnt(1)
	v_fma_f64 v[110:111], v[134:135], v[110:111], v[120:121]
	buffer_load_dword v120, off, s[0:3], 0 offset:8
	buffer_load_dword v121, off, s[0:3], 0 offset:12
	s_waitcnt vmcnt(19)
	v_fma_f64 v[110:111], v[128:129], v[112:113], v[110:111]
	s_waitcnt vmcnt(18) lgkmcnt(0)
	v_fma_f64 v[110:111], v[126:127], v[114:115], v[110:111]
	s_waitcnt vmcnt(13)
	v_fma_f64 v[122:123], v[122:123], v[116:117], v[110:111]
	ds_read_b128 v[110:113], v109 offset:800
	ds_read_b128 v[114:117], v109 offset:816
	s_waitcnt vmcnt(12) lgkmcnt(1)
	v_fma_f64 v[110:111], v[138:139], v[110:111], v[122:123]
	s_waitcnt vmcnt(11)
	v_fma_f64 v[110:111], v[136:137], v[112:113], v[110:111]
	s_waitcnt vmcnt(10) lgkmcnt(0)
	v_fma_f64 v[110:111], v[124:125], v[114:115], v[110:111]
	s_waitcnt vmcnt(5)
	v_fma_f64 v[114:115], v[118:119], v[116:117], v[110:111]
	ds_read_b128 v[110:113], v109 offset:832
	ds_read_b64 v[116:117], v109 offset:848
	s_waitcnt vmcnt(4) lgkmcnt(1)
	v_fma_f64 v[110:111], v[142:143], v[110:111], v[114:115]
	s_waitcnt vmcnt(3)
	v_fma_f64 v[110:111], v[140:141], v[112:113], v[110:111]
	s_waitcnt vmcnt(2) lgkmcnt(0)
	v_fma_f64 v[110:111], v[130:131], v[116:117], v[110:111]
	s_waitcnt vmcnt(0)
	v_add_f64 v[110:111], v[120:121], -v[110:111]
	buffer_store_dword v111, off, s[0:3], 0 offset:12
	buffer_store_dword v110, off, s[0:3], 0 offset:8
	s_and_saveexec_b64 s[4:5], vcc
	s_cbranch_execz .LBB116_325
; %bb.324:
	buffer_load_dword v110, off, s[0:3], 0
	buffer_load_dword v111, off, s[0:3], 0 offset:4
	s_waitcnt vmcnt(0)
	ds_write_b64 v107, v[110:111]
	buffer_store_dword v109, off, s[0:3], 0
	buffer_store_dword v109, off, s[0:3], 0 offset:4
.LBB116_325:
	s_or_b64 exec, exec, s[4:5]
	s_waitcnt lgkmcnt(0)
	; wave barrier
	buffer_load_dword v107, off, s[0:3], 0 offset:8
	buffer_load_dword v108, off, s[0:3], 0 offset:12
	;; [unrolled: 1-line block ×22, first 2 shown]
	ds_read2_b64 v[110:113], v109 offset0:55 offset1:56
	ds_read2_b64 v[114:117], v109 offset0:57 offset1:58
	s_and_b64 vcc, exec, s[14:15]
	s_waitcnt vmcnt(20) lgkmcnt(1)
	v_fma_f64 v[107:108], v[107:108], v[110:111], 0
	s_waitcnt vmcnt(18)
	v_fma_f64 v[107:108], v[118:119], v[112:113], v[107:108]
	buffer_load_dword v119, off, s[0:3], 0 offset:100
	buffer_load_dword v138, off, s[0:3], 0 offset:120
	buffer_load_dword v140, off, s[0:3], 0 offset:112
	buffer_load_dword v142, off, s[0:3], 0 offset:104
	buffer_load_dword v118, off, s[0:3], 0 offset:96
	buffer_load_dword v143, off, s[0:3], 0 offset:108
	buffer_load_dword v141, off, s[0:3], 0 offset:116
	s_waitcnt vmcnt(23) lgkmcnt(0)
	v_fma_f64 v[107:108], v[120:121], v[114:115], v[107:108]
	s_waitcnt vmcnt(21)
	v_fma_f64 v[107:108], v[122:123], v[116:117], v[107:108]
	ds_read2_b64 v[110:113], v109 offset0:59 offset1:60
	ds_read2_b64 v[114:117], v109 offset0:61 offset1:62
	buffer_load_dword v139, off, s[0:3], 0 offset:124
	s_waitcnt vmcnt(20) lgkmcnt(1)
	v_fma_f64 v[107:108], v[124:125], v[110:111], v[107:108]
	s_waitcnt vmcnt(18)
	v_fma_f64 v[107:108], v[126:127], v[112:113], v[107:108]
	buffer_load_dword v121, off, s[0:3], 0 offset:132
	buffer_load_dword v122, off, s[0:3], 0 offset:152
	buffer_load_dword v124, off, s[0:3], 0 offset:144
	buffer_load_dword v126, off, s[0:3], 0 offset:136
	buffer_load_dword v120, off, s[0:3], 0 offset:128
	buffer_load_dword v127, off, s[0:3], 0 offset:140
	buffer_load_dword v125, off, s[0:3], 0 offset:148
	buffer_load_dword v123, off, s[0:3], 0 offset:156
	ds_read2_b64 v[110:113], v109 offset0:63 offset1:64
	s_waitcnt vmcnt(24) lgkmcnt(1)
	v_fma_f64 v[107:108], v[128:129], v[114:115], v[107:108]
	s_waitcnt vmcnt(19)
	v_fma_f64 v[107:108], v[130:131], v[116:117], v[107:108]
	ds_read2_b64 v[114:117], v109 offset0:65 offset1:66
	s_waitcnt vmcnt(18) lgkmcnt(1)
	v_fma_f64 v[107:108], v[136:137], v[110:111], v[107:108]
	s_waitcnt vmcnt(17)
	v_fma_f64 v[107:108], v[134:135], v[112:113], v[107:108]
	buffer_load_dword v129, off, s[0:3], 0 offset:164
	buffer_load_dword v130, off, s[0:3], 0 offset:184
	buffer_load_dword v134, off, s[0:3], 0 offset:176
	buffer_load_dword v136, off, s[0:3], 0 offset:168
	buffer_load_dword v128, off, s[0:3], 0 offset:160
	buffer_load_dword v137, off, s[0:3], 0 offset:172
	buffer_load_dword v135, off, s[0:3], 0 offset:180
	buffer_load_dword v131, off, s[0:3], 0 offset:188
	ds_read2_b64 v[110:113], v109 offset0:67 offset1:68
	s_waitcnt vmcnt(24) lgkmcnt(1)
	v_fma_f64 v[107:108], v[132:133], v[114:115], v[107:108]
	s_waitcnt vmcnt(19)
	v_fma_f64 v[107:108], v[118:119], v[116:117], v[107:108]
	ds_read2_b64 v[114:117], v109 offset0:69 offset1:70
	s_waitcnt vmcnt(18) lgkmcnt(1)
	v_fma_f64 v[107:108], v[142:143], v[110:111], v[107:108]
	s_waitcnt vmcnt(17)
	v_fma_f64 v[107:108], v[140:141], v[112:113], v[107:108]
	buffer_load_dword v119, off, s[0:3], 0 offset:196
	buffer_load_dword v132, off, s[0:3], 0 offset:216
	buffer_load_dword v140, off, s[0:3], 0 offset:208
	buffer_load_dword v142, off, s[0:3], 0 offset:200
	buffer_load_dword v118, off, s[0:3], 0 offset:192
	buffer_load_dword v143, off, s[0:3], 0 offset:204
	buffer_load_dword v141, off, s[0:3], 0 offset:212
	s_waitcnt vmcnt(23) lgkmcnt(0)
	v_fma_f64 v[107:108], v[138:139], v[114:115], v[107:108]
	s_waitcnt vmcnt(18)
	v_fma_f64 v[107:108], v[120:121], v[116:117], v[107:108]
	ds_read2_b64 v[110:113], v109 offset0:71 offset1:72
	ds_read2_b64 v[114:117], v109 offset0:73 offset1:74
	buffer_load_dword v133, off, s[0:3], 0 offset:220
	s_waitcnt vmcnt(18) lgkmcnt(1)
	v_fma_f64 v[107:108], v[126:127], v[110:111], v[107:108]
	s_waitcnt vmcnt(17)
	v_fma_f64 v[107:108], v[124:125], v[112:113], v[107:108]
	buffer_load_dword v121, off, s[0:3], 0 offset:228
	buffer_load_dword v124, off, s[0:3], 0 offset:248
	buffer_load_dword v126, off, s[0:3], 0 offset:240
	buffer_load_dword v138, off, s[0:3], 0 offset:232
	buffer_load_dword v120, off, s[0:3], 0 offset:224
	buffer_load_dword v139, off, s[0:3], 0 offset:236
	buffer_load_dword v127, off, s[0:3], 0 offset:244
	buffer_load_dword v125, off, s[0:3], 0 offset:252
	ds_read2_b64 v[110:113], v109 offset0:75 offset1:76
	s_waitcnt vmcnt(24) lgkmcnt(1)
	v_fma_f64 v[107:108], v[122:123], v[114:115], v[107:108]
	s_waitcnt vmcnt(19)
	v_fma_f64 v[107:108], v[128:129], v[116:117], v[107:108]
	ds_read2_b64 v[114:117], v109 offset0:77 offset1:78
	s_waitcnt vmcnt(18) lgkmcnt(1)
	v_fma_f64 v[107:108], v[136:137], v[110:111], v[107:108]
	s_waitcnt vmcnt(17)
	v_fma_f64 v[107:108], v[134:135], v[112:113], v[107:108]
	buffer_load_dword v123, off, s[0:3], 0 offset:260
	buffer_load_dword v128, off, s[0:3], 0 offset:280
	buffer_load_dword v134, off, s[0:3], 0 offset:272
	buffer_load_dword v136, off, s[0:3], 0 offset:264
	buffer_load_dword v122, off, s[0:3], 0 offset:256
	buffer_load_dword v137, off, s[0:3], 0 offset:268
	buffer_load_dword v135, off, s[0:3], 0 offset:276
	buffer_load_dword v129, off, s[0:3], 0 offset:284
	ds_read2_b64 v[110:113], v109 offset0:79 offset1:80
	s_waitcnt vmcnt(24) lgkmcnt(1)
	v_fma_f64 v[107:108], v[130:131], v[114:115], v[107:108]
	s_waitcnt vmcnt(19)
	v_fma_f64 v[107:108], v[118:119], v[116:117], v[107:108]
	ds_read2_b64 v[114:117], v109 offset0:81 offset1:82
	;; [unrolled: 54-line block ×3, first 2 shown]
	s_waitcnt vmcnt(18) lgkmcnt(1)
	v_fma_f64 v[107:108], v[142:143], v[110:111], v[107:108]
	s_waitcnt vmcnt(17)
	v_fma_f64 v[110:111], v[140:141], v[112:113], v[107:108]
	buffer_load_dword v119, off, s[0:3], 0 offset:388
	buffer_load_dword v107, off, s[0:3], 0 offset:408
	;; [unrolled: 1-line block ×8, first 2 shown]
	s_waitcnt vmcnt(24) lgkmcnt(0)
	v_fma_f64 v[110:111], v[130:131], v[114:115], v[110:111]
	s_waitcnt vmcnt(19)
	v_fma_f64 v[120:121], v[120:121], v[116:117], v[110:111]
	ds_read2_b64 v[110:113], v109 offset0:95 offset1:96
	ds_read2_b64 v[114:117], v109 offset0:97 offset1:98
	s_waitcnt vmcnt(18) lgkmcnt(1)
	v_fma_f64 v[110:111], v[138:139], v[110:111], v[120:121]
	buffer_load_dword v121, off, s[0:3], 0 offset:420
	buffer_load_dword v120, off, s[0:3], 0 offset:416
	buffer_load_dword v130, off, s[0:3], 0
	buffer_load_dword v131, off, s[0:3], 0 offset:4
	s_waitcnt vmcnt(21)
	v_fma_f64 v[110:111], v[132:133], v[112:113], v[110:111]
	s_waitcnt vmcnt(20) lgkmcnt(0)
	v_fma_f64 v[110:111], v[126:127], v[114:115], v[110:111]
	s_waitcnt vmcnt(15)
	v_fma_f64 v[122:123], v[122:123], v[116:117], v[110:111]
	ds_read2_b64 v[110:113], v109 offset0:99 offset1:100
	ds_read2_b64 v[114:117], v109 offset0:101 offset1:102
	s_waitcnt vmcnt(14) lgkmcnt(1)
	v_fma_f64 v[110:111], v[136:137], v[110:111], v[122:123]
	s_waitcnt vmcnt(13)
	v_fma_f64 v[110:111], v[134:135], v[112:113], v[110:111]
	s_waitcnt vmcnt(12) lgkmcnt(0)
	v_fma_f64 v[110:111], v[124:125], v[114:115], v[110:111]
	s_waitcnt vmcnt(7)
	v_fma_f64 v[118:119], v[118:119], v[116:117], v[110:111]
	ds_read2_b64 v[110:113], v109 offset0:103 offset1:104
	ds_read2_b64 v[114:117], v109 offset0:105 offset1:106
	s_waitcnt vmcnt(6) lgkmcnt(1)
	v_fma_f64 v[109:110], v[140:141], v[110:111], v[118:119]
	s_waitcnt vmcnt(5)
	v_fma_f64 v[109:110], v[128:129], v[112:113], v[109:110]
	s_waitcnt vmcnt(4) lgkmcnt(0)
	v_fma_f64 v[109:110], v[107:108], v[114:115], v[109:110]
	s_waitcnt vmcnt(2)
	v_fma_f64 v[109:110], v[120:121], v[116:117], v[109:110]
	s_waitcnt vmcnt(0)
	v_add_f64 v[109:110], v[130:131], -v[109:110]
	buffer_store_dword v110, off, s[0:3], 0 offset:4
	buffer_store_dword v109, off, s[0:3], 0
	s_cbranch_vccz .LBB116_430
; %bb.326:
	v_mov_b32_e32 v0, 0
	global_load_dword v109, v0, s[12:13] offset:204
	s_waitcnt vmcnt(0)
	v_add_u32_e32 v109, -1, v109
	v_cmp_ne_u32_e32 vcc, 51, v109
	s_cbranch_vccz .LBB116_328
; %bb.327:
	v_lshlrev_b32_e32 v109, 3, v109
	buffer_load_dword v110, v109, s[0:3], 0 offen
	buffer_load_dword v111, v109, s[0:3], 0 offen offset:4
	s_waitcnt vmcnt(1)
	buffer_store_dword v110, off, s[0:3], 0 offset:408
	s_waitcnt vmcnt(1)
	buffer_store_dword v111, off, s[0:3], 0 offset:412
	buffer_store_dword v107, v109, s[0:3], 0 offen
	buffer_store_dword v108, v109, s[0:3], 0 offen offset:4
.LBB116_328:
	global_load_dword v0, v0, s[12:13] offset:200
	s_waitcnt vmcnt(0)
	v_add_u32_e32 v0, -1, v0
	v_cmp_eq_u32_e32 vcc, 50, v0
	s_cbranch_vccnz .LBB116_330
; %bb.329:
	v_lshlrev_b32_e32 v0, 3, v0
	buffer_load_dword v107, v0, s[0:3], 0 offen
	buffer_load_dword v108, v0, s[0:3], 0 offen offset:4
	buffer_load_dword v109, off, s[0:3], 0 offset:404
	buffer_load_dword v110, off, s[0:3], 0 offset:400
	s_waitcnt vmcnt(3)
	buffer_store_dword v107, off, s[0:3], 0 offset:400
	s_waitcnt vmcnt(3)
	buffer_store_dword v108, off, s[0:3], 0 offset:404
	s_waitcnt vmcnt(3)
	buffer_store_dword v109, v0, s[0:3], 0 offen offset:4
	s_waitcnt vmcnt(3)
	buffer_store_dword v110, v0, s[0:3], 0 offen
.LBB116_330:
	v_mov_b32_e32 v0, 0
	global_load_dword v107, v0, s[12:13] offset:196
	s_waitcnt vmcnt(0)
	v_add_u32_e32 v107, -1, v107
	v_cmp_eq_u32_e32 vcc, 49, v107
	s_cbranch_vccnz .LBB116_332
; %bb.331:
	v_lshlrev_b32_e32 v107, 3, v107
	buffer_load_dword v108, v107, s[0:3], 0 offen
	buffer_load_dword v109, v107, s[0:3], 0 offen offset:4
	buffer_load_dword v110, off, s[0:3], 0 offset:392
	buffer_load_dword v111, off, s[0:3], 0 offset:396
	s_waitcnt vmcnt(3)
	buffer_store_dword v108, off, s[0:3], 0 offset:392
	s_waitcnt vmcnt(3)
	buffer_store_dword v109, off, s[0:3], 0 offset:396
	s_waitcnt vmcnt(3)
	buffer_store_dword v110, v107, s[0:3], 0 offen
	s_waitcnt vmcnt(3)
	buffer_store_dword v111, v107, s[0:3], 0 offen offset:4
.LBB116_332:
	global_load_dword v0, v0, s[12:13] offset:192
	s_waitcnt vmcnt(0)
	v_add_u32_e32 v0, -1, v0
	v_cmp_eq_u32_e32 vcc, 48, v0
	s_cbranch_vccnz .LBB116_334
; %bb.333:
	v_lshlrev_b32_e32 v0, 3, v0
	buffer_load_dword v107, v0, s[0:3], 0 offen
	buffer_load_dword v108, v0, s[0:3], 0 offen offset:4
	buffer_load_dword v109, off, s[0:3], 0 offset:388
	buffer_load_dword v110, off, s[0:3], 0 offset:384
	s_waitcnt vmcnt(3)
	buffer_store_dword v107, off, s[0:3], 0 offset:384
	s_waitcnt vmcnt(3)
	buffer_store_dword v108, off, s[0:3], 0 offset:388
	s_waitcnt vmcnt(3)
	buffer_store_dword v109, v0, s[0:3], 0 offen offset:4
	s_waitcnt vmcnt(3)
	buffer_store_dword v110, v0, s[0:3], 0 offen
.LBB116_334:
	v_mov_b32_e32 v0, 0
	global_load_dword v107, v0, s[12:13] offset:188
	s_waitcnt vmcnt(0)
	v_add_u32_e32 v107, -1, v107
	v_cmp_eq_u32_e32 vcc, 47, v107
	s_cbranch_vccnz .LBB116_336
; %bb.335:
	v_lshlrev_b32_e32 v107, 3, v107
	buffer_load_dword v108, v107, s[0:3], 0 offen
	buffer_load_dword v109, v107, s[0:3], 0 offen offset:4
	buffer_load_dword v110, off, s[0:3], 0 offset:376
	buffer_load_dword v111, off, s[0:3], 0 offset:380
	s_waitcnt vmcnt(3)
	buffer_store_dword v108, off, s[0:3], 0 offset:376
	s_waitcnt vmcnt(3)
	buffer_store_dword v109, off, s[0:3], 0 offset:380
	s_waitcnt vmcnt(3)
	buffer_store_dword v110, v107, s[0:3], 0 offen
	s_waitcnt vmcnt(3)
	buffer_store_dword v111, v107, s[0:3], 0 offen offset:4
.LBB116_336:
	;; [unrolled: 41-line block ×25, first 2 shown]
	global_load_dword v0, v0, s[12:13]
	s_nop 0
	buffer_load_dword v109, off, s[0:3], 0
	buffer_load_dword v110, off, s[0:3], 0 offset:4
	s_waitcnt vmcnt(2)
	v_add_u32_e32 v0, -1, v0
	v_cmp_eq_u32_e32 vcc, 0, v0
	s_cbranch_vccnz .LBB116_430
; %bb.429:
	v_lshlrev_b32_e32 v0, 3, v0
	buffer_load_dword v107, v0, s[0:3], 0 offen offset:4
	buffer_load_dword v108, v0, s[0:3], 0 offen
	s_waitcnt vmcnt(1)
	buffer_store_dword v107, off, s[0:3], 0 offset:4
	s_waitcnt vmcnt(1)
	buffer_store_dword v108, off, s[0:3], 0
	buffer_store_dword v110, v0, s[0:3], 0 offen offset:4
	buffer_store_dword v109, v0, s[0:3], 0 offen
	buffer_load_dword v109, off, s[0:3], 0
	s_nop 0
	buffer_load_dword v110, off, s[0:3], 0 offset:4
.LBB116_430:
	s_waitcnt vmcnt(0)
	flat_store_dwordx2 v[1:2], v[109:110]
	buffer_load_dword v0, off, s[0:3], 0 offset:8
	s_nop 0
	buffer_load_dword v1, off, s[0:3], 0 offset:12
	s_waitcnt vmcnt(0)
	flat_store_dwordx2 v[3:4], v[0:1]
	buffer_load_dword v0, off, s[0:3], 0 offset:16
	s_nop 0
	buffer_load_dword v1, off, s[0:3], 0 offset:20
	;; [unrolled: 5-line block ×52, first 2 shown]
	s_waitcnt vmcnt(0)
	flat_store_dwordx2 v[105:106], v[0:1]
	s_endpgm
	.section	.rodata,"a",@progbits
	.p2align	6, 0x0
	.amdhsa_kernel _ZN9rocsolver6v33100L18getri_kernel_smallILi53EdPKPdEEvT1_iilPiilS6_bb
		.amdhsa_group_segment_fixed_size 856
		.amdhsa_private_segment_fixed_size 432
		.amdhsa_kernarg_size 60
		.amdhsa_user_sgpr_count 6
		.amdhsa_user_sgpr_private_segment_buffer 1
		.amdhsa_user_sgpr_dispatch_ptr 0
		.amdhsa_user_sgpr_queue_ptr 0
		.amdhsa_user_sgpr_kernarg_segment_ptr 1
		.amdhsa_user_sgpr_dispatch_id 0
		.amdhsa_user_sgpr_flat_scratch_init 0
		.amdhsa_user_sgpr_private_segment_size 0
		.amdhsa_uses_dynamic_stack 0
		.amdhsa_system_sgpr_private_segment_wavefront_offset 1
		.amdhsa_system_sgpr_workgroup_id_x 1
		.amdhsa_system_sgpr_workgroup_id_y 0
		.amdhsa_system_sgpr_workgroup_id_z 0
		.amdhsa_system_sgpr_workgroup_info 0
		.amdhsa_system_vgpr_workitem_id 0
		.amdhsa_next_free_vgpr 144
		.amdhsa_next_free_sgpr 21
		.amdhsa_reserve_vcc 1
		.amdhsa_reserve_flat_scratch 0
		.amdhsa_float_round_mode_32 0
		.amdhsa_float_round_mode_16_64 0
		.amdhsa_float_denorm_mode_32 3
		.amdhsa_float_denorm_mode_16_64 3
		.amdhsa_dx10_clamp 1
		.amdhsa_ieee_mode 1
		.amdhsa_fp16_overflow 0
		.amdhsa_exception_fp_ieee_invalid_op 0
		.amdhsa_exception_fp_denorm_src 0
		.amdhsa_exception_fp_ieee_div_zero 0
		.amdhsa_exception_fp_ieee_overflow 0
		.amdhsa_exception_fp_ieee_underflow 0
		.amdhsa_exception_fp_ieee_inexact 0
		.amdhsa_exception_int_div_zero 0
	.end_amdhsa_kernel
	.section	.text._ZN9rocsolver6v33100L18getri_kernel_smallILi53EdPKPdEEvT1_iilPiilS6_bb,"axG",@progbits,_ZN9rocsolver6v33100L18getri_kernel_smallILi53EdPKPdEEvT1_iilPiilS6_bb,comdat
.Lfunc_end116:
	.size	_ZN9rocsolver6v33100L18getri_kernel_smallILi53EdPKPdEEvT1_iilPiilS6_bb, .Lfunc_end116-_ZN9rocsolver6v33100L18getri_kernel_smallILi53EdPKPdEEvT1_iilPiilS6_bb
                                        ; -- End function
	.set _ZN9rocsolver6v33100L18getri_kernel_smallILi53EdPKPdEEvT1_iilPiilS6_bb.num_vgpr, 144
	.set _ZN9rocsolver6v33100L18getri_kernel_smallILi53EdPKPdEEvT1_iilPiilS6_bb.num_agpr, 0
	.set _ZN9rocsolver6v33100L18getri_kernel_smallILi53EdPKPdEEvT1_iilPiilS6_bb.numbered_sgpr, 21
	.set _ZN9rocsolver6v33100L18getri_kernel_smallILi53EdPKPdEEvT1_iilPiilS6_bb.num_named_barrier, 0
	.set _ZN9rocsolver6v33100L18getri_kernel_smallILi53EdPKPdEEvT1_iilPiilS6_bb.private_seg_size, 432
	.set _ZN9rocsolver6v33100L18getri_kernel_smallILi53EdPKPdEEvT1_iilPiilS6_bb.uses_vcc, 1
	.set _ZN9rocsolver6v33100L18getri_kernel_smallILi53EdPKPdEEvT1_iilPiilS6_bb.uses_flat_scratch, 0
	.set _ZN9rocsolver6v33100L18getri_kernel_smallILi53EdPKPdEEvT1_iilPiilS6_bb.has_dyn_sized_stack, 0
	.set _ZN9rocsolver6v33100L18getri_kernel_smallILi53EdPKPdEEvT1_iilPiilS6_bb.has_recursion, 0
	.set _ZN9rocsolver6v33100L18getri_kernel_smallILi53EdPKPdEEvT1_iilPiilS6_bb.has_indirect_call, 0
	.section	.AMDGPU.csdata,"",@progbits
; Kernel info:
; codeLenInByte = 70532
; TotalNumSgprs: 25
; NumVgprs: 144
; ScratchSize: 432
; MemoryBound: 1
; FloatMode: 240
; IeeeMode: 1
; LDSByteSize: 856 bytes/workgroup (compile time only)
; SGPRBlocks: 3
; VGPRBlocks: 35
; NumSGPRsForWavesPerEU: 25
; NumVGPRsForWavesPerEU: 144
; Occupancy: 1
; WaveLimiterHint : 1
; COMPUTE_PGM_RSRC2:SCRATCH_EN: 1
; COMPUTE_PGM_RSRC2:USER_SGPR: 6
; COMPUTE_PGM_RSRC2:TRAP_HANDLER: 0
; COMPUTE_PGM_RSRC2:TGID_X_EN: 1
; COMPUTE_PGM_RSRC2:TGID_Y_EN: 0
; COMPUTE_PGM_RSRC2:TGID_Z_EN: 0
; COMPUTE_PGM_RSRC2:TIDIG_COMP_CNT: 0
	.section	.text._ZN9rocsolver6v33100L18getri_kernel_smallILi54EdPKPdEEvT1_iilPiilS6_bb,"axG",@progbits,_ZN9rocsolver6v33100L18getri_kernel_smallILi54EdPKPdEEvT1_iilPiilS6_bb,comdat
	.globl	_ZN9rocsolver6v33100L18getri_kernel_smallILi54EdPKPdEEvT1_iilPiilS6_bb ; -- Begin function _ZN9rocsolver6v33100L18getri_kernel_smallILi54EdPKPdEEvT1_iilPiilS6_bb
	.p2align	8
	.type	_ZN9rocsolver6v33100L18getri_kernel_smallILi54EdPKPdEEvT1_iilPiilS6_bb,@function
_ZN9rocsolver6v33100L18getri_kernel_smallILi54EdPKPdEEvT1_iilPiilS6_bb: ; @_ZN9rocsolver6v33100L18getri_kernel_smallILi54EdPKPdEEvT1_iilPiilS6_bb
; %bb.0:
	s_add_u32 s0, s0, s7
	s_addc_u32 s1, s1, 0
	v_cmp_gt_u32_e32 vcc, 54, v0
	s_and_saveexec_b64 s[8:9], vcc
	s_cbranch_execz .LBB117_224
; %bb.1:
	s_load_dword s18, s[4:5], 0x38
	s_load_dwordx2 s[12:13], s[4:5], 0x0
	s_load_dwordx4 s[8:11], s[4:5], 0x28
	s_waitcnt lgkmcnt(0)
	s_bitcmp1_b32 s18, 8
	s_cselect_b64 s[14:15], -1, 0
	s_ashr_i32 s7, s6, 31
	s_lshl_b64 s[16:17], s[6:7], 3
	s_add_u32 s12, s12, s16
	s_addc_u32 s13, s13, s17
	s_load_dwordx2 s[16:17], s[12:13], 0x0
	s_bfe_u32 s12, s18, 0x10008
	s_cmp_eq_u32 s12, 0
                                        ; implicit-def: $sgpr12_sgpr13
	s_cbranch_scc1 .LBB117_3
; %bb.2:
	s_load_dword s12, s[4:5], 0x20
	s_load_dwordx2 s[18:19], s[4:5], 0x18
	s_mul_i32 s13, s8, s7
	s_mul_hi_u32 s20, s8, s6
	s_add_i32 s20, s20, s13
	s_mul_i32 s9, s9, s6
	s_add_i32 s9, s20, s9
	s_mul_i32 s8, s8, s6
	s_waitcnt lgkmcnt(0)
	s_ashr_i32 s13, s12, 31
	s_lshl_b64 s[8:9], s[8:9], 2
	s_add_u32 s18, s18, s8
	s_addc_u32 s19, s19, s9
	s_lshl_b64 s[8:9], s[12:13], 2
	s_add_u32 s12, s18, s8
	s_addc_u32 s13, s19, s9
.LBB117_3:
	s_load_dwordx2 s[8:9], s[4:5], 0x8
	s_load_dword s18, s[4:5], 0x38
	v_lshlrev_b32_e32 v111, 3, v0
	s_waitcnt lgkmcnt(0)
	s_ashr_i32 s5, s8, 31
	s_mov_b32 s4, s8
	s_lshl_b64 s[4:5], s[4:5], 3
	s_add_u32 s4, s16, s4
	s_addc_u32 s5, s17, s5
	v_mov_b32_e32 v2, s5
	v_add_co_u32_e32 v1, vcc, s4, v111
	v_addc_co_u32_e32 v2, vcc, 0, v2, vcc
	flat_load_dwordx2 v[5:6], v[1:2]
	s_mov_b32 s16, s9
	s_ashr_i32 s17, s9, 31
	s_lshl_b64 s[16:17], s[16:17], 3
	v_mov_b32_e32 v4, s17
	v_add_co_u32_e32 v3, vcc, s16, v1
	v_addc_co_u32_e32 v4, vcc, v2, v4, vcc
	s_add_i32 s8, s9, s9
	v_add_u32_e32 v9, s8, v0
	v_ashrrev_i32_e32 v10, 31, v9
	v_mov_b32_e32 v11, s5
	v_add_u32_e32 v12, s9, v9
	v_ashrrev_i32_e32 v13, 31, v12
	v_mov_b32_e32 v14, s5
	v_mov_b32_e32 v15, s5
	;; [unrolled: 1-line block ×50, first 2 shown]
	s_bitcmp0_b32 s18, 0
	s_waitcnt vmcnt(0) lgkmcnt(0)
	buffer_store_dword v6, off, s[0:3], 0 offset:4
	buffer_store_dword v5, off, s[0:3], 0
	flat_load_dwordx2 v[7:8], v[3:4]
	v_lshlrev_b64 v[5:6], 3, v[9:10]
	s_waitcnt vmcnt(0) lgkmcnt(0)
	buffer_store_dword v8, off, s[0:3], 0 offset:12
	buffer_store_dword v7, off, s[0:3], 0 offset:8
	v_add_co_u32_e32 v5, vcc, s4, v5
	v_addc_co_u32_e32 v6, vcc, v11, v6, vcc
	flat_load_dwordx2 v[10:11], v[5:6]
	v_lshlrev_b64 v[7:8], 3, v[12:13]
	s_waitcnt vmcnt(0) lgkmcnt(0)
	buffer_store_dword v11, off, s[0:3], 0 offset:20
	buffer_store_dword v10, off, s[0:3], 0 offset:16
	v_add_co_u32_e32 v7, vcc, s4, v7
	v_addc_co_u32_e32 v8, vcc, v14, v8, vcc
	flat_load_dwordx2 v[13:14], v[7:8]
	v_add_u32_e32 v11, s9, v12
	v_ashrrev_i32_e32 v12, 31, v11
	v_lshlrev_b64 v[9:10], 3, v[11:12]
	s_waitcnt vmcnt(0) lgkmcnt(0)
	buffer_store_dword v14, off, s[0:3], 0 offset:28
	buffer_store_dword v13, off, s[0:3], 0 offset:24
	v_add_co_u32_e32 v9, vcc, s4, v9
	v_addc_co_u32_e32 v10, vcc, v15, v10, vcc
	flat_load_dwordx2 v[13:14], v[9:10]
	v_add_u32_e32 v15, s9, v11
	v_ashrrev_i32_e32 v16, 31, v15
	v_lshlrev_b64 v[11:12], 3, v[15:16]
	v_add_u32_e32 v18, s9, v15
	v_add_co_u32_e32 v11, vcc, s4, v11
	v_addc_co_u32_e32 v12, vcc, v17, v12, vcc
	v_ashrrev_i32_e32 v19, 31, v18
	s_waitcnt vmcnt(0) lgkmcnt(0)
	buffer_store_dword v14, off, s[0:3], 0 offset:36
	buffer_store_dword v13, off, s[0:3], 0 offset:32
	flat_load_dwordx2 v[16:17], v[11:12]
	v_lshlrev_b64 v[13:14], 3, v[18:19]
	s_waitcnt vmcnt(0) lgkmcnt(0)
	buffer_store_dword v17, off, s[0:3], 0 offset:44
	buffer_store_dword v16, off, s[0:3], 0 offset:40
	v_add_co_u32_e32 v13, vcc, s4, v13
	v_addc_co_u32_e32 v14, vcc, v20, v14, vcc
	flat_load_dwordx2 v[19:20], v[13:14]
	v_add_u32_e32 v17, s9, v18
	v_ashrrev_i32_e32 v18, 31, v17
	v_lshlrev_b64 v[15:16], 3, v[17:18]
	s_waitcnt vmcnt(0) lgkmcnt(0)
	buffer_store_dword v20, off, s[0:3], 0 offset:52
	buffer_store_dword v19, off, s[0:3], 0 offset:48
	v_add_co_u32_e32 v15, vcc, s4, v15
	v_addc_co_u32_e32 v16, vcc, v21, v16, vcc
	flat_load_dwordx2 v[19:20], v[15:16]
	v_add_u32_e32 v21, s9, v17
	v_ashrrev_i32_e32 v22, 31, v21
	v_lshlrev_b64 v[17:18], 3, v[21:22]
	v_add_u32_e32 v24, s9, v21
	v_add_co_u32_e32 v17, vcc, s4, v17
	v_addc_co_u32_e32 v18, vcc, v23, v18, vcc
	v_ashrrev_i32_e32 v25, 31, v24
	s_waitcnt vmcnt(0) lgkmcnt(0)
	buffer_store_dword v20, off, s[0:3], 0 offset:60
	buffer_store_dword v19, off, s[0:3], 0 offset:56
	;; [unrolled: 27-line block ×7, first 2 shown]
	flat_load_dwordx2 v[52:53], v[47:48]
	v_lshlrev_b64 v[49:50], 3, v[54:55]
	s_waitcnt vmcnt(0) lgkmcnt(0)
	buffer_store_dword v53, off, s[0:3], 0 offset:188
	buffer_store_dword v52, off, s[0:3], 0 offset:184
	v_add_co_u32_e32 v49, vcc, s4, v49
	v_addc_co_u32_e32 v50, vcc, v56, v50, vcc
	flat_load_dwordx2 v[55:56], v[49:50]
	v_add_u32_e32 v53, s9, v54
	v_ashrrev_i32_e32 v54, 31, v53
	v_lshlrev_b64 v[51:52], 3, v[53:54]
	s_waitcnt vmcnt(0) lgkmcnt(0)
	buffer_store_dword v56, off, s[0:3], 0 offset:196
	buffer_store_dword v55, off, s[0:3], 0 offset:192
	v_add_co_u32_e32 v51, vcc, s4, v51
	v_addc_co_u32_e32 v52, vcc, v57, v52, vcc
	flat_load_dwordx2 v[55:56], v[51:52]
	v_add_u32_e32 v57, s9, v53
	v_ashrrev_i32_e32 v58, 31, v57
	v_lshlrev_b64 v[53:54], 3, v[57:58]
	v_add_u32_e32 v60, s9, v57
	v_add_co_u32_e32 v53, vcc, s4, v53
	v_addc_co_u32_e32 v54, vcc, v59, v54, vcc
	s_waitcnt vmcnt(0) lgkmcnt(0)
	buffer_store_dword v56, off, s[0:3], 0 offset:204
	buffer_store_dword v55, off, s[0:3], 0 offset:200
	flat_load_dwordx2 v[58:59], v[53:54]
	v_ashrrev_i32_e32 v61, 31, v60
	v_lshlrev_b64 v[55:56], 3, v[60:61]
	s_waitcnt vmcnt(0) lgkmcnt(0)
	buffer_store_dword v59, off, s[0:3], 0 offset:212
	buffer_store_dword v58, off, s[0:3], 0 offset:208
	v_add_co_u32_e32 v55, vcc, s4, v55
	v_addc_co_u32_e32 v56, vcc, v62, v56, vcc
	flat_load_dwordx2 v[61:62], v[55:56]
	v_add_u32_e32 v59, s9, v60
	v_ashrrev_i32_e32 v60, 31, v59
	v_lshlrev_b64 v[57:58], 3, v[59:60]
	s_waitcnt vmcnt(0) lgkmcnt(0)
	buffer_store_dword v62, off, s[0:3], 0 offset:220
	buffer_store_dword v61, off, s[0:3], 0 offset:216
	v_add_co_u32_e32 v57, vcc, s4, v57
	v_addc_co_u32_e32 v58, vcc, v63, v58, vcc
	flat_load_dwordx2 v[61:62], v[57:58]
	v_add_u32_e32 v63, s9, v59
	;; [unrolled: 9-line block ×26, first 2 shown]
	v_ashrrev_i32_e32 v108, 31, v107
	v_lshlrev_b64 v[107:108], 3, v[107:108]
	s_waitcnt vmcnt(0) lgkmcnt(0)
	buffer_store_dword v110, off, s[0:3], 0 offset:420
	buffer_store_dword v109, off, s[0:3], 0 offset:416
	v_add_co_u32_e32 v107, vcc, s4, v107
	v_addc_co_u32_e32 v108, vcc, v112, v108, vcc
	flat_load_dwordx2 v[109:110], v[107:108]
	s_mov_b64 s[8:9], -1
	s_waitcnt vmcnt(0) lgkmcnt(0)
	buffer_store_dword v110, off, s[0:3], 0 offset:428
	buffer_store_dword v109, off, s[0:3], 0 offset:424
	s_cbranch_scc1 .LBB117_222
; %bb.4:
	v_cmp_eq_u32_e64 s[4:5], 0, v0
	s_and_saveexec_b64 s[8:9], s[4:5]
; %bb.5:
	v_mov_b32_e32 v109, 0
	ds_write_b32 v109, v109 offset:864
; %bb.6:
	s_or_b64 exec, exec, s[8:9]
	v_mov_b32_e32 v109, 0
	v_lshl_add_u32 v109, v0, 3, v109
	s_waitcnt lgkmcnt(0)
	; wave barrier
	buffer_load_dword v112, v109, s[0:3], 0 offen
	buffer_load_dword v113, v109, s[0:3], 0 offen offset:4
	s_waitcnt vmcnt(0)
	v_cmp_eq_f64_e32 vcc, 0, v[112:113]
	s_and_saveexec_b64 s[16:17], vcc
	s_cbranch_execz .LBB117_10
; %bb.7:
	v_mov_b32_e32 v110, 0
	ds_read_b32 v113, v110 offset:864
	v_add_u32_e32 v112, 1, v0
	s_waitcnt lgkmcnt(0)
	v_readfirstlane_b32 s8, v113
	s_cmp_eq_u32 s8, 0
	s_cselect_b64 s[18:19], -1, 0
	v_cmp_gt_i32_e32 vcc, s8, v112
	s_or_b64 s[18:19], s[18:19], vcc
	s_and_b64 exec, exec, s[18:19]
	s_cbranch_execz .LBB117_10
; %bb.8:
	s_mov_b64 s[18:19], 0
	v_mov_b32_e32 v113, s8
.LBB117_9:                              ; =>This Inner Loop Header: Depth=1
	ds_cmpst_rtn_b32 v113, v110, v113, v112 offset:864
	s_waitcnt lgkmcnt(0)
	v_cmp_ne_u32_e32 vcc, 0, v113
	v_cmp_le_i32_e64 s[8:9], v113, v112
	s_and_b64 s[8:9], vcc, s[8:9]
	s_and_b64 s[8:9], exec, s[8:9]
	s_or_b64 s[18:19], s[8:9], s[18:19]
	s_andn2_b64 exec, exec, s[18:19]
	s_cbranch_execnz .LBB117_9
.LBB117_10:
	s_or_b64 exec, exec, s[16:17]
	v_mov_b32_e32 v112, 0
	; wave barrier
	ds_read_b32 v110, v112 offset:864
	s_and_saveexec_b64 s[8:9], s[4:5]
	s_cbranch_execz .LBB117_12
; %bb.11:
	s_lshl_b64 s[16:17], s[6:7], 2
	s_add_u32 s16, s10, s16
	s_addc_u32 s17, s11, s17
	s_waitcnt lgkmcnt(0)
	global_store_dword v112, v110, s[16:17]
.LBB117_12:
	s_or_b64 exec, exec, s[8:9]
	s_waitcnt lgkmcnt(0)
	v_cmp_ne_u32_e32 vcc, 0, v110
	s_mov_b64 s[8:9], 0
	s_cbranch_vccnz .LBB117_222
; %bb.13:
	buffer_load_dword v112, v109, s[0:3], 0 offen
	buffer_load_dword v113, v109, s[0:3], 0 offen offset:4
	s_waitcnt vmcnt(0)
	v_div_scale_f64 v[114:115], s[8:9], v[112:113], v[112:113], 1.0
	v_rcp_f64_e32 v[116:117], v[114:115]
	v_fma_f64 v[118:119], -v[114:115], v[116:117], 1.0
	v_fma_f64 v[116:117], v[116:117], v[118:119], v[116:117]
	v_div_scale_f64 v[118:119], vcc, 1.0, v[112:113], 1.0
	v_fma_f64 v[120:121], -v[114:115], v[116:117], 1.0
	v_fma_f64 v[116:117], v[116:117], v[120:121], v[116:117]
	v_mul_f64 v[120:121], v[118:119], v[116:117]
	v_fma_f64 v[114:115], -v[114:115], v[120:121], v[118:119]
	v_div_fmas_f64 v[114:115], v[114:115], v[116:117], v[120:121]
	v_div_fixup_f64 v[113:114], v[114:115], v[112:113], 1.0
	v_add_u32_e32 v112, 0x1b0, v111
	buffer_store_dword v114, v109, s[0:3], 0 offen offset:4
	buffer_store_dword v113, v109, s[0:3], 0 offen
	buffer_load_dword v116, off, s[0:3], 0 offset:12
	buffer_load_dword v115, off, s[0:3], 0 offset:8
	v_xor_b32_e32 v114, 0x80000000, v114
	s_waitcnt vmcnt(0)
	ds_write2_b64 v111, v[113:114], v[115:116] offset1:54
	s_waitcnt lgkmcnt(0)
	; wave barrier
	s_and_saveexec_b64 s[8:9], s[4:5]
	s_cbranch_execz .LBB117_15
; %bb.14:
	buffer_load_dword v113, v109, s[0:3], 0 offen
	buffer_load_dword v114, v109, s[0:3], 0 offen offset:4
	ds_read_b64 v[115:116], v112
	v_mov_b32_e32 v110, 0
	ds_read_b64 v[117:118], v110 offset:8
	s_waitcnt vmcnt(0) lgkmcnt(1)
	v_fma_f64 v[113:114], v[113:114], v[115:116], 0
	s_waitcnt lgkmcnt(0)
	v_mul_f64 v[113:114], v[113:114], v[117:118]
	buffer_store_dword v113, off, s[0:3], 0 offset:8
	buffer_store_dword v114, off, s[0:3], 0 offset:12
.LBB117_15:
	s_or_b64 exec, exec, s[8:9]
	; wave barrier
	buffer_load_dword v113, off, s[0:3], 0 offset:16
	buffer_load_dword v114, off, s[0:3], 0 offset:20
	v_cmp_gt_u32_e32 vcc, 2, v0
	s_waitcnt vmcnt(0)
	ds_write_b64 v112, v[113:114]
	s_waitcnt lgkmcnt(0)
	; wave barrier
	s_and_saveexec_b64 s[8:9], vcc
	s_cbranch_execz .LBB117_17
; %bb.16:
	buffer_load_dword v113, v109, s[0:3], 0 offen
	buffer_load_dword v114, v109, s[0:3], 0 offen offset:4
                                        ; kill: killed $vgpr109
	s_nop 0
	buffer_load_dword v109, off, s[0:3], 0 offset:8
	buffer_load_dword v110, off, s[0:3], 0 offset:12
	ds_read_b64 v[115:116], v112
	s_waitcnt vmcnt(2) lgkmcnt(0)
	v_fma_f64 v[117:118], v[113:114], v[115:116], 0
	v_mov_b32_e32 v113, 0
	ds_read2_b64 v[113:116], v113 offset0:2 offset1:55
	s_waitcnt vmcnt(0) lgkmcnt(0)
	v_fma_f64 v[109:110], v[109:110], v[115:116], v[117:118]
	v_cndmask_b32_e64 v110, v118, v110, s[4:5]
	v_cndmask_b32_e64 v109, v117, v109, s[4:5]
	v_mul_f64 v[109:110], v[109:110], v[113:114]
	buffer_store_dword v110, off, s[0:3], 0 offset:20
	buffer_store_dword v109, off, s[0:3], 0 offset:16
.LBB117_17:
	s_or_b64 exec, exec, s[8:9]
	; wave barrier
	buffer_load_dword v109, off, s[0:3], 0 offset:24
	buffer_load_dword v110, off, s[0:3], 0 offset:28
	v_cmp_gt_u32_e32 vcc, 3, v0
	v_add_u32_e32 v113, -1, v0
	s_waitcnt vmcnt(0)
	ds_write_b64 v112, v[109:110]
	s_waitcnt lgkmcnt(0)
	; wave barrier
	s_and_saveexec_b64 s[4:5], vcc
	s_cbranch_execz .LBB117_21
; %bb.18:
	v_mov_b32_e32 v109, 0
	v_add_u32_e32 v114, -1, v0
	v_add_u32_e32 v115, 0x1b0, v111
	v_mov_b32_e32 v116, v111
	v_mov_b32_e32 v110, 0
	s_mov_b64 s[8:9], 0
.LBB117_19:                             ; =>This Inner Loop Header: Depth=1
	buffer_load_dword v117, v116, s[0:3], 0 offen
	buffer_load_dword v118, v116, s[0:3], 0 offen offset:4
	ds_read_b64 v[119:120], v115
	v_add_u32_e32 v114, 1, v114
	v_cmp_lt_u32_e32 vcc, 1, v114
	v_add_u32_e32 v115, 8, v115
	s_or_b64 s[8:9], vcc, s[8:9]
	v_add_u32_e32 v116, 8, v116
	s_waitcnt vmcnt(0) lgkmcnt(0)
	v_fma_f64 v[109:110], v[117:118], v[119:120], v[109:110]
	s_andn2_b64 exec, exec, s[8:9]
	s_cbranch_execnz .LBB117_19
; %bb.20:
	s_or_b64 exec, exec, s[8:9]
	v_mov_b32_e32 v114, 0
	ds_read_b64 v[114:115], v114 offset:24
	s_waitcnt lgkmcnt(0)
	v_mul_f64 v[109:110], v[109:110], v[114:115]
	buffer_store_dword v110, off, s[0:3], 0 offset:28
	buffer_store_dword v109, off, s[0:3], 0 offset:24
.LBB117_21:
	s_or_b64 exec, exec, s[4:5]
	; wave barrier
	buffer_load_dword v109, off, s[0:3], 0 offset:32
	buffer_load_dword v110, off, s[0:3], 0 offset:36
	v_cmp_gt_u32_e32 vcc, 4, v0
	s_waitcnt vmcnt(0)
	ds_write_b64 v112, v[109:110]
	s_waitcnt lgkmcnt(0)
	; wave barrier
	s_and_saveexec_b64 s[4:5], vcc
	s_cbranch_execz .LBB117_25
; %bb.22:
	v_mov_b32_e32 v109, 0
	v_add_u32_e32 v114, -1, v0
	v_add_u32_e32 v115, 0x1b0, v111
	v_mov_b32_e32 v116, v111
	v_mov_b32_e32 v110, 0
	s_mov_b64 s[8:9], 0
.LBB117_23:                             ; =>This Inner Loop Header: Depth=1
	buffer_load_dword v117, v116, s[0:3], 0 offen
	buffer_load_dword v118, v116, s[0:3], 0 offen offset:4
	ds_read_b64 v[119:120], v115
	v_add_u32_e32 v114, 1, v114
	v_cmp_lt_u32_e32 vcc, 2, v114
	v_add_u32_e32 v115, 8, v115
	s_or_b64 s[8:9], vcc, s[8:9]
	v_add_u32_e32 v116, 8, v116
	s_waitcnt vmcnt(0) lgkmcnt(0)
	v_fma_f64 v[109:110], v[117:118], v[119:120], v[109:110]
	s_andn2_b64 exec, exec, s[8:9]
	s_cbranch_execnz .LBB117_23
; %bb.24:
	s_or_b64 exec, exec, s[8:9]
	v_mov_b32_e32 v114, 0
	ds_read_b64 v[114:115], v114 offset:32
	s_waitcnt lgkmcnt(0)
	v_mul_f64 v[109:110], v[109:110], v[114:115]
	buffer_store_dword v110, off, s[0:3], 0 offset:36
	buffer_store_dword v109, off, s[0:3], 0 offset:32
.LBB117_25:
	s_or_b64 exec, exec, s[4:5]
	; wave barrier
	buffer_load_dword v109, off, s[0:3], 0 offset:40
	buffer_load_dword v110, off, s[0:3], 0 offset:44
	v_cmp_gt_u32_e32 vcc, 5, v0
	s_waitcnt vmcnt(0)
	ds_write_b64 v112, v[109:110]
	s_waitcnt lgkmcnt(0)
	; wave barrier
	s_and_saveexec_b64 s[4:5], vcc
	s_cbranch_execz .LBB117_29
; %bb.26:
	v_mov_b32_e32 v109, 0
	v_add_u32_e32 v114, -1, v0
	v_add_u32_e32 v115, 0x1b0, v111
	v_mov_b32_e32 v116, v111
	v_mov_b32_e32 v110, 0
	s_mov_b64 s[8:9], 0
.LBB117_27:                             ; =>This Inner Loop Header: Depth=1
	buffer_load_dword v117, v116, s[0:3], 0 offen
	buffer_load_dword v118, v116, s[0:3], 0 offen offset:4
	ds_read_b64 v[119:120], v115
	v_add_u32_e32 v114, 1, v114
	v_cmp_lt_u32_e32 vcc, 3, v114
	v_add_u32_e32 v115, 8, v115
	s_or_b64 s[8:9], vcc, s[8:9]
	v_add_u32_e32 v116, 8, v116
	s_waitcnt vmcnt(0) lgkmcnt(0)
	v_fma_f64 v[109:110], v[117:118], v[119:120], v[109:110]
	s_andn2_b64 exec, exec, s[8:9]
	s_cbranch_execnz .LBB117_27
; %bb.28:
	s_or_b64 exec, exec, s[8:9]
	v_mov_b32_e32 v114, 0
	ds_read_b64 v[114:115], v114 offset:40
	s_waitcnt lgkmcnt(0)
	v_mul_f64 v[109:110], v[109:110], v[114:115]
	buffer_store_dword v110, off, s[0:3], 0 offset:44
	buffer_store_dword v109, off, s[0:3], 0 offset:40
.LBB117_29:
	s_or_b64 exec, exec, s[4:5]
	; wave barrier
	buffer_load_dword v109, off, s[0:3], 0 offset:48
	buffer_load_dword v110, off, s[0:3], 0 offset:52
	v_cmp_gt_u32_e32 vcc, 6, v0
	s_waitcnt vmcnt(0)
	ds_write_b64 v112, v[109:110]
	s_waitcnt lgkmcnt(0)
	; wave barrier
	s_and_saveexec_b64 s[4:5], vcc
	s_cbranch_execz .LBB117_33
; %bb.30:
	v_mov_b32_e32 v109, 0
	v_add_u32_e32 v114, -1, v0
	v_add_u32_e32 v115, 0x1b0, v111
	v_mov_b32_e32 v116, v111
	v_mov_b32_e32 v110, 0
	s_mov_b64 s[8:9], 0
.LBB117_31:                             ; =>This Inner Loop Header: Depth=1
	buffer_load_dword v117, v116, s[0:3], 0 offen
	buffer_load_dword v118, v116, s[0:3], 0 offen offset:4
	ds_read_b64 v[119:120], v115
	v_add_u32_e32 v114, 1, v114
	v_cmp_lt_u32_e32 vcc, 4, v114
	v_add_u32_e32 v115, 8, v115
	s_or_b64 s[8:9], vcc, s[8:9]
	v_add_u32_e32 v116, 8, v116
	s_waitcnt vmcnt(0) lgkmcnt(0)
	v_fma_f64 v[109:110], v[117:118], v[119:120], v[109:110]
	s_andn2_b64 exec, exec, s[8:9]
	s_cbranch_execnz .LBB117_31
; %bb.32:
	s_or_b64 exec, exec, s[8:9]
	v_mov_b32_e32 v114, 0
	ds_read_b64 v[114:115], v114 offset:48
	s_waitcnt lgkmcnt(0)
	v_mul_f64 v[109:110], v[109:110], v[114:115]
	buffer_store_dword v110, off, s[0:3], 0 offset:52
	buffer_store_dword v109, off, s[0:3], 0 offset:48
.LBB117_33:
	s_or_b64 exec, exec, s[4:5]
	; wave barrier
	buffer_load_dword v109, off, s[0:3], 0 offset:56
	buffer_load_dword v110, off, s[0:3], 0 offset:60
	v_cmp_gt_u32_e32 vcc, 7, v0
	s_waitcnt vmcnt(0)
	ds_write_b64 v112, v[109:110]
	s_waitcnt lgkmcnt(0)
	; wave barrier
	s_and_saveexec_b64 s[4:5], vcc
	s_cbranch_execz .LBB117_37
; %bb.34:
	v_mov_b32_e32 v109, 0
	v_add_u32_e32 v114, -1, v0
	v_add_u32_e32 v115, 0x1b0, v111
	v_mov_b32_e32 v116, v111
	v_mov_b32_e32 v110, 0
	s_mov_b64 s[8:9], 0
.LBB117_35:                             ; =>This Inner Loop Header: Depth=1
	buffer_load_dword v117, v116, s[0:3], 0 offen
	buffer_load_dword v118, v116, s[0:3], 0 offen offset:4
	ds_read_b64 v[119:120], v115
	v_add_u32_e32 v114, 1, v114
	v_cmp_lt_u32_e32 vcc, 5, v114
	v_add_u32_e32 v115, 8, v115
	s_or_b64 s[8:9], vcc, s[8:9]
	v_add_u32_e32 v116, 8, v116
	s_waitcnt vmcnt(0) lgkmcnt(0)
	v_fma_f64 v[109:110], v[117:118], v[119:120], v[109:110]
	s_andn2_b64 exec, exec, s[8:9]
	s_cbranch_execnz .LBB117_35
; %bb.36:
	s_or_b64 exec, exec, s[8:9]
	v_mov_b32_e32 v114, 0
	ds_read_b64 v[114:115], v114 offset:56
	s_waitcnt lgkmcnt(0)
	v_mul_f64 v[109:110], v[109:110], v[114:115]
	buffer_store_dword v110, off, s[0:3], 0 offset:60
	buffer_store_dword v109, off, s[0:3], 0 offset:56
.LBB117_37:
	s_or_b64 exec, exec, s[4:5]
	; wave barrier
	buffer_load_dword v109, off, s[0:3], 0 offset:64
	buffer_load_dword v110, off, s[0:3], 0 offset:68
	v_cmp_gt_u32_e32 vcc, 8, v0
	s_waitcnt vmcnt(0)
	ds_write_b64 v112, v[109:110]
	s_waitcnt lgkmcnt(0)
	; wave barrier
	s_and_saveexec_b64 s[4:5], vcc
	s_cbranch_execz .LBB117_41
; %bb.38:
	v_mov_b32_e32 v109, 0
	v_add_u32_e32 v114, -1, v0
	v_add_u32_e32 v115, 0x1b0, v111
	v_mov_b32_e32 v116, v111
	v_mov_b32_e32 v110, 0
	s_mov_b64 s[8:9], 0
.LBB117_39:                             ; =>This Inner Loop Header: Depth=1
	buffer_load_dword v117, v116, s[0:3], 0 offen
	buffer_load_dword v118, v116, s[0:3], 0 offen offset:4
	ds_read_b64 v[119:120], v115
	v_add_u32_e32 v114, 1, v114
	v_cmp_lt_u32_e32 vcc, 6, v114
	v_add_u32_e32 v115, 8, v115
	s_or_b64 s[8:9], vcc, s[8:9]
	v_add_u32_e32 v116, 8, v116
	s_waitcnt vmcnt(0) lgkmcnt(0)
	v_fma_f64 v[109:110], v[117:118], v[119:120], v[109:110]
	s_andn2_b64 exec, exec, s[8:9]
	s_cbranch_execnz .LBB117_39
; %bb.40:
	s_or_b64 exec, exec, s[8:9]
	v_mov_b32_e32 v114, 0
	ds_read_b64 v[114:115], v114 offset:64
	s_waitcnt lgkmcnt(0)
	v_mul_f64 v[109:110], v[109:110], v[114:115]
	buffer_store_dword v110, off, s[0:3], 0 offset:68
	buffer_store_dword v109, off, s[0:3], 0 offset:64
.LBB117_41:
	s_or_b64 exec, exec, s[4:5]
	; wave barrier
	buffer_load_dword v109, off, s[0:3], 0 offset:72
	buffer_load_dword v110, off, s[0:3], 0 offset:76
	v_cmp_gt_u32_e32 vcc, 9, v0
	s_waitcnt vmcnt(0)
	ds_write_b64 v112, v[109:110]
	s_waitcnt lgkmcnt(0)
	; wave barrier
	s_and_saveexec_b64 s[4:5], vcc
	s_cbranch_execz .LBB117_45
; %bb.42:
	v_mov_b32_e32 v109, 0
	v_add_u32_e32 v114, -1, v0
	v_add_u32_e32 v115, 0x1b0, v111
	v_mov_b32_e32 v116, v111
	v_mov_b32_e32 v110, 0
	s_mov_b64 s[8:9], 0
.LBB117_43:                             ; =>This Inner Loop Header: Depth=1
	buffer_load_dword v117, v116, s[0:3], 0 offen
	buffer_load_dword v118, v116, s[0:3], 0 offen offset:4
	ds_read_b64 v[119:120], v115
	v_add_u32_e32 v114, 1, v114
	v_cmp_lt_u32_e32 vcc, 7, v114
	v_add_u32_e32 v115, 8, v115
	s_or_b64 s[8:9], vcc, s[8:9]
	v_add_u32_e32 v116, 8, v116
	s_waitcnt vmcnt(0) lgkmcnt(0)
	v_fma_f64 v[109:110], v[117:118], v[119:120], v[109:110]
	s_andn2_b64 exec, exec, s[8:9]
	s_cbranch_execnz .LBB117_43
; %bb.44:
	s_or_b64 exec, exec, s[8:9]
	v_mov_b32_e32 v114, 0
	ds_read_b64 v[114:115], v114 offset:72
	s_waitcnt lgkmcnt(0)
	v_mul_f64 v[109:110], v[109:110], v[114:115]
	buffer_store_dword v110, off, s[0:3], 0 offset:76
	buffer_store_dword v109, off, s[0:3], 0 offset:72
.LBB117_45:
	s_or_b64 exec, exec, s[4:5]
	; wave barrier
	buffer_load_dword v109, off, s[0:3], 0 offset:80
	buffer_load_dword v110, off, s[0:3], 0 offset:84
	v_cmp_gt_u32_e32 vcc, 10, v0
	s_waitcnt vmcnt(0)
	ds_write_b64 v112, v[109:110]
	s_waitcnt lgkmcnt(0)
	; wave barrier
	s_and_saveexec_b64 s[4:5], vcc
	s_cbranch_execz .LBB117_49
; %bb.46:
	v_mov_b32_e32 v109, 0
	v_add_u32_e32 v114, -1, v0
	v_add_u32_e32 v115, 0x1b0, v111
	v_mov_b32_e32 v116, v111
	v_mov_b32_e32 v110, 0
	s_mov_b64 s[8:9], 0
.LBB117_47:                             ; =>This Inner Loop Header: Depth=1
	buffer_load_dword v117, v116, s[0:3], 0 offen
	buffer_load_dword v118, v116, s[0:3], 0 offen offset:4
	ds_read_b64 v[119:120], v115
	v_add_u32_e32 v114, 1, v114
	v_cmp_lt_u32_e32 vcc, 8, v114
	v_add_u32_e32 v115, 8, v115
	s_or_b64 s[8:9], vcc, s[8:9]
	v_add_u32_e32 v116, 8, v116
	s_waitcnt vmcnt(0) lgkmcnt(0)
	v_fma_f64 v[109:110], v[117:118], v[119:120], v[109:110]
	s_andn2_b64 exec, exec, s[8:9]
	s_cbranch_execnz .LBB117_47
; %bb.48:
	s_or_b64 exec, exec, s[8:9]
	v_mov_b32_e32 v114, 0
	ds_read_b64 v[114:115], v114 offset:80
	s_waitcnt lgkmcnt(0)
	v_mul_f64 v[109:110], v[109:110], v[114:115]
	buffer_store_dword v110, off, s[0:3], 0 offset:84
	buffer_store_dword v109, off, s[0:3], 0 offset:80
.LBB117_49:
	s_or_b64 exec, exec, s[4:5]
	; wave barrier
	buffer_load_dword v109, off, s[0:3], 0 offset:88
	buffer_load_dword v110, off, s[0:3], 0 offset:92
	v_cmp_gt_u32_e32 vcc, 11, v0
	s_waitcnt vmcnt(0)
	ds_write_b64 v112, v[109:110]
	s_waitcnt lgkmcnt(0)
	; wave barrier
	s_and_saveexec_b64 s[4:5], vcc
	s_cbranch_execz .LBB117_53
; %bb.50:
	v_mov_b32_e32 v109, 0
	v_add_u32_e32 v114, -1, v0
	v_add_u32_e32 v115, 0x1b0, v111
	v_mov_b32_e32 v116, v111
	v_mov_b32_e32 v110, 0
	s_mov_b64 s[8:9], 0
.LBB117_51:                             ; =>This Inner Loop Header: Depth=1
	buffer_load_dword v117, v116, s[0:3], 0 offen
	buffer_load_dword v118, v116, s[0:3], 0 offen offset:4
	ds_read_b64 v[119:120], v115
	v_add_u32_e32 v114, 1, v114
	v_cmp_lt_u32_e32 vcc, 9, v114
	v_add_u32_e32 v115, 8, v115
	s_or_b64 s[8:9], vcc, s[8:9]
	v_add_u32_e32 v116, 8, v116
	s_waitcnt vmcnt(0) lgkmcnt(0)
	v_fma_f64 v[109:110], v[117:118], v[119:120], v[109:110]
	s_andn2_b64 exec, exec, s[8:9]
	s_cbranch_execnz .LBB117_51
; %bb.52:
	s_or_b64 exec, exec, s[8:9]
	v_mov_b32_e32 v114, 0
	ds_read_b64 v[114:115], v114 offset:88
	s_waitcnt lgkmcnt(0)
	v_mul_f64 v[109:110], v[109:110], v[114:115]
	buffer_store_dword v110, off, s[0:3], 0 offset:92
	buffer_store_dword v109, off, s[0:3], 0 offset:88
.LBB117_53:
	s_or_b64 exec, exec, s[4:5]
	; wave barrier
	buffer_load_dword v109, off, s[0:3], 0 offset:96
	buffer_load_dword v110, off, s[0:3], 0 offset:100
	v_cmp_gt_u32_e32 vcc, 12, v0
	s_waitcnt vmcnt(0)
	ds_write_b64 v112, v[109:110]
	s_waitcnt lgkmcnt(0)
	; wave barrier
	s_and_saveexec_b64 s[4:5], vcc
	s_cbranch_execz .LBB117_57
; %bb.54:
	v_mov_b32_e32 v109, 0
	v_add_u32_e32 v114, -1, v0
	v_add_u32_e32 v115, 0x1b0, v111
	v_mov_b32_e32 v116, v111
	v_mov_b32_e32 v110, 0
	s_mov_b64 s[8:9], 0
.LBB117_55:                             ; =>This Inner Loop Header: Depth=1
	buffer_load_dword v117, v116, s[0:3], 0 offen
	buffer_load_dword v118, v116, s[0:3], 0 offen offset:4
	ds_read_b64 v[119:120], v115
	v_add_u32_e32 v114, 1, v114
	v_cmp_lt_u32_e32 vcc, 10, v114
	v_add_u32_e32 v115, 8, v115
	s_or_b64 s[8:9], vcc, s[8:9]
	v_add_u32_e32 v116, 8, v116
	s_waitcnt vmcnt(0) lgkmcnt(0)
	v_fma_f64 v[109:110], v[117:118], v[119:120], v[109:110]
	s_andn2_b64 exec, exec, s[8:9]
	s_cbranch_execnz .LBB117_55
; %bb.56:
	s_or_b64 exec, exec, s[8:9]
	v_mov_b32_e32 v114, 0
	ds_read_b64 v[114:115], v114 offset:96
	s_waitcnt lgkmcnt(0)
	v_mul_f64 v[109:110], v[109:110], v[114:115]
	buffer_store_dword v110, off, s[0:3], 0 offset:100
	buffer_store_dword v109, off, s[0:3], 0 offset:96
.LBB117_57:
	s_or_b64 exec, exec, s[4:5]
	; wave barrier
	buffer_load_dword v109, off, s[0:3], 0 offset:104
	buffer_load_dword v110, off, s[0:3], 0 offset:108
	v_cmp_gt_u32_e32 vcc, 13, v0
	s_waitcnt vmcnt(0)
	ds_write_b64 v112, v[109:110]
	s_waitcnt lgkmcnt(0)
	; wave barrier
	s_and_saveexec_b64 s[4:5], vcc
	s_cbranch_execz .LBB117_61
; %bb.58:
	v_mov_b32_e32 v109, 0
	v_add_u32_e32 v114, -1, v0
	v_add_u32_e32 v115, 0x1b0, v111
	v_mov_b32_e32 v116, v111
	v_mov_b32_e32 v110, 0
	s_mov_b64 s[8:9], 0
.LBB117_59:                             ; =>This Inner Loop Header: Depth=1
	buffer_load_dword v117, v116, s[0:3], 0 offen
	buffer_load_dword v118, v116, s[0:3], 0 offen offset:4
	ds_read_b64 v[119:120], v115
	v_add_u32_e32 v114, 1, v114
	v_cmp_lt_u32_e32 vcc, 11, v114
	v_add_u32_e32 v115, 8, v115
	s_or_b64 s[8:9], vcc, s[8:9]
	v_add_u32_e32 v116, 8, v116
	s_waitcnt vmcnt(0) lgkmcnt(0)
	v_fma_f64 v[109:110], v[117:118], v[119:120], v[109:110]
	s_andn2_b64 exec, exec, s[8:9]
	s_cbranch_execnz .LBB117_59
; %bb.60:
	s_or_b64 exec, exec, s[8:9]
	v_mov_b32_e32 v114, 0
	ds_read_b64 v[114:115], v114 offset:104
	s_waitcnt lgkmcnt(0)
	v_mul_f64 v[109:110], v[109:110], v[114:115]
	buffer_store_dword v110, off, s[0:3], 0 offset:108
	buffer_store_dword v109, off, s[0:3], 0 offset:104
.LBB117_61:
	s_or_b64 exec, exec, s[4:5]
	; wave barrier
	buffer_load_dword v109, off, s[0:3], 0 offset:112
	buffer_load_dword v110, off, s[0:3], 0 offset:116
	v_cmp_gt_u32_e32 vcc, 14, v0
	s_waitcnt vmcnt(0)
	ds_write_b64 v112, v[109:110]
	s_waitcnt lgkmcnt(0)
	; wave barrier
	s_and_saveexec_b64 s[4:5], vcc
	s_cbranch_execz .LBB117_65
; %bb.62:
	v_mov_b32_e32 v109, 0
	v_add_u32_e32 v114, -1, v0
	v_add_u32_e32 v115, 0x1b0, v111
	v_mov_b32_e32 v116, v111
	v_mov_b32_e32 v110, 0
	s_mov_b64 s[8:9], 0
.LBB117_63:                             ; =>This Inner Loop Header: Depth=1
	buffer_load_dword v117, v116, s[0:3], 0 offen
	buffer_load_dword v118, v116, s[0:3], 0 offen offset:4
	ds_read_b64 v[119:120], v115
	v_add_u32_e32 v114, 1, v114
	v_cmp_lt_u32_e32 vcc, 12, v114
	v_add_u32_e32 v115, 8, v115
	s_or_b64 s[8:9], vcc, s[8:9]
	v_add_u32_e32 v116, 8, v116
	s_waitcnt vmcnt(0) lgkmcnt(0)
	v_fma_f64 v[109:110], v[117:118], v[119:120], v[109:110]
	s_andn2_b64 exec, exec, s[8:9]
	s_cbranch_execnz .LBB117_63
; %bb.64:
	s_or_b64 exec, exec, s[8:9]
	v_mov_b32_e32 v114, 0
	ds_read_b64 v[114:115], v114 offset:112
	s_waitcnt lgkmcnt(0)
	v_mul_f64 v[109:110], v[109:110], v[114:115]
	buffer_store_dword v110, off, s[0:3], 0 offset:116
	buffer_store_dword v109, off, s[0:3], 0 offset:112
.LBB117_65:
	s_or_b64 exec, exec, s[4:5]
	; wave barrier
	buffer_load_dword v109, off, s[0:3], 0 offset:120
	buffer_load_dword v110, off, s[0:3], 0 offset:124
	v_cmp_gt_u32_e32 vcc, 15, v0
	s_waitcnt vmcnt(0)
	ds_write_b64 v112, v[109:110]
	s_waitcnt lgkmcnt(0)
	; wave barrier
	s_and_saveexec_b64 s[4:5], vcc
	s_cbranch_execz .LBB117_69
; %bb.66:
	v_mov_b32_e32 v109, 0
	v_add_u32_e32 v114, -1, v0
	v_add_u32_e32 v115, 0x1b0, v111
	v_mov_b32_e32 v116, v111
	v_mov_b32_e32 v110, 0
	s_mov_b64 s[8:9], 0
.LBB117_67:                             ; =>This Inner Loop Header: Depth=1
	buffer_load_dword v117, v116, s[0:3], 0 offen
	buffer_load_dword v118, v116, s[0:3], 0 offen offset:4
	ds_read_b64 v[119:120], v115
	v_add_u32_e32 v114, 1, v114
	v_cmp_lt_u32_e32 vcc, 13, v114
	v_add_u32_e32 v115, 8, v115
	s_or_b64 s[8:9], vcc, s[8:9]
	v_add_u32_e32 v116, 8, v116
	s_waitcnt vmcnt(0) lgkmcnt(0)
	v_fma_f64 v[109:110], v[117:118], v[119:120], v[109:110]
	s_andn2_b64 exec, exec, s[8:9]
	s_cbranch_execnz .LBB117_67
; %bb.68:
	s_or_b64 exec, exec, s[8:9]
	v_mov_b32_e32 v114, 0
	ds_read_b64 v[114:115], v114 offset:120
	s_waitcnt lgkmcnt(0)
	v_mul_f64 v[109:110], v[109:110], v[114:115]
	buffer_store_dword v110, off, s[0:3], 0 offset:124
	buffer_store_dword v109, off, s[0:3], 0 offset:120
.LBB117_69:
	s_or_b64 exec, exec, s[4:5]
	; wave barrier
	buffer_load_dword v109, off, s[0:3], 0 offset:128
	buffer_load_dword v110, off, s[0:3], 0 offset:132
	v_cmp_gt_u32_e32 vcc, 16, v0
	s_waitcnt vmcnt(0)
	ds_write_b64 v112, v[109:110]
	s_waitcnt lgkmcnt(0)
	; wave barrier
	s_and_saveexec_b64 s[4:5], vcc
	s_cbranch_execz .LBB117_73
; %bb.70:
	v_mov_b32_e32 v109, 0
	v_add_u32_e32 v114, -1, v0
	v_add_u32_e32 v115, 0x1b0, v111
	v_mov_b32_e32 v116, v111
	v_mov_b32_e32 v110, 0
	s_mov_b64 s[8:9], 0
.LBB117_71:                             ; =>This Inner Loop Header: Depth=1
	buffer_load_dword v117, v116, s[0:3], 0 offen
	buffer_load_dword v118, v116, s[0:3], 0 offen offset:4
	ds_read_b64 v[119:120], v115
	v_add_u32_e32 v114, 1, v114
	v_cmp_lt_u32_e32 vcc, 14, v114
	v_add_u32_e32 v115, 8, v115
	s_or_b64 s[8:9], vcc, s[8:9]
	v_add_u32_e32 v116, 8, v116
	s_waitcnt vmcnt(0) lgkmcnt(0)
	v_fma_f64 v[109:110], v[117:118], v[119:120], v[109:110]
	s_andn2_b64 exec, exec, s[8:9]
	s_cbranch_execnz .LBB117_71
; %bb.72:
	s_or_b64 exec, exec, s[8:9]
	v_mov_b32_e32 v114, 0
	ds_read_b64 v[114:115], v114 offset:128
	s_waitcnt lgkmcnt(0)
	v_mul_f64 v[109:110], v[109:110], v[114:115]
	buffer_store_dword v110, off, s[0:3], 0 offset:132
	buffer_store_dword v109, off, s[0:3], 0 offset:128
.LBB117_73:
	s_or_b64 exec, exec, s[4:5]
	; wave barrier
	buffer_load_dword v109, off, s[0:3], 0 offset:136
	buffer_load_dword v110, off, s[0:3], 0 offset:140
	v_cmp_gt_u32_e32 vcc, 17, v0
	s_waitcnt vmcnt(0)
	ds_write_b64 v112, v[109:110]
	s_waitcnt lgkmcnt(0)
	; wave barrier
	s_and_saveexec_b64 s[4:5], vcc
	s_cbranch_execz .LBB117_77
; %bb.74:
	v_mov_b32_e32 v109, 0
	v_add_u32_e32 v114, -1, v0
	v_add_u32_e32 v115, 0x1b0, v111
	v_mov_b32_e32 v116, v111
	v_mov_b32_e32 v110, 0
	s_mov_b64 s[8:9], 0
.LBB117_75:                             ; =>This Inner Loop Header: Depth=1
	buffer_load_dword v117, v116, s[0:3], 0 offen
	buffer_load_dword v118, v116, s[0:3], 0 offen offset:4
	ds_read_b64 v[119:120], v115
	v_add_u32_e32 v114, 1, v114
	v_cmp_lt_u32_e32 vcc, 15, v114
	v_add_u32_e32 v115, 8, v115
	s_or_b64 s[8:9], vcc, s[8:9]
	v_add_u32_e32 v116, 8, v116
	s_waitcnt vmcnt(0) lgkmcnt(0)
	v_fma_f64 v[109:110], v[117:118], v[119:120], v[109:110]
	s_andn2_b64 exec, exec, s[8:9]
	s_cbranch_execnz .LBB117_75
; %bb.76:
	s_or_b64 exec, exec, s[8:9]
	v_mov_b32_e32 v114, 0
	ds_read_b64 v[114:115], v114 offset:136
	s_waitcnt lgkmcnt(0)
	v_mul_f64 v[109:110], v[109:110], v[114:115]
	buffer_store_dword v110, off, s[0:3], 0 offset:140
	buffer_store_dword v109, off, s[0:3], 0 offset:136
.LBB117_77:
	s_or_b64 exec, exec, s[4:5]
	; wave barrier
	buffer_load_dword v109, off, s[0:3], 0 offset:144
	buffer_load_dword v110, off, s[0:3], 0 offset:148
	v_cmp_gt_u32_e32 vcc, 18, v0
	s_waitcnt vmcnt(0)
	ds_write_b64 v112, v[109:110]
	s_waitcnt lgkmcnt(0)
	; wave barrier
	s_and_saveexec_b64 s[4:5], vcc
	s_cbranch_execz .LBB117_81
; %bb.78:
	v_mov_b32_e32 v109, 0
	v_add_u32_e32 v114, -1, v0
	v_add_u32_e32 v115, 0x1b0, v111
	v_mov_b32_e32 v116, v111
	v_mov_b32_e32 v110, 0
	s_mov_b64 s[8:9], 0
.LBB117_79:                             ; =>This Inner Loop Header: Depth=1
	buffer_load_dword v117, v116, s[0:3], 0 offen
	buffer_load_dword v118, v116, s[0:3], 0 offen offset:4
	ds_read_b64 v[119:120], v115
	v_add_u32_e32 v114, 1, v114
	v_cmp_lt_u32_e32 vcc, 16, v114
	v_add_u32_e32 v115, 8, v115
	s_or_b64 s[8:9], vcc, s[8:9]
	v_add_u32_e32 v116, 8, v116
	s_waitcnt vmcnt(0) lgkmcnt(0)
	v_fma_f64 v[109:110], v[117:118], v[119:120], v[109:110]
	s_andn2_b64 exec, exec, s[8:9]
	s_cbranch_execnz .LBB117_79
; %bb.80:
	s_or_b64 exec, exec, s[8:9]
	v_mov_b32_e32 v114, 0
	ds_read_b64 v[114:115], v114 offset:144
	s_waitcnt lgkmcnt(0)
	v_mul_f64 v[109:110], v[109:110], v[114:115]
	buffer_store_dword v110, off, s[0:3], 0 offset:148
	buffer_store_dword v109, off, s[0:3], 0 offset:144
.LBB117_81:
	s_or_b64 exec, exec, s[4:5]
	; wave barrier
	buffer_load_dword v109, off, s[0:3], 0 offset:152
	buffer_load_dword v110, off, s[0:3], 0 offset:156
	v_cmp_gt_u32_e32 vcc, 19, v0
	s_waitcnt vmcnt(0)
	ds_write_b64 v112, v[109:110]
	s_waitcnt lgkmcnt(0)
	; wave barrier
	s_and_saveexec_b64 s[4:5], vcc
	s_cbranch_execz .LBB117_85
; %bb.82:
	v_mov_b32_e32 v109, 0
	v_add_u32_e32 v114, -1, v0
	v_add_u32_e32 v115, 0x1b0, v111
	v_mov_b32_e32 v116, v111
	v_mov_b32_e32 v110, 0
	s_mov_b64 s[8:9], 0
.LBB117_83:                             ; =>This Inner Loop Header: Depth=1
	buffer_load_dword v117, v116, s[0:3], 0 offen
	buffer_load_dword v118, v116, s[0:3], 0 offen offset:4
	ds_read_b64 v[119:120], v115
	v_add_u32_e32 v114, 1, v114
	v_cmp_lt_u32_e32 vcc, 17, v114
	v_add_u32_e32 v115, 8, v115
	s_or_b64 s[8:9], vcc, s[8:9]
	v_add_u32_e32 v116, 8, v116
	s_waitcnt vmcnt(0) lgkmcnt(0)
	v_fma_f64 v[109:110], v[117:118], v[119:120], v[109:110]
	s_andn2_b64 exec, exec, s[8:9]
	s_cbranch_execnz .LBB117_83
; %bb.84:
	s_or_b64 exec, exec, s[8:9]
	v_mov_b32_e32 v114, 0
	ds_read_b64 v[114:115], v114 offset:152
	s_waitcnt lgkmcnt(0)
	v_mul_f64 v[109:110], v[109:110], v[114:115]
	buffer_store_dword v110, off, s[0:3], 0 offset:156
	buffer_store_dword v109, off, s[0:3], 0 offset:152
.LBB117_85:
	s_or_b64 exec, exec, s[4:5]
	; wave barrier
	buffer_load_dword v109, off, s[0:3], 0 offset:160
	buffer_load_dword v110, off, s[0:3], 0 offset:164
	v_cmp_gt_u32_e32 vcc, 20, v0
	s_waitcnt vmcnt(0)
	ds_write_b64 v112, v[109:110]
	s_waitcnt lgkmcnt(0)
	; wave barrier
	s_and_saveexec_b64 s[4:5], vcc
	s_cbranch_execz .LBB117_89
; %bb.86:
	v_mov_b32_e32 v109, 0
	v_add_u32_e32 v114, -1, v0
	v_add_u32_e32 v115, 0x1b0, v111
	v_mov_b32_e32 v116, v111
	v_mov_b32_e32 v110, 0
	s_mov_b64 s[8:9], 0
.LBB117_87:                             ; =>This Inner Loop Header: Depth=1
	buffer_load_dword v117, v116, s[0:3], 0 offen
	buffer_load_dword v118, v116, s[0:3], 0 offen offset:4
	ds_read_b64 v[119:120], v115
	v_add_u32_e32 v114, 1, v114
	v_cmp_lt_u32_e32 vcc, 18, v114
	v_add_u32_e32 v115, 8, v115
	s_or_b64 s[8:9], vcc, s[8:9]
	v_add_u32_e32 v116, 8, v116
	s_waitcnt vmcnt(0) lgkmcnt(0)
	v_fma_f64 v[109:110], v[117:118], v[119:120], v[109:110]
	s_andn2_b64 exec, exec, s[8:9]
	s_cbranch_execnz .LBB117_87
; %bb.88:
	s_or_b64 exec, exec, s[8:9]
	v_mov_b32_e32 v114, 0
	ds_read_b64 v[114:115], v114 offset:160
	s_waitcnt lgkmcnt(0)
	v_mul_f64 v[109:110], v[109:110], v[114:115]
	buffer_store_dword v110, off, s[0:3], 0 offset:164
	buffer_store_dword v109, off, s[0:3], 0 offset:160
.LBB117_89:
	s_or_b64 exec, exec, s[4:5]
	; wave barrier
	buffer_load_dword v109, off, s[0:3], 0 offset:168
	buffer_load_dword v110, off, s[0:3], 0 offset:172
	v_cmp_gt_u32_e32 vcc, 21, v0
	s_waitcnt vmcnt(0)
	ds_write_b64 v112, v[109:110]
	s_waitcnt lgkmcnt(0)
	; wave barrier
	s_and_saveexec_b64 s[4:5], vcc
	s_cbranch_execz .LBB117_93
; %bb.90:
	v_mov_b32_e32 v109, 0
	v_add_u32_e32 v114, -1, v0
	v_add_u32_e32 v115, 0x1b0, v111
	v_mov_b32_e32 v116, v111
	v_mov_b32_e32 v110, 0
	s_mov_b64 s[8:9], 0
.LBB117_91:                             ; =>This Inner Loop Header: Depth=1
	buffer_load_dword v117, v116, s[0:3], 0 offen
	buffer_load_dword v118, v116, s[0:3], 0 offen offset:4
	ds_read_b64 v[119:120], v115
	v_add_u32_e32 v114, 1, v114
	v_cmp_lt_u32_e32 vcc, 19, v114
	v_add_u32_e32 v115, 8, v115
	s_or_b64 s[8:9], vcc, s[8:9]
	v_add_u32_e32 v116, 8, v116
	s_waitcnt vmcnt(0) lgkmcnt(0)
	v_fma_f64 v[109:110], v[117:118], v[119:120], v[109:110]
	s_andn2_b64 exec, exec, s[8:9]
	s_cbranch_execnz .LBB117_91
; %bb.92:
	s_or_b64 exec, exec, s[8:9]
	v_mov_b32_e32 v114, 0
	ds_read_b64 v[114:115], v114 offset:168
	s_waitcnt lgkmcnt(0)
	v_mul_f64 v[109:110], v[109:110], v[114:115]
	buffer_store_dword v110, off, s[0:3], 0 offset:172
	buffer_store_dword v109, off, s[0:3], 0 offset:168
.LBB117_93:
	s_or_b64 exec, exec, s[4:5]
	; wave barrier
	buffer_load_dword v109, off, s[0:3], 0 offset:176
	buffer_load_dword v110, off, s[0:3], 0 offset:180
	v_cmp_gt_u32_e32 vcc, 22, v0
	s_waitcnt vmcnt(0)
	ds_write_b64 v112, v[109:110]
	s_waitcnt lgkmcnt(0)
	; wave barrier
	s_and_saveexec_b64 s[4:5], vcc
	s_cbranch_execz .LBB117_97
; %bb.94:
	v_mov_b32_e32 v109, 0
	v_add_u32_e32 v114, -1, v0
	v_add_u32_e32 v115, 0x1b0, v111
	v_mov_b32_e32 v116, v111
	v_mov_b32_e32 v110, 0
	s_mov_b64 s[8:9], 0
.LBB117_95:                             ; =>This Inner Loop Header: Depth=1
	buffer_load_dword v117, v116, s[0:3], 0 offen
	buffer_load_dword v118, v116, s[0:3], 0 offen offset:4
	ds_read_b64 v[119:120], v115
	v_add_u32_e32 v114, 1, v114
	v_cmp_lt_u32_e32 vcc, 20, v114
	v_add_u32_e32 v115, 8, v115
	s_or_b64 s[8:9], vcc, s[8:9]
	v_add_u32_e32 v116, 8, v116
	s_waitcnt vmcnt(0) lgkmcnt(0)
	v_fma_f64 v[109:110], v[117:118], v[119:120], v[109:110]
	s_andn2_b64 exec, exec, s[8:9]
	s_cbranch_execnz .LBB117_95
; %bb.96:
	s_or_b64 exec, exec, s[8:9]
	v_mov_b32_e32 v114, 0
	ds_read_b64 v[114:115], v114 offset:176
	s_waitcnt lgkmcnt(0)
	v_mul_f64 v[109:110], v[109:110], v[114:115]
	buffer_store_dword v110, off, s[0:3], 0 offset:180
	buffer_store_dword v109, off, s[0:3], 0 offset:176
.LBB117_97:
	s_or_b64 exec, exec, s[4:5]
	; wave barrier
	buffer_load_dword v109, off, s[0:3], 0 offset:184
	buffer_load_dword v110, off, s[0:3], 0 offset:188
	v_cmp_gt_u32_e32 vcc, 23, v0
	s_waitcnt vmcnt(0)
	ds_write_b64 v112, v[109:110]
	s_waitcnt lgkmcnt(0)
	; wave barrier
	s_and_saveexec_b64 s[4:5], vcc
	s_cbranch_execz .LBB117_101
; %bb.98:
	v_mov_b32_e32 v109, 0
	v_add_u32_e32 v114, -1, v0
	v_add_u32_e32 v115, 0x1b0, v111
	v_mov_b32_e32 v116, v111
	v_mov_b32_e32 v110, 0
	s_mov_b64 s[8:9], 0
.LBB117_99:                             ; =>This Inner Loop Header: Depth=1
	buffer_load_dword v117, v116, s[0:3], 0 offen
	buffer_load_dword v118, v116, s[0:3], 0 offen offset:4
	ds_read_b64 v[119:120], v115
	v_add_u32_e32 v114, 1, v114
	v_cmp_lt_u32_e32 vcc, 21, v114
	v_add_u32_e32 v115, 8, v115
	s_or_b64 s[8:9], vcc, s[8:9]
	v_add_u32_e32 v116, 8, v116
	s_waitcnt vmcnt(0) lgkmcnt(0)
	v_fma_f64 v[109:110], v[117:118], v[119:120], v[109:110]
	s_andn2_b64 exec, exec, s[8:9]
	s_cbranch_execnz .LBB117_99
; %bb.100:
	s_or_b64 exec, exec, s[8:9]
	v_mov_b32_e32 v114, 0
	ds_read_b64 v[114:115], v114 offset:184
	s_waitcnt lgkmcnt(0)
	v_mul_f64 v[109:110], v[109:110], v[114:115]
	buffer_store_dword v110, off, s[0:3], 0 offset:188
	buffer_store_dword v109, off, s[0:3], 0 offset:184
.LBB117_101:
	s_or_b64 exec, exec, s[4:5]
	; wave barrier
	buffer_load_dword v109, off, s[0:3], 0 offset:192
	buffer_load_dword v110, off, s[0:3], 0 offset:196
	v_cmp_gt_u32_e32 vcc, 24, v0
	s_waitcnt vmcnt(0)
	ds_write_b64 v112, v[109:110]
	s_waitcnt lgkmcnt(0)
	; wave barrier
	s_and_saveexec_b64 s[4:5], vcc
	s_cbranch_execz .LBB117_105
; %bb.102:
	v_mov_b32_e32 v109, 0
	v_add_u32_e32 v114, -1, v0
	v_add_u32_e32 v115, 0x1b0, v111
	v_mov_b32_e32 v116, v111
	v_mov_b32_e32 v110, 0
	s_mov_b64 s[8:9], 0
.LBB117_103:                            ; =>This Inner Loop Header: Depth=1
	buffer_load_dword v117, v116, s[0:3], 0 offen
	buffer_load_dword v118, v116, s[0:3], 0 offen offset:4
	ds_read_b64 v[119:120], v115
	v_add_u32_e32 v114, 1, v114
	v_cmp_lt_u32_e32 vcc, 22, v114
	v_add_u32_e32 v115, 8, v115
	s_or_b64 s[8:9], vcc, s[8:9]
	v_add_u32_e32 v116, 8, v116
	s_waitcnt vmcnt(0) lgkmcnt(0)
	v_fma_f64 v[109:110], v[117:118], v[119:120], v[109:110]
	s_andn2_b64 exec, exec, s[8:9]
	s_cbranch_execnz .LBB117_103
; %bb.104:
	s_or_b64 exec, exec, s[8:9]
	v_mov_b32_e32 v114, 0
	ds_read_b64 v[114:115], v114 offset:192
	s_waitcnt lgkmcnt(0)
	v_mul_f64 v[109:110], v[109:110], v[114:115]
	buffer_store_dword v110, off, s[0:3], 0 offset:196
	buffer_store_dword v109, off, s[0:3], 0 offset:192
.LBB117_105:
	s_or_b64 exec, exec, s[4:5]
	; wave barrier
	buffer_load_dword v109, off, s[0:3], 0 offset:200
	buffer_load_dword v110, off, s[0:3], 0 offset:204
	v_cmp_gt_u32_e32 vcc, 25, v0
	s_waitcnt vmcnt(0)
	ds_write_b64 v112, v[109:110]
	s_waitcnt lgkmcnt(0)
	; wave barrier
	s_and_saveexec_b64 s[4:5], vcc
	s_cbranch_execz .LBB117_109
; %bb.106:
	v_mov_b32_e32 v109, 0
	v_add_u32_e32 v114, -1, v0
	v_add_u32_e32 v115, 0x1b0, v111
	v_mov_b32_e32 v116, v111
	v_mov_b32_e32 v110, 0
	s_mov_b64 s[8:9], 0
.LBB117_107:                            ; =>This Inner Loop Header: Depth=1
	buffer_load_dword v117, v116, s[0:3], 0 offen
	buffer_load_dword v118, v116, s[0:3], 0 offen offset:4
	ds_read_b64 v[119:120], v115
	v_add_u32_e32 v114, 1, v114
	v_cmp_lt_u32_e32 vcc, 23, v114
	v_add_u32_e32 v115, 8, v115
	s_or_b64 s[8:9], vcc, s[8:9]
	v_add_u32_e32 v116, 8, v116
	s_waitcnt vmcnt(0) lgkmcnt(0)
	v_fma_f64 v[109:110], v[117:118], v[119:120], v[109:110]
	s_andn2_b64 exec, exec, s[8:9]
	s_cbranch_execnz .LBB117_107
; %bb.108:
	s_or_b64 exec, exec, s[8:9]
	v_mov_b32_e32 v114, 0
	ds_read_b64 v[114:115], v114 offset:200
	s_waitcnt lgkmcnt(0)
	v_mul_f64 v[109:110], v[109:110], v[114:115]
	buffer_store_dword v110, off, s[0:3], 0 offset:204
	buffer_store_dword v109, off, s[0:3], 0 offset:200
.LBB117_109:
	s_or_b64 exec, exec, s[4:5]
	; wave barrier
	buffer_load_dword v109, off, s[0:3], 0 offset:208
	buffer_load_dword v110, off, s[0:3], 0 offset:212
	v_cmp_gt_u32_e32 vcc, 26, v0
	;; [unrolled: 40-line block ×28, first 2 shown]
	s_waitcnt vmcnt(0)
	ds_write_b64 v112, v[109:110]
	s_waitcnt lgkmcnt(0)
	; wave barrier
	s_and_saveexec_b64 s[4:5], vcc
	s_cbranch_execz .LBB117_217
; %bb.214:
	v_mov_b32_e32 v109, 0
	v_add_u32_e32 v114, -1, v0
	v_add_u32_e32 v115, 0x1b0, v111
	v_mov_b32_e32 v116, v111
	v_mov_b32_e32 v110, 0
	s_mov_b64 s[8:9], 0
.LBB117_215:                            ; =>This Inner Loop Header: Depth=1
	buffer_load_dword v117, v116, s[0:3], 0 offen
	buffer_load_dword v118, v116, s[0:3], 0 offen offset:4
	ds_read_b64 v[119:120], v115
	v_add_u32_e32 v114, 1, v114
	v_cmp_lt_u32_e32 vcc, 50, v114
	v_add_u32_e32 v115, 8, v115
	s_or_b64 s[8:9], vcc, s[8:9]
	v_add_u32_e32 v116, 8, v116
	s_waitcnt vmcnt(0) lgkmcnt(0)
	v_fma_f64 v[109:110], v[117:118], v[119:120], v[109:110]
	s_andn2_b64 exec, exec, s[8:9]
	s_cbranch_execnz .LBB117_215
; %bb.216:
	s_or_b64 exec, exec, s[8:9]
	v_mov_b32_e32 v114, 0
	ds_read_b64 v[114:115], v114 offset:416
	s_waitcnt lgkmcnt(0)
	v_mul_f64 v[109:110], v[109:110], v[114:115]
	buffer_store_dword v110, off, s[0:3], 0 offset:420
	buffer_store_dword v109, off, s[0:3], 0 offset:416
.LBB117_217:
	s_or_b64 exec, exec, s[4:5]
	; wave barrier
	buffer_load_dword v109, off, s[0:3], 0 offset:424
	buffer_load_dword v110, off, s[0:3], 0 offset:428
	v_cmp_ne_u32_e32 vcc, 53, v0
	s_waitcnt vmcnt(0)
	ds_write_b64 v112, v[109:110]
	s_waitcnt lgkmcnt(0)
	; wave barrier
	s_and_saveexec_b64 s[4:5], vcc
	s_cbranch_execz .LBB117_221
; %bb.218:
	v_mov_b32_e32 v109, 0
	v_add_u32_e32 v112, 0x1b0, v111
	v_mov_b32_e32 v110, 0
	s_mov_b64 s[8:9], 0
.LBB117_219:                            ; =>This Inner Loop Header: Depth=1
	buffer_load_dword v114, v111, s[0:3], 0 offen
	buffer_load_dword v115, v111, s[0:3], 0 offen offset:4
	ds_read_b64 v[116:117], v112
	v_add_u32_e32 v113, 1, v113
	v_cmp_lt_u32_e32 vcc, 51, v113
	v_add_u32_e32 v112, 8, v112
	s_or_b64 s[8:9], vcc, s[8:9]
	v_add_u32_e32 v111, 8, v111
	s_waitcnt vmcnt(0) lgkmcnt(0)
	v_fma_f64 v[109:110], v[114:115], v[116:117], v[109:110]
	s_andn2_b64 exec, exec, s[8:9]
	s_cbranch_execnz .LBB117_219
; %bb.220:
	s_or_b64 exec, exec, s[8:9]
	v_mov_b32_e32 v111, 0
	ds_read_b64 v[111:112], v111 offset:424
	s_waitcnt lgkmcnt(0)
	v_mul_f64 v[109:110], v[109:110], v[111:112]
	buffer_store_dword v110, off, s[0:3], 0 offset:428
	buffer_store_dword v109, off, s[0:3], 0 offset:424
.LBB117_221:
	s_or_b64 exec, exec, s[4:5]
	s_mov_b64 s[8:9], -1
	; wave barrier
.LBB117_222:
	s_and_b64 vcc, exec, s[8:9]
	s_cbranch_vccz .LBB117_224
; %bb.223:
	s_lshl_b64 s[4:5], s[6:7], 2
	s_add_u32 s4, s10, s4
	s_addc_u32 s5, s11, s5
	v_mov_b32_e32 v109, 0
	global_load_dword v109, v109, s[4:5]
	s_waitcnt vmcnt(0)
	v_cmp_ne_u32_e32 vcc, 0, v109
	s_cbranch_vccz .LBB117_225
.LBB117_224:
	s_endpgm
.LBB117_225:
	v_mov_b32_e32 v109, 0x1b0
	v_lshl_add_u32 v109, v0, 3, v109
	v_cmp_eq_u32_e32 vcc, 53, v0
	s_and_saveexec_b64 s[4:5], vcc
	s_cbranch_execz .LBB117_227
; %bb.226:
	buffer_load_dword v110, off, s[0:3], 0 offset:416
	buffer_load_dword v111, off, s[0:3], 0 offset:420
	v_mov_b32_e32 v112, 0
	buffer_store_dword v112, off, s[0:3], 0 offset:416
	buffer_store_dword v112, off, s[0:3], 0 offset:420
	s_waitcnt vmcnt(2)
	ds_write_b64 v109, v[110:111]
.LBB117_227:
	s_or_b64 exec, exec, s[4:5]
	s_waitcnt lgkmcnt(0)
	; wave barrier
	buffer_load_dword v111, off, s[0:3], 0 offset:424
	buffer_load_dword v112, off, s[0:3], 0 offset:428
	;; [unrolled: 1-line block ×4, first 2 shown]
	v_mov_b32_e32 v110, 0
	ds_read_b64 v[115:116], v110 offset:856
	v_cmp_lt_u32_e32 vcc, 51, v0
	s_waitcnt vmcnt(2) lgkmcnt(0)
	v_fma_f64 v[111:112], v[111:112], v[115:116], 0
	s_waitcnt vmcnt(0)
	v_add_f64 v[111:112], v[113:114], -v[111:112]
	buffer_store_dword v111, off, s[0:3], 0 offset:416
	buffer_store_dword v112, off, s[0:3], 0 offset:420
	s_and_saveexec_b64 s[4:5], vcc
	s_cbranch_execz .LBB117_229
; %bb.228:
	buffer_load_dword v111, off, s[0:3], 0 offset:408
	buffer_load_dword v112, off, s[0:3], 0 offset:412
	s_waitcnt vmcnt(0)
	ds_write_b64 v109, v[111:112]
	buffer_store_dword v110, off, s[0:3], 0 offset:408
	buffer_store_dword v110, off, s[0:3], 0 offset:412
.LBB117_229:
	s_or_b64 exec, exec, s[4:5]
	s_waitcnt lgkmcnt(0)
	; wave barrier
	buffer_load_dword v114, off, s[0:3], 0 offset:416
	buffer_load_dword v115, off, s[0:3], 0 offset:420
	;; [unrolled: 1-line block ×6, first 2 shown]
	ds_read_b128 v[110:113], v110 offset:848
	v_cmp_lt_u32_e32 vcc, 50, v0
	s_waitcnt vmcnt(4) lgkmcnt(0)
	v_fma_f64 v[110:111], v[114:115], v[110:111], 0
	s_waitcnt vmcnt(2)
	v_fma_f64 v[110:111], v[116:117], v[112:113], v[110:111]
	s_waitcnt vmcnt(0)
	v_add_f64 v[110:111], v[118:119], -v[110:111]
	buffer_store_dword v110, off, s[0:3], 0 offset:408
	buffer_store_dword v111, off, s[0:3], 0 offset:412
	s_and_saveexec_b64 s[4:5], vcc
	s_cbranch_execz .LBB117_231
; %bb.230:
	buffer_load_dword v110, off, s[0:3], 0 offset:400
	buffer_load_dword v111, off, s[0:3], 0 offset:404
	v_mov_b32_e32 v112, 0
	buffer_store_dword v112, off, s[0:3], 0 offset:400
	buffer_store_dword v112, off, s[0:3], 0 offset:404
	s_waitcnt vmcnt(2)
	ds_write_b64 v109, v[110:111]
.LBB117_231:
	s_or_b64 exec, exec, s[4:5]
	s_waitcnt lgkmcnt(0)
	; wave barrier
	buffer_load_dword v115, off, s[0:3], 0 offset:408
	buffer_load_dword v116, off, s[0:3], 0 offset:412
	;; [unrolled: 1-line block ×8, first 2 shown]
	v_mov_b32_e32 v110, 0
	ds_read2_b64 v[111:114], v110 offset0:105 offset1:106
	ds_read_b64 v[123:124], v110 offset:856
	v_cmp_lt_u32_e32 vcc, 49, v0
	s_waitcnt vmcnt(6) lgkmcnt(1)
	v_fma_f64 v[111:112], v[115:116], v[111:112], 0
	s_waitcnt vmcnt(4)
	v_fma_f64 v[111:112], v[117:118], v[113:114], v[111:112]
	s_waitcnt vmcnt(2) lgkmcnt(0)
	v_fma_f64 v[111:112], v[119:120], v[123:124], v[111:112]
	s_waitcnt vmcnt(0)
	v_add_f64 v[111:112], v[121:122], -v[111:112]
	buffer_store_dword v111, off, s[0:3], 0 offset:400
	buffer_store_dword v112, off, s[0:3], 0 offset:404
	s_and_saveexec_b64 s[4:5], vcc
	s_cbranch_execz .LBB117_233
; %bb.232:
	buffer_load_dword v111, off, s[0:3], 0 offset:392
	buffer_load_dword v112, off, s[0:3], 0 offset:396
	s_waitcnt vmcnt(0)
	ds_write_b64 v109, v[111:112]
	buffer_store_dword v110, off, s[0:3], 0 offset:392
	buffer_store_dword v110, off, s[0:3], 0 offset:396
.LBB117_233:
	s_or_b64 exec, exec, s[4:5]
	s_waitcnt lgkmcnt(0)
	; wave barrier
	buffer_load_dword v115, off, s[0:3], 0 offset:400
	buffer_load_dword v116, off, s[0:3], 0 offset:404
	;; [unrolled: 1-line block ×10, first 2 shown]
	ds_read_b128 v[111:114], v110 offset:832
	v_cmp_lt_u32_e32 vcc, 48, v0
	s_waitcnt vmcnt(8) lgkmcnt(0)
	v_fma_f64 v[111:112], v[115:116], v[111:112], 0
	s_waitcnt vmcnt(6)
	v_fma_f64 v[114:115], v[117:118], v[113:114], v[111:112]
	ds_read_b128 v[110:113], v110 offset:848
	s_waitcnt vmcnt(4) lgkmcnt(0)
	v_fma_f64 v[110:111], v[119:120], v[110:111], v[114:115]
	s_waitcnt vmcnt(2)
	v_fma_f64 v[110:111], v[121:122], v[112:113], v[110:111]
	s_waitcnt vmcnt(0)
	v_add_f64 v[110:111], v[123:124], -v[110:111]
	buffer_store_dword v110, off, s[0:3], 0 offset:392
	buffer_store_dword v111, off, s[0:3], 0 offset:396
	s_and_saveexec_b64 s[4:5], vcc
	s_cbranch_execz .LBB117_235
; %bb.234:
	buffer_load_dword v110, off, s[0:3], 0 offset:384
	buffer_load_dword v111, off, s[0:3], 0 offset:388
	v_mov_b32_e32 v112, 0
	buffer_store_dword v112, off, s[0:3], 0 offset:384
	buffer_store_dword v112, off, s[0:3], 0 offset:388
	s_waitcnt vmcnt(2)
	ds_write_b64 v109, v[110:111]
.LBB117_235:
	s_or_b64 exec, exec, s[4:5]
	s_waitcnt lgkmcnt(0)
	; wave barrier
	buffer_load_dword v115, off, s[0:3], 0 offset:392
	buffer_load_dword v116, off, s[0:3], 0 offset:396
	;; [unrolled: 1-line block ×12, first 2 shown]
	v_mov_b32_e32 v110, 0
	ds_read2_b64 v[111:114], v110 offset0:103 offset1:104
	v_cmp_lt_u32_e32 vcc, 47, v0
	s_waitcnt vmcnt(10) lgkmcnt(0)
	v_fma_f64 v[111:112], v[115:116], v[111:112], 0
	s_waitcnt vmcnt(8)
	v_fma_f64 v[115:116], v[117:118], v[113:114], v[111:112]
	ds_read2_b64 v[111:114], v110 offset0:105 offset1:106
	s_waitcnt vmcnt(6) lgkmcnt(0)
	v_fma_f64 v[111:112], v[119:120], v[111:112], v[115:116]
	s_waitcnt vmcnt(4)
	v_fma_f64 v[111:112], v[121:122], v[113:114], v[111:112]
	ds_read_b64 v[113:114], v110 offset:856
	s_waitcnt vmcnt(2) lgkmcnt(0)
	v_fma_f64 v[111:112], v[123:124], v[113:114], v[111:112]
	s_waitcnt vmcnt(0)
	v_add_f64 v[111:112], v[125:126], -v[111:112]
	buffer_store_dword v111, off, s[0:3], 0 offset:384
	buffer_store_dword v112, off, s[0:3], 0 offset:388
	s_and_saveexec_b64 s[4:5], vcc
	s_cbranch_execz .LBB117_237
; %bb.236:
	buffer_load_dword v111, off, s[0:3], 0 offset:376
	buffer_load_dword v112, off, s[0:3], 0 offset:380
	s_waitcnt vmcnt(0)
	ds_write_b64 v109, v[111:112]
	buffer_store_dword v110, off, s[0:3], 0 offset:376
	buffer_store_dword v110, off, s[0:3], 0 offset:380
.LBB117_237:
	s_or_b64 exec, exec, s[4:5]
	s_waitcnt lgkmcnt(0)
	; wave barrier
	buffer_load_dword v119, off, s[0:3], 0 offset:384
	buffer_load_dword v120, off, s[0:3], 0 offset:388
	;; [unrolled: 1-line block ×14, first 2 shown]
	ds_read_b128 v[111:114], v110 offset:816
	ds_read_b128 v[115:118], v110 offset:832
	v_cmp_lt_u32_e32 vcc, 46, v0
	s_waitcnt vmcnt(12) lgkmcnt(1)
	v_fma_f64 v[111:112], v[119:120], v[111:112], 0
	s_waitcnt vmcnt(10)
	v_fma_f64 v[111:112], v[121:122], v[113:114], v[111:112]
	s_waitcnt vmcnt(8) lgkmcnt(0)
	v_fma_f64 v[111:112], v[123:124], v[115:116], v[111:112]
	s_waitcnt vmcnt(6)
	v_fma_f64 v[114:115], v[125:126], v[117:118], v[111:112]
	ds_read_b128 v[110:113], v110 offset:848
	s_waitcnt vmcnt(4) lgkmcnt(0)
	v_fma_f64 v[110:111], v[127:128], v[110:111], v[114:115]
	s_waitcnt vmcnt(2)
	v_fma_f64 v[110:111], v[129:130], v[112:113], v[110:111]
	s_waitcnt vmcnt(0)
	v_add_f64 v[110:111], v[131:132], -v[110:111]
	buffer_store_dword v110, off, s[0:3], 0 offset:376
	buffer_store_dword v111, off, s[0:3], 0 offset:380
	s_and_saveexec_b64 s[4:5], vcc
	s_cbranch_execz .LBB117_239
; %bb.238:
	buffer_load_dword v110, off, s[0:3], 0 offset:368
	buffer_load_dword v111, off, s[0:3], 0 offset:372
	v_mov_b32_e32 v112, 0
	buffer_store_dword v112, off, s[0:3], 0 offset:368
	buffer_store_dword v112, off, s[0:3], 0 offset:372
	s_waitcnt vmcnt(2)
	ds_write_b64 v109, v[110:111]
.LBB117_239:
	s_or_b64 exec, exec, s[4:5]
	s_waitcnt lgkmcnt(0)
	; wave barrier
	buffer_load_dword v119, off, s[0:3], 0 offset:376
	buffer_load_dword v120, off, s[0:3], 0 offset:380
	;; [unrolled: 1-line block ×16, first 2 shown]
	v_mov_b32_e32 v110, 0
	ds_read2_b64 v[111:114], v110 offset0:101 offset1:102
	ds_read2_b64 v[115:118], v110 offset0:103 offset1:104
	v_cmp_lt_u32_e32 vcc, 45, v0
	s_waitcnt vmcnt(14) lgkmcnt(1)
	v_fma_f64 v[111:112], v[119:120], v[111:112], 0
	s_waitcnt vmcnt(12)
	v_fma_f64 v[111:112], v[121:122], v[113:114], v[111:112]
	s_waitcnt vmcnt(10) lgkmcnt(0)
	v_fma_f64 v[111:112], v[123:124], v[115:116], v[111:112]
	s_waitcnt vmcnt(8)
	v_fma_f64 v[115:116], v[125:126], v[117:118], v[111:112]
	ds_read2_b64 v[111:114], v110 offset0:105 offset1:106
	ds_read_b64 v[117:118], v110 offset:856
	s_waitcnt vmcnt(6) lgkmcnt(1)
	v_fma_f64 v[111:112], v[127:128], v[111:112], v[115:116]
	s_waitcnt vmcnt(4)
	v_fma_f64 v[111:112], v[129:130], v[113:114], v[111:112]
	s_waitcnt vmcnt(2) lgkmcnt(0)
	v_fma_f64 v[111:112], v[131:132], v[117:118], v[111:112]
	s_waitcnt vmcnt(0)
	v_add_f64 v[111:112], v[133:134], -v[111:112]
	buffer_store_dword v111, off, s[0:3], 0 offset:368
	buffer_store_dword v112, off, s[0:3], 0 offset:372
	s_and_saveexec_b64 s[4:5], vcc
	s_cbranch_execz .LBB117_241
; %bb.240:
	buffer_load_dword v111, off, s[0:3], 0 offset:360
	buffer_load_dword v112, off, s[0:3], 0 offset:364
	s_waitcnt vmcnt(0)
	ds_write_b64 v109, v[111:112]
	buffer_store_dword v110, off, s[0:3], 0 offset:360
	buffer_store_dword v110, off, s[0:3], 0 offset:364
.LBB117_241:
	s_or_b64 exec, exec, s[4:5]
	s_waitcnt lgkmcnt(0)
	; wave barrier
	buffer_load_dword v119, off, s[0:3], 0 offset:368
	buffer_load_dword v120, off, s[0:3], 0 offset:372
	;; [unrolled: 1-line block ×18, first 2 shown]
	ds_read_b128 v[111:114], v110 offset:800
	ds_read_b128 v[115:118], v110 offset:816
	v_cmp_lt_u32_e32 vcc, 44, v0
	s_waitcnt vmcnt(16) lgkmcnt(1)
	v_fma_f64 v[111:112], v[119:120], v[111:112], 0
	s_waitcnt vmcnt(14)
	v_fma_f64 v[111:112], v[121:122], v[113:114], v[111:112]
	s_waitcnt vmcnt(12) lgkmcnt(0)
	v_fma_f64 v[111:112], v[123:124], v[115:116], v[111:112]
	s_waitcnt vmcnt(10)
	v_fma_f64 v[119:120], v[125:126], v[117:118], v[111:112]
	ds_read_b128 v[111:114], v110 offset:832
	ds_read_b128 v[115:118], v110 offset:848
	s_waitcnt vmcnt(8) lgkmcnt(1)
	v_fma_f64 v[110:111], v[127:128], v[111:112], v[119:120]
	s_waitcnt vmcnt(6)
	v_fma_f64 v[110:111], v[129:130], v[113:114], v[110:111]
	s_waitcnt vmcnt(4) lgkmcnt(0)
	v_fma_f64 v[110:111], v[131:132], v[115:116], v[110:111]
	s_waitcnt vmcnt(2)
	v_fma_f64 v[110:111], v[133:134], v[117:118], v[110:111]
	s_waitcnt vmcnt(0)
	v_add_f64 v[110:111], v[135:136], -v[110:111]
	buffer_store_dword v110, off, s[0:3], 0 offset:360
	buffer_store_dword v111, off, s[0:3], 0 offset:364
	s_and_saveexec_b64 s[4:5], vcc
	s_cbranch_execz .LBB117_243
; %bb.242:
	buffer_load_dword v110, off, s[0:3], 0 offset:352
	buffer_load_dword v111, off, s[0:3], 0 offset:356
	v_mov_b32_e32 v112, 0
	buffer_store_dword v112, off, s[0:3], 0 offset:352
	buffer_store_dword v112, off, s[0:3], 0 offset:356
	s_waitcnt vmcnt(2)
	ds_write_b64 v109, v[110:111]
.LBB117_243:
	s_or_b64 exec, exec, s[4:5]
	s_waitcnt lgkmcnt(0)
	; wave barrier
	buffer_load_dword v119, off, s[0:3], 0 offset:360
	buffer_load_dword v120, off, s[0:3], 0 offset:364
	;; [unrolled: 1-line block ×20, first 2 shown]
	v_mov_b32_e32 v110, 0
	ds_read2_b64 v[111:114], v110 offset0:99 offset1:100
	ds_read2_b64 v[115:118], v110 offset0:101 offset1:102
	v_cmp_lt_u32_e32 vcc, 43, v0
	s_waitcnt vmcnt(18) lgkmcnt(1)
	v_fma_f64 v[111:112], v[119:120], v[111:112], 0
	s_waitcnt vmcnt(16)
	v_fma_f64 v[111:112], v[121:122], v[113:114], v[111:112]
	s_waitcnt vmcnt(14) lgkmcnt(0)
	v_fma_f64 v[111:112], v[123:124], v[115:116], v[111:112]
	s_waitcnt vmcnt(12)
	v_fma_f64 v[119:120], v[125:126], v[117:118], v[111:112]
	ds_read2_b64 v[111:114], v110 offset0:103 offset1:104
	ds_read2_b64 v[115:118], v110 offset0:105 offset1:106
	s_waitcnt vmcnt(10) lgkmcnt(1)
	v_fma_f64 v[111:112], v[127:128], v[111:112], v[119:120]
	s_waitcnt vmcnt(8)
	v_fma_f64 v[111:112], v[129:130], v[113:114], v[111:112]
	ds_read_b64 v[113:114], v110 offset:856
	s_waitcnt vmcnt(6) lgkmcnt(1)
	v_fma_f64 v[111:112], v[131:132], v[115:116], v[111:112]
	s_waitcnt vmcnt(3)
	v_fma_f64 v[111:112], v[133:134], v[117:118], v[111:112]
	s_waitcnt vmcnt(2) lgkmcnt(0)
	v_fma_f64 v[111:112], v[135:136], v[113:114], v[111:112]
	s_waitcnt vmcnt(0)
	v_add_f64 v[111:112], v[137:138], -v[111:112]
	buffer_store_dword v111, off, s[0:3], 0 offset:352
	buffer_store_dword v112, off, s[0:3], 0 offset:356
	s_and_saveexec_b64 s[4:5], vcc
	s_cbranch_execz .LBB117_245
; %bb.244:
	buffer_load_dword v111, off, s[0:3], 0 offset:344
	buffer_load_dword v112, off, s[0:3], 0 offset:348
	s_waitcnt vmcnt(0)
	ds_write_b64 v109, v[111:112]
	buffer_store_dword v110, off, s[0:3], 0 offset:344
	buffer_store_dword v110, off, s[0:3], 0 offset:348
.LBB117_245:
	s_or_b64 exec, exec, s[4:5]
	s_waitcnt lgkmcnt(0)
	; wave barrier
	buffer_load_dword v119, off, s[0:3], 0 offset:352
	buffer_load_dword v120, off, s[0:3], 0 offset:356
	;; [unrolled: 1-line block ×20, first 2 shown]
	ds_read_b128 v[111:114], v110 offset:784
	buffer_load_dword v139, off, s[0:3], 0 offset:344
	buffer_load_dword v140, off, s[0:3], 0 offset:348
	ds_read_b128 v[115:118], v110 offset:800
	v_cmp_lt_u32_e32 vcc, 42, v0
	s_waitcnt vmcnt(20) lgkmcnt(1)
	v_fma_f64 v[111:112], v[119:120], v[111:112], 0
	s_waitcnt vmcnt(18)
	v_fma_f64 v[111:112], v[121:122], v[113:114], v[111:112]
	s_waitcnt vmcnt(16) lgkmcnt(0)
	v_fma_f64 v[111:112], v[123:124], v[115:116], v[111:112]
	s_waitcnt vmcnt(14)
	v_fma_f64 v[119:120], v[125:126], v[117:118], v[111:112]
	ds_read_b128 v[111:114], v110 offset:816
	ds_read_b128 v[115:118], v110 offset:832
	s_waitcnt vmcnt(12) lgkmcnt(1)
	v_fma_f64 v[111:112], v[127:128], v[111:112], v[119:120]
	s_waitcnt vmcnt(10)
	v_fma_f64 v[111:112], v[129:130], v[113:114], v[111:112]
	s_waitcnt vmcnt(8) lgkmcnt(0)
	v_fma_f64 v[111:112], v[131:132], v[115:116], v[111:112]
	s_waitcnt vmcnt(4)
	v_fma_f64 v[114:115], v[133:134], v[117:118], v[111:112]
	ds_read_b128 v[110:113], v110 offset:848
	s_waitcnt vmcnt(3) lgkmcnt(0)
	v_fma_f64 v[110:111], v[137:138], v[110:111], v[114:115]
	s_waitcnt vmcnt(2)
	v_fma_f64 v[110:111], v[135:136], v[112:113], v[110:111]
	s_waitcnt vmcnt(0)
	v_add_f64 v[110:111], v[139:140], -v[110:111]
	buffer_store_dword v110, off, s[0:3], 0 offset:344
	buffer_store_dword v111, off, s[0:3], 0 offset:348
	s_and_saveexec_b64 s[4:5], vcc
	s_cbranch_execz .LBB117_247
; %bb.246:
	buffer_load_dword v110, off, s[0:3], 0 offset:336
	buffer_load_dword v111, off, s[0:3], 0 offset:340
	v_mov_b32_e32 v112, 0
	buffer_store_dword v112, off, s[0:3], 0 offset:336
	buffer_store_dword v112, off, s[0:3], 0 offset:340
	s_waitcnt vmcnt(2)
	ds_write_b64 v109, v[110:111]
.LBB117_247:
	s_or_b64 exec, exec, s[4:5]
	s_waitcnt lgkmcnt(0)
	; wave barrier
	buffer_load_dword v119, off, s[0:3], 0 offset:344
	buffer_load_dword v120, off, s[0:3], 0 offset:348
	;; [unrolled: 1-line block ×21, first 2 shown]
	v_mov_b32_e32 v110, 0
	ds_read2_b64 v[111:114], v110 offset0:97 offset1:98
	ds_read2_b64 v[115:118], v110 offset0:99 offset1:100
	buffer_load_dword v136, off, s[0:3], 0 offset:428
	v_cmp_lt_u32_e32 vcc, 41, v0
	s_waitcnt vmcnt(20) lgkmcnt(1)
	v_fma_f64 v[111:112], v[119:120], v[111:112], 0
	buffer_load_dword v119, off, s[0:3], 0 offset:336
	buffer_load_dword v120, off, s[0:3], 0 offset:340
	s_waitcnt vmcnt(20)
	v_fma_f64 v[111:112], v[121:122], v[113:114], v[111:112]
	s_waitcnt vmcnt(18) lgkmcnt(0)
	v_fma_f64 v[111:112], v[123:124], v[115:116], v[111:112]
	s_waitcnt vmcnt(16)
	v_fma_f64 v[121:122], v[125:126], v[117:118], v[111:112]
	ds_read2_b64 v[111:114], v110 offset0:101 offset1:102
	ds_read2_b64 v[115:118], v110 offset0:103 offset1:104
	s_waitcnt vmcnt(14) lgkmcnt(1)
	v_fma_f64 v[111:112], v[127:128], v[111:112], v[121:122]
	s_waitcnt vmcnt(12)
	v_fma_f64 v[111:112], v[129:130], v[113:114], v[111:112]
	s_waitcnt vmcnt(10) lgkmcnt(0)
	v_fma_f64 v[111:112], v[131:132], v[115:116], v[111:112]
	s_waitcnt vmcnt(5)
	v_fma_f64 v[115:116], v[133:134], v[117:118], v[111:112]
	ds_read2_b64 v[111:114], v110 offset0:105 offset1:106
	ds_read_b64 v[117:118], v110 offset:856
	s_waitcnt vmcnt(4) lgkmcnt(1)
	v_fma_f64 v[111:112], v[139:140], v[111:112], v[115:116]
	s_waitcnt vmcnt(3)
	v_fma_f64 v[111:112], v[137:138], v[113:114], v[111:112]
	s_waitcnt vmcnt(2) lgkmcnt(0)
	v_fma_f64 v[111:112], v[135:136], v[117:118], v[111:112]
	s_waitcnt vmcnt(0)
	v_add_f64 v[111:112], v[119:120], -v[111:112]
	buffer_store_dword v112, off, s[0:3], 0 offset:340
	buffer_store_dword v111, off, s[0:3], 0 offset:336
	s_and_saveexec_b64 s[4:5], vcc
	s_cbranch_execz .LBB117_249
; %bb.248:
	buffer_load_dword v111, off, s[0:3], 0 offset:328
	buffer_load_dword v112, off, s[0:3], 0 offset:332
	s_waitcnt vmcnt(0)
	ds_write_b64 v109, v[111:112]
	buffer_store_dword v110, off, s[0:3], 0 offset:328
	buffer_store_dword v110, off, s[0:3], 0 offset:332
.LBB117_249:
	s_or_b64 exec, exec, s[4:5]
	s_waitcnt lgkmcnt(0)
	; wave barrier
	buffer_load_dword v119, off, s[0:3], 0 offset:336
	buffer_load_dword v120, off, s[0:3], 0 offset:340
	;; [unrolled: 1-line block ×21, first 2 shown]
	ds_read_b128 v[111:114], v110 offset:768
	ds_read_b128 v[115:118], v110 offset:784
	buffer_load_dword v136, off, s[0:3], 0 offset:420
	v_cmp_lt_u32_e32 vcc, 40, v0
	s_waitcnt vmcnt(20) lgkmcnt(1)
	v_fma_f64 v[111:112], v[119:120], v[111:112], 0
	buffer_load_dword v120, off, s[0:3], 0 offset:428
	buffer_load_dword v119, off, s[0:3], 0 offset:424
	s_waitcnt vmcnt(20)
	v_fma_f64 v[111:112], v[121:122], v[113:114], v[111:112]
	buffer_load_dword v121, off, s[0:3], 0 offset:328
	buffer_load_dword v122, off, s[0:3], 0 offset:332
	s_waitcnt vmcnt(20) lgkmcnt(0)
	v_fma_f64 v[111:112], v[123:124], v[115:116], v[111:112]
	s_waitcnt vmcnt(18)
	v_fma_f64 v[123:124], v[125:126], v[117:118], v[111:112]
	ds_read_b128 v[111:114], v110 offset:800
	ds_read_b128 v[115:118], v110 offset:816
	s_waitcnt vmcnt(16) lgkmcnt(1)
	v_fma_f64 v[111:112], v[127:128], v[111:112], v[123:124]
	s_waitcnt vmcnt(14)
	v_fma_f64 v[111:112], v[129:130], v[113:114], v[111:112]
	s_waitcnt vmcnt(12) lgkmcnt(0)
	v_fma_f64 v[111:112], v[131:132], v[115:116], v[111:112]
	s_waitcnt vmcnt(7)
	v_fma_f64 v[123:124], v[133:134], v[117:118], v[111:112]
	ds_read_b128 v[111:114], v110 offset:832
	ds_read_b128 v[115:118], v110 offset:848
	s_waitcnt vmcnt(6) lgkmcnt(1)
	v_fma_f64 v[110:111], v[139:140], v[111:112], v[123:124]
	s_waitcnt vmcnt(5)
	v_fma_f64 v[110:111], v[137:138], v[113:114], v[110:111]
	s_waitcnt vmcnt(4) lgkmcnt(0)
	v_fma_f64 v[110:111], v[135:136], v[115:116], v[110:111]
	s_waitcnt vmcnt(2)
	v_fma_f64 v[110:111], v[119:120], v[117:118], v[110:111]
	s_waitcnt vmcnt(0)
	v_add_f64 v[110:111], v[121:122], -v[110:111]
	buffer_store_dword v111, off, s[0:3], 0 offset:332
	buffer_store_dword v110, off, s[0:3], 0 offset:328
	s_and_saveexec_b64 s[4:5], vcc
	s_cbranch_execz .LBB117_251
; %bb.250:
	buffer_load_dword v110, off, s[0:3], 0 offset:320
	buffer_load_dword v111, off, s[0:3], 0 offset:324
	v_mov_b32_e32 v112, 0
	buffer_store_dword v112, off, s[0:3], 0 offset:320
	buffer_store_dword v112, off, s[0:3], 0 offset:324
	s_waitcnt vmcnt(2)
	ds_write_b64 v109, v[110:111]
.LBB117_251:
	s_or_b64 exec, exec, s[4:5]
	s_waitcnt lgkmcnt(0)
	; wave barrier
	buffer_load_dword v119, off, s[0:3], 0 offset:328
	buffer_load_dword v120, off, s[0:3], 0 offset:332
	;; [unrolled: 1-line block ×21, first 2 shown]
	v_mov_b32_e32 v110, 0
	ds_read2_b64 v[111:114], v110 offset0:95 offset1:96
	ds_read2_b64 v[115:118], v110 offset0:97 offset1:98
	buffer_load_dword v136, off, s[0:3], 0 offset:412
	v_cmp_lt_u32_e32 vcc, 39, v0
	s_waitcnt vmcnt(20) lgkmcnt(1)
	v_fma_f64 v[111:112], v[119:120], v[111:112], 0
	s_waitcnt vmcnt(18)
	v_fma_f64 v[111:112], v[121:122], v[113:114], v[111:112]
	buffer_load_dword v120, off, s[0:3], 0 offset:420
	buffer_load_dword v121, off, s[0:3], 0 offset:424
	;; [unrolled: 1-line block ×4, first 2 shown]
	s_waitcnt vmcnt(20) lgkmcnt(0)
	v_fma_f64 v[111:112], v[123:124], v[115:116], v[111:112]
	buffer_load_dword v123, off, s[0:3], 0 offset:320
	buffer_load_dword v124, off, s[0:3], 0 offset:324
	s_waitcnt vmcnt(20)
	v_fma_f64 v[125:126], v[125:126], v[117:118], v[111:112]
	ds_read2_b64 v[111:114], v110 offset0:99 offset1:100
	ds_read2_b64 v[115:118], v110 offset0:101 offset1:102
	s_waitcnt vmcnt(18) lgkmcnt(1)
	v_fma_f64 v[111:112], v[127:128], v[111:112], v[125:126]
	s_waitcnt vmcnt(16)
	v_fma_f64 v[111:112], v[129:130], v[113:114], v[111:112]
	s_waitcnt vmcnt(14) lgkmcnt(0)
	v_fma_f64 v[111:112], v[131:132], v[115:116], v[111:112]
	s_waitcnt vmcnt(9)
	v_fma_f64 v[125:126], v[133:134], v[117:118], v[111:112]
	ds_read2_b64 v[111:114], v110 offset0:103 offset1:104
	ds_read2_b64 v[115:118], v110 offset0:105 offset1:106
	s_waitcnt vmcnt(8) lgkmcnt(1)
	v_fma_f64 v[111:112], v[139:140], v[111:112], v[125:126]
	s_waitcnt vmcnt(7)
	v_fma_f64 v[111:112], v[137:138], v[113:114], v[111:112]
	ds_read_b64 v[113:114], v110 offset:856
	s_waitcnt vmcnt(6) lgkmcnt(1)
	v_fma_f64 v[111:112], v[135:136], v[115:116], v[111:112]
	s_waitcnt vmcnt(3)
	v_fma_f64 v[111:112], v[119:120], v[117:118], v[111:112]
	s_waitcnt vmcnt(2) lgkmcnt(0)
	v_fma_f64 v[111:112], v[121:122], v[113:114], v[111:112]
	s_waitcnt vmcnt(0)
	v_add_f64 v[111:112], v[123:124], -v[111:112]
	buffer_store_dword v112, off, s[0:3], 0 offset:324
	buffer_store_dword v111, off, s[0:3], 0 offset:320
	s_and_saveexec_b64 s[4:5], vcc
	s_cbranch_execz .LBB117_253
; %bb.252:
	buffer_load_dword v111, off, s[0:3], 0 offset:312
	buffer_load_dword v112, off, s[0:3], 0 offset:316
	s_waitcnt vmcnt(0)
	ds_write_b64 v109, v[111:112]
	buffer_store_dword v110, off, s[0:3], 0 offset:312
	buffer_store_dword v110, off, s[0:3], 0 offset:316
.LBB117_253:
	s_or_b64 exec, exec, s[4:5]
	s_waitcnt lgkmcnt(0)
	; wave barrier
	buffer_load_dword v119, off, s[0:3], 0 offset:320
	buffer_load_dword v120, off, s[0:3], 0 offset:324
	;; [unrolled: 1-line block ×22, first 2 shown]
	ds_read_b128 v[111:114], v110 offset:752
	ds_read_b128 v[115:118], v110 offset:768
	v_cmp_lt_u32_e32 vcc, 38, v0
	s_waitcnt vmcnt(20) lgkmcnt(1)
	v_fma_f64 v[111:112], v[119:120], v[111:112], 0
	s_waitcnt vmcnt(18)
	v_fma_f64 v[111:112], v[121:122], v[113:114], v[111:112]
	buffer_load_dword v120, off, s[0:3], 0 offset:412
	buffer_load_dword v121, off, s[0:3], 0 offset:424
	;; [unrolled: 1-line block ×6, first 2 shown]
	s_waitcnt vmcnt(22) lgkmcnt(0)
	v_fma_f64 v[111:112], v[123:124], v[115:116], v[111:112]
	s_waitcnt vmcnt(20)
	v_fma_f64 v[123:124], v[125:126], v[117:118], v[111:112]
	ds_read_b128 v[111:114], v110 offset:784
	buffer_load_dword v125, off, s[0:3], 0 offset:312
	buffer_load_dword v126, off, s[0:3], 0 offset:316
	ds_read_b128 v[115:118], v110 offset:800
	s_waitcnt vmcnt(20) lgkmcnt(1)
	v_fma_f64 v[111:112], v[127:128], v[111:112], v[123:124]
	s_waitcnt vmcnt(18)
	v_fma_f64 v[111:112], v[129:130], v[113:114], v[111:112]
	s_waitcnt vmcnt(16) lgkmcnt(0)
	v_fma_f64 v[111:112], v[131:132], v[115:116], v[111:112]
	s_waitcnt vmcnt(11)
	v_fma_f64 v[123:124], v[133:134], v[117:118], v[111:112]
	ds_read_b128 v[111:114], v110 offset:816
	ds_read_b128 v[115:118], v110 offset:832
	s_waitcnt vmcnt(10) lgkmcnt(1)
	v_fma_f64 v[111:112], v[139:140], v[111:112], v[123:124]
	s_waitcnt vmcnt(9)
	v_fma_f64 v[111:112], v[137:138], v[113:114], v[111:112]
	s_waitcnt vmcnt(8) lgkmcnt(0)
	v_fma_f64 v[111:112], v[135:136], v[115:116], v[111:112]
	s_waitcnt vmcnt(4)
	v_fma_f64 v[114:115], v[119:120], v[117:118], v[111:112]
	ds_read_b128 v[110:113], v110 offset:848
	s_waitcnt vmcnt(3) lgkmcnt(0)
	v_fma_f64 v[110:111], v[141:142], v[110:111], v[114:115]
	s_waitcnt vmcnt(2)
	v_fma_f64 v[110:111], v[121:122], v[112:113], v[110:111]
	s_waitcnt vmcnt(0)
	v_add_f64 v[110:111], v[125:126], -v[110:111]
	buffer_store_dword v111, off, s[0:3], 0 offset:316
	buffer_store_dword v110, off, s[0:3], 0 offset:312
	s_and_saveexec_b64 s[4:5], vcc
	s_cbranch_execz .LBB117_255
; %bb.254:
	buffer_load_dword v110, off, s[0:3], 0 offset:304
	buffer_load_dword v111, off, s[0:3], 0 offset:308
	v_mov_b32_e32 v112, 0
	buffer_store_dword v112, off, s[0:3], 0 offset:304
	buffer_store_dword v112, off, s[0:3], 0 offset:308
	s_waitcnt vmcnt(2)
	ds_write_b64 v109, v[110:111]
.LBB117_255:
	s_or_b64 exec, exec, s[4:5]
	s_waitcnt lgkmcnt(0)
	; wave barrier
	buffer_load_dword v119, off, s[0:3], 0 offset:312
	buffer_load_dword v120, off, s[0:3], 0 offset:316
	;; [unrolled: 1-line block ×22, first 2 shown]
	v_mov_b32_e32 v110, 0
	ds_read2_b64 v[111:114], v110 offset0:93 offset1:94
	ds_read2_b64 v[115:118], v110 offset0:95 offset1:96
	v_cmp_lt_u32_e32 vcc, 37, v0
	s_waitcnt vmcnt(20) lgkmcnt(1)
	v_fma_f64 v[111:112], v[119:120], v[111:112], 0
	s_waitcnt vmcnt(18)
	v_fma_f64 v[111:112], v[121:122], v[113:114], v[111:112]
	buffer_load_dword v120, off, s[0:3], 0 offset:404
	buffer_load_dword v121, off, s[0:3], 0 offset:424
	;; [unrolled: 1-line block ×8, first 2 shown]
	s_waitcnt vmcnt(24) lgkmcnt(0)
	v_fma_f64 v[111:112], v[123:124], v[115:116], v[111:112]
	s_waitcnt vmcnt(22)
	v_fma_f64 v[123:124], v[125:126], v[117:118], v[111:112]
	ds_read2_b64 v[111:114], v110 offset0:97 offset1:98
	ds_read2_b64 v[115:118], v110 offset0:99 offset1:100
	s_waitcnt vmcnt(20) lgkmcnt(1)
	v_fma_f64 v[111:112], v[127:128], v[111:112], v[123:124]
	buffer_load_dword v123, off, s[0:3], 0 offset:304
	buffer_load_dword v124, off, s[0:3], 0 offset:308
	s_waitcnt vmcnt(20)
	v_fma_f64 v[111:112], v[129:130], v[113:114], v[111:112]
	s_waitcnt vmcnt(18) lgkmcnt(0)
	v_fma_f64 v[111:112], v[131:132], v[115:116], v[111:112]
	s_waitcnt vmcnt(13)
	v_fma_f64 v[125:126], v[133:134], v[117:118], v[111:112]
	ds_read2_b64 v[111:114], v110 offset0:101 offset1:102
	ds_read2_b64 v[115:118], v110 offset0:103 offset1:104
	s_waitcnt vmcnt(12) lgkmcnt(1)
	v_fma_f64 v[111:112], v[139:140], v[111:112], v[125:126]
	s_waitcnt vmcnt(11)
	v_fma_f64 v[111:112], v[137:138], v[113:114], v[111:112]
	s_waitcnt vmcnt(10) lgkmcnt(0)
	v_fma_f64 v[111:112], v[135:136], v[115:116], v[111:112]
	s_waitcnt vmcnt(5)
	v_fma_f64 v[115:116], v[119:120], v[117:118], v[111:112]
	ds_read2_b64 v[111:114], v110 offset0:105 offset1:106
	ds_read_b64 v[117:118], v110 offset:856
	s_waitcnt vmcnt(4) lgkmcnt(1)
	v_fma_f64 v[111:112], v[143:144], v[111:112], v[115:116]
	s_waitcnt vmcnt(3)
	v_fma_f64 v[111:112], v[141:142], v[113:114], v[111:112]
	s_waitcnt vmcnt(2) lgkmcnt(0)
	v_fma_f64 v[111:112], v[121:122], v[117:118], v[111:112]
	s_waitcnt vmcnt(0)
	v_add_f64 v[111:112], v[123:124], -v[111:112]
	buffer_store_dword v112, off, s[0:3], 0 offset:308
	buffer_store_dword v111, off, s[0:3], 0 offset:304
	s_and_saveexec_b64 s[4:5], vcc
	s_cbranch_execz .LBB117_257
; %bb.256:
	buffer_load_dword v111, off, s[0:3], 0 offset:296
	buffer_load_dword v112, off, s[0:3], 0 offset:300
	s_waitcnt vmcnt(0)
	ds_write_b64 v109, v[111:112]
	buffer_store_dword v110, off, s[0:3], 0 offset:296
	buffer_store_dword v110, off, s[0:3], 0 offset:300
.LBB117_257:
	s_or_b64 exec, exec, s[4:5]
	s_waitcnt lgkmcnt(0)
	; wave barrier
	buffer_load_dword v119, off, s[0:3], 0 offset:304
	buffer_load_dword v120, off, s[0:3], 0 offset:308
	;; [unrolled: 1-line block ×22, first 2 shown]
	ds_read_b128 v[111:114], v110 offset:736
	ds_read_b128 v[115:118], v110 offset:752
	v_cmp_lt_u32_e32 vcc, 36, v0
	s_waitcnt vmcnt(20) lgkmcnt(1)
	v_fma_f64 v[111:112], v[119:120], v[111:112], 0
	s_waitcnt vmcnt(18)
	v_fma_f64 v[111:112], v[121:122], v[113:114], v[111:112]
	buffer_load_dword v120, off, s[0:3], 0 offset:396
	buffer_load_dword v121, off, s[0:3], 0 offset:416
	;; [unrolled: 1-line block ×8, first 2 shown]
	s_waitcnt vmcnt(24) lgkmcnt(0)
	v_fma_f64 v[111:112], v[123:124], v[115:116], v[111:112]
	s_waitcnt vmcnt(22)
	v_fma_f64 v[123:124], v[125:126], v[117:118], v[111:112]
	ds_read_b128 v[111:114], v110 offset:768
	ds_read_b128 v[115:118], v110 offset:784
	s_waitcnt vmcnt(20) lgkmcnt(1)
	v_fma_f64 v[111:112], v[127:128], v[111:112], v[123:124]
	buffer_load_dword v124, off, s[0:3], 0 offset:428
	buffer_load_dword v123, off, s[0:3], 0 offset:424
	buffer_load_dword v125, off, s[0:3], 0 offset:296
	buffer_load_dword v126, off, s[0:3], 0 offset:300
	s_waitcnt vmcnt(22)
	v_fma_f64 v[111:112], v[129:130], v[113:114], v[111:112]
	s_waitcnt vmcnt(20) lgkmcnt(0)
	v_fma_f64 v[111:112], v[131:132], v[115:116], v[111:112]
	s_waitcnt vmcnt(15)
	v_fma_f64 v[127:128], v[133:134], v[117:118], v[111:112]
	ds_read_b128 v[111:114], v110 offset:800
	ds_read_b128 v[115:118], v110 offset:816
	s_waitcnt vmcnt(14) lgkmcnt(1)
	v_fma_f64 v[111:112], v[139:140], v[111:112], v[127:128]
	s_waitcnt vmcnt(13)
	v_fma_f64 v[111:112], v[137:138], v[113:114], v[111:112]
	s_waitcnt vmcnt(12) lgkmcnt(0)
	v_fma_f64 v[111:112], v[135:136], v[115:116], v[111:112]
	s_waitcnt vmcnt(7)
	v_fma_f64 v[119:120], v[119:120], v[117:118], v[111:112]
	ds_read_b128 v[111:114], v110 offset:832
	ds_read_b128 v[115:118], v110 offset:848
	s_waitcnt vmcnt(6) lgkmcnt(1)
	v_fma_f64 v[110:111], v[143:144], v[111:112], v[119:120]
	s_waitcnt vmcnt(5)
	v_fma_f64 v[110:111], v[141:142], v[113:114], v[110:111]
	s_waitcnt vmcnt(4) lgkmcnt(0)
	v_fma_f64 v[110:111], v[121:122], v[115:116], v[110:111]
	s_waitcnt vmcnt(2)
	v_fma_f64 v[110:111], v[123:124], v[117:118], v[110:111]
	s_waitcnt vmcnt(0)
	v_add_f64 v[110:111], v[125:126], -v[110:111]
	buffer_store_dword v111, off, s[0:3], 0 offset:300
	buffer_store_dword v110, off, s[0:3], 0 offset:296
	s_and_saveexec_b64 s[4:5], vcc
	s_cbranch_execz .LBB117_259
; %bb.258:
	buffer_load_dword v110, off, s[0:3], 0 offset:288
	buffer_load_dword v111, off, s[0:3], 0 offset:292
	v_mov_b32_e32 v112, 0
	buffer_store_dword v112, off, s[0:3], 0 offset:288
	buffer_store_dword v112, off, s[0:3], 0 offset:292
	s_waitcnt vmcnt(2)
	ds_write_b64 v109, v[110:111]
.LBB117_259:
	s_or_b64 exec, exec, s[4:5]
	s_waitcnt lgkmcnt(0)
	; wave barrier
	buffer_load_dword v119, off, s[0:3], 0 offset:296
	buffer_load_dword v120, off, s[0:3], 0 offset:300
	;; [unrolled: 1-line block ×22, first 2 shown]
	v_mov_b32_e32 v110, 0
	ds_read2_b64 v[111:114], v110 offset0:91 offset1:92
	ds_read2_b64 v[115:118], v110 offset0:93 offset1:94
	v_cmp_lt_u32_e32 vcc, 35, v0
	s_waitcnt vmcnt(20) lgkmcnt(1)
	v_fma_f64 v[111:112], v[119:120], v[111:112], 0
	s_waitcnt vmcnt(18)
	v_fma_f64 v[111:112], v[121:122], v[113:114], v[111:112]
	buffer_load_dword v120, off, s[0:3], 0 offset:388
	buffer_load_dword v121, off, s[0:3], 0 offset:408
	;; [unrolled: 1-line block ×7, first 2 shown]
	s_waitcnt vmcnt(23) lgkmcnt(0)
	v_fma_f64 v[111:112], v[123:124], v[115:116], v[111:112]
	s_waitcnt vmcnt(21)
	v_fma_f64 v[122:123], v[125:126], v[117:118], v[111:112]
	ds_read2_b64 v[111:114], v110 offset0:95 offset1:96
	ds_read2_b64 v[115:118], v110 offset0:97 offset1:98
	s_waitcnt vmcnt(19) lgkmcnt(1)
	v_fma_f64 v[111:112], v[127:128], v[111:112], v[122:123]
	buffer_load_dword v122, off, s[0:3], 0 offset:412
	buffer_load_dword v124, off, s[0:3], 0 offset:420
	;; [unrolled: 1-line block ×7, first 2 shown]
	s_waitcnt vmcnt(24)
	v_fma_f64 v[111:112], v[129:130], v[113:114], v[111:112]
	s_waitcnt vmcnt(22) lgkmcnt(0)
	v_fma_f64 v[111:112], v[131:132], v[115:116], v[111:112]
	s_waitcnt vmcnt(17)
	v_fma_f64 v[129:130], v[133:134], v[117:118], v[111:112]
	ds_read2_b64 v[111:114], v110 offset0:99 offset1:100
	ds_read2_b64 v[115:118], v110 offset0:101 offset1:102
	s_waitcnt vmcnt(16) lgkmcnt(1)
	v_fma_f64 v[111:112], v[139:140], v[111:112], v[129:130]
	s_waitcnt vmcnt(15)
	v_fma_f64 v[111:112], v[137:138], v[113:114], v[111:112]
	s_waitcnt vmcnt(14) lgkmcnt(0)
	v_fma_f64 v[111:112], v[135:136], v[115:116], v[111:112]
	s_waitcnt vmcnt(9)
	v_fma_f64 v[119:120], v[119:120], v[117:118], v[111:112]
	ds_read2_b64 v[111:114], v110 offset0:103 offset1:104
	ds_read2_b64 v[115:118], v110 offset0:105 offset1:106
	s_waitcnt vmcnt(8) lgkmcnt(1)
	v_fma_f64 v[111:112], v[143:144], v[111:112], v[119:120]
	s_waitcnt vmcnt(7)
	v_fma_f64 v[111:112], v[141:142], v[113:114], v[111:112]
	ds_read_b64 v[113:114], v110 offset:856
	s_waitcnt vmcnt(6) lgkmcnt(1)
	v_fma_f64 v[111:112], v[121:122], v[115:116], v[111:112]
	s_waitcnt vmcnt(3)
	v_fma_f64 v[111:112], v[123:124], v[117:118], v[111:112]
	s_waitcnt vmcnt(2) lgkmcnt(0)
	v_fma_f64 v[111:112], v[125:126], v[113:114], v[111:112]
	s_waitcnt vmcnt(0)
	v_add_f64 v[111:112], v[127:128], -v[111:112]
	buffer_store_dword v112, off, s[0:3], 0 offset:292
	buffer_store_dword v111, off, s[0:3], 0 offset:288
	s_and_saveexec_b64 s[4:5], vcc
	s_cbranch_execz .LBB117_261
; %bb.260:
	buffer_load_dword v111, off, s[0:3], 0 offset:280
	buffer_load_dword v112, off, s[0:3], 0 offset:284
	s_waitcnt vmcnt(0)
	ds_write_b64 v109, v[111:112]
	buffer_store_dword v110, off, s[0:3], 0 offset:280
	buffer_store_dword v110, off, s[0:3], 0 offset:284
.LBB117_261:
	s_or_b64 exec, exec, s[4:5]
	s_waitcnt lgkmcnt(0)
	; wave barrier
	buffer_load_dword v119, off, s[0:3], 0 offset:288
	buffer_load_dword v120, off, s[0:3], 0 offset:292
	;; [unrolled: 1-line block ×22, first 2 shown]
	ds_read_b128 v[111:114], v110 offset:720
	ds_read_b128 v[115:118], v110 offset:736
	v_cmp_lt_u32_e32 vcc, 34, v0
	s_waitcnt vmcnt(20) lgkmcnt(1)
	v_fma_f64 v[111:112], v[119:120], v[111:112], 0
	s_waitcnt vmcnt(18)
	v_fma_f64 v[111:112], v[121:122], v[113:114], v[111:112]
	buffer_load_dword v120, off, s[0:3], 0 offset:380
	buffer_load_dword v121, off, s[0:3], 0 offset:400
	;; [unrolled: 1-line block ×7, first 2 shown]
	s_waitcnt vmcnt(23) lgkmcnt(0)
	v_fma_f64 v[111:112], v[123:124], v[115:116], v[111:112]
	s_waitcnt vmcnt(21)
	v_fma_f64 v[122:123], v[125:126], v[117:118], v[111:112]
	ds_read_b128 v[111:114], v110 offset:752
	ds_read_b128 v[115:118], v110 offset:768
	s_waitcnt vmcnt(19) lgkmcnt(1)
	v_fma_f64 v[111:112], v[127:128], v[111:112], v[122:123]
	buffer_load_dword v122, off, s[0:3], 0 offset:404
	buffer_load_dword v124, off, s[0:3], 0 offset:412
	;; [unrolled: 1-line block ×7, first 2 shown]
	s_waitcnt vmcnt(24)
	v_fma_f64 v[111:112], v[129:130], v[113:114], v[111:112]
	s_waitcnt vmcnt(22) lgkmcnt(0)
	v_fma_f64 v[111:112], v[131:132], v[115:116], v[111:112]
	s_waitcnt vmcnt(17)
	v_fma_f64 v[129:130], v[133:134], v[117:118], v[111:112]
	ds_read_b128 v[111:114], v110 offset:784
	buffer_load_dword v131, off, s[0:3], 0 offset:280
	buffer_load_dword v132, off, s[0:3], 0 offset:284
	ds_read_b128 v[115:118], v110 offset:800
	s_waitcnt vmcnt(18) lgkmcnt(1)
	v_fma_f64 v[111:112], v[139:140], v[111:112], v[129:130]
	s_waitcnt vmcnt(17)
	v_fma_f64 v[111:112], v[137:138], v[113:114], v[111:112]
	s_waitcnt vmcnt(16) lgkmcnt(0)
	v_fma_f64 v[111:112], v[135:136], v[115:116], v[111:112]
	s_waitcnt vmcnt(11)
	v_fma_f64 v[119:120], v[119:120], v[117:118], v[111:112]
	ds_read_b128 v[111:114], v110 offset:816
	ds_read_b128 v[115:118], v110 offset:832
	s_waitcnt vmcnt(10) lgkmcnt(1)
	v_fma_f64 v[111:112], v[143:144], v[111:112], v[119:120]
	s_waitcnt vmcnt(9)
	v_fma_f64 v[111:112], v[141:142], v[113:114], v[111:112]
	s_waitcnt vmcnt(8) lgkmcnt(0)
	v_fma_f64 v[111:112], v[121:122], v[115:116], v[111:112]
	s_waitcnt vmcnt(4)
	v_fma_f64 v[114:115], v[123:124], v[117:118], v[111:112]
	ds_read_b128 v[110:113], v110 offset:848
	s_waitcnt vmcnt(3) lgkmcnt(0)
	v_fma_f64 v[110:111], v[127:128], v[110:111], v[114:115]
	s_waitcnt vmcnt(2)
	v_fma_f64 v[110:111], v[125:126], v[112:113], v[110:111]
	s_waitcnt vmcnt(0)
	v_add_f64 v[110:111], v[131:132], -v[110:111]
	buffer_store_dword v111, off, s[0:3], 0 offset:284
	buffer_store_dword v110, off, s[0:3], 0 offset:280
	s_and_saveexec_b64 s[4:5], vcc
	s_cbranch_execz .LBB117_263
; %bb.262:
	buffer_load_dword v110, off, s[0:3], 0 offset:272
	buffer_load_dword v111, off, s[0:3], 0 offset:276
	v_mov_b32_e32 v112, 0
	buffer_store_dword v112, off, s[0:3], 0 offset:272
	buffer_store_dword v112, off, s[0:3], 0 offset:276
	s_waitcnt vmcnt(2)
	ds_write_b64 v109, v[110:111]
.LBB117_263:
	s_or_b64 exec, exec, s[4:5]
	s_waitcnt lgkmcnt(0)
	; wave barrier
	buffer_load_dword v119, off, s[0:3], 0 offset:280
	buffer_load_dword v120, off, s[0:3], 0 offset:284
	;; [unrolled: 1-line block ×22, first 2 shown]
	v_mov_b32_e32 v110, 0
	ds_read2_b64 v[111:114], v110 offset0:89 offset1:90
	ds_read2_b64 v[115:118], v110 offset0:91 offset1:92
	v_cmp_lt_u32_e32 vcc, 33, v0
	s_waitcnt vmcnt(20) lgkmcnt(1)
	v_fma_f64 v[111:112], v[119:120], v[111:112], 0
	s_waitcnt vmcnt(18)
	v_fma_f64 v[111:112], v[121:122], v[113:114], v[111:112]
	buffer_load_dword v120, off, s[0:3], 0 offset:372
	buffer_load_dword v121, off, s[0:3], 0 offset:392
	;; [unrolled: 1-line block ×7, first 2 shown]
	s_waitcnt vmcnt(23) lgkmcnt(0)
	v_fma_f64 v[111:112], v[123:124], v[115:116], v[111:112]
	s_waitcnt vmcnt(21)
	v_fma_f64 v[122:123], v[125:126], v[117:118], v[111:112]
	ds_read2_b64 v[111:114], v110 offset0:93 offset1:94
	ds_read2_b64 v[115:118], v110 offset0:95 offset1:96
	s_waitcnt vmcnt(19) lgkmcnt(1)
	v_fma_f64 v[111:112], v[127:128], v[111:112], v[122:123]
	buffer_load_dword v122, off, s[0:3], 0 offset:396
	s_waitcnt vmcnt(18)
	v_fma_f64 v[111:112], v[129:130], v[113:114], v[111:112]
	buffer_load_dword v124, off, s[0:3], 0 offset:404
	buffer_load_dword v125, off, s[0:3], 0 offset:424
	;; [unrolled: 1-line block ×8, first 2 shown]
	s_waitcnt vmcnt(24) lgkmcnt(0)
	v_fma_f64 v[111:112], v[131:132], v[115:116], v[111:112]
	s_waitcnt vmcnt(19)
	v_fma_f64 v[131:132], v[133:134], v[117:118], v[111:112]
	ds_read2_b64 v[111:114], v110 offset0:97 offset1:98
	ds_read2_b64 v[115:118], v110 offset0:99 offset1:100
	s_waitcnt vmcnt(18) lgkmcnt(1)
	v_fma_f64 v[111:112], v[139:140], v[111:112], v[131:132]
	buffer_load_dword v131, off, s[0:3], 0 offset:272
	buffer_load_dword v132, off, s[0:3], 0 offset:276
	s_waitcnt vmcnt(19)
	v_fma_f64 v[111:112], v[137:138], v[113:114], v[111:112]
	s_waitcnt vmcnt(18) lgkmcnt(0)
	v_fma_f64 v[111:112], v[135:136], v[115:116], v[111:112]
	s_waitcnt vmcnt(13)
	v_fma_f64 v[119:120], v[119:120], v[117:118], v[111:112]
	ds_read2_b64 v[111:114], v110 offset0:101 offset1:102
	ds_read2_b64 v[115:118], v110 offset0:103 offset1:104
	s_waitcnt vmcnt(12) lgkmcnt(1)
	v_fma_f64 v[111:112], v[143:144], v[111:112], v[119:120]
	s_waitcnt vmcnt(11)
	v_fma_f64 v[111:112], v[141:142], v[113:114], v[111:112]
	s_waitcnt vmcnt(10) lgkmcnt(0)
	v_fma_f64 v[111:112], v[121:122], v[115:116], v[111:112]
	s_waitcnt vmcnt(5)
	v_fma_f64 v[115:116], v[123:124], v[117:118], v[111:112]
	ds_read2_b64 v[111:114], v110 offset0:105 offset1:106
	ds_read_b64 v[117:118], v110 offset:856
	s_waitcnt vmcnt(4) lgkmcnt(1)
	v_fma_f64 v[111:112], v[129:130], v[111:112], v[115:116]
	s_waitcnt vmcnt(3)
	v_fma_f64 v[111:112], v[127:128], v[113:114], v[111:112]
	s_waitcnt vmcnt(2) lgkmcnt(0)
	v_fma_f64 v[111:112], v[125:126], v[117:118], v[111:112]
	s_waitcnt vmcnt(0)
	v_add_f64 v[111:112], v[131:132], -v[111:112]
	buffer_store_dword v112, off, s[0:3], 0 offset:276
	buffer_store_dword v111, off, s[0:3], 0 offset:272
	s_and_saveexec_b64 s[4:5], vcc
	s_cbranch_execz .LBB117_265
; %bb.264:
	buffer_load_dword v111, off, s[0:3], 0 offset:264
	buffer_load_dword v112, off, s[0:3], 0 offset:268
	s_waitcnt vmcnt(0)
	ds_write_b64 v109, v[111:112]
	buffer_store_dword v110, off, s[0:3], 0 offset:264
	buffer_store_dword v110, off, s[0:3], 0 offset:268
.LBB117_265:
	s_or_b64 exec, exec, s[4:5]
	s_waitcnt lgkmcnt(0)
	; wave barrier
	buffer_load_dword v119, off, s[0:3], 0 offset:272
	buffer_load_dword v120, off, s[0:3], 0 offset:276
	;; [unrolled: 1-line block ×22, first 2 shown]
	ds_read_b128 v[111:114], v110 offset:704
	ds_read_b128 v[115:118], v110 offset:720
	v_cmp_lt_u32_e32 vcc, 32, v0
	s_waitcnt vmcnt(20) lgkmcnt(1)
	v_fma_f64 v[111:112], v[119:120], v[111:112], 0
	s_waitcnt vmcnt(18)
	v_fma_f64 v[111:112], v[121:122], v[113:114], v[111:112]
	buffer_load_dword v120, off, s[0:3], 0 offset:364
	buffer_load_dword v121, off, s[0:3], 0 offset:384
	;; [unrolled: 1-line block ×7, first 2 shown]
	s_waitcnt vmcnt(23) lgkmcnt(0)
	v_fma_f64 v[111:112], v[123:124], v[115:116], v[111:112]
	s_waitcnt vmcnt(21)
	v_fma_f64 v[122:123], v[125:126], v[117:118], v[111:112]
	ds_read_b128 v[111:114], v110 offset:736
	ds_read_b128 v[115:118], v110 offset:752
	s_waitcnt vmcnt(19) lgkmcnt(1)
	v_fma_f64 v[111:112], v[127:128], v[111:112], v[122:123]
	buffer_load_dword v122, off, s[0:3], 0 offset:388
	s_waitcnt vmcnt(18)
	v_fma_f64 v[111:112], v[129:130], v[113:114], v[111:112]
	buffer_load_dword v124, off, s[0:3], 0 offset:396
	buffer_load_dword v125, off, s[0:3], 0 offset:416
	;; [unrolled: 1-line block ×8, first 2 shown]
	s_waitcnt vmcnt(24) lgkmcnt(0)
	v_fma_f64 v[111:112], v[131:132], v[115:116], v[111:112]
	s_waitcnt vmcnt(19)
	v_fma_f64 v[131:132], v[133:134], v[117:118], v[111:112]
	ds_read_b128 v[111:114], v110 offset:768
	ds_read_b128 v[115:118], v110 offset:784
	s_waitcnt vmcnt(18) lgkmcnt(1)
	v_fma_f64 v[111:112], v[139:140], v[111:112], v[131:132]
	buffer_load_dword v132, off, s[0:3], 0 offset:428
	buffer_load_dword v131, off, s[0:3], 0 offset:424
	buffer_load_dword v133, off, s[0:3], 0 offset:264
	buffer_load_dword v134, off, s[0:3], 0 offset:268
	s_waitcnt vmcnt(21)
	v_fma_f64 v[111:112], v[137:138], v[113:114], v[111:112]
	s_waitcnt vmcnt(20) lgkmcnt(0)
	v_fma_f64 v[111:112], v[135:136], v[115:116], v[111:112]
	s_waitcnt vmcnt(15)
	v_fma_f64 v[119:120], v[119:120], v[117:118], v[111:112]
	ds_read_b128 v[111:114], v110 offset:800
	ds_read_b128 v[115:118], v110 offset:816
	s_waitcnt vmcnt(14) lgkmcnt(1)
	v_fma_f64 v[111:112], v[143:144], v[111:112], v[119:120]
	s_waitcnt vmcnt(13)
	v_fma_f64 v[111:112], v[141:142], v[113:114], v[111:112]
	s_waitcnt vmcnt(12) lgkmcnt(0)
	v_fma_f64 v[111:112], v[121:122], v[115:116], v[111:112]
	s_waitcnt vmcnt(7)
	v_fma_f64 v[119:120], v[123:124], v[117:118], v[111:112]
	ds_read_b128 v[111:114], v110 offset:832
	ds_read_b128 v[115:118], v110 offset:848
	s_waitcnt vmcnt(6) lgkmcnt(1)
	v_fma_f64 v[110:111], v[129:130], v[111:112], v[119:120]
	s_waitcnt vmcnt(5)
	v_fma_f64 v[110:111], v[127:128], v[113:114], v[110:111]
	s_waitcnt vmcnt(4) lgkmcnt(0)
	v_fma_f64 v[110:111], v[125:126], v[115:116], v[110:111]
	s_waitcnt vmcnt(2)
	v_fma_f64 v[110:111], v[131:132], v[117:118], v[110:111]
	s_waitcnt vmcnt(0)
	v_add_f64 v[110:111], v[133:134], -v[110:111]
	buffer_store_dword v111, off, s[0:3], 0 offset:268
	buffer_store_dword v110, off, s[0:3], 0 offset:264
	s_and_saveexec_b64 s[4:5], vcc
	s_cbranch_execz .LBB117_267
; %bb.266:
	buffer_load_dword v110, off, s[0:3], 0 offset:256
	buffer_load_dword v111, off, s[0:3], 0 offset:260
	v_mov_b32_e32 v112, 0
	buffer_store_dword v112, off, s[0:3], 0 offset:256
	buffer_store_dword v112, off, s[0:3], 0 offset:260
	s_waitcnt vmcnt(2)
	ds_write_b64 v109, v[110:111]
.LBB117_267:
	s_or_b64 exec, exec, s[4:5]
	s_waitcnt lgkmcnt(0)
	; wave barrier
	buffer_load_dword v119, off, s[0:3], 0 offset:264
	buffer_load_dword v120, off, s[0:3], 0 offset:268
	;; [unrolled: 1-line block ×21, first 2 shown]
	v_mov_b32_e32 v110, 0
	ds_read2_b64 v[111:114], v110 offset0:87 offset1:88
	ds_read2_b64 v[115:118], v110 offset0:89 offset1:90
	buffer_load_dword v136, off, s[0:3], 0 offset:348
	v_cmp_lt_u32_e32 vcc, 31, v0
	s_waitcnt vmcnt(20) lgkmcnt(1)
	v_fma_f64 v[111:112], v[119:120], v[111:112], 0
	s_waitcnt vmcnt(18)
	v_fma_f64 v[111:112], v[121:122], v[113:114], v[111:112]
	buffer_load_dword v120, off, s[0:3], 0 offset:356
	buffer_load_dword v121, off, s[0:3], 0 offset:376
	;; [unrolled: 1-line block ×7, first 2 shown]
	s_waitcnt vmcnt(23) lgkmcnt(0)
	v_fma_f64 v[111:112], v[123:124], v[115:116], v[111:112]
	s_waitcnt vmcnt(21)
	v_fma_f64 v[122:123], v[125:126], v[117:118], v[111:112]
	ds_read2_b64 v[111:114], v110 offset0:91 offset1:92
	ds_read2_b64 v[115:118], v110 offset0:93 offset1:94
	s_waitcnt vmcnt(19) lgkmcnt(1)
	v_fma_f64 v[111:112], v[127:128], v[111:112], v[122:123]
	buffer_load_dword v122, off, s[0:3], 0 offset:380
	s_waitcnt vmcnt(18)
	v_fma_f64 v[111:112], v[129:130], v[113:114], v[111:112]
	buffer_load_dword v124, off, s[0:3], 0 offset:388
	buffer_load_dword v125, off, s[0:3], 0 offset:408
	;; [unrolled: 1-line block ×7, first 2 shown]
	s_waitcnt vmcnt(23) lgkmcnt(0)
	v_fma_f64 v[111:112], v[131:132], v[115:116], v[111:112]
	s_waitcnt vmcnt(18)
	v_fma_f64 v[131:132], v[133:134], v[117:118], v[111:112]
	ds_read2_b64 v[111:114], v110 offset0:95 offset1:96
	ds_read2_b64 v[115:118], v110 offset0:97 offset1:98
	buffer_load_dword v126, off, s[0:3], 0 offset:412
	s_waitcnt vmcnt(18) lgkmcnt(1)
	v_fma_f64 v[111:112], v[139:140], v[111:112], v[131:132]
	buffer_load_dword v132, off, s[0:3], 0 offset:420
	buffer_load_dword v133, off, s[0:3], 0 offset:424
	buffer_load_dword v131, off, s[0:3], 0 offset:416
	buffer_load_dword v134, off, s[0:3], 0 offset:428
	s_waitcnt vmcnt(21)
	v_fma_f64 v[111:112], v[137:138], v[113:114], v[111:112]
	s_waitcnt vmcnt(20) lgkmcnt(0)
	v_fma_f64 v[111:112], v[135:136], v[115:116], v[111:112]
	buffer_load_dword v135, off, s[0:3], 0 offset:256
	buffer_load_dword v136, off, s[0:3], 0 offset:260
	s_waitcnt vmcnt(17)
	v_fma_f64 v[119:120], v[119:120], v[117:118], v[111:112]
	ds_read2_b64 v[111:114], v110 offset0:99 offset1:100
	ds_read2_b64 v[115:118], v110 offset0:101 offset1:102
	s_waitcnt vmcnt(16) lgkmcnt(1)
	v_fma_f64 v[111:112], v[143:144], v[111:112], v[119:120]
	s_waitcnt vmcnt(15)
	v_fma_f64 v[111:112], v[141:142], v[113:114], v[111:112]
	s_waitcnt vmcnt(14) lgkmcnt(0)
	v_fma_f64 v[111:112], v[121:122], v[115:116], v[111:112]
	s_waitcnt vmcnt(9)
	v_fma_f64 v[119:120], v[123:124], v[117:118], v[111:112]
	ds_read2_b64 v[111:114], v110 offset0:103 offset1:104
	ds_read2_b64 v[115:118], v110 offset0:105 offset1:106
	s_waitcnt vmcnt(8) lgkmcnt(1)
	v_fma_f64 v[111:112], v[129:130], v[111:112], v[119:120]
	s_waitcnt vmcnt(7)
	v_fma_f64 v[111:112], v[127:128], v[113:114], v[111:112]
	ds_read_b64 v[113:114], v110 offset:856
	s_waitcnt vmcnt(6) lgkmcnt(1)
	v_fma_f64 v[111:112], v[125:126], v[115:116], v[111:112]
	s_waitcnt vmcnt(3)
	v_fma_f64 v[111:112], v[131:132], v[117:118], v[111:112]
	s_waitcnt vmcnt(2) lgkmcnt(0)
	v_fma_f64 v[111:112], v[133:134], v[113:114], v[111:112]
	s_waitcnt vmcnt(0)
	v_add_f64 v[111:112], v[135:136], -v[111:112]
	buffer_store_dword v112, off, s[0:3], 0 offset:260
	buffer_store_dword v111, off, s[0:3], 0 offset:256
	s_and_saveexec_b64 s[4:5], vcc
	s_cbranch_execz .LBB117_269
; %bb.268:
	buffer_load_dword v111, off, s[0:3], 0 offset:248
	buffer_load_dword v112, off, s[0:3], 0 offset:252
	s_waitcnt vmcnt(0)
	ds_write_b64 v109, v[111:112]
	buffer_store_dword v110, off, s[0:3], 0 offset:248
	buffer_store_dword v110, off, s[0:3], 0 offset:252
.LBB117_269:
	s_or_b64 exec, exec, s[4:5]
	s_waitcnt lgkmcnt(0)
	; wave barrier
	buffer_load_dword v119, off, s[0:3], 0 offset:256
	buffer_load_dword v120, off, s[0:3], 0 offset:260
	;; [unrolled: 1-line block ×21, first 2 shown]
	ds_read_b128 v[111:114], v110 offset:688
	ds_read_b128 v[115:118], v110 offset:704
	buffer_load_dword v136, off, s[0:3], 0 offset:340
	v_cmp_lt_u32_e32 vcc, 30, v0
	s_waitcnt vmcnt(20) lgkmcnt(1)
	v_fma_f64 v[111:112], v[119:120], v[111:112], 0
	s_waitcnt vmcnt(18)
	v_fma_f64 v[111:112], v[121:122], v[113:114], v[111:112]
	buffer_load_dword v120, off, s[0:3], 0 offset:348
	buffer_load_dword v121, off, s[0:3], 0 offset:368
	;; [unrolled: 1-line block ×7, first 2 shown]
	s_waitcnt vmcnt(23) lgkmcnt(0)
	v_fma_f64 v[111:112], v[123:124], v[115:116], v[111:112]
	s_waitcnt vmcnt(21)
	v_fma_f64 v[122:123], v[125:126], v[117:118], v[111:112]
	ds_read_b128 v[111:114], v110 offset:720
	ds_read_b128 v[115:118], v110 offset:736
	s_waitcnt vmcnt(19) lgkmcnt(1)
	v_fma_f64 v[111:112], v[127:128], v[111:112], v[122:123]
	buffer_load_dword v122, off, s[0:3], 0 offset:372
	s_waitcnt vmcnt(18)
	v_fma_f64 v[111:112], v[129:130], v[113:114], v[111:112]
	buffer_load_dword v124, off, s[0:3], 0 offset:380
	buffer_load_dword v125, off, s[0:3], 0 offset:400
	;; [unrolled: 1-line block ×8, first 2 shown]
	s_waitcnt vmcnt(24) lgkmcnt(0)
	v_fma_f64 v[111:112], v[131:132], v[115:116], v[111:112]
	s_waitcnt vmcnt(19)
	v_fma_f64 v[131:132], v[133:134], v[117:118], v[111:112]
	ds_read_b128 v[111:114], v110 offset:752
	ds_read_b128 v[115:118], v110 offset:768
	s_waitcnt vmcnt(18) lgkmcnt(1)
	v_fma_f64 v[111:112], v[139:140], v[111:112], v[131:132]
	s_waitcnt vmcnt(17)
	v_fma_f64 v[111:112], v[137:138], v[113:114], v[111:112]
	buffer_load_dword v132, off, s[0:3], 0 offset:412
	buffer_load_dword v133, off, s[0:3], 0 offset:424
	;; [unrolled: 1-line block ×6, first 2 shown]
	s_waitcnt vmcnt(22) lgkmcnt(0)
	v_fma_f64 v[111:112], v[135:136], v[115:116], v[111:112]
	s_waitcnt vmcnt(17)
	v_fma_f64 v[119:120], v[119:120], v[117:118], v[111:112]
	ds_read_b128 v[111:114], v110 offset:784
	buffer_load_dword v135, off, s[0:3], 0 offset:248
	buffer_load_dword v136, off, s[0:3], 0 offset:252
	ds_read_b128 v[115:118], v110 offset:800
	s_waitcnt vmcnt(18) lgkmcnt(1)
	v_fma_f64 v[111:112], v[143:144], v[111:112], v[119:120]
	s_waitcnt vmcnt(17)
	v_fma_f64 v[111:112], v[141:142], v[113:114], v[111:112]
	s_waitcnt vmcnt(16) lgkmcnt(0)
	v_fma_f64 v[111:112], v[121:122], v[115:116], v[111:112]
	s_waitcnt vmcnt(11)
	v_fma_f64 v[119:120], v[123:124], v[117:118], v[111:112]
	ds_read_b128 v[111:114], v110 offset:816
	ds_read_b128 v[115:118], v110 offset:832
	s_waitcnt vmcnt(10) lgkmcnt(1)
	v_fma_f64 v[111:112], v[129:130], v[111:112], v[119:120]
	s_waitcnt vmcnt(9)
	v_fma_f64 v[111:112], v[127:128], v[113:114], v[111:112]
	s_waitcnt vmcnt(8) lgkmcnt(0)
	v_fma_f64 v[111:112], v[125:126], v[115:116], v[111:112]
	s_waitcnt vmcnt(4)
	v_fma_f64 v[114:115], v[131:132], v[117:118], v[111:112]
	ds_read_b128 v[110:113], v110 offset:848
	s_waitcnt vmcnt(3) lgkmcnt(0)
	v_fma_f64 v[110:111], v[137:138], v[110:111], v[114:115]
	s_waitcnt vmcnt(2)
	v_fma_f64 v[110:111], v[133:134], v[112:113], v[110:111]
	s_waitcnt vmcnt(0)
	v_add_f64 v[110:111], v[135:136], -v[110:111]
	buffer_store_dword v111, off, s[0:3], 0 offset:252
	buffer_store_dword v110, off, s[0:3], 0 offset:248
	s_and_saveexec_b64 s[4:5], vcc
	s_cbranch_execz .LBB117_271
; %bb.270:
	buffer_load_dword v110, off, s[0:3], 0 offset:240
	buffer_load_dword v111, off, s[0:3], 0 offset:244
	v_mov_b32_e32 v112, 0
	buffer_store_dword v112, off, s[0:3], 0 offset:240
	buffer_store_dword v112, off, s[0:3], 0 offset:244
	s_waitcnt vmcnt(2)
	ds_write_b64 v109, v[110:111]
.LBB117_271:
	s_or_b64 exec, exec, s[4:5]
	s_waitcnt lgkmcnt(0)
	; wave barrier
	buffer_load_dword v119, off, s[0:3], 0 offset:248
	buffer_load_dword v120, off, s[0:3], 0 offset:252
	buffer_load_dword v121, off, s[0:3], 0 offset:256
	buffer_load_dword v122, off, s[0:3], 0 offset:260
	buffer_load_dword v123, off, s[0:3], 0 offset:264
	buffer_load_dword v124, off, s[0:3], 0 offset:268
	buffer_load_dword v125, off, s[0:3], 0 offset:272
	buffer_load_dword v126, off, s[0:3], 0 offset:276
	buffer_load_dword v127, off, s[0:3], 0 offset:280
	buffer_load_dword v128, off, s[0:3], 0 offset:284
	buffer_load_dword v129, off, s[0:3], 0 offset:288
	buffer_load_dword v130, off, s[0:3], 0 offset:292
	buffer_load_dword v131, off, s[0:3], 0 offset:296
	buffer_load_dword v132, off, s[0:3], 0 offset:300
	buffer_load_dword v134, off, s[0:3], 0 offset:308
	buffer_load_dword v135, off, s[0:3], 0 offset:328
	buffer_load_dword v137, off, s[0:3], 0 offset:320
	buffer_load_dword v139, off, s[0:3], 0 offset:312
	buffer_load_dword v133, off, s[0:3], 0 offset:304
	buffer_load_dword v140, off, s[0:3], 0 offset:316
	buffer_load_dword v138, off, s[0:3], 0 offset:324
	v_mov_b32_e32 v110, 0
	ds_read2_b64 v[111:114], v110 offset0:85 offset1:86
	ds_read2_b64 v[115:118], v110 offset0:87 offset1:88
	buffer_load_dword v136, off, s[0:3], 0 offset:332
	v_cmp_lt_u32_e32 vcc, 29, v0
	s_waitcnt vmcnt(20) lgkmcnt(1)
	v_fma_f64 v[111:112], v[119:120], v[111:112], 0
	s_waitcnt vmcnt(18)
	v_fma_f64 v[111:112], v[121:122], v[113:114], v[111:112]
	buffer_load_dword v120, off, s[0:3], 0 offset:340
	buffer_load_dword v121, off, s[0:3], 0 offset:360
	;; [unrolled: 1-line block ×7, first 2 shown]
	s_waitcnt vmcnt(23) lgkmcnt(0)
	v_fma_f64 v[111:112], v[123:124], v[115:116], v[111:112]
	s_waitcnt vmcnt(21)
	v_fma_f64 v[122:123], v[125:126], v[117:118], v[111:112]
	ds_read2_b64 v[111:114], v110 offset0:89 offset1:90
	ds_read2_b64 v[115:118], v110 offset0:91 offset1:92
	s_waitcnt vmcnt(19) lgkmcnt(1)
	v_fma_f64 v[111:112], v[127:128], v[111:112], v[122:123]
	buffer_load_dword v122, off, s[0:3], 0 offset:364
	s_waitcnt vmcnt(18)
	v_fma_f64 v[111:112], v[129:130], v[113:114], v[111:112]
	buffer_load_dword v124, off, s[0:3], 0 offset:372
	buffer_load_dword v125, off, s[0:3], 0 offset:392
	;; [unrolled: 1-line block ×8, first 2 shown]
	s_waitcnt vmcnt(24) lgkmcnt(0)
	v_fma_f64 v[111:112], v[131:132], v[115:116], v[111:112]
	s_waitcnt vmcnt(19)
	v_fma_f64 v[131:132], v[133:134], v[117:118], v[111:112]
	ds_read2_b64 v[111:114], v110 offset0:93 offset1:94
	ds_read2_b64 v[115:118], v110 offset0:95 offset1:96
	s_waitcnt vmcnt(18) lgkmcnt(1)
	v_fma_f64 v[111:112], v[139:140], v[111:112], v[131:132]
	s_waitcnt vmcnt(17)
	v_fma_f64 v[111:112], v[137:138], v[113:114], v[111:112]
	buffer_load_dword v132, off, s[0:3], 0 offset:404
	buffer_load_dword v133, off, s[0:3], 0 offset:424
	;; [unrolled: 1-line block ×8, first 2 shown]
	s_waitcnt vmcnt(24) lgkmcnt(0)
	v_fma_f64 v[111:112], v[135:136], v[115:116], v[111:112]
	s_waitcnt vmcnt(19)
	v_fma_f64 v[119:120], v[119:120], v[117:118], v[111:112]
	ds_read2_b64 v[111:114], v110 offset0:97 offset1:98
	ds_read2_b64 v[115:118], v110 offset0:99 offset1:100
	s_waitcnt vmcnt(18) lgkmcnt(1)
	v_fma_f64 v[111:112], v[143:144], v[111:112], v[119:120]
	buffer_load_dword v119, off, s[0:3], 0 offset:240
	buffer_load_dword v120, off, s[0:3], 0 offset:244
	s_waitcnt vmcnt(19)
	v_fma_f64 v[111:112], v[141:142], v[113:114], v[111:112]
	s_waitcnt vmcnt(18) lgkmcnt(0)
	v_fma_f64 v[111:112], v[121:122], v[115:116], v[111:112]
	s_waitcnt vmcnt(13)
	v_fma_f64 v[121:122], v[123:124], v[117:118], v[111:112]
	ds_read2_b64 v[111:114], v110 offset0:101 offset1:102
	ds_read2_b64 v[115:118], v110 offset0:103 offset1:104
	s_waitcnt vmcnt(12) lgkmcnt(1)
	v_fma_f64 v[111:112], v[129:130], v[111:112], v[121:122]
	s_waitcnt vmcnt(11)
	v_fma_f64 v[111:112], v[127:128], v[113:114], v[111:112]
	s_waitcnt vmcnt(10) lgkmcnt(0)
	v_fma_f64 v[111:112], v[125:126], v[115:116], v[111:112]
	s_waitcnt vmcnt(5)
	v_fma_f64 v[115:116], v[131:132], v[117:118], v[111:112]
	ds_read2_b64 v[111:114], v110 offset0:105 offset1:106
	ds_read_b64 v[117:118], v110 offset:856
	s_waitcnt vmcnt(4) lgkmcnt(1)
	v_fma_f64 v[111:112], v[139:140], v[111:112], v[115:116]
	s_waitcnt vmcnt(3)
	v_fma_f64 v[111:112], v[137:138], v[113:114], v[111:112]
	s_waitcnt vmcnt(2) lgkmcnt(0)
	v_fma_f64 v[111:112], v[133:134], v[117:118], v[111:112]
	s_waitcnt vmcnt(0)
	v_add_f64 v[111:112], v[119:120], -v[111:112]
	buffer_store_dword v112, off, s[0:3], 0 offset:244
	buffer_store_dword v111, off, s[0:3], 0 offset:240
	s_and_saveexec_b64 s[4:5], vcc
	s_cbranch_execz .LBB117_273
; %bb.272:
	buffer_load_dword v111, off, s[0:3], 0 offset:232
	buffer_load_dword v112, off, s[0:3], 0 offset:236
	s_waitcnt vmcnt(0)
	ds_write_b64 v109, v[111:112]
	buffer_store_dword v110, off, s[0:3], 0 offset:232
	buffer_store_dword v110, off, s[0:3], 0 offset:236
.LBB117_273:
	s_or_b64 exec, exec, s[4:5]
	s_waitcnt lgkmcnt(0)
	; wave barrier
	buffer_load_dword v119, off, s[0:3], 0 offset:240
	buffer_load_dword v120, off, s[0:3], 0 offset:244
	;; [unrolled: 1-line block ×21, first 2 shown]
	ds_read_b128 v[111:114], v110 offset:672
	ds_read_b128 v[115:118], v110 offset:688
	buffer_load_dword v136, off, s[0:3], 0 offset:324
	v_cmp_lt_u32_e32 vcc, 28, v0
	s_waitcnt vmcnt(20) lgkmcnt(1)
	v_fma_f64 v[111:112], v[119:120], v[111:112], 0
	s_waitcnt vmcnt(18)
	v_fma_f64 v[111:112], v[121:122], v[113:114], v[111:112]
	buffer_load_dword v120, off, s[0:3], 0 offset:332
	buffer_load_dword v121, off, s[0:3], 0 offset:352
	;; [unrolled: 1-line block ×7, first 2 shown]
	s_waitcnt vmcnt(23) lgkmcnt(0)
	v_fma_f64 v[111:112], v[123:124], v[115:116], v[111:112]
	s_waitcnt vmcnt(21)
	v_fma_f64 v[122:123], v[125:126], v[117:118], v[111:112]
	ds_read_b128 v[111:114], v110 offset:704
	ds_read_b128 v[115:118], v110 offset:720
	s_waitcnt vmcnt(19) lgkmcnt(1)
	v_fma_f64 v[111:112], v[127:128], v[111:112], v[122:123]
	buffer_load_dword v122, off, s[0:3], 0 offset:356
	s_waitcnt vmcnt(18)
	v_fma_f64 v[111:112], v[129:130], v[113:114], v[111:112]
	buffer_load_dword v124, off, s[0:3], 0 offset:364
	buffer_load_dword v125, off, s[0:3], 0 offset:384
	;; [unrolled: 1-line block ×8, first 2 shown]
	s_waitcnt vmcnt(24) lgkmcnt(0)
	v_fma_f64 v[111:112], v[131:132], v[115:116], v[111:112]
	s_waitcnt vmcnt(19)
	v_fma_f64 v[131:132], v[133:134], v[117:118], v[111:112]
	ds_read_b128 v[111:114], v110 offset:736
	ds_read_b128 v[115:118], v110 offset:752
	s_waitcnt vmcnt(18) lgkmcnt(1)
	v_fma_f64 v[111:112], v[139:140], v[111:112], v[131:132]
	s_waitcnt vmcnt(17)
	v_fma_f64 v[111:112], v[137:138], v[113:114], v[111:112]
	buffer_load_dword v132, off, s[0:3], 0 offset:396
	buffer_load_dword v133, off, s[0:3], 0 offset:416
	;; [unrolled: 1-line block ×8, first 2 shown]
	s_waitcnt vmcnt(24) lgkmcnt(0)
	v_fma_f64 v[111:112], v[135:136], v[115:116], v[111:112]
	s_waitcnt vmcnt(19)
	v_fma_f64 v[119:120], v[119:120], v[117:118], v[111:112]
	ds_read_b128 v[111:114], v110 offset:768
	ds_read_b128 v[115:118], v110 offset:784
	s_waitcnt vmcnt(18) lgkmcnt(1)
	v_fma_f64 v[111:112], v[143:144], v[111:112], v[119:120]
	buffer_load_dword v120, off, s[0:3], 0 offset:428
	buffer_load_dword v119, off, s[0:3], 0 offset:424
	;; [unrolled: 1-line block ×4, first 2 shown]
	s_waitcnt vmcnt(21)
	v_fma_f64 v[111:112], v[141:142], v[113:114], v[111:112]
	s_waitcnt vmcnt(20) lgkmcnt(0)
	v_fma_f64 v[111:112], v[121:122], v[115:116], v[111:112]
	s_waitcnt vmcnt(15)
	v_fma_f64 v[121:122], v[123:124], v[117:118], v[111:112]
	ds_read_b128 v[111:114], v110 offset:800
	ds_read_b128 v[115:118], v110 offset:816
	s_waitcnt vmcnt(14) lgkmcnt(1)
	v_fma_f64 v[111:112], v[129:130], v[111:112], v[121:122]
	s_waitcnt vmcnt(13)
	v_fma_f64 v[111:112], v[127:128], v[113:114], v[111:112]
	s_waitcnt vmcnt(12) lgkmcnt(0)
	v_fma_f64 v[111:112], v[125:126], v[115:116], v[111:112]
	s_waitcnt vmcnt(7)
	v_fma_f64 v[121:122], v[131:132], v[117:118], v[111:112]
	ds_read_b128 v[111:114], v110 offset:832
	ds_read_b128 v[115:118], v110 offset:848
	s_waitcnt vmcnt(6) lgkmcnt(1)
	v_fma_f64 v[110:111], v[139:140], v[111:112], v[121:122]
	s_waitcnt vmcnt(5)
	v_fma_f64 v[110:111], v[137:138], v[113:114], v[110:111]
	s_waitcnt vmcnt(4) lgkmcnt(0)
	v_fma_f64 v[110:111], v[133:134], v[115:116], v[110:111]
	s_waitcnt vmcnt(2)
	v_fma_f64 v[110:111], v[119:120], v[117:118], v[110:111]
	s_waitcnt vmcnt(0)
	v_add_f64 v[110:111], v[135:136], -v[110:111]
	buffer_store_dword v111, off, s[0:3], 0 offset:236
	buffer_store_dword v110, off, s[0:3], 0 offset:232
	s_and_saveexec_b64 s[4:5], vcc
	s_cbranch_execz .LBB117_275
; %bb.274:
	buffer_load_dword v110, off, s[0:3], 0 offset:224
	buffer_load_dword v111, off, s[0:3], 0 offset:228
	v_mov_b32_e32 v112, 0
	buffer_store_dword v112, off, s[0:3], 0 offset:224
	buffer_store_dword v112, off, s[0:3], 0 offset:228
	s_waitcnt vmcnt(2)
	ds_write_b64 v109, v[110:111]
.LBB117_275:
	s_or_b64 exec, exec, s[4:5]
	s_waitcnt lgkmcnt(0)
	; wave barrier
	buffer_load_dword v119, off, s[0:3], 0 offset:232
	buffer_load_dword v120, off, s[0:3], 0 offset:236
	;; [unrolled: 1-line block ×21, first 2 shown]
	v_mov_b32_e32 v110, 0
	ds_read2_b64 v[111:114], v110 offset0:83 offset1:84
	ds_read2_b64 v[115:118], v110 offset0:85 offset1:86
	buffer_load_dword v136, off, s[0:3], 0 offset:316
	v_cmp_lt_u32_e32 vcc, 27, v0
	s_waitcnt vmcnt(20) lgkmcnt(1)
	v_fma_f64 v[111:112], v[119:120], v[111:112], 0
	s_waitcnt vmcnt(18)
	v_fma_f64 v[111:112], v[121:122], v[113:114], v[111:112]
	buffer_load_dword v120, off, s[0:3], 0 offset:324
	buffer_load_dword v121, off, s[0:3], 0 offset:344
	;; [unrolled: 1-line block ×7, first 2 shown]
	s_waitcnt vmcnt(23) lgkmcnt(0)
	v_fma_f64 v[111:112], v[123:124], v[115:116], v[111:112]
	s_waitcnt vmcnt(21)
	v_fma_f64 v[122:123], v[125:126], v[117:118], v[111:112]
	ds_read2_b64 v[111:114], v110 offset0:87 offset1:88
	ds_read2_b64 v[115:118], v110 offset0:89 offset1:90
	s_waitcnt vmcnt(19) lgkmcnt(1)
	v_fma_f64 v[111:112], v[127:128], v[111:112], v[122:123]
	buffer_load_dword v122, off, s[0:3], 0 offset:348
	s_waitcnt vmcnt(18)
	v_fma_f64 v[111:112], v[129:130], v[113:114], v[111:112]
	buffer_load_dword v124, off, s[0:3], 0 offset:356
	buffer_load_dword v125, off, s[0:3], 0 offset:376
	;; [unrolled: 1-line block ×8, first 2 shown]
	s_waitcnt vmcnt(24) lgkmcnt(0)
	v_fma_f64 v[111:112], v[131:132], v[115:116], v[111:112]
	s_waitcnt vmcnt(19)
	v_fma_f64 v[131:132], v[133:134], v[117:118], v[111:112]
	ds_read2_b64 v[111:114], v110 offset0:91 offset1:92
	ds_read2_b64 v[115:118], v110 offset0:93 offset1:94
	s_waitcnt vmcnt(18) lgkmcnt(1)
	v_fma_f64 v[111:112], v[139:140], v[111:112], v[131:132]
	s_waitcnt vmcnt(17)
	v_fma_f64 v[111:112], v[137:138], v[113:114], v[111:112]
	buffer_load_dword v132, off, s[0:3], 0 offset:388
	buffer_load_dword v133, off, s[0:3], 0 offset:408
	;; [unrolled: 1-line block ×7, first 2 shown]
	s_waitcnt vmcnt(23) lgkmcnt(0)
	v_fma_f64 v[111:112], v[135:136], v[115:116], v[111:112]
	s_waitcnt vmcnt(18)
	v_fma_f64 v[119:120], v[119:120], v[117:118], v[111:112]
	ds_read2_b64 v[111:114], v110 offset0:95 offset1:96
	ds_read2_b64 v[115:118], v110 offset0:97 offset1:98
	buffer_load_dword v134, off, s[0:3], 0 offset:412
	s_waitcnt vmcnt(18) lgkmcnt(1)
	v_fma_f64 v[111:112], v[143:144], v[111:112], v[119:120]
	buffer_load_dword v120, off, s[0:3], 0 offset:420
	buffer_load_dword v135, off, s[0:3], 0 offset:424
	;; [unrolled: 1-line block ×4, first 2 shown]
	s_waitcnt vmcnt(21)
	v_fma_f64 v[111:112], v[141:142], v[113:114], v[111:112]
	s_waitcnt vmcnt(20) lgkmcnt(0)
	v_fma_f64 v[111:112], v[121:122], v[115:116], v[111:112]
	buffer_load_dword v121, off, s[0:3], 0 offset:224
	buffer_load_dword v122, off, s[0:3], 0 offset:228
	s_waitcnt vmcnt(17)
	v_fma_f64 v[123:124], v[123:124], v[117:118], v[111:112]
	ds_read2_b64 v[111:114], v110 offset0:99 offset1:100
	ds_read2_b64 v[115:118], v110 offset0:101 offset1:102
	s_waitcnt vmcnt(16) lgkmcnt(1)
	v_fma_f64 v[111:112], v[129:130], v[111:112], v[123:124]
	s_waitcnt vmcnt(15)
	v_fma_f64 v[111:112], v[127:128], v[113:114], v[111:112]
	s_waitcnt vmcnt(14) lgkmcnt(0)
	v_fma_f64 v[111:112], v[125:126], v[115:116], v[111:112]
	s_waitcnt vmcnt(9)
	v_fma_f64 v[123:124], v[131:132], v[117:118], v[111:112]
	ds_read2_b64 v[111:114], v110 offset0:103 offset1:104
	ds_read2_b64 v[115:118], v110 offset0:105 offset1:106
	s_waitcnt vmcnt(8) lgkmcnt(1)
	v_fma_f64 v[111:112], v[139:140], v[111:112], v[123:124]
	s_waitcnt vmcnt(7)
	v_fma_f64 v[111:112], v[137:138], v[113:114], v[111:112]
	ds_read_b64 v[113:114], v110 offset:856
	s_waitcnt vmcnt(6) lgkmcnt(1)
	v_fma_f64 v[111:112], v[133:134], v[115:116], v[111:112]
	s_waitcnt vmcnt(3)
	v_fma_f64 v[111:112], v[119:120], v[117:118], v[111:112]
	s_waitcnt vmcnt(2) lgkmcnt(0)
	v_fma_f64 v[111:112], v[135:136], v[113:114], v[111:112]
	s_waitcnt vmcnt(0)
	v_add_f64 v[111:112], v[121:122], -v[111:112]
	buffer_store_dword v112, off, s[0:3], 0 offset:228
	buffer_store_dword v111, off, s[0:3], 0 offset:224
	s_and_saveexec_b64 s[4:5], vcc
	s_cbranch_execz .LBB117_277
; %bb.276:
	buffer_load_dword v111, off, s[0:3], 0 offset:216
	buffer_load_dword v112, off, s[0:3], 0 offset:220
	s_waitcnt vmcnt(0)
	ds_write_b64 v109, v[111:112]
	buffer_store_dword v110, off, s[0:3], 0 offset:216
	buffer_store_dword v110, off, s[0:3], 0 offset:220
.LBB117_277:
	s_or_b64 exec, exec, s[4:5]
	s_waitcnt lgkmcnt(0)
	; wave barrier
	buffer_load_dword v119, off, s[0:3], 0 offset:224
	buffer_load_dword v120, off, s[0:3], 0 offset:228
	;; [unrolled: 1-line block ×22, first 2 shown]
	ds_read_b128 v[111:114], v110 offset:656
	ds_read_b128 v[115:118], v110 offset:672
	v_cmp_lt_u32_e32 vcc, 26, v0
	s_waitcnt vmcnt(20) lgkmcnt(1)
	v_fma_f64 v[111:112], v[119:120], v[111:112], 0
	s_waitcnt vmcnt(18)
	v_fma_f64 v[111:112], v[121:122], v[113:114], v[111:112]
	buffer_load_dword v120, off, s[0:3], 0 offset:316
	buffer_load_dword v121, off, s[0:3], 0 offset:336
	;; [unrolled: 1-line block ×7, first 2 shown]
	s_waitcnt vmcnt(23) lgkmcnt(0)
	v_fma_f64 v[111:112], v[123:124], v[115:116], v[111:112]
	s_waitcnt vmcnt(21)
	v_fma_f64 v[122:123], v[125:126], v[117:118], v[111:112]
	ds_read_b128 v[111:114], v110 offset:688
	ds_read_b128 v[115:118], v110 offset:704
	s_waitcnt vmcnt(19) lgkmcnt(1)
	v_fma_f64 v[111:112], v[127:128], v[111:112], v[122:123]
	buffer_load_dword v122, off, s[0:3], 0 offset:340
	s_waitcnt vmcnt(18)
	v_fma_f64 v[111:112], v[129:130], v[113:114], v[111:112]
	buffer_load_dword v124, off, s[0:3], 0 offset:348
	buffer_load_dword v125, off, s[0:3], 0 offset:368
	;; [unrolled: 1-line block ×8, first 2 shown]
	s_waitcnt vmcnt(24) lgkmcnt(0)
	v_fma_f64 v[111:112], v[131:132], v[115:116], v[111:112]
	s_waitcnt vmcnt(19)
	v_fma_f64 v[131:132], v[133:134], v[117:118], v[111:112]
	ds_read_b128 v[111:114], v110 offset:720
	ds_read_b128 v[115:118], v110 offset:736
	s_waitcnt vmcnt(18) lgkmcnt(1)
	v_fma_f64 v[111:112], v[139:140], v[111:112], v[131:132]
	s_waitcnt vmcnt(17)
	v_fma_f64 v[111:112], v[137:138], v[113:114], v[111:112]
	buffer_load_dword v132, off, s[0:3], 0 offset:380
	buffer_load_dword v133, off, s[0:3], 0 offset:400
	;; [unrolled: 1-line block ×8, first 2 shown]
	s_waitcnt vmcnt(24) lgkmcnt(0)
	v_fma_f64 v[111:112], v[135:136], v[115:116], v[111:112]
	s_waitcnt vmcnt(19)
	v_fma_f64 v[119:120], v[119:120], v[117:118], v[111:112]
	ds_read_b128 v[111:114], v110 offset:752
	ds_read_b128 v[115:118], v110 offset:768
	s_waitcnt vmcnt(18) lgkmcnt(1)
	v_fma_f64 v[111:112], v[143:144], v[111:112], v[119:120]
	s_waitcnt vmcnt(17)
	v_fma_f64 v[111:112], v[141:142], v[113:114], v[111:112]
	buffer_load_dword v120, off, s[0:3], 0 offset:412
	buffer_load_dword v135, off, s[0:3], 0 offset:424
	;; [unrolled: 1-line block ×6, first 2 shown]
	s_waitcnt vmcnt(22) lgkmcnt(0)
	v_fma_f64 v[111:112], v[121:122], v[115:116], v[111:112]
	s_waitcnt vmcnt(17)
	v_fma_f64 v[121:122], v[123:124], v[117:118], v[111:112]
	ds_read_b128 v[111:114], v110 offset:784
	buffer_load_dword v123, off, s[0:3], 0 offset:216
	buffer_load_dword v124, off, s[0:3], 0 offset:220
	ds_read_b128 v[115:118], v110 offset:800
	s_waitcnt vmcnt(18) lgkmcnt(1)
	v_fma_f64 v[111:112], v[129:130], v[111:112], v[121:122]
	s_waitcnt vmcnt(17)
	v_fma_f64 v[111:112], v[127:128], v[113:114], v[111:112]
	s_waitcnt vmcnt(16) lgkmcnt(0)
	v_fma_f64 v[111:112], v[125:126], v[115:116], v[111:112]
	s_waitcnt vmcnt(11)
	v_fma_f64 v[121:122], v[131:132], v[117:118], v[111:112]
	ds_read_b128 v[111:114], v110 offset:816
	ds_read_b128 v[115:118], v110 offset:832
	s_waitcnt vmcnt(10) lgkmcnt(1)
	v_fma_f64 v[111:112], v[139:140], v[111:112], v[121:122]
	s_waitcnt vmcnt(9)
	v_fma_f64 v[111:112], v[137:138], v[113:114], v[111:112]
	s_waitcnt vmcnt(8) lgkmcnt(0)
	v_fma_f64 v[111:112], v[133:134], v[115:116], v[111:112]
	s_waitcnt vmcnt(4)
	v_fma_f64 v[114:115], v[119:120], v[117:118], v[111:112]
	ds_read_b128 v[110:113], v110 offset:848
	s_waitcnt vmcnt(3) lgkmcnt(0)
	v_fma_f64 v[110:111], v[141:142], v[110:111], v[114:115]
	s_waitcnt vmcnt(2)
	v_fma_f64 v[110:111], v[135:136], v[112:113], v[110:111]
	s_waitcnt vmcnt(0)
	v_add_f64 v[110:111], v[123:124], -v[110:111]
	buffer_store_dword v111, off, s[0:3], 0 offset:220
	buffer_store_dword v110, off, s[0:3], 0 offset:216
	s_and_saveexec_b64 s[4:5], vcc
	s_cbranch_execz .LBB117_279
; %bb.278:
	buffer_load_dword v110, off, s[0:3], 0 offset:208
	buffer_load_dword v111, off, s[0:3], 0 offset:212
	v_mov_b32_e32 v112, 0
	buffer_store_dword v112, off, s[0:3], 0 offset:208
	buffer_store_dword v112, off, s[0:3], 0 offset:212
	s_waitcnt vmcnt(2)
	ds_write_b64 v109, v[110:111]
.LBB117_279:
	s_or_b64 exec, exec, s[4:5]
	s_waitcnt lgkmcnt(0)
	; wave barrier
	buffer_load_dword v119, off, s[0:3], 0 offset:216
	buffer_load_dword v120, off, s[0:3], 0 offset:220
	;; [unrolled: 1-line block ×22, first 2 shown]
	v_mov_b32_e32 v110, 0
	ds_read2_b64 v[111:114], v110 offset0:81 offset1:82
	ds_read2_b64 v[115:118], v110 offset0:83 offset1:84
	v_cmp_lt_u32_e32 vcc, 25, v0
	s_waitcnt vmcnt(20) lgkmcnt(1)
	v_fma_f64 v[111:112], v[119:120], v[111:112], 0
	s_waitcnt vmcnt(18)
	v_fma_f64 v[111:112], v[121:122], v[113:114], v[111:112]
	buffer_load_dword v120, off, s[0:3], 0 offset:308
	buffer_load_dword v121, off, s[0:3], 0 offset:328
	;; [unrolled: 1-line block ×7, first 2 shown]
	s_waitcnt vmcnt(23) lgkmcnt(0)
	v_fma_f64 v[111:112], v[123:124], v[115:116], v[111:112]
	s_waitcnt vmcnt(21)
	v_fma_f64 v[122:123], v[125:126], v[117:118], v[111:112]
	ds_read2_b64 v[111:114], v110 offset0:85 offset1:86
	ds_read2_b64 v[115:118], v110 offset0:87 offset1:88
	s_waitcnt vmcnt(19) lgkmcnt(1)
	v_fma_f64 v[111:112], v[127:128], v[111:112], v[122:123]
	buffer_load_dword v122, off, s[0:3], 0 offset:332
	s_waitcnt vmcnt(18)
	v_fma_f64 v[111:112], v[129:130], v[113:114], v[111:112]
	buffer_load_dword v124, off, s[0:3], 0 offset:340
	buffer_load_dword v125, off, s[0:3], 0 offset:360
	buffer_load_dword v127, off, s[0:3], 0 offset:352
	buffer_load_dword v129, off, s[0:3], 0 offset:344
	buffer_load_dword v123, off, s[0:3], 0 offset:336
	buffer_load_dword v130, off, s[0:3], 0 offset:348
	buffer_load_dword v128, off, s[0:3], 0 offset:356
	buffer_load_dword v126, off, s[0:3], 0 offset:364
	s_waitcnt vmcnt(24) lgkmcnt(0)
	v_fma_f64 v[111:112], v[131:132], v[115:116], v[111:112]
	s_waitcnt vmcnt(19)
	v_fma_f64 v[131:132], v[133:134], v[117:118], v[111:112]
	ds_read2_b64 v[111:114], v110 offset0:89 offset1:90
	ds_read2_b64 v[115:118], v110 offset0:91 offset1:92
	s_waitcnt vmcnt(18) lgkmcnt(1)
	v_fma_f64 v[111:112], v[139:140], v[111:112], v[131:132]
	s_waitcnt vmcnt(17)
	v_fma_f64 v[111:112], v[137:138], v[113:114], v[111:112]
	buffer_load_dword v132, off, s[0:3], 0 offset:372
	buffer_load_dword v133, off, s[0:3], 0 offset:392
	buffer_load_dword v137, off, s[0:3], 0 offset:384
	buffer_load_dword v139, off, s[0:3], 0 offset:376
	buffer_load_dword v131, off, s[0:3], 0 offset:368
	buffer_load_dword v140, off, s[0:3], 0 offset:380
	buffer_load_dword v138, off, s[0:3], 0 offset:388
	buffer_load_dword v134, off, s[0:3], 0 offset:396
	s_waitcnt vmcnt(24) lgkmcnt(0)
	v_fma_f64 v[111:112], v[135:136], v[115:116], v[111:112]
	s_waitcnt vmcnt(19)
	v_fma_f64 v[119:120], v[119:120], v[117:118], v[111:112]
	ds_read2_b64 v[111:114], v110 offset0:93 offset1:94
	ds_read2_b64 v[115:118], v110 offset0:95 offset1:96
	s_waitcnt vmcnt(18) lgkmcnt(1)
	v_fma_f64 v[111:112], v[143:144], v[111:112], v[119:120]
	;; [unrolled: 18-line block ×3, first 2 shown]
	buffer_load_dword v121, off, s[0:3], 0 offset:208
	buffer_load_dword v122, off, s[0:3], 0 offset:212
	s_waitcnt vmcnt(19)
	v_fma_f64 v[111:112], v[127:128], v[113:114], v[111:112]
	s_waitcnt vmcnt(18) lgkmcnt(0)
	v_fma_f64 v[111:112], v[125:126], v[115:116], v[111:112]
	s_waitcnt vmcnt(13)
	v_fma_f64 v[123:124], v[131:132], v[117:118], v[111:112]
	ds_read2_b64 v[111:114], v110 offset0:101 offset1:102
	ds_read2_b64 v[115:118], v110 offset0:103 offset1:104
	s_waitcnt vmcnt(12) lgkmcnt(1)
	v_fma_f64 v[111:112], v[139:140], v[111:112], v[123:124]
	s_waitcnt vmcnt(11)
	v_fma_f64 v[111:112], v[137:138], v[113:114], v[111:112]
	s_waitcnt vmcnt(10) lgkmcnt(0)
	v_fma_f64 v[111:112], v[133:134], v[115:116], v[111:112]
	s_waitcnt vmcnt(5)
	v_fma_f64 v[115:116], v[119:120], v[117:118], v[111:112]
	ds_read2_b64 v[111:114], v110 offset0:105 offset1:106
	ds_read_b64 v[117:118], v110 offset:856
	s_waitcnt vmcnt(4) lgkmcnt(1)
	v_fma_f64 v[111:112], v[143:144], v[111:112], v[115:116]
	s_waitcnt vmcnt(3)
	v_fma_f64 v[111:112], v[141:142], v[113:114], v[111:112]
	s_waitcnt vmcnt(2) lgkmcnt(0)
	v_fma_f64 v[111:112], v[135:136], v[117:118], v[111:112]
	s_waitcnt vmcnt(0)
	v_add_f64 v[111:112], v[121:122], -v[111:112]
	buffer_store_dword v112, off, s[0:3], 0 offset:212
	buffer_store_dword v111, off, s[0:3], 0 offset:208
	s_and_saveexec_b64 s[4:5], vcc
	s_cbranch_execz .LBB117_281
; %bb.280:
	buffer_load_dword v111, off, s[0:3], 0 offset:200
	buffer_load_dword v112, off, s[0:3], 0 offset:204
	s_waitcnt vmcnt(0)
	ds_write_b64 v109, v[111:112]
	buffer_store_dword v110, off, s[0:3], 0 offset:200
	buffer_store_dword v110, off, s[0:3], 0 offset:204
.LBB117_281:
	s_or_b64 exec, exec, s[4:5]
	s_waitcnt lgkmcnt(0)
	; wave barrier
	buffer_load_dword v119, off, s[0:3], 0 offset:208
	buffer_load_dword v120, off, s[0:3], 0 offset:212
	;; [unrolled: 1-line block ×22, first 2 shown]
	ds_read_b128 v[111:114], v110 offset:640
	ds_read_b128 v[115:118], v110 offset:656
	v_cmp_lt_u32_e32 vcc, 24, v0
	s_waitcnt vmcnt(20) lgkmcnt(1)
	v_fma_f64 v[111:112], v[119:120], v[111:112], 0
	s_waitcnt vmcnt(18)
	v_fma_f64 v[111:112], v[121:122], v[113:114], v[111:112]
	buffer_load_dword v120, off, s[0:3], 0 offset:300
	buffer_load_dword v121, off, s[0:3], 0 offset:320
	;; [unrolled: 1-line block ×7, first 2 shown]
	s_waitcnt vmcnt(23) lgkmcnt(0)
	v_fma_f64 v[111:112], v[123:124], v[115:116], v[111:112]
	s_waitcnt vmcnt(21)
	v_fma_f64 v[122:123], v[125:126], v[117:118], v[111:112]
	ds_read_b128 v[111:114], v110 offset:672
	ds_read_b128 v[115:118], v110 offset:688
	s_waitcnt vmcnt(19) lgkmcnt(1)
	v_fma_f64 v[111:112], v[127:128], v[111:112], v[122:123]
	buffer_load_dword v122, off, s[0:3], 0 offset:324
	s_waitcnt vmcnt(18)
	v_fma_f64 v[111:112], v[129:130], v[113:114], v[111:112]
	buffer_load_dword v124, off, s[0:3], 0 offset:332
	buffer_load_dword v125, off, s[0:3], 0 offset:352
	buffer_load_dword v127, off, s[0:3], 0 offset:344
	buffer_load_dword v129, off, s[0:3], 0 offset:336
	buffer_load_dword v123, off, s[0:3], 0 offset:328
	buffer_load_dword v130, off, s[0:3], 0 offset:340
	buffer_load_dword v128, off, s[0:3], 0 offset:348
	buffer_load_dword v126, off, s[0:3], 0 offset:356
	s_waitcnt vmcnt(24) lgkmcnt(0)
	v_fma_f64 v[111:112], v[131:132], v[115:116], v[111:112]
	s_waitcnt vmcnt(19)
	v_fma_f64 v[131:132], v[133:134], v[117:118], v[111:112]
	ds_read_b128 v[111:114], v110 offset:704
	ds_read_b128 v[115:118], v110 offset:720
	s_waitcnt vmcnt(18) lgkmcnt(1)
	v_fma_f64 v[111:112], v[139:140], v[111:112], v[131:132]
	s_waitcnt vmcnt(17)
	v_fma_f64 v[111:112], v[137:138], v[113:114], v[111:112]
	buffer_load_dword v132, off, s[0:3], 0 offset:364
	buffer_load_dword v133, off, s[0:3], 0 offset:384
	buffer_load_dword v137, off, s[0:3], 0 offset:376
	buffer_load_dword v139, off, s[0:3], 0 offset:368
	buffer_load_dword v131, off, s[0:3], 0 offset:360
	buffer_load_dword v140, off, s[0:3], 0 offset:372
	buffer_load_dword v138, off, s[0:3], 0 offset:380
	buffer_load_dword v134, off, s[0:3], 0 offset:388
	s_waitcnt vmcnt(24) lgkmcnt(0)
	v_fma_f64 v[111:112], v[135:136], v[115:116], v[111:112]
	s_waitcnt vmcnt(19)
	v_fma_f64 v[119:120], v[119:120], v[117:118], v[111:112]
	ds_read_b128 v[111:114], v110 offset:736
	ds_read_b128 v[115:118], v110 offset:752
	s_waitcnt vmcnt(18) lgkmcnt(1)
	v_fma_f64 v[111:112], v[143:144], v[111:112], v[119:120]
	;; [unrolled: 18-line block ×3, first 2 shown]
	buffer_load_dword v122, off, s[0:3], 0 offset:428
	buffer_load_dword v121, off, s[0:3], 0 offset:424
	;; [unrolled: 1-line block ×4, first 2 shown]
	s_waitcnt vmcnt(21)
	v_fma_f64 v[111:112], v[127:128], v[113:114], v[111:112]
	s_waitcnt vmcnt(20) lgkmcnt(0)
	v_fma_f64 v[111:112], v[125:126], v[115:116], v[111:112]
	s_waitcnt vmcnt(15)
	v_fma_f64 v[125:126], v[131:132], v[117:118], v[111:112]
	ds_read_b128 v[111:114], v110 offset:800
	ds_read_b128 v[115:118], v110 offset:816
	s_waitcnt vmcnt(14) lgkmcnt(1)
	v_fma_f64 v[111:112], v[139:140], v[111:112], v[125:126]
	s_waitcnt vmcnt(13)
	v_fma_f64 v[111:112], v[137:138], v[113:114], v[111:112]
	s_waitcnt vmcnt(12) lgkmcnt(0)
	v_fma_f64 v[111:112], v[133:134], v[115:116], v[111:112]
	s_waitcnt vmcnt(7)
	v_fma_f64 v[119:120], v[119:120], v[117:118], v[111:112]
	ds_read_b128 v[111:114], v110 offset:832
	ds_read_b128 v[115:118], v110 offset:848
	s_waitcnt vmcnt(6) lgkmcnt(1)
	v_fma_f64 v[110:111], v[143:144], v[111:112], v[119:120]
	s_waitcnt vmcnt(5)
	v_fma_f64 v[110:111], v[141:142], v[113:114], v[110:111]
	s_waitcnt vmcnt(4) lgkmcnt(0)
	v_fma_f64 v[110:111], v[135:136], v[115:116], v[110:111]
	s_waitcnt vmcnt(2)
	v_fma_f64 v[110:111], v[121:122], v[117:118], v[110:111]
	s_waitcnt vmcnt(0)
	v_add_f64 v[110:111], v[123:124], -v[110:111]
	buffer_store_dword v111, off, s[0:3], 0 offset:204
	buffer_store_dword v110, off, s[0:3], 0 offset:200
	s_and_saveexec_b64 s[4:5], vcc
	s_cbranch_execz .LBB117_283
; %bb.282:
	buffer_load_dword v110, off, s[0:3], 0 offset:192
	buffer_load_dword v111, off, s[0:3], 0 offset:196
	v_mov_b32_e32 v112, 0
	buffer_store_dword v112, off, s[0:3], 0 offset:192
	buffer_store_dword v112, off, s[0:3], 0 offset:196
	s_waitcnt vmcnt(2)
	ds_write_b64 v109, v[110:111]
.LBB117_283:
	s_or_b64 exec, exec, s[4:5]
	s_waitcnt lgkmcnt(0)
	; wave barrier
	buffer_load_dword v119, off, s[0:3], 0 offset:200
	buffer_load_dword v120, off, s[0:3], 0 offset:204
	buffer_load_dword v121, off, s[0:3], 0 offset:208
	buffer_load_dword v122, off, s[0:3], 0 offset:212
	buffer_load_dword v123, off, s[0:3], 0 offset:216
	buffer_load_dword v124, off, s[0:3], 0 offset:220
	buffer_load_dword v125, off, s[0:3], 0 offset:224
	buffer_load_dword v126, off, s[0:3], 0 offset:228
	buffer_load_dword v127, off, s[0:3], 0 offset:232
	buffer_load_dword v128, off, s[0:3], 0 offset:236
	buffer_load_dword v129, off, s[0:3], 0 offset:240
	buffer_load_dword v130, off, s[0:3], 0 offset:244
	buffer_load_dword v131, off, s[0:3], 0 offset:248
	buffer_load_dword v132, off, s[0:3], 0 offset:252
	buffer_load_dword v134, off, s[0:3], 0 offset:260
	buffer_load_dword v135, off, s[0:3], 0 offset:280
	buffer_load_dword v137, off, s[0:3], 0 offset:272
	buffer_load_dword v139, off, s[0:3], 0 offset:264
	buffer_load_dword v133, off, s[0:3], 0 offset:256
	buffer_load_dword v140, off, s[0:3], 0 offset:268
	buffer_load_dword v138, off, s[0:3], 0 offset:276
	buffer_load_dword v136, off, s[0:3], 0 offset:284
	v_mov_b32_e32 v110, 0
	ds_read2_b64 v[111:114], v110 offset0:79 offset1:80
	ds_read2_b64 v[115:118], v110 offset0:81 offset1:82
	v_cmp_lt_u32_e32 vcc, 23, v0
	s_waitcnt vmcnt(20) lgkmcnt(1)
	v_fma_f64 v[111:112], v[119:120], v[111:112], 0
	s_waitcnt vmcnt(18)
	v_fma_f64 v[111:112], v[121:122], v[113:114], v[111:112]
	buffer_load_dword v120, off, s[0:3], 0 offset:292
	buffer_load_dword v121, off, s[0:3], 0 offset:312
	;; [unrolled: 1-line block ×7, first 2 shown]
	s_waitcnt vmcnt(23) lgkmcnt(0)
	v_fma_f64 v[111:112], v[123:124], v[115:116], v[111:112]
	s_waitcnt vmcnt(21)
	v_fma_f64 v[122:123], v[125:126], v[117:118], v[111:112]
	ds_read2_b64 v[111:114], v110 offset0:83 offset1:84
	ds_read2_b64 v[115:118], v110 offset0:85 offset1:86
	s_waitcnt vmcnt(19) lgkmcnt(1)
	v_fma_f64 v[111:112], v[127:128], v[111:112], v[122:123]
	buffer_load_dword v122, off, s[0:3], 0 offset:316
	s_waitcnt vmcnt(18)
	v_fma_f64 v[111:112], v[129:130], v[113:114], v[111:112]
	buffer_load_dword v124, off, s[0:3], 0 offset:324
	buffer_load_dword v125, off, s[0:3], 0 offset:344
	;; [unrolled: 1-line block ×7, first 2 shown]
	s_waitcnt vmcnt(23) lgkmcnt(0)
	v_fma_f64 v[111:112], v[131:132], v[115:116], v[111:112]
	s_waitcnt vmcnt(18)
	v_fma_f64 v[131:132], v[133:134], v[117:118], v[111:112]
	ds_read2_b64 v[111:114], v110 offset0:87 offset1:88
	ds_read2_b64 v[115:118], v110 offset0:89 offset1:90
	buffer_load_dword v126, off, s[0:3], 0 offset:348
	s_waitcnt vmcnt(18) lgkmcnt(1)
	v_fma_f64 v[111:112], v[139:140], v[111:112], v[131:132]
	s_waitcnt vmcnt(17)
	v_fma_f64 v[111:112], v[137:138], v[113:114], v[111:112]
	buffer_load_dword v132, off, s[0:3], 0 offset:356
	buffer_load_dword v133, off, s[0:3], 0 offset:376
	;; [unrolled: 1-line block ×8, first 2 shown]
	s_waitcnt vmcnt(24) lgkmcnt(0)
	v_fma_f64 v[111:112], v[135:136], v[115:116], v[111:112]
	s_waitcnt vmcnt(19)
	v_fma_f64 v[119:120], v[119:120], v[117:118], v[111:112]
	ds_read2_b64 v[111:114], v110 offset0:91 offset1:92
	ds_read2_b64 v[115:118], v110 offset0:93 offset1:94
	s_waitcnt vmcnt(18) lgkmcnt(1)
	v_fma_f64 v[111:112], v[143:144], v[111:112], v[119:120]
	s_waitcnt vmcnt(17)
	v_fma_f64 v[111:112], v[141:142], v[113:114], v[111:112]
	buffer_load_dword v120, off, s[0:3], 0 offset:388
	buffer_load_dword v135, off, s[0:3], 0 offset:408
	;; [unrolled: 1-line block ×7, first 2 shown]
	s_waitcnt vmcnt(23) lgkmcnt(0)
	v_fma_f64 v[111:112], v[121:122], v[115:116], v[111:112]
	s_waitcnt vmcnt(18)
	v_fma_f64 v[121:122], v[123:124], v[117:118], v[111:112]
	ds_read2_b64 v[111:114], v110 offset0:95 offset1:96
	ds_read2_b64 v[115:118], v110 offset0:97 offset1:98
	buffer_load_dword v136, off, s[0:3], 0 offset:412
	s_waitcnt vmcnt(18) lgkmcnt(1)
	v_fma_f64 v[111:112], v[129:130], v[111:112], v[121:122]
	buffer_load_dword v122, off, s[0:3], 0 offset:420
	buffer_load_dword v123, off, s[0:3], 0 offset:424
	;; [unrolled: 1-line block ×4, first 2 shown]
	s_waitcnt vmcnt(21)
	v_fma_f64 v[111:112], v[127:128], v[113:114], v[111:112]
	s_waitcnt vmcnt(20) lgkmcnt(0)
	v_fma_f64 v[111:112], v[125:126], v[115:116], v[111:112]
	buffer_load_dword v125, off, s[0:3], 0 offset:192
	buffer_load_dword v126, off, s[0:3], 0 offset:196
	s_waitcnt vmcnt(17)
	v_fma_f64 v[127:128], v[131:132], v[117:118], v[111:112]
	ds_read2_b64 v[111:114], v110 offset0:99 offset1:100
	ds_read2_b64 v[115:118], v110 offset0:101 offset1:102
	s_waitcnt vmcnt(16) lgkmcnt(1)
	v_fma_f64 v[111:112], v[139:140], v[111:112], v[127:128]
	s_waitcnt vmcnt(15)
	v_fma_f64 v[111:112], v[137:138], v[113:114], v[111:112]
	s_waitcnt vmcnt(14) lgkmcnt(0)
	v_fma_f64 v[111:112], v[133:134], v[115:116], v[111:112]
	s_waitcnt vmcnt(9)
	v_fma_f64 v[119:120], v[119:120], v[117:118], v[111:112]
	ds_read2_b64 v[111:114], v110 offset0:103 offset1:104
	ds_read2_b64 v[115:118], v110 offset0:105 offset1:106
	s_waitcnt vmcnt(8) lgkmcnt(1)
	v_fma_f64 v[111:112], v[143:144], v[111:112], v[119:120]
	s_waitcnt vmcnt(7)
	v_fma_f64 v[111:112], v[141:142], v[113:114], v[111:112]
	ds_read_b64 v[113:114], v110 offset:856
	s_waitcnt vmcnt(6) lgkmcnt(1)
	v_fma_f64 v[111:112], v[135:136], v[115:116], v[111:112]
	s_waitcnt vmcnt(3)
	v_fma_f64 v[111:112], v[121:122], v[117:118], v[111:112]
	s_waitcnt vmcnt(2) lgkmcnt(0)
	v_fma_f64 v[111:112], v[123:124], v[113:114], v[111:112]
	s_waitcnt vmcnt(0)
	v_add_f64 v[111:112], v[125:126], -v[111:112]
	buffer_store_dword v112, off, s[0:3], 0 offset:196
	buffer_store_dword v111, off, s[0:3], 0 offset:192
	s_and_saveexec_b64 s[4:5], vcc
	s_cbranch_execz .LBB117_285
; %bb.284:
	buffer_load_dword v111, off, s[0:3], 0 offset:184
	buffer_load_dword v112, off, s[0:3], 0 offset:188
	s_waitcnt vmcnt(0)
	ds_write_b64 v109, v[111:112]
	buffer_store_dword v110, off, s[0:3], 0 offset:184
	buffer_store_dword v110, off, s[0:3], 0 offset:188
.LBB117_285:
	s_or_b64 exec, exec, s[4:5]
	s_waitcnt lgkmcnt(0)
	; wave barrier
	buffer_load_dword v119, off, s[0:3], 0 offset:192
	buffer_load_dword v120, off, s[0:3], 0 offset:196
	;; [unrolled: 1-line block ×22, first 2 shown]
	ds_read_b128 v[111:114], v110 offset:624
	ds_read_b128 v[115:118], v110 offset:640
	v_cmp_lt_u32_e32 vcc, 22, v0
	s_waitcnt vmcnt(20) lgkmcnt(1)
	v_fma_f64 v[111:112], v[119:120], v[111:112], 0
	s_waitcnt vmcnt(18)
	v_fma_f64 v[111:112], v[121:122], v[113:114], v[111:112]
	buffer_load_dword v120, off, s[0:3], 0 offset:284
	buffer_load_dword v121, off, s[0:3], 0 offset:304
	buffer_load_dword v141, off, s[0:3], 0 offset:296
	buffer_load_dword v143, off, s[0:3], 0 offset:288
	buffer_load_dword v119, off, s[0:3], 0 offset:280
	buffer_load_dword v144, off, s[0:3], 0 offset:292
	buffer_load_dword v142, off, s[0:3], 0 offset:300
	s_waitcnt vmcnt(23) lgkmcnt(0)
	v_fma_f64 v[111:112], v[123:124], v[115:116], v[111:112]
	s_waitcnt vmcnt(21)
	v_fma_f64 v[122:123], v[125:126], v[117:118], v[111:112]
	ds_read_b128 v[111:114], v110 offset:656
	ds_read_b128 v[115:118], v110 offset:672
	s_waitcnt vmcnt(19) lgkmcnt(1)
	v_fma_f64 v[111:112], v[127:128], v[111:112], v[122:123]
	buffer_load_dword v122, off, s[0:3], 0 offset:308
	s_waitcnt vmcnt(18)
	v_fma_f64 v[111:112], v[129:130], v[113:114], v[111:112]
	buffer_load_dword v124, off, s[0:3], 0 offset:316
	buffer_load_dword v125, off, s[0:3], 0 offset:336
	;; [unrolled: 1-line block ×7, first 2 shown]
	s_waitcnt vmcnt(23) lgkmcnt(0)
	v_fma_f64 v[111:112], v[131:132], v[115:116], v[111:112]
	s_waitcnt vmcnt(18)
	v_fma_f64 v[131:132], v[133:134], v[117:118], v[111:112]
	ds_read_b128 v[111:114], v110 offset:688
	ds_read_b128 v[115:118], v110 offset:704
	buffer_load_dword v126, off, s[0:3], 0 offset:340
	s_waitcnt vmcnt(18) lgkmcnt(1)
	v_fma_f64 v[111:112], v[139:140], v[111:112], v[131:132]
	s_waitcnt vmcnt(17)
	v_fma_f64 v[111:112], v[137:138], v[113:114], v[111:112]
	buffer_load_dword v132, off, s[0:3], 0 offset:348
	buffer_load_dword v133, off, s[0:3], 0 offset:368
	;; [unrolled: 1-line block ×8, first 2 shown]
	s_waitcnt vmcnt(24) lgkmcnt(0)
	v_fma_f64 v[111:112], v[135:136], v[115:116], v[111:112]
	s_waitcnt vmcnt(19)
	v_fma_f64 v[119:120], v[119:120], v[117:118], v[111:112]
	ds_read_b128 v[111:114], v110 offset:720
	ds_read_b128 v[115:118], v110 offset:736
	s_waitcnt vmcnt(18) lgkmcnt(1)
	v_fma_f64 v[111:112], v[143:144], v[111:112], v[119:120]
	s_waitcnt vmcnt(17)
	v_fma_f64 v[111:112], v[141:142], v[113:114], v[111:112]
	buffer_load_dword v120, off, s[0:3], 0 offset:380
	buffer_load_dword v135, off, s[0:3], 0 offset:400
	;; [unrolled: 1-line block ×8, first 2 shown]
	s_waitcnt vmcnt(24) lgkmcnt(0)
	v_fma_f64 v[111:112], v[121:122], v[115:116], v[111:112]
	s_waitcnt vmcnt(19)
	v_fma_f64 v[121:122], v[123:124], v[117:118], v[111:112]
	ds_read_b128 v[111:114], v110 offset:752
	ds_read_b128 v[115:118], v110 offset:768
	s_waitcnt vmcnt(18) lgkmcnt(1)
	v_fma_f64 v[111:112], v[129:130], v[111:112], v[121:122]
	s_waitcnt vmcnt(17)
	v_fma_f64 v[111:112], v[127:128], v[113:114], v[111:112]
	buffer_load_dword v122, off, s[0:3], 0 offset:412
	buffer_load_dword v123, off, s[0:3], 0 offset:424
	buffer_load_dword v127, off, s[0:3], 0 offset:416
	buffer_load_dword v121, off, s[0:3], 0 offset:408
	buffer_load_dword v128, off, s[0:3], 0 offset:420
	buffer_load_dword v124, off, s[0:3], 0 offset:428
	s_waitcnt vmcnt(22) lgkmcnt(0)
	v_fma_f64 v[111:112], v[125:126], v[115:116], v[111:112]
	s_waitcnt vmcnt(17)
	v_fma_f64 v[125:126], v[131:132], v[117:118], v[111:112]
	ds_read_b128 v[111:114], v110 offset:784
	buffer_load_dword v129, off, s[0:3], 0 offset:184
	buffer_load_dword v130, off, s[0:3], 0 offset:188
	ds_read_b128 v[115:118], v110 offset:800
	s_waitcnt vmcnt(18) lgkmcnt(1)
	v_fma_f64 v[111:112], v[139:140], v[111:112], v[125:126]
	s_waitcnt vmcnt(17)
	v_fma_f64 v[111:112], v[137:138], v[113:114], v[111:112]
	s_waitcnt vmcnt(16) lgkmcnt(0)
	v_fma_f64 v[111:112], v[133:134], v[115:116], v[111:112]
	s_waitcnt vmcnt(11)
	v_fma_f64 v[119:120], v[119:120], v[117:118], v[111:112]
	ds_read_b128 v[111:114], v110 offset:816
	ds_read_b128 v[115:118], v110 offset:832
	s_waitcnt vmcnt(10) lgkmcnt(1)
	v_fma_f64 v[111:112], v[143:144], v[111:112], v[119:120]
	s_waitcnt vmcnt(9)
	v_fma_f64 v[111:112], v[141:142], v[113:114], v[111:112]
	s_waitcnt vmcnt(8) lgkmcnt(0)
	v_fma_f64 v[111:112], v[135:136], v[115:116], v[111:112]
	s_waitcnt vmcnt(4)
	v_fma_f64 v[114:115], v[121:122], v[117:118], v[111:112]
	ds_read_b128 v[110:113], v110 offset:848
	s_waitcnt vmcnt(3) lgkmcnt(0)
	v_fma_f64 v[110:111], v[127:128], v[110:111], v[114:115]
	s_waitcnt vmcnt(2)
	v_fma_f64 v[110:111], v[123:124], v[112:113], v[110:111]
	s_waitcnt vmcnt(0)
	v_add_f64 v[110:111], v[129:130], -v[110:111]
	buffer_store_dword v111, off, s[0:3], 0 offset:188
	buffer_store_dword v110, off, s[0:3], 0 offset:184
	s_and_saveexec_b64 s[4:5], vcc
	s_cbranch_execz .LBB117_287
; %bb.286:
	buffer_load_dword v110, off, s[0:3], 0 offset:176
	buffer_load_dword v111, off, s[0:3], 0 offset:180
	v_mov_b32_e32 v112, 0
	buffer_store_dword v112, off, s[0:3], 0 offset:176
	buffer_store_dword v112, off, s[0:3], 0 offset:180
	s_waitcnt vmcnt(2)
	ds_write_b64 v109, v[110:111]
.LBB117_287:
	s_or_b64 exec, exec, s[4:5]
	s_waitcnt lgkmcnt(0)
	; wave barrier
	buffer_load_dword v119, off, s[0:3], 0 offset:184
	buffer_load_dword v120, off, s[0:3], 0 offset:188
	;; [unrolled: 1-line block ×22, first 2 shown]
	v_mov_b32_e32 v110, 0
	ds_read2_b64 v[111:114], v110 offset0:77 offset1:78
	ds_read2_b64 v[115:118], v110 offset0:79 offset1:80
	v_cmp_lt_u32_e32 vcc, 21, v0
	s_waitcnt vmcnt(20) lgkmcnt(1)
	v_fma_f64 v[111:112], v[119:120], v[111:112], 0
	s_waitcnt vmcnt(18)
	v_fma_f64 v[111:112], v[121:122], v[113:114], v[111:112]
	buffer_load_dword v120, off, s[0:3], 0 offset:276
	buffer_load_dword v121, off, s[0:3], 0 offset:296
	;; [unrolled: 1-line block ×7, first 2 shown]
	s_waitcnt vmcnt(23) lgkmcnt(0)
	v_fma_f64 v[111:112], v[123:124], v[115:116], v[111:112]
	s_waitcnt vmcnt(21)
	v_fma_f64 v[122:123], v[125:126], v[117:118], v[111:112]
	ds_read2_b64 v[111:114], v110 offset0:81 offset1:82
	ds_read2_b64 v[115:118], v110 offset0:83 offset1:84
	s_waitcnt vmcnt(19) lgkmcnt(1)
	v_fma_f64 v[111:112], v[127:128], v[111:112], v[122:123]
	buffer_load_dword v122, off, s[0:3], 0 offset:300
	s_waitcnt vmcnt(18)
	v_fma_f64 v[111:112], v[129:130], v[113:114], v[111:112]
	buffer_load_dword v124, off, s[0:3], 0 offset:308
	buffer_load_dword v125, off, s[0:3], 0 offset:328
	;; [unrolled: 1-line block ×7, first 2 shown]
	s_waitcnt vmcnt(23) lgkmcnt(0)
	v_fma_f64 v[111:112], v[131:132], v[115:116], v[111:112]
	s_waitcnt vmcnt(18)
	v_fma_f64 v[131:132], v[133:134], v[117:118], v[111:112]
	ds_read2_b64 v[111:114], v110 offset0:85 offset1:86
	ds_read2_b64 v[115:118], v110 offset0:87 offset1:88
	buffer_load_dword v126, off, s[0:3], 0 offset:332
	s_waitcnt vmcnt(18) lgkmcnt(1)
	v_fma_f64 v[111:112], v[139:140], v[111:112], v[131:132]
	s_waitcnt vmcnt(17)
	v_fma_f64 v[111:112], v[137:138], v[113:114], v[111:112]
	buffer_load_dword v132, off, s[0:3], 0 offset:340
	buffer_load_dword v133, off, s[0:3], 0 offset:360
	buffer_load_dword v137, off, s[0:3], 0 offset:352
	buffer_load_dword v139, off, s[0:3], 0 offset:344
	buffer_load_dword v131, off, s[0:3], 0 offset:336
	buffer_load_dword v140, off, s[0:3], 0 offset:348
	buffer_load_dword v138, off, s[0:3], 0 offset:356
	buffer_load_dword v134, off, s[0:3], 0 offset:364
	s_waitcnt vmcnt(24) lgkmcnt(0)
	v_fma_f64 v[111:112], v[135:136], v[115:116], v[111:112]
	s_waitcnt vmcnt(19)
	v_fma_f64 v[119:120], v[119:120], v[117:118], v[111:112]
	ds_read2_b64 v[111:114], v110 offset0:89 offset1:90
	ds_read2_b64 v[115:118], v110 offset0:91 offset1:92
	s_waitcnt vmcnt(18) lgkmcnt(1)
	v_fma_f64 v[111:112], v[143:144], v[111:112], v[119:120]
	s_waitcnt vmcnt(17)
	v_fma_f64 v[111:112], v[141:142], v[113:114], v[111:112]
	buffer_load_dword v120, off, s[0:3], 0 offset:372
	buffer_load_dword v135, off, s[0:3], 0 offset:392
	buffer_load_dword v141, off, s[0:3], 0 offset:384
	buffer_load_dword v143, off, s[0:3], 0 offset:376
	buffer_load_dword v119, off, s[0:3], 0 offset:368
	buffer_load_dword v144, off, s[0:3], 0 offset:380
	buffer_load_dword v142, off, s[0:3], 0 offset:388
	buffer_load_dword v136, off, s[0:3], 0 offset:396
	s_waitcnt vmcnt(24) lgkmcnt(0)
	v_fma_f64 v[111:112], v[121:122], v[115:116], v[111:112]
	s_waitcnt vmcnt(19)
	v_fma_f64 v[121:122], v[123:124], v[117:118], v[111:112]
	ds_read2_b64 v[111:114], v110 offset0:93 offset1:94
	ds_read2_b64 v[115:118], v110 offset0:95 offset1:96
	;; [unrolled: 18-line block ×3, first 2 shown]
	s_waitcnt vmcnt(18) lgkmcnt(1)
	v_fma_f64 v[111:112], v[139:140], v[111:112], v[125:126]
	buffer_load_dword v125, off, s[0:3], 0 offset:176
	buffer_load_dword v126, off, s[0:3], 0 offset:180
	s_waitcnt vmcnt(19)
	v_fma_f64 v[111:112], v[137:138], v[113:114], v[111:112]
	s_waitcnt vmcnt(18) lgkmcnt(0)
	v_fma_f64 v[111:112], v[133:134], v[115:116], v[111:112]
	s_waitcnt vmcnt(13)
	v_fma_f64 v[119:120], v[119:120], v[117:118], v[111:112]
	ds_read2_b64 v[111:114], v110 offset0:101 offset1:102
	ds_read2_b64 v[115:118], v110 offset0:103 offset1:104
	s_waitcnt vmcnt(12) lgkmcnt(1)
	v_fma_f64 v[111:112], v[143:144], v[111:112], v[119:120]
	s_waitcnt vmcnt(11)
	v_fma_f64 v[111:112], v[141:142], v[113:114], v[111:112]
	s_waitcnt vmcnt(10) lgkmcnt(0)
	v_fma_f64 v[111:112], v[135:136], v[115:116], v[111:112]
	s_waitcnt vmcnt(5)
	v_fma_f64 v[115:116], v[121:122], v[117:118], v[111:112]
	ds_read2_b64 v[111:114], v110 offset0:105 offset1:106
	ds_read_b64 v[117:118], v110 offset:856
	s_waitcnt vmcnt(4) lgkmcnt(1)
	v_fma_f64 v[111:112], v[129:130], v[111:112], v[115:116]
	s_waitcnt vmcnt(3)
	v_fma_f64 v[111:112], v[127:128], v[113:114], v[111:112]
	s_waitcnt vmcnt(2) lgkmcnt(0)
	v_fma_f64 v[111:112], v[123:124], v[117:118], v[111:112]
	s_waitcnt vmcnt(0)
	v_add_f64 v[111:112], v[125:126], -v[111:112]
	buffer_store_dword v112, off, s[0:3], 0 offset:180
	buffer_store_dword v111, off, s[0:3], 0 offset:176
	s_and_saveexec_b64 s[4:5], vcc
	s_cbranch_execz .LBB117_289
; %bb.288:
	buffer_load_dword v111, off, s[0:3], 0 offset:168
	buffer_load_dword v112, off, s[0:3], 0 offset:172
	s_waitcnt vmcnt(0)
	ds_write_b64 v109, v[111:112]
	buffer_store_dword v110, off, s[0:3], 0 offset:168
	buffer_store_dword v110, off, s[0:3], 0 offset:172
.LBB117_289:
	s_or_b64 exec, exec, s[4:5]
	s_waitcnt lgkmcnt(0)
	; wave barrier
	buffer_load_dword v119, off, s[0:3], 0 offset:176
	buffer_load_dword v120, off, s[0:3], 0 offset:180
	;; [unrolled: 1-line block ×22, first 2 shown]
	ds_read_b128 v[111:114], v110 offset:608
	ds_read_b128 v[115:118], v110 offset:624
	v_cmp_lt_u32_e32 vcc, 20, v0
	s_waitcnt vmcnt(20) lgkmcnt(1)
	v_fma_f64 v[111:112], v[119:120], v[111:112], 0
	s_waitcnt vmcnt(18)
	v_fma_f64 v[111:112], v[121:122], v[113:114], v[111:112]
	buffer_load_dword v120, off, s[0:3], 0 offset:268
	buffer_load_dword v121, off, s[0:3], 0 offset:288
	;; [unrolled: 1-line block ×7, first 2 shown]
	s_waitcnt vmcnt(23) lgkmcnt(0)
	v_fma_f64 v[111:112], v[123:124], v[115:116], v[111:112]
	s_waitcnt vmcnt(21)
	v_fma_f64 v[122:123], v[125:126], v[117:118], v[111:112]
	ds_read_b128 v[111:114], v110 offset:640
	ds_read_b128 v[115:118], v110 offset:656
	s_waitcnt vmcnt(19) lgkmcnt(1)
	v_fma_f64 v[111:112], v[127:128], v[111:112], v[122:123]
	buffer_load_dword v122, off, s[0:3], 0 offset:292
	s_waitcnt vmcnt(18)
	v_fma_f64 v[111:112], v[129:130], v[113:114], v[111:112]
	buffer_load_dword v124, off, s[0:3], 0 offset:300
	buffer_load_dword v125, off, s[0:3], 0 offset:320
	;; [unrolled: 1-line block ×7, first 2 shown]
	s_waitcnt vmcnt(23) lgkmcnt(0)
	v_fma_f64 v[111:112], v[131:132], v[115:116], v[111:112]
	s_waitcnt vmcnt(18)
	v_fma_f64 v[131:132], v[133:134], v[117:118], v[111:112]
	ds_read_b128 v[111:114], v110 offset:672
	ds_read_b128 v[115:118], v110 offset:688
	buffer_load_dword v126, off, s[0:3], 0 offset:324
	s_waitcnt vmcnt(18) lgkmcnt(1)
	v_fma_f64 v[111:112], v[139:140], v[111:112], v[131:132]
	s_waitcnt vmcnt(17)
	v_fma_f64 v[111:112], v[137:138], v[113:114], v[111:112]
	buffer_load_dword v132, off, s[0:3], 0 offset:332
	buffer_load_dword v133, off, s[0:3], 0 offset:352
	buffer_load_dword v137, off, s[0:3], 0 offset:344
	buffer_load_dword v139, off, s[0:3], 0 offset:336
	buffer_load_dword v131, off, s[0:3], 0 offset:328
	buffer_load_dword v140, off, s[0:3], 0 offset:340
	buffer_load_dword v138, off, s[0:3], 0 offset:348
	buffer_load_dword v134, off, s[0:3], 0 offset:356
	s_waitcnt vmcnt(24) lgkmcnt(0)
	v_fma_f64 v[111:112], v[135:136], v[115:116], v[111:112]
	s_waitcnt vmcnt(19)
	v_fma_f64 v[119:120], v[119:120], v[117:118], v[111:112]
	ds_read_b128 v[111:114], v110 offset:704
	ds_read_b128 v[115:118], v110 offset:720
	s_waitcnt vmcnt(18) lgkmcnt(1)
	v_fma_f64 v[111:112], v[143:144], v[111:112], v[119:120]
	s_waitcnt vmcnt(17)
	v_fma_f64 v[111:112], v[141:142], v[113:114], v[111:112]
	buffer_load_dword v120, off, s[0:3], 0 offset:364
	buffer_load_dword v135, off, s[0:3], 0 offset:384
	buffer_load_dword v141, off, s[0:3], 0 offset:376
	buffer_load_dword v143, off, s[0:3], 0 offset:368
	buffer_load_dword v119, off, s[0:3], 0 offset:360
	buffer_load_dword v144, off, s[0:3], 0 offset:372
	buffer_load_dword v142, off, s[0:3], 0 offset:380
	buffer_load_dword v136, off, s[0:3], 0 offset:388
	s_waitcnt vmcnt(24) lgkmcnt(0)
	v_fma_f64 v[111:112], v[121:122], v[115:116], v[111:112]
	s_waitcnt vmcnt(19)
	v_fma_f64 v[121:122], v[123:124], v[117:118], v[111:112]
	ds_read_b128 v[111:114], v110 offset:736
	ds_read_b128 v[115:118], v110 offset:752
	;; [unrolled: 18-line block ×3, first 2 shown]
	s_waitcnt vmcnt(18) lgkmcnt(1)
	v_fma_f64 v[111:112], v[139:140], v[111:112], v[125:126]
	buffer_load_dword v126, off, s[0:3], 0 offset:428
	buffer_load_dword v125, off, s[0:3], 0 offset:424
	;; [unrolled: 1-line block ×4, first 2 shown]
	s_waitcnt vmcnt(21)
	v_fma_f64 v[111:112], v[137:138], v[113:114], v[111:112]
	s_waitcnt vmcnt(20) lgkmcnt(0)
	v_fma_f64 v[111:112], v[133:134], v[115:116], v[111:112]
	s_waitcnt vmcnt(15)
	v_fma_f64 v[119:120], v[119:120], v[117:118], v[111:112]
	ds_read_b128 v[111:114], v110 offset:800
	ds_read_b128 v[115:118], v110 offset:816
	s_waitcnt vmcnt(14) lgkmcnt(1)
	v_fma_f64 v[111:112], v[143:144], v[111:112], v[119:120]
	s_waitcnt vmcnt(13)
	v_fma_f64 v[111:112], v[141:142], v[113:114], v[111:112]
	s_waitcnt vmcnt(12) lgkmcnt(0)
	v_fma_f64 v[111:112], v[135:136], v[115:116], v[111:112]
	s_waitcnt vmcnt(7)
	v_fma_f64 v[119:120], v[121:122], v[117:118], v[111:112]
	ds_read_b128 v[111:114], v110 offset:832
	ds_read_b128 v[115:118], v110 offset:848
	s_waitcnt vmcnt(6) lgkmcnt(1)
	v_fma_f64 v[110:111], v[129:130], v[111:112], v[119:120]
	s_waitcnt vmcnt(5)
	v_fma_f64 v[110:111], v[127:128], v[113:114], v[110:111]
	s_waitcnt vmcnt(4) lgkmcnt(0)
	v_fma_f64 v[110:111], v[123:124], v[115:116], v[110:111]
	s_waitcnt vmcnt(2)
	v_fma_f64 v[110:111], v[125:126], v[117:118], v[110:111]
	s_waitcnt vmcnt(0)
	v_add_f64 v[110:111], v[131:132], -v[110:111]
	buffer_store_dword v111, off, s[0:3], 0 offset:172
	buffer_store_dword v110, off, s[0:3], 0 offset:168
	s_and_saveexec_b64 s[4:5], vcc
	s_cbranch_execz .LBB117_291
; %bb.290:
	buffer_load_dword v110, off, s[0:3], 0 offset:160
	buffer_load_dword v111, off, s[0:3], 0 offset:164
	v_mov_b32_e32 v112, 0
	buffer_store_dword v112, off, s[0:3], 0 offset:160
	buffer_store_dword v112, off, s[0:3], 0 offset:164
	s_waitcnt vmcnt(2)
	ds_write_b64 v109, v[110:111]
.LBB117_291:
	s_or_b64 exec, exec, s[4:5]
	s_waitcnt lgkmcnt(0)
	; wave barrier
	buffer_load_dword v119, off, s[0:3], 0 offset:168
	buffer_load_dword v120, off, s[0:3], 0 offset:172
	;; [unrolled: 1-line block ×21, first 2 shown]
	v_mov_b32_e32 v110, 0
	ds_read2_b64 v[111:114], v110 offset0:75 offset1:76
	ds_read2_b64 v[115:118], v110 offset0:77 offset1:78
	buffer_load_dword v136, off, s[0:3], 0 offset:252
	v_cmp_lt_u32_e32 vcc, 19, v0
	s_waitcnt vmcnt(20) lgkmcnt(1)
	v_fma_f64 v[111:112], v[119:120], v[111:112], 0
	s_waitcnt vmcnt(18)
	v_fma_f64 v[111:112], v[121:122], v[113:114], v[111:112]
	buffer_load_dword v120, off, s[0:3], 0 offset:260
	buffer_load_dword v121, off, s[0:3], 0 offset:280
	;; [unrolled: 1-line block ×7, first 2 shown]
	s_waitcnt vmcnt(23) lgkmcnt(0)
	v_fma_f64 v[111:112], v[123:124], v[115:116], v[111:112]
	s_waitcnt vmcnt(21)
	v_fma_f64 v[122:123], v[125:126], v[117:118], v[111:112]
	ds_read2_b64 v[111:114], v110 offset0:79 offset1:80
	ds_read2_b64 v[115:118], v110 offset0:81 offset1:82
	s_waitcnt vmcnt(19) lgkmcnt(1)
	v_fma_f64 v[111:112], v[127:128], v[111:112], v[122:123]
	buffer_load_dword v122, off, s[0:3], 0 offset:284
	s_waitcnt vmcnt(18)
	v_fma_f64 v[111:112], v[129:130], v[113:114], v[111:112]
	buffer_load_dword v124, off, s[0:3], 0 offset:292
	buffer_load_dword v125, off, s[0:3], 0 offset:312
	;; [unrolled: 1-line block ×7, first 2 shown]
	s_waitcnt vmcnt(23) lgkmcnt(0)
	v_fma_f64 v[111:112], v[131:132], v[115:116], v[111:112]
	s_waitcnt vmcnt(18)
	v_fma_f64 v[131:132], v[133:134], v[117:118], v[111:112]
	ds_read2_b64 v[111:114], v110 offset0:83 offset1:84
	ds_read2_b64 v[115:118], v110 offset0:85 offset1:86
	buffer_load_dword v126, off, s[0:3], 0 offset:316
	s_waitcnt vmcnt(18) lgkmcnt(1)
	v_fma_f64 v[111:112], v[139:140], v[111:112], v[131:132]
	s_waitcnt vmcnt(17)
	v_fma_f64 v[111:112], v[137:138], v[113:114], v[111:112]
	buffer_load_dword v132, off, s[0:3], 0 offset:324
	buffer_load_dword v133, off, s[0:3], 0 offset:344
	;; [unrolled: 1-line block ×7, first 2 shown]
	s_waitcnt vmcnt(23) lgkmcnt(0)
	v_fma_f64 v[111:112], v[135:136], v[115:116], v[111:112]
	s_waitcnt vmcnt(18)
	v_fma_f64 v[119:120], v[119:120], v[117:118], v[111:112]
	ds_read2_b64 v[111:114], v110 offset0:87 offset1:88
	ds_read2_b64 v[115:118], v110 offset0:89 offset1:90
	buffer_load_dword v134, off, s[0:3], 0 offset:348
	s_waitcnt vmcnt(18) lgkmcnt(1)
	v_fma_f64 v[111:112], v[143:144], v[111:112], v[119:120]
	s_waitcnt vmcnt(17)
	v_fma_f64 v[111:112], v[141:142], v[113:114], v[111:112]
	buffer_load_dword v120, off, s[0:3], 0 offset:356
	buffer_load_dword v135, off, s[0:3], 0 offset:376
	;; [unrolled: 1-line block ×8, first 2 shown]
	s_waitcnt vmcnt(24) lgkmcnt(0)
	v_fma_f64 v[111:112], v[121:122], v[115:116], v[111:112]
	s_waitcnt vmcnt(19)
	v_fma_f64 v[121:122], v[123:124], v[117:118], v[111:112]
	ds_read2_b64 v[111:114], v110 offset0:91 offset1:92
	ds_read2_b64 v[115:118], v110 offset0:93 offset1:94
	s_waitcnt vmcnt(18) lgkmcnt(1)
	v_fma_f64 v[111:112], v[129:130], v[111:112], v[121:122]
	s_waitcnt vmcnt(17)
	v_fma_f64 v[111:112], v[127:128], v[113:114], v[111:112]
	buffer_load_dword v122, off, s[0:3], 0 offset:388
	buffer_load_dword v123, off, s[0:3], 0 offset:408
	;; [unrolled: 1-line block ×7, first 2 shown]
	s_waitcnt vmcnt(23) lgkmcnt(0)
	v_fma_f64 v[111:112], v[125:126], v[115:116], v[111:112]
	s_waitcnt vmcnt(18)
	v_fma_f64 v[124:125], v[131:132], v[117:118], v[111:112]
	ds_read2_b64 v[111:114], v110 offset0:95 offset1:96
	ds_read2_b64 v[115:118], v110 offset0:97 offset1:98
	s_waitcnt vmcnt(17) lgkmcnt(1)
	v_fma_f64 v[111:112], v[139:140], v[111:112], v[124:125]
	buffer_load_dword v124, off, s[0:3], 0 offset:412
	buffer_load_dword v126, off, s[0:3], 0 offset:420
	;; [unrolled: 1-line block ×5, first 2 shown]
	s_waitcnt vmcnt(21)
	v_fma_f64 v[111:112], v[137:138], v[113:114], v[111:112]
	s_waitcnt vmcnt(20) lgkmcnt(0)
	v_fma_f64 v[111:112], v[133:134], v[115:116], v[111:112]
	buffer_load_dword v133, off, s[0:3], 0 offset:160
	buffer_load_dword v134, off, s[0:3], 0 offset:164
	s_waitcnt vmcnt(17)
	v_fma_f64 v[119:120], v[119:120], v[117:118], v[111:112]
	ds_read2_b64 v[111:114], v110 offset0:99 offset1:100
	ds_read2_b64 v[115:118], v110 offset0:101 offset1:102
	s_waitcnt vmcnt(16) lgkmcnt(1)
	v_fma_f64 v[111:112], v[143:144], v[111:112], v[119:120]
	s_waitcnt vmcnt(15)
	v_fma_f64 v[111:112], v[141:142], v[113:114], v[111:112]
	s_waitcnt vmcnt(14) lgkmcnt(0)
	v_fma_f64 v[111:112], v[135:136], v[115:116], v[111:112]
	s_waitcnt vmcnt(9)
	v_fma_f64 v[119:120], v[121:122], v[117:118], v[111:112]
	ds_read2_b64 v[111:114], v110 offset0:103 offset1:104
	ds_read2_b64 v[115:118], v110 offset0:105 offset1:106
	s_waitcnt vmcnt(8) lgkmcnt(1)
	v_fma_f64 v[111:112], v[129:130], v[111:112], v[119:120]
	s_waitcnt vmcnt(7)
	v_fma_f64 v[111:112], v[127:128], v[113:114], v[111:112]
	ds_read_b64 v[113:114], v110 offset:856
	s_waitcnt vmcnt(6) lgkmcnt(1)
	v_fma_f64 v[111:112], v[123:124], v[115:116], v[111:112]
	s_waitcnt vmcnt(3)
	v_fma_f64 v[111:112], v[125:126], v[117:118], v[111:112]
	s_waitcnt vmcnt(2) lgkmcnt(0)
	v_fma_f64 v[111:112], v[131:132], v[113:114], v[111:112]
	s_waitcnt vmcnt(0)
	v_add_f64 v[111:112], v[133:134], -v[111:112]
	buffer_store_dword v112, off, s[0:3], 0 offset:164
	buffer_store_dword v111, off, s[0:3], 0 offset:160
	s_and_saveexec_b64 s[4:5], vcc
	s_cbranch_execz .LBB117_293
; %bb.292:
	buffer_load_dword v111, off, s[0:3], 0 offset:152
	buffer_load_dword v112, off, s[0:3], 0 offset:156
	s_waitcnt vmcnt(0)
	ds_write_b64 v109, v[111:112]
	buffer_store_dword v110, off, s[0:3], 0 offset:152
	buffer_store_dword v110, off, s[0:3], 0 offset:156
.LBB117_293:
	s_or_b64 exec, exec, s[4:5]
	s_waitcnt lgkmcnt(0)
	; wave barrier
	buffer_load_dword v119, off, s[0:3], 0 offset:160
	buffer_load_dword v120, off, s[0:3], 0 offset:164
	;; [unrolled: 1-line block ×21, first 2 shown]
	ds_read_b128 v[111:114], v110 offset:592
	ds_read_b128 v[115:118], v110 offset:608
	buffer_load_dword v136, off, s[0:3], 0 offset:244
	v_cmp_lt_u32_e32 vcc, 18, v0
	s_waitcnt vmcnt(20) lgkmcnt(1)
	v_fma_f64 v[111:112], v[119:120], v[111:112], 0
	s_waitcnt vmcnt(18)
	v_fma_f64 v[111:112], v[121:122], v[113:114], v[111:112]
	buffer_load_dword v120, off, s[0:3], 0 offset:252
	buffer_load_dword v121, off, s[0:3], 0 offset:272
	;; [unrolled: 1-line block ×7, first 2 shown]
	s_waitcnt vmcnt(23) lgkmcnt(0)
	v_fma_f64 v[111:112], v[123:124], v[115:116], v[111:112]
	s_waitcnt vmcnt(21)
	v_fma_f64 v[122:123], v[125:126], v[117:118], v[111:112]
	ds_read_b128 v[111:114], v110 offset:624
	ds_read_b128 v[115:118], v110 offset:640
	s_waitcnt vmcnt(19) lgkmcnt(1)
	v_fma_f64 v[111:112], v[127:128], v[111:112], v[122:123]
	buffer_load_dword v122, off, s[0:3], 0 offset:276
	s_waitcnt vmcnt(18)
	v_fma_f64 v[111:112], v[129:130], v[113:114], v[111:112]
	buffer_load_dword v124, off, s[0:3], 0 offset:284
	buffer_load_dword v125, off, s[0:3], 0 offset:304
	;; [unrolled: 1-line block ×8, first 2 shown]
	s_waitcnt vmcnt(24) lgkmcnt(0)
	v_fma_f64 v[111:112], v[131:132], v[115:116], v[111:112]
	s_waitcnt vmcnt(19)
	v_fma_f64 v[131:132], v[133:134], v[117:118], v[111:112]
	ds_read_b128 v[111:114], v110 offset:656
	ds_read_b128 v[115:118], v110 offset:672
	s_waitcnt vmcnt(18) lgkmcnt(1)
	v_fma_f64 v[111:112], v[139:140], v[111:112], v[131:132]
	s_waitcnt vmcnt(17)
	v_fma_f64 v[111:112], v[137:138], v[113:114], v[111:112]
	buffer_load_dword v132, off, s[0:3], 0 offset:316
	buffer_load_dword v133, off, s[0:3], 0 offset:336
	;; [unrolled: 1-line block ×7, first 2 shown]
	s_waitcnt vmcnt(23) lgkmcnt(0)
	v_fma_f64 v[111:112], v[135:136], v[115:116], v[111:112]
	s_waitcnt vmcnt(18)
	v_fma_f64 v[119:120], v[119:120], v[117:118], v[111:112]
	ds_read_b128 v[111:114], v110 offset:688
	ds_read_b128 v[115:118], v110 offset:704
	buffer_load_dword v134, off, s[0:3], 0 offset:340
	s_waitcnt vmcnt(18) lgkmcnt(1)
	v_fma_f64 v[111:112], v[143:144], v[111:112], v[119:120]
	s_waitcnt vmcnt(17)
	v_fma_f64 v[111:112], v[141:142], v[113:114], v[111:112]
	buffer_load_dword v120, off, s[0:3], 0 offset:348
	buffer_load_dword v135, off, s[0:3], 0 offset:368
	;; [unrolled: 1-line block ×8, first 2 shown]
	s_waitcnt vmcnt(24) lgkmcnt(0)
	v_fma_f64 v[111:112], v[121:122], v[115:116], v[111:112]
	s_waitcnt vmcnt(19)
	v_fma_f64 v[121:122], v[123:124], v[117:118], v[111:112]
	ds_read_b128 v[111:114], v110 offset:720
	ds_read_b128 v[115:118], v110 offset:736
	s_waitcnt vmcnt(18) lgkmcnt(1)
	v_fma_f64 v[111:112], v[129:130], v[111:112], v[121:122]
	s_waitcnt vmcnt(17)
	v_fma_f64 v[111:112], v[127:128], v[113:114], v[111:112]
	buffer_load_dword v122, off, s[0:3], 0 offset:380
	buffer_load_dword v123, off, s[0:3], 0 offset:400
	;; [unrolled: 1-line block ×7, first 2 shown]
	s_waitcnt vmcnt(23) lgkmcnt(0)
	v_fma_f64 v[111:112], v[125:126], v[115:116], v[111:112]
	s_waitcnt vmcnt(18)
	v_fma_f64 v[124:125], v[131:132], v[117:118], v[111:112]
	ds_read_b128 v[111:114], v110 offset:752
	ds_read_b128 v[115:118], v110 offset:768
	s_waitcnt vmcnt(17) lgkmcnt(1)
	v_fma_f64 v[111:112], v[139:140], v[111:112], v[124:125]
	buffer_load_dword v124, off, s[0:3], 0 offset:404
	s_waitcnt vmcnt(17)
	v_fma_f64 v[111:112], v[137:138], v[113:114], v[111:112]
	buffer_load_dword v126, off, s[0:3], 0 offset:412
	buffer_load_dword v131, off, s[0:3], 0 offset:424
	;; [unrolled: 1-line block ×6, first 2 shown]
	s_waitcnt vmcnt(22) lgkmcnt(0)
	v_fma_f64 v[111:112], v[133:134], v[115:116], v[111:112]
	s_waitcnt vmcnt(17)
	v_fma_f64 v[119:120], v[119:120], v[117:118], v[111:112]
	ds_read_b128 v[111:114], v110 offset:784
	buffer_load_dword v133, off, s[0:3], 0 offset:152
	buffer_load_dword v134, off, s[0:3], 0 offset:156
	ds_read_b128 v[115:118], v110 offset:800
	s_waitcnt vmcnt(18) lgkmcnt(1)
	v_fma_f64 v[111:112], v[143:144], v[111:112], v[119:120]
	s_waitcnt vmcnt(17)
	v_fma_f64 v[111:112], v[141:142], v[113:114], v[111:112]
	s_waitcnt vmcnt(16) lgkmcnt(0)
	v_fma_f64 v[111:112], v[135:136], v[115:116], v[111:112]
	s_waitcnt vmcnt(11)
	v_fma_f64 v[119:120], v[121:122], v[117:118], v[111:112]
	ds_read_b128 v[111:114], v110 offset:816
	ds_read_b128 v[115:118], v110 offset:832
	s_waitcnt vmcnt(10) lgkmcnt(1)
	v_fma_f64 v[111:112], v[129:130], v[111:112], v[119:120]
	s_waitcnt vmcnt(9)
	v_fma_f64 v[111:112], v[127:128], v[113:114], v[111:112]
	s_waitcnt vmcnt(8) lgkmcnt(0)
	v_fma_f64 v[111:112], v[123:124], v[115:116], v[111:112]
	s_waitcnt vmcnt(4)
	v_fma_f64 v[114:115], v[125:126], v[117:118], v[111:112]
	ds_read_b128 v[110:113], v110 offset:848
	s_waitcnt vmcnt(3) lgkmcnt(0)
	v_fma_f64 v[110:111], v[137:138], v[110:111], v[114:115]
	s_waitcnt vmcnt(2)
	v_fma_f64 v[110:111], v[131:132], v[112:113], v[110:111]
	s_waitcnt vmcnt(0)
	v_add_f64 v[110:111], v[133:134], -v[110:111]
	buffer_store_dword v111, off, s[0:3], 0 offset:156
	buffer_store_dword v110, off, s[0:3], 0 offset:152
	s_and_saveexec_b64 s[4:5], vcc
	s_cbranch_execz .LBB117_295
; %bb.294:
	buffer_load_dword v110, off, s[0:3], 0 offset:144
	buffer_load_dword v111, off, s[0:3], 0 offset:148
	v_mov_b32_e32 v112, 0
	buffer_store_dword v112, off, s[0:3], 0 offset:144
	buffer_store_dword v112, off, s[0:3], 0 offset:148
	s_waitcnt vmcnt(2)
	ds_write_b64 v109, v[110:111]
.LBB117_295:
	s_or_b64 exec, exec, s[4:5]
	s_waitcnt lgkmcnt(0)
	; wave barrier
	buffer_load_dword v119, off, s[0:3], 0 offset:152
	buffer_load_dword v120, off, s[0:3], 0 offset:156
	;; [unrolled: 1-line block ×21, first 2 shown]
	v_mov_b32_e32 v110, 0
	ds_read2_b64 v[111:114], v110 offset0:73 offset1:74
	ds_read2_b64 v[115:118], v110 offset0:75 offset1:76
	buffer_load_dword v136, off, s[0:3], 0 offset:236
	v_cmp_lt_u32_e32 vcc, 17, v0
	s_waitcnt vmcnt(20) lgkmcnt(1)
	v_fma_f64 v[111:112], v[119:120], v[111:112], 0
	s_waitcnt vmcnt(18)
	v_fma_f64 v[111:112], v[121:122], v[113:114], v[111:112]
	buffer_load_dword v120, off, s[0:3], 0 offset:244
	buffer_load_dword v121, off, s[0:3], 0 offset:264
	;; [unrolled: 1-line block ×7, first 2 shown]
	s_waitcnt vmcnt(23) lgkmcnt(0)
	v_fma_f64 v[111:112], v[123:124], v[115:116], v[111:112]
	s_waitcnt vmcnt(21)
	v_fma_f64 v[122:123], v[125:126], v[117:118], v[111:112]
	ds_read2_b64 v[111:114], v110 offset0:77 offset1:78
	ds_read2_b64 v[115:118], v110 offset0:79 offset1:80
	s_waitcnt vmcnt(19) lgkmcnt(1)
	v_fma_f64 v[111:112], v[127:128], v[111:112], v[122:123]
	buffer_load_dword v122, off, s[0:3], 0 offset:268
	s_waitcnt vmcnt(18)
	v_fma_f64 v[111:112], v[129:130], v[113:114], v[111:112]
	buffer_load_dword v124, off, s[0:3], 0 offset:276
	buffer_load_dword v125, off, s[0:3], 0 offset:296
	;; [unrolled: 1-line block ×8, first 2 shown]
	s_waitcnt vmcnt(24) lgkmcnt(0)
	v_fma_f64 v[111:112], v[131:132], v[115:116], v[111:112]
	s_waitcnt vmcnt(19)
	v_fma_f64 v[131:132], v[133:134], v[117:118], v[111:112]
	ds_read2_b64 v[111:114], v110 offset0:81 offset1:82
	ds_read2_b64 v[115:118], v110 offset0:83 offset1:84
	s_waitcnt vmcnt(18) lgkmcnt(1)
	v_fma_f64 v[111:112], v[139:140], v[111:112], v[131:132]
	s_waitcnt vmcnt(17)
	v_fma_f64 v[111:112], v[137:138], v[113:114], v[111:112]
	buffer_load_dword v132, off, s[0:3], 0 offset:308
	buffer_load_dword v133, off, s[0:3], 0 offset:328
	;; [unrolled: 1-line block ×7, first 2 shown]
	s_waitcnt vmcnt(23) lgkmcnt(0)
	v_fma_f64 v[111:112], v[135:136], v[115:116], v[111:112]
	s_waitcnt vmcnt(18)
	v_fma_f64 v[119:120], v[119:120], v[117:118], v[111:112]
	ds_read2_b64 v[111:114], v110 offset0:85 offset1:86
	ds_read2_b64 v[115:118], v110 offset0:87 offset1:88
	buffer_load_dword v134, off, s[0:3], 0 offset:332
	s_waitcnt vmcnt(18) lgkmcnt(1)
	v_fma_f64 v[111:112], v[143:144], v[111:112], v[119:120]
	s_waitcnt vmcnt(17)
	v_fma_f64 v[111:112], v[141:142], v[113:114], v[111:112]
	buffer_load_dword v120, off, s[0:3], 0 offset:340
	buffer_load_dword v135, off, s[0:3], 0 offset:360
	;; [unrolled: 1-line block ×8, first 2 shown]
	s_waitcnt vmcnt(24) lgkmcnt(0)
	v_fma_f64 v[111:112], v[121:122], v[115:116], v[111:112]
	s_waitcnt vmcnt(19)
	v_fma_f64 v[121:122], v[123:124], v[117:118], v[111:112]
	ds_read2_b64 v[111:114], v110 offset0:89 offset1:90
	ds_read2_b64 v[115:118], v110 offset0:91 offset1:92
	s_waitcnt vmcnt(18) lgkmcnt(1)
	v_fma_f64 v[111:112], v[129:130], v[111:112], v[121:122]
	s_waitcnt vmcnt(17)
	v_fma_f64 v[111:112], v[127:128], v[113:114], v[111:112]
	buffer_load_dword v122, off, s[0:3], 0 offset:372
	buffer_load_dword v123, off, s[0:3], 0 offset:392
	;; [unrolled: 1-line block ×7, first 2 shown]
	s_waitcnt vmcnt(23) lgkmcnt(0)
	v_fma_f64 v[111:112], v[125:126], v[115:116], v[111:112]
	s_waitcnt vmcnt(18)
	v_fma_f64 v[124:125], v[131:132], v[117:118], v[111:112]
	ds_read2_b64 v[111:114], v110 offset0:93 offset1:94
	ds_read2_b64 v[115:118], v110 offset0:95 offset1:96
	s_waitcnt vmcnt(17) lgkmcnt(1)
	v_fma_f64 v[111:112], v[139:140], v[111:112], v[124:125]
	buffer_load_dword v124, off, s[0:3], 0 offset:396
	s_waitcnt vmcnt(17)
	v_fma_f64 v[111:112], v[137:138], v[113:114], v[111:112]
	buffer_load_dword v126, off, s[0:3], 0 offset:404
	buffer_load_dword v131, off, s[0:3], 0 offset:424
	;; [unrolled: 1-line block ×8, first 2 shown]
	s_waitcnt vmcnt(24) lgkmcnt(0)
	v_fma_f64 v[111:112], v[133:134], v[115:116], v[111:112]
	s_waitcnt vmcnt(19)
	v_fma_f64 v[119:120], v[119:120], v[117:118], v[111:112]
	ds_read2_b64 v[111:114], v110 offset0:97 offset1:98
	ds_read2_b64 v[115:118], v110 offset0:99 offset1:100
	s_waitcnt vmcnt(18) lgkmcnt(1)
	v_fma_f64 v[111:112], v[143:144], v[111:112], v[119:120]
	buffer_load_dword v119, off, s[0:3], 0 offset:144
	buffer_load_dword v120, off, s[0:3], 0 offset:148
	s_waitcnt vmcnt(19)
	v_fma_f64 v[111:112], v[141:142], v[113:114], v[111:112]
	s_waitcnt vmcnt(18) lgkmcnt(0)
	v_fma_f64 v[111:112], v[135:136], v[115:116], v[111:112]
	s_waitcnt vmcnt(13)
	v_fma_f64 v[121:122], v[121:122], v[117:118], v[111:112]
	ds_read2_b64 v[111:114], v110 offset0:101 offset1:102
	ds_read2_b64 v[115:118], v110 offset0:103 offset1:104
	s_waitcnt vmcnt(12) lgkmcnt(1)
	v_fma_f64 v[111:112], v[129:130], v[111:112], v[121:122]
	s_waitcnt vmcnt(11)
	v_fma_f64 v[111:112], v[127:128], v[113:114], v[111:112]
	s_waitcnt vmcnt(10) lgkmcnt(0)
	v_fma_f64 v[111:112], v[123:124], v[115:116], v[111:112]
	s_waitcnt vmcnt(5)
	v_fma_f64 v[115:116], v[125:126], v[117:118], v[111:112]
	ds_read2_b64 v[111:114], v110 offset0:105 offset1:106
	ds_read_b64 v[117:118], v110 offset:856
	s_waitcnt vmcnt(4) lgkmcnt(1)
	v_fma_f64 v[111:112], v[139:140], v[111:112], v[115:116]
	s_waitcnt vmcnt(3)
	v_fma_f64 v[111:112], v[137:138], v[113:114], v[111:112]
	s_waitcnt vmcnt(2) lgkmcnt(0)
	v_fma_f64 v[111:112], v[131:132], v[117:118], v[111:112]
	s_waitcnt vmcnt(0)
	v_add_f64 v[111:112], v[119:120], -v[111:112]
	buffer_store_dword v112, off, s[0:3], 0 offset:148
	buffer_store_dword v111, off, s[0:3], 0 offset:144
	s_and_saveexec_b64 s[4:5], vcc
	s_cbranch_execz .LBB117_297
; %bb.296:
	buffer_load_dword v111, off, s[0:3], 0 offset:136
	buffer_load_dword v112, off, s[0:3], 0 offset:140
	s_waitcnt vmcnt(0)
	ds_write_b64 v109, v[111:112]
	buffer_store_dword v110, off, s[0:3], 0 offset:136
	buffer_store_dword v110, off, s[0:3], 0 offset:140
.LBB117_297:
	s_or_b64 exec, exec, s[4:5]
	s_waitcnt lgkmcnt(0)
	; wave barrier
	buffer_load_dword v119, off, s[0:3], 0 offset:144
	buffer_load_dword v120, off, s[0:3], 0 offset:148
	;; [unrolled: 1-line block ×21, first 2 shown]
	ds_read_b128 v[111:114], v110 offset:576
	ds_read_b128 v[115:118], v110 offset:592
	buffer_load_dword v136, off, s[0:3], 0 offset:228
	v_cmp_lt_u32_e32 vcc, 16, v0
	s_waitcnt vmcnt(20) lgkmcnt(1)
	v_fma_f64 v[111:112], v[119:120], v[111:112], 0
	s_waitcnt vmcnt(18)
	v_fma_f64 v[111:112], v[121:122], v[113:114], v[111:112]
	buffer_load_dword v120, off, s[0:3], 0 offset:236
	buffer_load_dword v121, off, s[0:3], 0 offset:256
	;; [unrolled: 1-line block ×7, first 2 shown]
	s_waitcnt vmcnt(23) lgkmcnt(0)
	v_fma_f64 v[111:112], v[123:124], v[115:116], v[111:112]
	s_waitcnt vmcnt(21)
	v_fma_f64 v[122:123], v[125:126], v[117:118], v[111:112]
	ds_read_b128 v[111:114], v110 offset:608
	ds_read_b128 v[115:118], v110 offset:624
	s_waitcnt vmcnt(19) lgkmcnt(1)
	v_fma_f64 v[111:112], v[127:128], v[111:112], v[122:123]
	buffer_load_dword v122, off, s[0:3], 0 offset:260
	s_waitcnt vmcnt(18)
	v_fma_f64 v[111:112], v[129:130], v[113:114], v[111:112]
	buffer_load_dword v124, off, s[0:3], 0 offset:268
	buffer_load_dword v125, off, s[0:3], 0 offset:288
	;; [unrolled: 1-line block ×8, first 2 shown]
	s_waitcnt vmcnt(24) lgkmcnt(0)
	v_fma_f64 v[111:112], v[131:132], v[115:116], v[111:112]
	s_waitcnt vmcnt(19)
	v_fma_f64 v[131:132], v[133:134], v[117:118], v[111:112]
	ds_read_b128 v[111:114], v110 offset:640
	ds_read_b128 v[115:118], v110 offset:656
	s_waitcnt vmcnt(18) lgkmcnt(1)
	v_fma_f64 v[111:112], v[139:140], v[111:112], v[131:132]
	s_waitcnt vmcnt(17)
	v_fma_f64 v[111:112], v[137:138], v[113:114], v[111:112]
	buffer_load_dword v132, off, s[0:3], 0 offset:300
	buffer_load_dword v133, off, s[0:3], 0 offset:320
	;; [unrolled: 1-line block ×7, first 2 shown]
	s_waitcnt vmcnt(23) lgkmcnt(0)
	v_fma_f64 v[111:112], v[135:136], v[115:116], v[111:112]
	s_waitcnt vmcnt(18)
	v_fma_f64 v[119:120], v[119:120], v[117:118], v[111:112]
	ds_read_b128 v[111:114], v110 offset:672
	ds_read_b128 v[115:118], v110 offset:688
	buffer_load_dword v134, off, s[0:3], 0 offset:324
	s_waitcnt vmcnt(18) lgkmcnt(1)
	v_fma_f64 v[111:112], v[143:144], v[111:112], v[119:120]
	s_waitcnt vmcnt(17)
	v_fma_f64 v[111:112], v[141:142], v[113:114], v[111:112]
	buffer_load_dword v120, off, s[0:3], 0 offset:332
	buffer_load_dword v135, off, s[0:3], 0 offset:352
	;; [unrolled: 1-line block ×8, first 2 shown]
	s_waitcnt vmcnt(24) lgkmcnt(0)
	v_fma_f64 v[111:112], v[121:122], v[115:116], v[111:112]
	s_waitcnt vmcnt(19)
	v_fma_f64 v[121:122], v[123:124], v[117:118], v[111:112]
	ds_read_b128 v[111:114], v110 offset:704
	ds_read_b128 v[115:118], v110 offset:720
	s_waitcnt vmcnt(18) lgkmcnt(1)
	v_fma_f64 v[111:112], v[129:130], v[111:112], v[121:122]
	s_waitcnt vmcnt(17)
	v_fma_f64 v[111:112], v[127:128], v[113:114], v[111:112]
	buffer_load_dword v122, off, s[0:3], 0 offset:364
	buffer_load_dword v123, off, s[0:3], 0 offset:384
	;; [unrolled: 1-line block ×7, first 2 shown]
	s_waitcnt vmcnt(23) lgkmcnt(0)
	v_fma_f64 v[111:112], v[125:126], v[115:116], v[111:112]
	s_waitcnt vmcnt(18)
	v_fma_f64 v[124:125], v[131:132], v[117:118], v[111:112]
	ds_read_b128 v[111:114], v110 offset:736
	ds_read_b128 v[115:118], v110 offset:752
	s_waitcnt vmcnt(17) lgkmcnt(1)
	v_fma_f64 v[111:112], v[139:140], v[111:112], v[124:125]
	buffer_load_dword v124, off, s[0:3], 0 offset:388
	s_waitcnt vmcnt(17)
	v_fma_f64 v[111:112], v[137:138], v[113:114], v[111:112]
	buffer_load_dword v126, off, s[0:3], 0 offset:396
	buffer_load_dword v131, off, s[0:3], 0 offset:416
	;; [unrolled: 1-line block ×8, first 2 shown]
	s_waitcnt vmcnt(24) lgkmcnt(0)
	v_fma_f64 v[111:112], v[133:134], v[115:116], v[111:112]
	s_waitcnt vmcnt(19)
	v_fma_f64 v[119:120], v[119:120], v[117:118], v[111:112]
	ds_read_b128 v[111:114], v110 offset:768
	ds_read_b128 v[115:118], v110 offset:784
	s_waitcnt vmcnt(18) lgkmcnt(1)
	v_fma_f64 v[111:112], v[143:144], v[111:112], v[119:120]
	buffer_load_dword v120, off, s[0:3], 0 offset:428
	buffer_load_dword v119, off, s[0:3], 0 offset:424
	buffer_load_dword v133, off, s[0:3], 0 offset:136
	buffer_load_dword v134, off, s[0:3], 0 offset:140
	s_waitcnt vmcnt(21)
	v_fma_f64 v[111:112], v[141:142], v[113:114], v[111:112]
	s_waitcnt vmcnt(20) lgkmcnt(0)
	v_fma_f64 v[111:112], v[135:136], v[115:116], v[111:112]
	s_waitcnt vmcnt(15)
	v_fma_f64 v[121:122], v[121:122], v[117:118], v[111:112]
	ds_read_b128 v[111:114], v110 offset:800
	ds_read_b128 v[115:118], v110 offset:816
	s_waitcnt vmcnt(14) lgkmcnt(1)
	v_fma_f64 v[111:112], v[129:130], v[111:112], v[121:122]
	s_waitcnt vmcnt(13)
	v_fma_f64 v[111:112], v[127:128], v[113:114], v[111:112]
	s_waitcnt vmcnt(12) lgkmcnt(0)
	v_fma_f64 v[111:112], v[123:124], v[115:116], v[111:112]
	s_waitcnt vmcnt(7)
	v_fma_f64 v[121:122], v[125:126], v[117:118], v[111:112]
	ds_read_b128 v[111:114], v110 offset:832
	ds_read_b128 v[115:118], v110 offset:848
	s_waitcnt vmcnt(6) lgkmcnt(1)
	v_fma_f64 v[110:111], v[139:140], v[111:112], v[121:122]
	s_waitcnt vmcnt(5)
	v_fma_f64 v[110:111], v[137:138], v[113:114], v[110:111]
	s_waitcnt vmcnt(4) lgkmcnt(0)
	v_fma_f64 v[110:111], v[131:132], v[115:116], v[110:111]
	s_waitcnt vmcnt(2)
	v_fma_f64 v[110:111], v[119:120], v[117:118], v[110:111]
	s_waitcnt vmcnt(0)
	v_add_f64 v[110:111], v[133:134], -v[110:111]
	buffer_store_dword v111, off, s[0:3], 0 offset:140
	buffer_store_dword v110, off, s[0:3], 0 offset:136
	s_and_saveexec_b64 s[4:5], vcc
	s_cbranch_execz .LBB117_299
; %bb.298:
	buffer_load_dword v110, off, s[0:3], 0 offset:128
	buffer_load_dword v111, off, s[0:3], 0 offset:132
	v_mov_b32_e32 v112, 0
	buffer_store_dword v112, off, s[0:3], 0 offset:128
	buffer_store_dword v112, off, s[0:3], 0 offset:132
	s_waitcnt vmcnt(2)
	ds_write_b64 v109, v[110:111]
.LBB117_299:
	s_or_b64 exec, exec, s[4:5]
	s_waitcnt lgkmcnt(0)
	; wave barrier
	buffer_load_dword v119, off, s[0:3], 0 offset:136
	buffer_load_dword v120, off, s[0:3], 0 offset:140
	;; [unrolled: 1-line block ×21, first 2 shown]
	v_mov_b32_e32 v110, 0
	ds_read2_b64 v[111:114], v110 offset0:71 offset1:72
	ds_read2_b64 v[115:118], v110 offset0:73 offset1:74
	buffer_load_dword v136, off, s[0:3], 0 offset:220
	v_cmp_lt_u32_e32 vcc, 15, v0
	s_waitcnt vmcnt(20) lgkmcnt(1)
	v_fma_f64 v[111:112], v[119:120], v[111:112], 0
	s_waitcnt vmcnt(18)
	v_fma_f64 v[111:112], v[121:122], v[113:114], v[111:112]
	buffer_load_dword v120, off, s[0:3], 0 offset:228
	buffer_load_dword v121, off, s[0:3], 0 offset:248
	buffer_load_dword v141, off, s[0:3], 0 offset:240
	buffer_load_dword v143, off, s[0:3], 0 offset:232
	buffer_load_dword v119, off, s[0:3], 0 offset:224
	buffer_load_dword v144, off, s[0:3], 0 offset:236
	buffer_load_dword v142, off, s[0:3], 0 offset:244
	s_waitcnt vmcnt(23) lgkmcnt(0)
	v_fma_f64 v[111:112], v[123:124], v[115:116], v[111:112]
	s_waitcnt vmcnt(21)
	v_fma_f64 v[122:123], v[125:126], v[117:118], v[111:112]
	ds_read2_b64 v[111:114], v110 offset0:75 offset1:76
	ds_read2_b64 v[115:118], v110 offset0:77 offset1:78
	s_waitcnt vmcnt(19) lgkmcnt(1)
	v_fma_f64 v[111:112], v[127:128], v[111:112], v[122:123]
	buffer_load_dword v122, off, s[0:3], 0 offset:252
	s_waitcnt vmcnt(18)
	v_fma_f64 v[111:112], v[129:130], v[113:114], v[111:112]
	buffer_load_dword v124, off, s[0:3], 0 offset:260
	buffer_load_dword v125, off, s[0:3], 0 offset:280
	;; [unrolled: 1-line block ×8, first 2 shown]
	s_waitcnt vmcnt(24) lgkmcnt(0)
	v_fma_f64 v[111:112], v[131:132], v[115:116], v[111:112]
	s_waitcnt vmcnt(19)
	v_fma_f64 v[131:132], v[133:134], v[117:118], v[111:112]
	ds_read2_b64 v[111:114], v110 offset0:79 offset1:80
	ds_read2_b64 v[115:118], v110 offset0:81 offset1:82
	s_waitcnt vmcnt(18) lgkmcnt(1)
	v_fma_f64 v[111:112], v[139:140], v[111:112], v[131:132]
	s_waitcnt vmcnt(17)
	v_fma_f64 v[111:112], v[137:138], v[113:114], v[111:112]
	buffer_load_dword v132, off, s[0:3], 0 offset:292
	buffer_load_dword v133, off, s[0:3], 0 offset:312
	;; [unrolled: 1-line block ×7, first 2 shown]
	s_waitcnt vmcnt(23) lgkmcnt(0)
	v_fma_f64 v[111:112], v[135:136], v[115:116], v[111:112]
	s_waitcnt vmcnt(18)
	v_fma_f64 v[119:120], v[119:120], v[117:118], v[111:112]
	ds_read2_b64 v[111:114], v110 offset0:83 offset1:84
	ds_read2_b64 v[115:118], v110 offset0:85 offset1:86
	buffer_load_dword v134, off, s[0:3], 0 offset:316
	s_waitcnt vmcnt(18) lgkmcnt(1)
	v_fma_f64 v[111:112], v[143:144], v[111:112], v[119:120]
	s_waitcnt vmcnt(17)
	v_fma_f64 v[111:112], v[141:142], v[113:114], v[111:112]
	buffer_load_dword v120, off, s[0:3], 0 offset:324
	buffer_load_dword v135, off, s[0:3], 0 offset:344
	;; [unrolled: 1-line block ×7, first 2 shown]
	s_waitcnt vmcnt(23) lgkmcnt(0)
	v_fma_f64 v[111:112], v[121:122], v[115:116], v[111:112]
	s_waitcnt vmcnt(18)
	v_fma_f64 v[121:122], v[123:124], v[117:118], v[111:112]
	ds_read2_b64 v[111:114], v110 offset0:87 offset1:88
	ds_read2_b64 v[115:118], v110 offset0:89 offset1:90
	buffer_load_dword v136, off, s[0:3], 0 offset:348
	s_waitcnt vmcnt(18) lgkmcnt(1)
	v_fma_f64 v[111:112], v[129:130], v[111:112], v[121:122]
	s_waitcnt vmcnt(17)
	v_fma_f64 v[111:112], v[127:128], v[113:114], v[111:112]
	buffer_load_dword v122, off, s[0:3], 0 offset:356
	buffer_load_dword v123, off, s[0:3], 0 offset:376
	;; [unrolled: 1-line block ×7, first 2 shown]
	s_waitcnt vmcnt(23) lgkmcnt(0)
	v_fma_f64 v[111:112], v[125:126], v[115:116], v[111:112]
	s_waitcnt vmcnt(18)
	v_fma_f64 v[124:125], v[131:132], v[117:118], v[111:112]
	ds_read2_b64 v[111:114], v110 offset0:91 offset1:92
	ds_read2_b64 v[115:118], v110 offset0:93 offset1:94
	s_waitcnt vmcnt(17) lgkmcnt(1)
	v_fma_f64 v[111:112], v[139:140], v[111:112], v[124:125]
	buffer_load_dword v124, off, s[0:3], 0 offset:380
	s_waitcnt vmcnt(17)
	v_fma_f64 v[111:112], v[137:138], v[113:114], v[111:112]
	buffer_load_dword v126, off, s[0:3], 0 offset:388
	buffer_load_dword v131, off, s[0:3], 0 offset:408
	;; [unrolled: 1-line block ×7, first 2 shown]
	s_waitcnt vmcnt(23) lgkmcnt(0)
	v_fma_f64 v[111:112], v[133:134], v[115:116], v[111:112]
	s_waitcnt vmcnt(18)
	v_fma_f64 v[119:120], v[119:120], v[117:118], v[111:112]
	ds_read2_b64 v[111:114], v110 offset0:95 offset1:96
	ds_read2_b64 v[115:118], v110 offset0:97 offset1:98
	buffer_load_dword v132, off, s[0:3], 0 offset:412
	s_waitcnt vmcnt(18) lgkmcnt(1)
	v_fma_f64 v[111:112], v[143:144], v[111:112], v[119:120]
	buffer_load_dword v120, off, s[0:3], 0 offset:420
	buffer_load_dword v133, off, s[0:3], 0 offset:424
	;; [unrolled: 1-line block ×4, first 2 shown]
	s_waitcnt vmcnt(21)
	v_fma_f64 v[111:112], v[141:142], v[113:114], v[111:112]
	s_waitcnt vmcnt(20) lgkmcnt(0)
	v_fma_f64 v[111:112], v[135:136], v[115:116], v[111:112]
	buffer_load_dword v135, off, s[0:3], 0 offset:128
	buffer_load_dword v136, off, s[0:3], 0 offset:132
	s_waitcnt vmcnt(17)
	v_fma_f64 v[121:122], v[121:122], v[117:118], v[111:112]
	ds_read2_b64 v[111:114], v110 offset0:99 offset1:100
	ds_read2_b64 v[115:118], v110 offset0:101 offset1:102
	s_waitcnt vmcnt(16) lgkmcnt(1)
	v_fma_f64 v[111:112], v[129:130], v[111:112], v[121:122]
	s_waitcnt vmcnt(15)
	v_fma_f64 v[111:112], v[127:128], v[113:114], v[111:112]
	s_waitcnt vmcnt(14) lgkmcnt(0)
	v_fma_f64 v[111:112], v[123:124], v[115:116], v[111:112]
	s_waitcnt vmcnt(9)
	v_fma_f64 v[121:122], v[125:126], v[117:118], v[111:112]
	ds_read2_b64 v[111:114], v110 offset0:103 offset1:104
	ds_read2_b64 v[115:118], v110 offset0:105 offset1:106
	s_waitcnt vmcnt(8) lgkmcnt(1)
	v_fma_f64 v[111:112], v[139:140], v[111:112], v[121:122]
	s_waitcnt vmcnt(7)
	v_fma_f64 v[111:112], v[137:138], v[113:114], v[111:112]
	ds_read_b64 v[113:114], v110 offset:856
	s_waitcnt vmcnt(6) lgkmcnt(1)
	v_fma_f64 v[111:112], v[131:132], v[115:116], v[111:112]
	s_waitcnt vmcnt(3)
	v_fma_f64 v[111:112], v[119:120], v[117:118], v[111:112]
	s_waitcnt vmcnt(2) lgkmcnt(0)
	v_fma_f64 v[111:112], v[133:134], v[113:114], v[111:112]
	s_waitcnt vmcnt(0)
	v_add_f64 v[111:112], v[135:136], -v[111:112]
	buffer_store_dword v112, off, s[0:3], 0 offset:132
	buffer_store_dword v111, off, s[0:3], 0 offset:128
	s_and_saveexec_b64 s[4:5], vcc
	s_cbranch_execz .LBB117_301
; %bb.300:
	buffer_load_dword v111, off, s[0:3], 0 offset:120
	buffer_load_dword v112, off, s[0:3], 0 offset:124
	s_waitcnt vmcnt(0)
	ds_write_b64 v109, v[111:112]
	buffer_store_dword v110, off, s[0:3], 0 offset:120
	buffer_store_dword v110, off, s[0:3], 0 offset:124
.LBB117_301:
	s_or_b64 exec, exec, s[4:5]
	s_waitcnt lgkmcnt(0)
	; wave barrier
	buffer_load_dword v119, off, s[0:3], 0 offset:128
	buffer_load_dword v120, off, s[0:3], 0 offset:132
	;; [unrolled: 1-line block ×22, first 2 shown]
	ds_read_b128 v[111:114], v110 offset:560
	ds_read_b128 v[115:118], v110 offset:576
	v_cmp_lt_u32_e32 vcc, 14, v0
	s_waitcnt vmcnt(20) lgkmcnt(1)
	v_fma_f64 v[111:112], v[119:120], v[111:112], 0
	s_waitcnt vmcnt(18)
	v_fma_f64 v[111:112], v[121:122], v[113:114], v[111:112]
	buffer_load_dword v120, off, s[0:3], 0 offset:220
	buffer_load_dword v121, off, s[0:3], 0 offset:240
	;; [unrolled: 1-line block ×7, first 2 shown]
	s_waitcnt vmcnt(23) lgkmcnt(0)
	v_fma_f64 v[111:112], v[123:124], v[115:116], v[111:112]
	s_waitcnt vmcnt(21)
	v_fma_f64 v[122:123], v[125:126], v[117:118], v[111:112]
	ds_read_b128 v[111:114], v110 offset:592
	ds_read_b128 v[115:118], v110 offset:608
	s_waitcnt vmcnt(19) lgkmcnt(1)
	v_fma_f64 v[111:112], v[127:128], v[111:112], v[122:123]
	buffer_load_dword v122, off, s[0:3], 0 offset:244
	s_waitcnt vmcnt(18)
	v_fma_f64 v[111:112], v[129:130], v[113:114], v[111:112]
	buffer_load_dword v124, off, s[0:3], 0 offset:252
	buffer_load_dword v125, off, s[0:3], 0 offset:272
	;; [unrolled: 1-line block ×8, first 2 shown]
	s_waitcnt vmcnt(24) lgkmcnt(0)
	v_fma_f64 v[111:112], v[131:132], v[115:116], v[111:112]
	s_waitcnt vmcnt(19)
	v_fma_f64 v[131:132], v[133:134], v[117:118], v[111:112]
	ds_read_b128 v[111:114], v110 offset:624
	ds_read_b128 v[115:118], v110 offset:640
	s_waitcnt vmcnt(18) lgkmcnt(1)
	v_fma_f64 v[111:112], v[139:140], v[111:112], v[131:132]
	s_waitcnt vmcnt(17)
	v_fma_f64 v[111:112], v[137:138], v[113:114], v[111:112]
	buffer_load_dword v132, off, s[0:3], 0 offset:284
	buffer_load_dword v133, off, s[0:3], 0 offset:304
	;; [unrolled: 1-line block ×8, first 2 shown]
	s_waitcnt vmcnt(24) lgkmcnt(0)
	v_fma_f64 v[111:112], v[135:136], v[115:116], v[111:112]
	s_waitcnt vmcnt(19)
	v_fma_f64 v[119:120], v[119:120], v[117:118], v[111:112]
	ds_read_b128 v[111:114], v110 offset:656
	ds_read_b128 v[115:118], v110 offset:672
	s_waitcnt vmcnt(18) lgkmcnt(1)
	v_fma_f64 v[111:112], v[143:144], v[111:112], v[119:120]
	s_waitcnt vmcnt(17)
	v_fma_f64 v[111:112], v[141:142], v[113:114], v[111:112]
	buffer_load_dword v120, off, s[0:3], 0 offset:316
	buffer_load_dword v135, off, s[0:3], 0 offset:336
	;; [unrolled: 1-line block ×7, first 2 shown]
	s_waitcnt vmcnt(23) lgkmcnt(0)
	v_fma_f64 v[111:112], v[121:122], v[115:116], v[111:112]
	s_waitcnt vmcnt(18)
	v_fma_f64 v[121:122], v[123:124], v[117:118], v[111:112]
	ds_read_b128 v[111:114], v110 offset:688
	ds_read_b128 v[115:118], v110 offset:704
	buffer_load_dword v136, off, s[0:3], 0 offset:340
	s_waitcnt vmcnt(18) lgkmcnt(1)
	v_fma_f64 v[111:112], v[129:130], v[111:112], v[121:122]
	s_waitcnt vmcnt(17)
	v_fma_f64 v[111:112], v[127:128], v[113:114], v[111:112]
	buffer_load_dword v122, off, s[0:3], 0 offset:348
	buffer_load_dword v123, off, s[0:3], 0 offset:368
	;; [unrolled: 1-line block ×7, first 2 shown]
	s_waitcnt vmcnt(23) lgkmcnt(0)
	v_fma_f64 v[111:112], v[125:126], v[115:116], v[111:112]
	s_waitcnt vmcnt(18)
	v_fma_f64 v[124:125], v[131:132], v[117:118], v[111:112]
	ds_read_b128 v[111:114], v110 offset:720
	ds_read_b128 v[115:118], v110 offset:736
	s_waitcnt vmcnt(17) lgkmcnt(1)
	v_fma_f64 v[111:112], v[139:140], v[111:112], v[124:125]
	buffer_load_dword v124, off, s[0:3], 0 offset:372
	s_waitcnt vmcnt(17)
	v_fma_f64 v[111:112], v[137:138], v[113:114], v[111:112]
	buffer_load_dword v126, off, s[0:3], 0 offset:380
	buffer_load_dword v131, off, s[0:3], 0 offset:400
	;; [unrolled: 1-line block ×8, first 2 shown]
	s_waitcnt vmcnt(24) lgkmcnt(0)
	v_fma_f64 v[111:112], v[133:134], v[115:116], v[111:112]
	s_waitcnt vmcnt(19)
	v_fma_f64 v[119:120], v[119:120], v[117:118], v[111:112]
	ds_read_b128 v[111:114], v110 offset:752
	ds_read_b128 v[115:118], v110 offset:768
	s_waitcnt vmcnt(18) lgkmcnt(1)
	v_fma_f64 v[111:112], v[143:144], v[111:112], v[119:120]
	s_waitcnt vmcnt(17)
	v_fma_f64 v[111:112], v[141:142], v[113:114], v[111:112]
	buffer_load_dword v120, off, s[0:3], 0 offset:412
	buffer_load_dword v133, off, s[0:3], 0 offset:424
	;; [unrolled: 1-line block ×6, first 2 shown]
	s_waitcnt vmcnt(22) lgkmcnt(0)
	v_fma_f64 v[111:112], v[135:136], v[115:116], v[111:112]
	s_waitcnt vmcnt(17)
	v_fma_f64 v[121:122], v[121:122], v[117:118], v[111:112]
	ds_read_b128 v[111:114], v110 offset:784
	buffer_load_dword v135, off, s[0:3], 0 offset:120
	buffer_load_dword v136, off, s[0:3], 0 offset:124
	ds_read_b128 v[115:118], v110 offset:800
	s_waitcnt vmcnt(18) lgkmcnt(1)
	v_fma_f64 v[111:112], v[129:130], v[111:112], v[121:122]
	s_waitcnt vmcnt(17)
	v_fma_f64 v[111:112], v[127:128], v[113:114], v[111:112]
	s_waitcnt vmcnt(16) lgkmcnt(0)
	v_fma_f64 v[111:112], v[123:124], v[115:116], v[111:112]
	s_waitcnt vmcnt(11)
	v_fma_f64 v[121:122], v[125:126], v[117:118], v[111:112]
	ds_read_b128 v[111:114], v110 offset:816
	ds_read_b128 v[115:118], v110 offset:832
	s_waitcnt vmcnt(10) lgkmcnt(1)
	v_fma_f64 v[111:112], v[139:140], v[111:112], v[121:122]
	s_waitcnt vmcnt(9)
	v_fma_f64 v[111:112], v[137:138], v[113:114], v[111:112]
	s_waitcnt vmcnt(8) lgkmcnt(0)
	v_fma_f64 v[111:112], v[131:132], v[115:116], v[111:112]
	s_waitcnt vmcnt(4)
	v_fma_f64 v[114:115], v[119:120], v[117:118], v[111:112]
	ds_read_b128 v[110:113], v110 offset:848
	s_waitcnt vmcnt(3) lgkmcnt(0)
	v_fma_f64 v[110:111], v[141:142], v[110:111], v[114:115]
	s_waitcnt vmcnt(2)
	v_fma_f64 v[110:111], v[133:134], v[112:113], v[110:111]
	s_waitcnt vmcnt(0)
	v_add_f64 v[110:111], v[135:136], -v[110:111]
	buffer_store_dword v111, off, s[0:3], 0 offset:124
	buffer_store_dword v110, off, s[0:3], 0 offset:120
	s_and_saveexec_b64 s[4:5], vcc
	s_cbranch_execz .LBB117_303
; %bb.302:
	buffer_load_dword v110, off, s[0:3], 0 offset:112
	buffer_load_dword v111, off, s[0:3], 0 offset:116
	v_mov_b32_e32 v112, 0
	buffer_store_dword v112, off, s[0:3], 0 offset:112
	buffer_store_dword v112, off, s[0:3], 0 offset:116
	s_waitcnt vmcnt(2)
	ds_write_b64 v109, v[110:111]
.LBB117_303:
	s_or_b64 exec, exec, s[4:5]
	s_waitcnt lgkmcnt(0)
	; wave barrier
	buffer_load_dword v119, off, s[0:3], 0 offset:120
	buffer_load_dword v120, off, s[0:3], 0 offset:124
	;; [unrolled: 1-line block ×22, first 2 shown]
	v_mov_b32_e32 v110, 0
	ds_read2_b64 v[111:114], v110 offset0:69 offset1:70
	ds_read2_b64 v[115:118], v110 offset0:71 offset1:72
	v_cmp_lt_u32_e32 vcc, 13, v0
	s_waitcnt vmcnt(20) lgkmcnt(1)
	v_fma_f64 v[111:112], v[119:120], v[111:112], 0
	s_waitcnt vmcnt(18)
	v_fma_f64 v[111:112], v[121:122], v[113:114], v[111:112]
	buffer_load_dword v120, off, s[0:3], 0 offset:212
	buffer_load_dword v121, off, s[0:3], 0 offset:232
	;; [unrolled: 1-line block ×7, first 2 shown]
	s_waitcnt vmcnt(23) lgkmcnt(0)
	v_fma_f64 v[111:112], v[123:124], v[115:116], v[111:112]
	s_waitcnt vmcnt(21)
	v_fma_f64 v[122:123], v[125:126], v[117:118], v[111:112]
	ds_read2_b64 v[111:114], v110 offset0:73 offset1:74
	ds_read2_b64 v[115:118], v110 offset0:75 offset1:76
	s_waitcnt vmcnt(19) lgkmcnt(1)
	v_fma_f64 v[111:112], v[127:128], v[111:112], v[122:123]
	buffer_load_dword v122, off, s[0:3], 0 offset:236
	s_waitcnt vmcnt(18)
	v_fma_f64 v[111:112], v[129:130], v[113:114], v[111:112]
	buffer_load_dword v124, off, s[0:3], 0 offset:244
	buffer_load_dword v125, off, s[0:3], 0 offset:264
	;; [unrolled: 1-line block ×8, first 2 shown]
	s_waitcnt vmcnt(24) lgkmcnt(0)
	v_fma_f64 v[111:112], v[131:132], v[115:116], v[111:112]
	s_waitcnt vmcnt(19)
	v_fma_f64 v[131:132], v[133:134], v[117:118], v[111:112]
	ds_read2_b64 v[111:114], v110 offset0:77 offset1:78
	ds_read2_b64 v[115:118], v110 offset0:79 offset1:80
	s_waitcnt vmcnt(18) lgkmcnt(1)
	v_fma_f64 v[111:112], v[139:140], v[111:112], v[131:132]
	s_waitcnt vmcnt(17)
	v_fma_f64 v[111:112], v[137:138], v[113:114], v[111:112]
	buffer_load_dword v132, off, s[0:3], 0 offset:276
	buffer_load_dword v133, off, s[0:3], 0 offset:296
	;; [unrolled: 1-line block ×8, first 2 shown]
	s_waitcnt vmcnt(24) lgkmcnt(0)
	v_fma_f64 v[111:112], v[135:136], v[115:116], v[111:112]
	s_waitcnt vmcnt(19)
	v_fma_f64 v[119:120], v[119:120], v[117:118], v[111:112]
	ds_read2_b64 v[111:114], v110 offset0:81 offset1:82
	ds_read2_b64 v[115:118], v110 offset0:83 offset1:84
	s_waitcnt vmcnt(18) lgkmcnt(1)
	v_fma_f64 v[111:112], v[143:144], v[111:112], v[119:120]
	s_waitcnt vmcnt(17)
	v_fma_f64 v[111:112], v[141:142], v[113:114], v[111:112]
	buffer_load_dword v120, off, s[0:3], 0 offset:308
	buffer_load_dword v135, off, s[0:3], 0 offset:328
	;; [unrolled: 1-line block ×7, first 2 shown]
	s_waitcnt vmcnt(23) lgkmcnt(0)
	v_fma_f64 v[111:112], v[121:122], v[115:116], v[111:112]
	s_waitcnt vmcnt(18)
	v_fma_f64 v[121:122], v[123:124], v[117:118], v[111:112]
	ds_read2_b64 v[111:114], v110 offset0:85 offset1:86
	ds_read2_b64 v[115:118], v110 offset0:87 offset1:88
	buffer_load_dword v136, off, s[0:3], 0 offset:332
	s_waitcnt vmcnt(18) lgkmcnt(1)
	v_fma_f64 v[111:112], v[129:130], v[111:112], v[121:122]
	s_waitcnt vmcnt(17)
	v_fma_f64 v[111:112], v[127:128], v[113:114], v[111:112]
	buffer_load_dword v122, off, s[0:3], 0 offset:340
	buffer_load_dword v123, off, s[0:3], 0 offset:360
	;; [unrolled: 1-line block ×7, first 2 shown]
	s_waitcnt vmcnt(23) lgkmcnt(0)
	v_fma_f64 v[111:112], v[125:126], v[115:116], v[111:112]
	s_waitcnt vmcnt(18)
	v_fma_f64 v[124:125], v[131:132], v[117:118], v[111:112]
	ds_read2_b64 v[111:114], v110 offset0:89 offset1:90
	ds_read2_b64 v[115:118], v110 offset0:91 offset1:92
	s_waitcnt vmcnt(17) lgkmcnt(1)
	v_fma_f64 v[111:112], v[139:140], v[111:112], v[124:125]
	buffer_load_dword v124, off, s[0:3], 0 offset:364
	s_waitcnt vmcnt(17)
	v_fma_f64 v[111:112], v[137:138], v[113:114], v[111:112]
	buffer_load_dword v126, off, s[0:3], 0 offset:372
	buffer_load_dword v131, off, s[0:3], 0 offset:392
	buffer_load_dword v137, off, s[0:3], 0 offset:384
	buffer_load_dword v139, off, s[0:3], 0 offset:376
	buffer_load_dword v125, off, s[0:3], 0 offset:368
	buffer_load_dword v140, off, s[0:3], 0 offset:380
	buffer_load_dword v138, off, s[0:3], 0 offset:388
	buffer_load_dword v132, off, s[0:3], 0 offset:396
	s_waitcnt vmcnt(24) lgkmcnt(0)
	v_fma_f64 v[111:112], v[133:134], v[115:116], v[111:112]
	s_waitcnt vmcnt(19)
	v_fma_f64 v[119:120], v[119:120], v[117:118], v[111:112]
	ds_read2_b64 v[111:114], v110 offset0:93 offset1:94
	ds_read2_b64 v[115:118], v110 offset0:95 offset1:96
	s_waitcnt vmcnt(18) lgkmcnt(1)
	v_fma_f64 v[111:112], v[143:144], v[111:112], v[119:120]
	s_waitcnt vmcnt(17)
	v_fma_f64 v[111:112], v[141:142], v[113:114], v[111:112]
	buffer_load_dword v120, off, s[0:3], 0 offset:404
	buffer_load_dword v133, off, s[0:3], 0 offset:424
	;; [unrolled: 1-line block ×8, first 2 shown]
	s_waitcnt vmcnt(24) lgkmcnt(0)
	v_fma_f64 v[111:112], v[135:136], v[115:116], v[111:112]
	s_waitcnt vmcnt(19)
	v_fma_f64 v[121:122], v[121:122], v[117:118], v[111:112]
	ds_read2_b64 v[111:114], v110 offset0:97 offset1:98
	ds_read2_b64 v[115:118], v110 offset0:99 offset1:100
	s_waitcnt vmcnt(18) lgkmcnt(1)
	v_fma_f64 v[111:112], v[129:130], v[111:112], v[121:122]
	buffer_load_dword v121, off, s[0:3], 0 offset:112
	buffer_load_dword v122, off, s[0:3], 0 offset:116
	s_waitcnt vmcnt(19)
	v_fma_f64 v[111:112], v[127:128], v[113:114], v[111:112]
	s_waitcnt vmcnt(18) lgkmcnt(0)
	v_fma_f64 v[111:112], v[123:124], v[115:116], v[111:112]
	s_waitcnt vmcnt(13)
	v_fma_f64 v[123:124], v[125:126], v[117:118], v[111:112]
	ds_read2_b64 v[111:114], v110 offset0:101 offset1:102
	ds_read2_b64 v[115:118], v110 offset0:103 offset1:104
	s_waitcnt vmcnt(12) lgkmcnt(1)
	v_fma_f64 v[111:112], v[139:140], v[111:112], v[123:124]
	s_waitcnt vmcnt(11)
	v_fma_f64 v[111:112], v[137:138], v[113:114], v[111:112]
	s_waitcnt vmcnt(10) lgkmcnt(0)
	v_fma_f64 v[111:112], v[131:132], v[115:116], v[111:112]
	s_waitcnt vmcnt(5)
	v_fma_f64 v[115:116], v[119:120], v[117:118], v[111:112]
	ds_read2_b64 v[111:114], v110 offset0:105 offset1:106
	ds_read_b64 v[117:118], v110 offset:856
	s_waitcnt vmcnt(4) lgkmcnt(1)
	v_fma_f64 v[111:112], v[143:144], v[111:112], v[115:116]
	s_waitcnt vmcnt(3)
	v_fma_f64 v[111:112], v[141:142], v[113:114], v[111:112]
	s_waitcnt vmcnt(2) lgkmcnt(0)
	v_fma_f64 v[111:112], v[133:134], v[117:118], v[111:112]
	s_waitcnt vmcnt(0)
	v_add_f64 v[111:112], v[121:122], -v[111:112]
	buffer_store_dword v112, off, s[0:3], 0 offset:116
	buffer_store_dword v111, off, s[0:3], 0 offset:112
	s_and_saveexec_b64 s[4:5], vcc
	s_cbranch_execz .LBB117_305
; %bb.304:
	buffer_load_dword v111, off, s[0:3], 0 offset:104
	buffer_load_dword v112, off, s[0:3], 0 offset:108
	s_waitcnt vmcnt(0)
	ds_write_b64 v109, v[111:112]
	buffer_store_dword v110, off, s[0:3], 0 offset:104
	buffer_store_dword v110, off, s[0:3], 0 offset:108
.LBB117_305:
	s_or_b64 exec, exec, s[4:5]
	s_waitcnt lgkmcnt(0)
	; wave barrier
	buffer_load_dword v119, off, s[0:3], 0 offset:112
	buffer_load_dword v120, off, s[0:3], 0 offset:116
	;; [unrolled: 1-line block ×22, first 2 shown]
	ds_read_b128 v[111:114], v110 offset:544
	ds_read_b128 v[115:118], v110 offset:560
	v_cmp_lt_u32_e32 vcc, 12, v0
	s_waitcnt vmcnt(20) lgkmcnt(1)
	v_fma_f64 v[111:112], v[119:120], v[111:112], 0
	s_waitcnt vmcnt(18)
	v_fma_f64 v[111:112], v[121:122], v[113:114], v[111:112]
	buffer_load_dword v120, off, s[0:3], 0 offset:204
	buffer_load_dword v121, off, s[0:3], 0 offset:224
	;; [unrolled: 1-line block ×7, first 2 shown]
	s_waitcnt vmcnt(23) lgkmcnt(0)
	v_fma_f64 v[111:112], v[123:124], v[115:116], v[111:112]
	s_waitcnt vmcnt(21)
	v_fma_f64 v[122:123], v[125:126], v[117:118], v[111:112]
	ds_read_b128 v[111:114], v110 offset:576
	ds_read_b128 v[115:118], v110 offset:592
	s_waitcnt vmcnt(19) lgkmcnt(1)
	v_fma_f64 v[111:112], v[127:128], v[111:112], v[122:123]
	buffer_load_dword v122, off, s[0:3], 0 offset:228
	s_waitcnt vmcnt(18)
	v_fma_f64 v[111:112], v[129:130], v[113:114], v[111:112]
	buffer_load_dword v124, off, s[0:3], 0 offset:236
	buffer_load_dword v125, off, s[0:3], 0 offset:256
	buffer_load_dword v127, off, s[0:3], 0 offset:248
	buffer_load_dword v129, off, s[0:3], 0 offset:240
	buffer_load_dword v123, off, s[0:3], 0 offset:232
	buffer_load_dword v130, off, s[0:3], 0 offset:244
	buffer_load_dword v128, off, s[0:3], 0 offset:252
	buffer_load_dword v126, off, s[0:3], 0 offset:260
	s_waitcnt vmcnt(24) lgkmcnt(0)
	v_fma_f64 v[111:112], v[131:132], v[115:116], v[111:112]
	s_waitcnt vmcnt(19)
	v_fma_f64 v[131:132], v[133:134], v[117:118], v[111:112]
	ds_read_b128 v[111:114], v110 offset:608
	ds_read_b128 v[115:118], v110 offset:624
	s_waitcnt vmcnt(18) lgkmcnt(1)
	v_fma_f64 v[111:112], v[139:140], v[111:112], v[131:132]
	s_waitcnt vmcnt(17)
	v_fma_f64 v[111:112], v[137:138], v[113:114], v[111:112]
	buffer_load_dword v132, off, s[0:3], 0 offset:268
	buffer_load_dword v133, off, s[0:3], 0 offset:288
	;; [unrolled: 1-line block ×8, first 2 shown]
	s_waitcnt vmcnt(24) lgkmcnt(0)
	v_fma_f64 v[111:112], v[135:136], v[115:116], v[111:112]
	s_waitcnt vmcnt(19)
	v_fma_f64 v[119:120], v[119:120], v[117:118], v[111:112]
	ds_read_b128 v[111:114], v110 offset:640
	ds_read_b128 v[115:118], v110 offset:656
	s_waitcnt vmcnt(18) lgkmcnt(1)
	v_fma_f64 v[111:112], v[143:144], v[111:112], v[119:120]
	s_waitcnt vmcnt(17)
	v_fma_f64 v[111:112], v[141:142], v[113:114], v[111:112]
	buffer_load_dword v120, off, s[0:3], 0 offset:300
	buffer_load_dword v135, off, s[0:3], 0 offset:320
	;; [unrolled: 1-line block ×7, first 2 shown]
	s_waitcnt vmcnt(23) lgkmcnt(0)
	v_fma_f64 v[111:112], v[121:122], v[115:116], v[111:112]
	s_waitcnt vmcnt(18)
	v_fma_f64 v[121:122], v[123:124], v[117:118], v[111:112]
	ds_read_b128 v[111:114], v110 offset:672
	ds_read_b128 v[115:118], v110 offset:688
	buffer_load_dword v136, off, s[0:3], 0 offset:324
	s_waitcnt vmcnt(18) lgkmcnt(1)
	v_fma_f64 v[111:112], v[129:130], v[111:112], v[121:122]
	s_waitcnt vmcnt(17)
	v_fma_f64 v[111:112], v[127:128], v[113:114], v[111:112]
	buffer_load_dword v122, off, s[0:3], 0 offset:332
	buffer_load_dword v123, off, s[0:3], 0 offset:352
	buffer_load_dword v127, off, s[0:3], 0 offset:344
	buffer_load_dword v129, off, s[0:3], 0 offset:336
	buffer_load_dword v121, off, s[0:3], 0 offset:328
	buffer_load_dword v130, off, s[0:3], 0 offset:340
	buffer_load_dword v128, off, s[0:3], 0 offset:348
	s_waitcnt vmcnt(23) lgkmcnt(0)
	v_fma_f64 v[111:112], v[125:126], v[115:116], v[111:112]
	s_waitcnt vmcnt(18)
	v_fma_f64 v[124:125], v[131:132], v[117:118], v[111:112]
	ds_read_b128 v[111:114], v110 offset:704
	ds_read_b128 v[115:118], v110 offset:720
	s_waitcnt vmcnt(17) lgkmcnt(1)
	v_fma_f64 v[111:112], v[139:140], v[111:112], v[124:125]
	buffer_load_dword v124, off, s[0:3], 0 offset:356
	s_waitcnt vmcnt(17)
	v_fma_f64 v[111:112], v[137:138], v[113:114], v[111:112]
	buffer_load_dword v126, off, s[0:3], 0 offset:364
	buffer_load_dword v131, off, s[0:3], 0 offset:384
	;; [unrolled: 1-line block ×8, first 2 shown]
	s_waitcnt vmcnt(24) lgkmcnt(0)
	v_fma_f64 v[111:112], v[133:134], v[115:116], v[111:112]
	s_waitcnt vmcnt(19)
	v_fma_f64 v[119:120], v[119:120], v[117:118], v[111:112]
	ds_read_b128 v[111:114], v110 offset:736
	ds_read_b128 v[115:118], v110 offset:752
	s_waitcnt vmcnt(18) lgkmcnt(1)
	v_fma_f64 v[111:112], v[143:144], v[111:112], v[119:120]
	s_waitcnt vmcnt(17)
	v_fma_f64 v[111:112], v[141:142], v[113:114], v[111:112]
	buffer_load_dword v120, off, s[0:3], 0 offset:396
	buffer_load_dword v133, off, s[0:3], 0 offset:416
	;; [unrolled: 1-line block ×8, first 2 shown]
	s_waitcnt vmcnt(24) lgkmcnt(0)
	v_fma_f64 v[111:112], v[135:136], v[115:116], v[111:112]
	s_waitcnt vmcnt(19)
	v_fma_f64 v[121:122], v[121:122], v[117:118], v[111:112]
	ds_read_b128 v[111:114], v110 offset:768
	ds_read_b128 v[115:118], v110 offset:784
	s_waitcnt vmcnt(18) lgkmcnt(1)
	v_fma_f64 v[111:112], v[129:130], v[111:112], v[121:122]
	buffer_load_dword v122, off, s[0:3], 0 offset:428
	buffer_load_dword v121, off, s[0:3], 0 offset:424
	s_waitcnt vmcnt(19)
	v_fma_f64 v[111:112], v[127:128], v[113:114], v[111:112]
	buffer_load_dword v127, off, s[0:3], 0 offset:104
	buffer_load_dword v128, off, s[0:3], 0 offset:108
	s_waitcnt vmcnt(20) lgkmcnt(0)
	v_fma_f64 v[111:112], v[123:124], v[115:116], v[111:112]
	s_waitcnt vmcnt(15)
	v_fma_f64 v[123:124], v[125:126], v[117:118], v[111:112]
	ds_read_b128 v[111:114], v110 offset:800
	ds_read_b128 v[115:118], v110 offset:816
	s_waitcnt vmcnt(14) lgkmcnt(1)
	v_fma_f64 v[111:112], v[139:140], v[111:112], v[123:124]
	s_waitcnt vmcnt(13)
	v_fma_f64 v[111:112], v[137:138], v[113:114], v[111:112]
	s_waitcnt vmcnt(12) lgkmcnt(0)
	v_fma_f64 v[111:112], v[131:132], v[115:116], v[111:112]
	s_waitcnt vmcnt(7)
	v_fma_f64 v[119:120], v[119:120], v[117:118], v[111:112]
	ds_read_b128 v[111:114], v110 offset:832
	ds_read_b128 v[115:118], v110 offset:848
	s_waitcnt vmcnt(6) lgkmcnt(1)
	v_fma_f64 v[110:111], v[143:144], v[111:112], v[119:120]
	s_waitcnt vmcnt(5)
	v_fma_f64 v[110:111], v[141:142], v[113:114], v[110:111]
	s_waitcnt vmcnt(4) lgkmcnt(0)
	v_fma_f64 v[110:111], v[133:134], v[115:116], v[110:111]
	s_waitcnt vmcnt(2)
	v_fma_f64 v[110:111], v[121:122], v[117:118], v[110:111]
	s_waitcnt vmcnt(0)
	v_add_f64 v[110:111], v[127:128], -v[110:111]
	buffer_store_dword v111, off, s[0:3], 0 offset:108
	buffer_store_dword v110, off, s[0:3], 0 offset:104
	s_and_saveexec_b64 s[4:5], vcc
	s_cbranch_execz .LBB117_307
; %bb.306:
	buffer_load_dword v110, off, s[0:3], 0 offset:96
	buffer_load_dword v111, off, s[0:3], 0 offset:100
	v_mov_b32_e32 v112, 0
	buffer_store_dword v112, off, s[0:3], 0 offset:96
	buffer_store_dword v112, off, s[0:3], 0 offset:100
	s_waitcnt vmcnt(2)
	ds_write_b64 v109, v[110:111]
.LBB117_307:
	s_or_b64 exec, exec, s[4:5]
	s_waitcnt lgkmcnt(0)
	; wave barrier
	buffer_load_dword v119, off, s[0:3], 0 offset:104
	buffer_load_dword v120, off, s[0:3], 0 offset:108
	;; [unrolled: 1-line block ×22, first 2 shown]
	v_mov_b32_e32 v110, 0
	ds_read2_b64 v[111:114], v110 offset0:67 offset1:68
	ds_read2_b64 v[115:118], v110 offset0:69 offset1:70
	v_cmp_lt_u32_e32 vcc, 11, v0
	s_waitcnt vmcnt(20) lgkmcnt(1)
	v_fma_f64 v[111:112], v[119:120], v[111:112], 0
	s_waitcnt vmcnt(18)
	v_fma_f64 v[111:112], v[121:122], v[113:114], v[111:112]
	buffer_load_dword v120, off, s[0:3], 0 offset:196
	buffer_load_dword v121, off, s[0:3], 0 offset:216
	;; [unrolled: 1-line block ×7, first 2 shown]
	s_waitcnt vmcnt(23) lgkmcnt(0)
	v_fma_f64 v[111:112], v[123:124], v[115:116], v[111:112]
	s_waitcnt vmcnt(21)
	v_fma_f64 v[122:123], v[125:126], v[117:118], v[111:112]
	ds_read2_b64 v[111:114], v110 offset0:71 offset1:72
	ds_read2_b64 v[115:118], v110 offset0:73 offset1:74
	s_waitcnt vmcnt(19) lgkmcnt(1)
	v_fma_f64 v[111:112], v[127:128], v[111:112], v[122:123]
	buffer_load_dword v122, off, s[0:3], 0 offset:220
	s_waitcnt vmcnt(18)
	v_fma_f64 v[111:112], v[129:130], v[113:114], v[111:112]
	buffer_load_dword v124, off, s[0:3], 0 offset:228
	buffer_load_dword v125, off, s[0:3], 0 offset:248
	;; [unrolled: 1-line block ×7, first 2 shown]
	s_waitcnt vmcnt(23) lgkmcnt(0)
	v_fma_f64 v[111:112], v[131:132], v[115:116], v[111:112]
	s_waitcnt vmcnt(18)
	v_fma_f64 v[131:132], v[133:134], v[117:118], v[111:112]
	ds_read2_b64 v[111:114], v110 offset0:75 offset1:76
	ds_read2_b64 v[115:118], v110 offset0:77 offset1:78
	buffer_load_dword v126, off, s[0:3], 0 offset:252
	s_waitcnt vmcnt(18) lgkmcnt(1)
	v_fma_f64 v[111:112], v[139:140], v[111:112], v[131:132]
	s_waitcnt vmcnt(17)
	v_fma_f64 v[111:112], v[137:138], v[113:114], v[111:112]
	buffer_load_dword v132, off, s[0:3], 0 offset:260
	buffer_load_dword v133, off, s[0:3], 0 offset:280
	;; [unrolled: 1-line block ×8, first 2 shown]
	s_waitcnt vmcnt(24) lgkmcnt(0)
	v_fma_f64 v[111:112], v[135:136], v[115:116], v[111:112]
	s_waitcnt vmcnt(19)
	v_fma_f64 v[119:120], v[119:120], v[117:118], v[111:112]
	ds_read2_b64 v[111:114], v110 offset0:79 offset1:80
	ds_read2_b64 v[115:118], v110 offset0:81 offset1:82
	s_waitcnt vmcnt(18) lgkmcnt(1)
	v_fma_f64 v[111:112], v[143:144], v[111:112], v[119:120]
	s_waitcnt vmcnt(17)
	v_fma_f64 v[111:112], v[141:142], v[113:114], v[111:112]
	buffer_load_dword v120, off, s[0:3], 0 offset:292
	buffer_load_dword v135, off, s[0:3], 0 offset:312
	;; [unrolled: 1-line block ×7, first 2 shown]
	s_waitcnt vmcnt(23) lgkmcnt(0)
	v_fma_f64 v[111:112], v[121:122], v[115:116], v[111:112]
	s_waitcnt vmcnt(18)
	v_fma_f64 v[121:122], v[123:124], v[117:118], v[111:112]
	ds_read2_b64 v[111:114], v110 offset0:83 offset1:84
	ds_read2_b64 v[115:118], v110 offset0:85 offset1:86
	buffer_load_dword v136, off, s[0:3], 0 offset:316
	s_waitcnt vmcnt(18) lgkmcnt(1)
	v_fma_f64 v[111:112], v[129:130], v[111:112], v[121:122]
	s_waitcnt vmcnt(17)
	v_fma_f64 v[111:112], v[127:128], v[113:114], v[111:112]
	buffer_load_dword v122, off, s[0:3], 0 offset:324
	buffer_load_dword v123, off, s[0:3], 0 offset:344
	;; [unrolled: 1-line block ×7, first 2 shown]
	s_waitcnt vmcnt(23) lgkmcnt(0)
	v_fma_f64 v[111:112], v[125:126], v[115:116], v[111:112]
	s_waitcnt vmcnt(18)
	v_fma_f64 v[124:125], v[131:132], v[117:118], v[111:112]
	ds_read2_b64 v[111:114], v110 offset0:87 offset1:88
	ds_read2_b64 v[115:118], v110 offset0:89 offset1:90
	s_waitcnt vmcnt(17) lgkmcnt(1)
	v_fma_f64 v[111:112], v[139:140], v[111:112], v[124:125]
	buffer_load_dword v124, off, s[0:3], 0 offset:348
	s_waitcnt vmcnt(17)
	v_fma_f64 v[111:112], v[137:138], v[113:114], v[111:112]
	buffer_load_dword v126, off, s[0:3], 0 offset:356
	buffer_load_dword v131, off, s[0:3], 0 offset:376
	;; [unrolled: 1-line block ×8, first 2 shown]
	s_waitcnt vmcnt(24) lgkmcnt(0)
	v_fma_f64 v[111:112], v[133:134], v[115:116], v[111:112]
	s_waitcnt vmcnt(19)
	v_fma_f64 v[119:120], v[119:120], v[117:118], v[111:112]
	ds_read2_b64 v[111:114], v110 offset0:91 offset1:92
	ds_read2_b64 v[115:118], v110 offset0:93 offset1:94
	s_waitcnt vmcnt(18) lgkmcnt(1)
	v_fma_f64 v[111:112], v[143:144], v[111:112], v[119:120]
	s_waitcnt vmcnt(17)
	v_fma_f64 v[111:112], v[141:142], v[113:114], v[111:112]
	buffer_load_dword v120, off, s[0:3], 0 offset:388
	buffer_load_dword v133, off, s[0:3], 0 offset:408
	;; [unrolled: 1-line block ×7, first 2 shown]
	s_waitcnt vmcnt(23) lgkmcnt(0)
	v_fma_f64 v[111:112], v[135:136], v[115:116], v[111:112]
	s_waitcnt vmcnt(18)
	v_fma_f64 v[121:122], v[121:122], v[117:118], v[111:112]
	ds_read2_b64 v[111:114], v110 offset0:95 offset1:96
	ds_read2_b64 v[115:118], v110 offset0:97 offset1:98
	buffer_load_dword v134, off, s[0:3], 0 offset:412
	s_waitcnt vmcnt(18) lgkmcnt(1)
	v_fma_f64 v[111:112], v[129:130], v[111:112], v[121:122]
	s_waitcnt vmcnt(17)
	v_fma_f64 v[111:112], v[127:128], v[113:114], v[111:112]
	buffer_load_dword v122, off, s[0:3], 0 offset:420
	buffer_load_dword v127, off, s[0:3], 0 offset:424
	;; [unrolled: 1-line block ×4, first 2 shown]
	s_waitcnt vmcnt(20) lgkmcnt(0)
	v_fma_f64 v[111:112], v[123:124], v[115:116], v[111:112]
	buffer_load_dword v123, off, s[0:3], 0 offset:96
	buffer_load_dword v124, off, s[0:3], 0 offset:100
	s_waitcnt vmcnt(17)
	v_fma_f64 v[125:126], v[125:126], v[117:118], v[111:112]
	ds_read2_b64 v[111:114], v110 offset0:99 offset1:100
	ds_read2_b64 v[115:118], v110 offset0:101 offset1:102
	s_waitcnt vmcnt(16) lgkmcnt(1)
	v_fma_f64 v[111:112], v[139:140], v[111:112], v[125:126]
	s_waitcnt vmcnt(15)
	v_fma_f64 v[111:112], v[137:138], v[113:114], v[111:112]
	s_waitcnt vmcnt(14) lgkmcnt(0)
	v_fma_f64 v[111:112], v[131:132], v[115:116], v[111:112]
	s_waitcnt vmcnt(9)
	v_fma_f64 v[119:120], v[119:120], v[117:118], v[111:112]
	ds_read2_b64 v[111:114], v110 offset0:103 offset1:104
	ds_read2_b64 v[115:118], v110 offset0:105 offset1:106
	s_waitcnt vmcnt(8) lgkmcnt(1)
	v_fma_f64 v[111:112], v[143:144], v[111:112], v[119:120]
	s_waitcnt vmcnt(7)
	v_fma_f64 v[111:112], v[141:142], v[113:114], v[111:112]
	ds_read_b64 v[113:114], v110 offset:856
	s_waitcnt vmcnt(6) lgkmcnt(1)
	v_fma_f64 v[111:112], v[133:134], v[115:116], v[111:112]
	s_waitcnt vmcnt(3)
	v_fma_f64 v[111:112], v[121:122], v[117:118], v[111:112]
	s_waitcnt vmcnt(2) lgkmcnt(0)
	v_fma_f64 v[111:112], v[127:128], v[113:114], v[111:112]
	s_waitcnt vmcnt(0)
	v_add_f64 v[111:112], v[123:124], -v[111:112]
	buffer_store_dword v112, off, s[0:3], 0 offset:100
	buffer_store_dword v111, off, s[0:3], 0 offset:96
	s_and_saveexec_b64 s[4:5], vcc
	s_cbranch_execz .LBB117_309
; %bb.308:
	buffer_load_dword v111, off, s[0:3], 0 offset:88
	buffer_load_dword v112, off, s[0:3], 0 offset:92
	s_waitcnt vmcnt(0)
	ds_write_b64 v109, v[111:112]
	buffer_store_dword v110, off, s[0:3], 0 offset:88
	buffer_store_dword v110, off, s[0:3], 0 offset:92
.LBB117_309:
	s_or_b64 exec, exec, s[4:5]
	s_waitcnt lgkmcnt(0)
	; wave barrier
	buffer_load_dword v119, off, s[0:3], 0 offset:96
	buffer_load_dword v120, off, s[0:3], 0 offset:100
	;; [unrolled: 1-line block ×22, first 2 shown]
	ds_read_b128 v[111:114], v110 offset:528
	ds_read_b128 v[115:118], v110 offset:544
	v_cmp_lt_u32_e32 vcc, 10, v0
	s_waitcnt vmcnt(20) lgkmcnt(1)
	v_fma_f64 v[111:112], v[119:120], v[111:112], 0
	s_waitcnt vmcnt(18)
	v_fma_f64 v[111:112], v[121:122], v[113:114], v[111:112]
	buffer_load_dword v120, off, s[0:3], 0 offset:188
	buffer_load_dword v121, off, s[0:3], 0 offset:208
	;; [unrolled: 1-line block ×7, first 2 shown]
	s_waitcnt vmcnt(23) lgkmcnt(0)
	v_fma_f64 v[111:112], v[123:124], v[115:116], v[111:112]
	s_waitcnt vmcnt(21)
	v_fma_f64 v[122:123], v[125:126], v[117:118], v[111:112]
	ds_read_b128 v[111:114], v110 offset:560
	ds_read_b128 v[115:118], v110 offset:576
	s_waitcnt vmcnt(19) lgkmcnt(1)
	v_fma_f64 v[111:112], v[127:128], v[111:112], v[122:123]
	buffer_load_dword v122, off, s[0:3], 0 offset:212
	s_waitcnt vmcnt(18)
	v_fma_f64 v[111:112], v[129:130], v[113:114], v[111:112]
	buffer_load_dword v124, off, s[0:3], 0 offset:220
	buffer_load_dword v125, off, s[0:3], 0 offset:240
	;; [unrolled: 1-line block ×7, first 2 shown]
	s_waitcnt vmcnt(23) lgkmcnt(0)
	v_fma_f64 v[111:112], v[131:132], v[115:116], v[111:112]
	s_waitcnt vmcnt(18)
	v_fma_f64 v[131:132], v[133:134], v[117:118], v[111:112]
	ds_read_b128 v[111:114], v110 offset:592
	ds_read_b128 v[115:118], v110 offset:608
	buffer_load_dword v126, off, s[0:3], 0 offset:244
	s_waitcnt vmcnt(18) lgkmcnt(1)
	v_fma_f64 v[111:112], v[139:140], v[111:112], v[131:132]
	s_waitcnt vmcnt(17)
	v_fma_f64 v[111:112], v[137:138], v[113:114], v[111:112]
	buffer_load_dword v132, off, s[0:3], 0 offset:252
	buffer_load_dword v133, off, s[0:3], 0 offset:272
	;; [unrolled: 1-line block ×8, first 2 shown]
	s_waitcnt vmcnt(24) lgkmcnt(0)
	v_fma_f64 v[111:112], v[135:136], v[115:116], v[111:112]
	s_waitcnt vmcnt(19)
	v_fma_f64 v[119:120], v[119:120], v[117:118], v[111:112]
	ds_read_b128 v[111:114], v110 offset:624
	ds_read_b128 v[115:118], v110 offset:640
	s_waitcnt vmcnt(18) lgkmcnt(1)
	v_fma_f64 v[111:112], v[143:144], v[111:112], v[119:120]
	s_waitcnt vmcnt(17)
	v_fma_f64 v[111:112], v[141:142], v[113:114], v[111:112]
	buffer_load_dword v120, off, s[0:3], 0 offset:284
	buffer_load_dword v135, off, s[0:3], 0 offset:304
	;; [unrolled: 1-line block ×8, first 2 shown]
	s_waitcnt vmcnt(24) lgkmcnt(0)
	v_fma_f64 v[111:112], v[121:122], v[115:116], v[111:112]
	s_waitcnt vmcnt(19)
	v_fma_f64 v[121:122], v[123:124], v[117:118], v[111:112]
	ds_read_b128 v[111:114], v110 offset:656
	ds_read_b128 v[115:118], v110 offset:672
	s_waitcnt vmcnt(18) lgkmcnt(1)
	v_fma_f64 v[111:112], v[129:130], v[111:112], v[121:122]
	s_waitcnt vmcnt(17)
	v_fma_f64 v[111:112], v[127:128], v[113:114], v[111:112]
	buffer_load_dword v122, off, s[0:3], 0 offset:316
	buffer_load_dword v123, off, s[0:3], 0 offset:336
	;; [unrolled: 1-line block ×7, first 2 shown]
	s_waitcnt vmcnt(23) lgkmcnt(0)
	v_fma_f64 v[111:112], v[125:126], v[115:116], v[111:112]
	s_waitcnt vmcnt(18)
	v_fma_f64 v[124:125], v[131:132], v[117:118], v[111:112]
	ds_read_b128 v[111:114], v110 offset:688
	ds_read_b128 v[115:118], v110 offset:704
	s_waitcnt vmcnt(17) lgkmcnt(1)
	v_fma_f64 v[111:112], v[139:140], v[111:112], v[124:125]
	buffer_load_dword v124, off, s[0:3], 0 offset:340
	s_waitcnt vmcnt(17)
	v_fma_f64 v[111:112], v[137:138], v[113:114], v[111:112]
	buffer_load_dword v126, off, s[0:3], 0 offset:348
	buffer_load_dword v131, off, s[0:3], 0 offset:368
	;; [unrolled: 1-line block ×8, first 2 shown]
	s_waitcnt vmcnt(24) lgkmcnt(0)
	v_fma_f64 v[111:112], v[133:134], v[115:116], v[111:112]
	s_waitcnt vmcnt(19)
	v_fma_f64 v[119:120], v[119:120], v[117:118], v[111:112]
	ds_read_b128 v[111:114], v110 offset:720
	ds_read_b128 v[115:118], v110 offset:736
	s_waitcnt vmcnt(18) lgkmcnt(1)
	v_fma_f64 v[111:112], v[143:144], v[111:112], v[119:120]
	s_waitcnt vmcnt(17)
	v_fma_f64 v[111:112], v[141:142], v[113:114], v[111:112]
	buffer_load_dword v120, off, s[0:3], 0 offset:380
	buffer_load_dword v133, off, s[0:3], 0 offset:400
	;; [unrolled: 1-line block ×8, first 2 shown]
	s_waitcnt vmcnt(24) lgkmcnt(0)
	v_fma_f64 v[111:112], v[135:136], v[115:116], v[111:112]
	s_waitcnt vmcnt(19)
	v_fma_f64 v[121:122], v[121:122], v[117:118], v[111:112]
	ds_read_b128 v[111:114], v110 offset:752
	ds_read_b128 v[115:118], v110 offset:768
	s_waitcnt vmcnt(18) lgkmcnt(1)
	v_fma_f64 v[111:112], v[129:130], v[111:112], v[121:122]
	s_waitcnt vmcnt(17)
	v_fma_f64 v[111:112], v[127:128], v[113:114], v[111:112]
	buffer_load_dword v122, off, s[0:3], 0 offset:412
	buffer_load_dword v127, off, s[0:3], 0 offset:424
	;; [unrolled: 1-line block ×6, first 2 shown]
	s_waitcnt vmcnt(22) lgkmcnt(0)
	v_fma_f64 v[111:112], v[123:124], v[115:116], v[111:112]
	s_waitcnt vmcnt(17)
	v_fma_f64 v[123:124], v[125:126], v[117:118], v[111:112]
	ds_read_b128 v[111:114], v110 offset:784
	buffer_load_dword v125, off, s[0:3], 0 offset:88
	buffer_load_dword v126, off, s[0:3], 0 offset:92
	ds_read_b128 v[115:118], v110 offset:800
	s_waitcnt vmcnt(18) lgkmcnt(1)
	v_fma_f64 v[111:112], v[139:140], v[111:112], v[123:124]
	s_waitcnt vmcnt(17)
	v_fma_f64 v[111:112], v[137:138], v[113:114], v[111:112]
	s_waitcnt vmcnt(16) lgkmcnt(0)
	v_fma_f64 v[111:112], v[131:132], v[115:116], v[111:112]
	s_waitcnt vmcnt(11)
	v_fma_f64 v[119:120], v[119:120], v[117:118], v[111:112]
	ds_read_b128 v[111:114], v110 offset:816
	ds_read_b128 v[115:118], v110 offset:832
	s_waitcnt vmcnt(10) lgkmcnt(1)
	v_fma_f64 v[111:112], v[143:144], v[111:112], v[119:120]
	s_waitcnt vmcnt(9)
	v_fma_f64 v[111:112], v[141:142], v[113:114], v[111:112]
	s_waitcnt vmcnt(8) lgkmcnt(0)
	v_fma_f64 v[111:112], v[133:134], v[115:116], v[111:112]
	s_waitcnt vmcnt(4)
	v_fma_f64 v[114:115], v[121:122], v[117:118], v[111:112]
	ds_read_b128 v[110:113], v110 offset:848
	s_waitcnt vmcnt(3) lgkmcnt(0)
	v_fma_f64 v[110:111], v[129:130], v[110:111], v[114:115]
	s_waitcnt vmcnt(2)
	v_fma_f64 v[110:111], v[127:128], v[112:113], v[110:111]
	s_waitcnt vmcnt(0)
	v_add_f64 v[110:111], v[125:126], -v[110:111]
	buffer_store_dword v111, off, s[0:3], 0 offset:92
	buffer_store_dword v110, off, s[0:3], 0 offset:88
	s_and_saveexec_b64 s[4:5], vcc
	s_cbranch_execz .LBB117_311
; %bb.310:
	buffer_load_dword v110, off, s[0:3], 0 offset:80
	buffer_load_dword v111, off, s[0:3], 0 offset:84
	v_mov_b32_e32 v112, 0
	buffer_store_dword v112, off, s[0:3], 0 offset:80
	buffer_store_dword v112, off, s[0:3], 0 offset:84
	s_waitcnt vmcnt(2)
	ds_write_b64 v109, v[110:111]
.LBB117_311:
	s_or_b64 exec, exec, s[4:5]
	s_waitcnt lgkmcnt(0)
	; wave barrier
	buffer_load_dword v119, off, s[0:3], 0 offset:88
	buffer_load_dword v120, off, s[0:3], 0 offset:92
	buffer_load_dword v121, off, s[0:3], 0 offset:96
	buffer_load_dword v122, off, s[0:3], 0 offset:100
	buffer_load_dword v123, off, s[0:3], 0 offset:104
	buffer_load_dword v124, off, s[0:3], 0 offset:108
	buffer_load_dword v125, off, s[0:3], 0 offset:112
	buffer_load_dword v126, off, s[0:3], 0 offset:116
	buffer_load_dword v127, off, s[0:3], 0 offset:120
	buffer_load_dword v128, off, s[0:3], 0 offset:124
	buffer_load_dword v129, off, s[0:3], 0 offset:128
	buffer_load_dword v130, off, s[0:3], 0 offset:132
	buffer_load_dword v131, off, s[0:3], 0 offset:136
	buffer_load_dword v132, off, s[0:3], 0 offset:140
	buffer_load_dword v134, off, s[0:3], 0 offset:148
	buffer_load_dword v135, off, s[0:3], 0 offset:168
	buffer_load_dword v137, off, s[0:3], 0 offset:160
	buffer_load_dword v139, off, s[0:3], 0 offset:152
	buffer_load_dword v133, off, s[0:3], 0 offset:144
	buffer_load_dword v140, off, s[0:3], 0 offset:156
	buffer_load_dword v138, off, s[0:3], 0 offset:164
	buffer_load_dword v136, off, s[0:3], 0 offset:172
	v_mov_b32_e32 v110, 0
	ds_read2_b64 v[111:114], v110 offset0:65 offset1:66
	ds_read2_b64 v[115:118], v110 offset0:67 offset1:68
	v_cmp_lt_u32_e32 vcc, 9, v0
	s_waitcnt vmcnt(20) lgkmcnt(1)
	v_fma_f64 v[111:112], v[119:120], v[111:112], 0
	s_waitcnt vmcnt(18)
	v_fma_f64 v[111:112], v[121:122], v[113:114], v[111:112]
	buffer_load_dword v120, off, s[0:3], 0 offset:180
	buffer_load_dword v121, off, s[0:3], 0 offset:200
	;; [unrolled: 1-line block ×7, first 2 shown]
	s_waitcnt vmcnt(23) lgkmcnt(0)
	v_fma_f64 v[111:112], v[123:124], v[115:116], v[111:112]
	s_waitcnt vmcnt(21)
	v_fma_f64 v[122:123], v[125:126], v[117:118], v[111:112]
	ds_read2_b64 v[111:114], v110 offset0:69 offset1:70
	ds_read2_b64 v[115:118], v110 offset0:71 offset1:72
	s_waitcnt vmcnt(19) lgkmcnt(1)
	v_fma_f64 v[111:112], v[127:128], v[111:112], v[122:123]
	buffer_load_dword v122, off, s[0:3], 0 offset:204
	s_waitcnt vmcnt(18)
	v_fma_f64 v[111:112], v[129:130], v[113:114], v[111:112]
	buffer_load_dword v124, off, s[0:3], 0 offset:212
	buffer_load_dword v125, off, s[0:3], 0 offset:232
	;; [unrolled: 1-line block ×7, first 2 shown]
	s_waitcnt vmcnt(23) lgkmcnt(0)
	v_fma_f64 v[111:112], v[131:132], v[115:116], v[111:112]
	s_waitcnt vmcnt(18)
	v_fma_f64 v[131:132], v[133:134], v[117:118], v[111:112]
	ds_read2_b64 v[111:114], v110 offset0:73 offset1:74
	ds_read2_b64 v[115:118], v110 offset0:75 offset1:76
	buffer_load_dword v126, off, s[0:3], 0 offset:236
	s_waitcnt vmcnt(18) lgkmcnt(1)
	v_fma_f64 v[111:112], v[139:140], v[111:112], v[131:132]
	s_waitcnt vmcnt(17)
	v_fma_f64 v[111:112], v[137:138], v[113:114], v[111:112]
	buffer_load_dword v132, off, s[0:3], 0 offset:244
	buffer_load_dword v133, off, s[0:3], 0 offset:264
	;; [unrolled: 1-line block ×8, first 2 shown]
	s_waitcnt vmcnt(24) lgkmcnt(0)
	v_fma_f64 v[111:112], v[135:136], v[115:116], v[111:112]
	s_waitcnt vmcnt(19)
	v_fma_f64 v[119:120], v[119:120], v[117:118], v[111:112]
	ds_read2_b64 v[111:114], v110 offset0:77 offset1:78
	ds_read2_b64 v[115:118], v110 offset0:79 offset1:80
	s_waitcnt vmcnt(18) lgkmcnt(1)
	v_fma_f64 v[111:112], v[143:144], v[111:112], v[119:120]
	s_waitcnt vmcnt(17)
	v_fma_f64 v[111:112], v[141:142], v[113:114], v[111:112]
	buffer_load_dword v120, off, s[0:3], 0 offset:276
	buffer_load_dword v135, off, s[0:3], 0 offset:296
	;; [unrolled: 1-line block ×8, first 2 shown]
	s_waitcnt vmcnt(24) lgkmcnt(0)
	v_fma_f64 v[111:112], v[121:122], v[115:116], v[111:112]
	s_waitcnt vmcnt(19)
	v_fma_f64 v[121:122], v[123:124], v[117:118], v[111:112]
	ds_read2_b64 v[111:114], v110 offset0:81 offset1:82
	ds_read2_b64 v[115:118], v110 offset0:83 offset1:84
	s_waitcnt vmcnt(18) lgkmcnt(1)
	v_fma_f64 v[111:112], v[129:130], v[111:112], v[121:122]
	s_waitcnt vmcnt(17)
	v_fma_f64 v[111:112], v[127:128], v[113:114], v[111:112]
	buffer_load_dword v122, off, s[0:3], 0 offset:308
	buffer_load_dword v123, off, s[0:3], 0 offset:328
	;; [unrolled: 1-line block ×7, first 2 shown]
	s_waitcnt vmcnt(23) lgkmcnt(0)
	v_fma_f64 v[111:112], v[125:126], v[115:116], v[111:112]
	s_waitcnt vmcnt(18)
	v_fma_f64 v[124:125], v[131:132], v[117:118], v[111:112]
	ds_read2_b64 v[111:114], v110 offset0:85 offset1:86
	ds_read2_b64 v[115:118], v110 offset0:87 offset1:88
	s_waitcnt vmcnt(17) lgkmcnt(1)
	v_fma_f64 v[111:112], v[139:140], v[111:112], v[124:125]
	buffer_load_dword v124, off, s[0:3], 0 offset:332
	s_waitcnt vmcnt(17)
	v_fma_f64 v[111:112], v[137:138], v[113:114], v[111:112]
	buffer_load_dword v126, off, s[0:3], 0 offset:340
	buffer_load_dword v131, off, s[0:3], 0 offset:360
	buffer_load_dword v137, off, s[0:3], 0 offset:352
	buffer_load_dword v139, off, s[0:3], 0 offset:344
	buffer_load_dword v125, off, s[0:3], 0 offset:336
	buffer_load_dword v140, off, s[0:3], 0 offset:348
	buffer_load_dword v138, off, s[0:3], 0 offset:356
	buffer_load_dword v132, off, s[0:3], 0 offset:364
	s_waitcnt vmcnt(24) lgkmcnt(0)
	v_fma_f64 v[111:112], v[133:134], v[115:116], v[111:112]
	s_waitcnt vmcnt(19)
	v_fma_f64 v[119:120], v[119:120], v[117:118], v[111:112]
	ds_read2_b64 v[111:114], v110 offset0:89 offset1:90
	ds_read2_b64 v[115:118], v110 offset0:91 offset1:92
	s_waitcnt vmcnt(18) lgkmcnt(1)
	v_fma_f64 v[111:112], v[143:144], v[111:112], v[119:120]
	s_waitcnt vmcnt(17)
	v_fma_f64 v[111:112], v[141:142], v[113:114], v[111:112]
	buffer_load_dword v120, off, s[0:3], 0 offset:372
	buffer_load_dword v133, off, s[0:3], 0 offset:392
	buffer_load_dword v141, off, s[0:3], 0 offset:384
	buffer_load_dword v143, off, s[0:3], 0 offset:376
	buffer_load_dword v119, off, s[0:3], 0 offset:368
	buffer_load_dword v144, off, s[0:3], 0 offset:380
	buffer_load_dword v142, off, s[0:3], 0 offset:388
	buffer_load_dword v134, off, s[0:3], 0 offset:396
	s_waitcnt vmcnt(24) lgkmcnt(0)
	v_fma_f64 v[111:112], v[135:136], v[115:116], v[111:112]
	s_waitcnt vmcnt(19)
	v_fma_f64 v[121:122], v[121:122], v[117:118], v[111:112]
	ds_read2_b64 v[111:114], v110 offset0:93 offset1:94
	ds_read2_b64 v[115:118], v110 offset0:95 offset1:96
	s_waitcnt vmcnt(18) lgkmcnt(1)
	v_fma_f64 v[111:112], v[129:130], v[111:112], v[121:122]
	;; [unrolled: 18-line block ×3, first 2 shown]
	buffer_load_dword v123, off, s[0:3], 0 offset:80
	buffer_load_dword v124, off, s[0:3], 0 offset:84
	s_waitcnt vmcnt(19)
	v_fma_f64 v[111:112], v[137:138], v[113:114], v[111:112]
	s_waitcnt vmcnt(18) lgkmcnt(0)
	v_fma_f64 v[111:112], v[131:132], v[115:116], v[111:112]
	s_waitcnt vmcnt(13)
	v_fma_f64 v[119:120], v[119:120], v[117:118], v[111:112]
	ds_read2_b64 v[111:114], v110 offset0:101 offset1:102
	ds_read2_b64 v[115:118], v110 offset0:103 offset1:104
	s_waitcnt vmcnt(12) lgkmcnt(1)
	v_fma_f64 v[111:112], v[143:144], v[111:112], v[119:120]
	s_waitcnt vmcnt(11)
	v_fma_f64 v[111:112], v[141:142], v[113:114], v[111:112]
	s_waitcnt vmcnt(10) lgkmcnt(0)
	v_fma_f64 v[111:112], v[133:134], v[115:116], v[111:112]
	s_waitcnt vmcnt(5)
	v_fma_f64 v[115:116], v[121:122], v[117:118], v[111:112]
	ds_read2_b64 v[111:114], v110 offset0:105 offset1:106
	ds_read_b64 v[117:118], v110 offset:856
	s_waitcnt vmcnt(4) lgkmcnt(1)
	v_fma_f64 v[111:112], v[135:136], v[111:112], v[115:116]
	s_waitcnt vmcnt(3)
	v_fma_f64 v[111:112], v[129:130], v[113:114], v[111:112]
	s_waitcnt vmcnt(2) lgkmcnt(0)
	v_fma_f64 v[111:112], v[127:128], v[117:118], v[111:112]
	s_waitcnt vmcnt(0)
	v_add_f64 v[111:112], v[123:124], -v[111:112]
	buffer_store_dword v112, off, s[0:3], 0 offset:84
	buffer_store_dword v111, off, s[0:3], 0 offset:80
	s_and_saveexec_b64 s[4:5], vcc
	s_cbranch_execz .LBB117_313
; %bb.312:
	buffer_load_dword v111, off, s[0:3], 0 offset:72
	buffer_load_dword v112, off, s[0:3], 0 offset:76
	s_waitcnt vmcnt(0)
	ds_write_b64 v109, v[111:112]
	buffer_store_dword v110, off, s[0:3], 0 offset:72
	buffer_store_dword v110, off, s[0:3], 0 offset:76
.LBB117_313:
	s_or_b64 exec, exec, s[4:5]
	s_waitcnt lgkmcnt(0)
	; wave barrier
	buffer_load_dword v119, off, s[0:3], 0 offset:80
	buffer_load_dword v120, off, s[0:3], 0 offset:84
	;; [unrolled: 1-line block ×22, first 2 shown]
	ds_read_b128 v[111:114], v110 offset:512
	ds_read_b128 v[115:118], v110 offset:528
	v_cmp_lt_u32_e32 vcc, 8, v0
	s_waitcnt vmcnt(20) lgkmcnt(1)
	v_fma_f64 v[111:112], v[119:120], v[111:112], 0
	s_waitcnt vmcnt(18)
	v_fma_f64 v[111:112], v[121:122], v[113:114], v[111:112]
	buffer_load_dword v120, off, s[0:3], 0 offset:172
	buffer_load_dword v121, off, s[0:3], 0 offset:192
	buffer_load_dword v141, off, s[0:3], 0 offset:184
	buffer_load_dword v143, off, s[0:3], 0 offset:176
	buffer_load_dword v119, off, s[0:3], 0 offset:168
	buffer_load_dword v144, off, s[0:3], 0 offset:180
	buffer_load_dword v142, off, s[0:3], 0 offset:188
	s_waitcnt vmcnt(23) lgkmcnt(0)
	v_fma_f64 v[111:112], v[123:124], v[115:116], v[111:112]
	s_waitcnt vmcnt(21)
	v_fma_f64 v[122:123], v[125:126], v[117:118], v[111:112]
	ds_read_b128 v[111:114], v110 offset:544
	ds_read_b128 v[115:118], v110 offset:560
	s_waitcnt vmcnt(19) lgkmcnt(1)
	v_fma_f64 v[111:112], v[127:128], v[111:112], v[122:123]
	buffer_load_dword v122, off, s[0:3], 0 offset:196
	s_waitcnt vmcnt(18)
	v_fma_f64 v[111:112], v[129:130], v[113:114], v[111:112]
	buffer_load_dword v124, off, s[0:3], 0 offset:204
	buffer_load_dword v125, off, s[0:3], 0 offset:224
	;; [unrolled: 1-line block ×7, first 2 shown]
	s_waitcnt vmcnt(23) lgkmcnt(0)
	v_fma_f64 v[111:112], v[131:132], v[115:116], v[111:112]
	s_waitcnt vmcnt(18)
	v_fma_f64 v[131:132], v[133:134], v[117:118], v[111:112]
	ds_read_b128 v[111:114], v110 offset:576
	ds_read_b128 v[115:118], v110 offset:592
	buffer_load_dword v126, off, s[0:3], 0 offset:228
	s_waitcnt vmcnt(18) lgkmcnt(1)
	v_fma_f64 v[111:112], v[139:140], v[111:112], v[131:132]
	s_waitcnt vmcnt(17)
	v_fma_f64 v[111:112], v[137:138], v[113:114], v[111:112]
	buffer_load_dword v132, off, s[0:3], 0 offset:236
	buffer_load_dword v133, off, s[0:3], 0 offset:256
	;; [unrolled: 1-line block ×8, first 2 shown]
	s_waitcnt vmcnt(24) lgkmcnt(0)
	v_fma_f64 v[111:112], v[135:136], v[115:116], v[111:112]
	s_waitcnt vmcnt(19)
	v_fma_f64 v[119:120], v[119:120], v[117:118], v[111:112]
	ds_read_b128 v[111:114], v110 offset:608
	ds_read_b128 v[115:118], v110 offset:624
	s_waitcnt vmcnt(18) lgkmcnt(1)
	v_fma_f64 v[111:112], v[143:144], v[111:112], v[119:120]
	s_waitcnt vmcnt(17)
	v_fma_f64 v[111:112], v[141:142], v[113:114], v[111:112]
	buffer_load_dword v120, off, s[0:3], 0 offset:268
	buffer_load_dword v135, off, s[0:3], 0 offset:288
	;; [unrolled: 1-line block ×8, first 2 shown]
	s_waitcnt vmcnt(24) lgkmcnt(0)
	v_fma_f64 v[111:112], v[121:122], v[115:116], v[111:112]
	s_waitcnt vmcnt(19)
	v_fma_f64 v[121:122], v[123:124], v[117:118], v[111:112]
	ds_read_b128 v[111:114], v110 offset:640
	ds_read_b128 v[115:118], v110 offset:656
	s_waitcnt vmcnt(18) lgkmcnt(1)
	v_fma_f64 v[111:112], v[129:130], v[111:112], v[121:122]
	s_waitcnt vmcnt(17)
	v_fma_f64 v[111:112], v[127:128], v[113:114], v[111:112]
	buffer_load_dword v122, off, s[0:3], 0 offset:300
	buffer_load_dword v123, off, s[0:3], 0 offset:320
	;; [unrolled: 1-line block ×7, first 2 shown]
	s_waitcnt vmcnt(23) lgkmcnt(0)
	v_fma_f64 v[111:112], v[125:126], v[115:116], v[111:112]
	s_waitcnt vmcnt(18)
	v_fma_f64 v[124:125], v[131:132], v[117:118], v[111:112]
	ds_read_b128 v[111:114], v110 offset:672
	ds_read_b128 v[115:118], v110 offset:688
	s_waitcnt vmcnt(17) lgkmcnt(1)
	v_fma_f64 v[111:112], v[139:140], v[111:112], v[124:125]
	buffer_load_dword v124, off, s[0:3], 0 offset:324
	s_waitcnt vmcnt(17)
	v_fma_f64 v[111:112], v[137:138], v[113:114], v[111:112]
	buffer_load_dword v126, off, s[0:3], 0 offset:332
	buffer_load_dword v131, off, s[0:3], 0 offset:352
	buffer_load_dword v137, off, s[0:3], 0 offset:344
	buffer_load_dword v139, off, s[0:3], 0 offset:336
	buffer_load_dword v125, off, s[0:3], 0 offset:328
	buffer_load_dword v140, off, s[0:3], 0 offset:340
	buffer_load_dword v138, off, s[0:3], 0 offset:348
	buffer_load_dword v132, off, s[0:3], 0 offset:356
	s_waitcnt vmcnt(24) lgkmcnt(0)
	v_fma_f64 v[111:112], v[133:134], v[115:116], v[111:112]
	s_waitcnt vmcnt(19)
	v_fma_f64 v[119:120], v[119:120], v[117:118], v[111:112]
	ds_read_b128 v[111:114], v110 offset:704
	ds_read_b128 v[115:118], v110 offset:720
	s_waitcnt vmcnt(18) lgkmcnt(1)
	v_fma_f64 v[111:112], v[143:144], v[111:112], v[119:120]
	s_waitcnt vmcnt(17)
	v_fma_f64 v[111:112], v[141:142], v[113:114], v[111:112]
	buffer_load_dword v120, off, s[0:3], 0 offset:364
	buffer_load_dword v133, off, s[0:3], 0 offset:384
	buffer_load_dword v141, off, s[0:3], 0 offset:376
	buffer_load_dword v143, off, s[0:3], 0 offset:368
	buffer_load_dword v119, off, s[0:3], 0 offset:360
	buffer_load_dword v144, off, s[0:3], 0 offset:372
	buffer_load_dword v142, off, s[0:3], 0 offset:380
	buffer_load_dword v134, off, s[0:3], 0 offset:388
	s_waitcnt vmcnt(24) lgkmcnt(0)
	v_fma_f64 v[111:112], v[135:136], v[115:116], v[111:112]
	s_waitcnt vmcnt(19)
	v_fma_f64 v[121:122], v[121:122], v[117:118], v[111:112]
	ds_read_b128 v[111:114], v110 offset:736
	ds_read_b128 v[115:118], v110 offset:752
	s_waitcnt vmcnt(18) lgkmcnt(1)
	v_fma_f64 v[111:112], v[129:130], v[111:112], v[121:122]
	;; [unrolled: 18-line block ×3, first 2 shown]
	buffer_load_dword v124, off, s[0:3], 0 offset:428
	buffer_load_dword v123, off, s[0:3], 0 offset:424
	buffer_load_dword v125, off, s[0:3], 0 offset:72
	buffer_load_dword v126, off, s[0:3], 0 offset:76
	s_waitcnt vmcnt(21)
	v_fma_f64 v[111:112], v[137:138], v[113:114], v[111:112]
	s_waitcnt vmcnt(20) lgkmcnt(0)
	v_fma_f64 v[111:112], v[131:132], v[115:116], v[111:112]
	s_waitcnt vmcnt(15)
	v_fma_f64 v[119:120], v[119:120], v[117:118], v[111:112]
	ds_read_b128 v[111:114], v110 offset:800
	ds_read_b128 v[115:118], v110 offset:816
	s_waitcnt vmcnt(14) lgkmcnt(1)
	v_fma_f64 v[111:112], v[143:144], v[111:112], v[119:120]
	s_waitcnt vmcnt(13)
	v_fma_f64 v[111:112], v[141:142], v[113:114], v[111:112]
	s_waitcnt vmcnt(12) lgkmcnt(0)
	v_fma_f64 v[111:112], v[133:134], v[115:116], v[111:112]
	s_waitcnt vmcnt(7)
	v_fma_f64 v[119:120], v[121:122], v[117:118], v[111:112]
	ds_read_b128 v[111:114], v110 offset:832
	ds_read_b128 v[115:118], v110 offset:848
	s_waitcnt vmcnt(6) lgkmcnt(1)
	v_fma_f64 v[110:111], v[135:136], v[111:112], v[119:120]
	s_waitcnt vmcnt(5)
	v_fma_f64 v[110:111], v[129:130], v[113:114], v[110:111]
	s_waitcnt vmcnt(4) lgkmcnt(0)
	v_fma_f64 v[110:111], v[127:128], v[115:116], v[110:111]
	s_waitcnt vmcnt(2)
	v_fma_f64 v[110:111], v[123:124], v[117:118], v[110:111]
	s_waitcnt vmcnt(0)
	v_add_f64 v[110:111], v[125:126], -v[110:111]
	buffer_store_dword v111, off, s[0:3], 0 offset:76
	buffer_store_dword v110, off, s[0:3], 0 offset:72
	s_and_saveexec_b64 s[4:5], vcc
	s_cbranch_execz .LBB117_315
; %bb.314:
	buffer_load_dword v110, off, s[0:3], 0 offset:64
	buffer_load_dword v111, off, s[0:3], 0 offset:68
	v_mov_b32_e32 v112, 0
	buffer_store_dword v112, off, s[0:3], 0 offset:64
	buffer_store_dword v112, off, s[0:3], 0 offset:68
	s_waitcnt vmcnt(2)
	ds_write_b64 v109, v[110:111]
.LBB117_315:
	s_or_b64 exec, exec, s[4:5]
	s_waitcnt lgkmcnt(0)
	; wave barrier
	buffer_load_dword v119, off, s[0:3], 0 offset:72
	buffer_load_dword v120, off, s[0:3], 0 offset:76
	;; [unrolled: 1-line block ×21, first 2 shown]
	v_mov_b32_e32 v110, 0
	ds_read2_b64 v[111:114], v110 offset0:63 offset1:64
	ds_read2_b64 v[115:118], v110 offset0:65 offset1:66
	buffer_load_dword v136, off, s[0:3], 0 offset:156
	v_cmp_lt_u32_e32 vcc, 7, v0
	s_waitcnt vmcnt(20) lgkmcnt(1)
	v_fma_f64 v[111:112], v[119:120], v[111:112], 0
	s_waitcnt vmcnt(18)
	v_fma_f64 v[111:112], v[121:122], v[113:114], v[111:112]
	buffer_load_dword v120, off, s[0:3], 0 offset:164
	buffer_load_dword v121, off, s[0:3], 0 offset:184
	;; [unrolled: 1-line block ×7, first 2 shown]
	s_waitcnt vmcnt(23) lgkmcnt(0)
	v_fma_f64 v[111:112], v[123:124], v[115:116], v[111:112]
	s_waitcnt vmcnt(21)
	v_fma_f64 v[122:123], v[125:126], v[117:118], v[111:112]
	ds_read2_b64 v[111:114], v110 offset0:67 offset1:68
	ds_read2_b64 v[115:118], v110 offset0:69 offset1:70
	s_waitcnt vmcnt(19) lgkmcnt(1)
	v_fma_f64 v[111:112], v[127:128], v[111:112], v[122:123]
	buffer_load_dword v122, off, s[0:3], 0 offset:188
	s_waitcnt vmcnt(18)
	v_fma_f64 v[111:112], v[129:130], v[113:114], v[111:112]
	buffer_load_dword v124, off, s[0:3], 0 offset:196
	buffer_load_dword v125, off, s[0:3], 0 offset:216
	;; [unrolled: 1-line block ×7, first 2 shown]
	s_waitcnt vmcnt(23) lgkmcnt(0)
	v_fma_f64 v[111:112], v[131:132], v[115:116], v[111:112]
	s_waitcnt vmcnt(18)
	v_fma_f64 v[131:132], v[133:134], v[117:118], v[111:112]
	ds_read2_b64 v[111:114], v110 offset0:71 offset1:72
	ds_read2_b64 v[115:118], v110 offset0:73 offset1:74
	buffer_load_dword v126, off, s[0:3], 0 offset:220
	s_waitcnt vmcnt(18) lgkmcnt(1)
	v_fma_f64 v[111:112], v[139:140], v[111:112], v[131:132]
	s_waitcnt vmcnt(17)
	v_fma_f64 v[111:112], v[137:138], v[113:114], v[111:112]
	buffer_load_dword v132, off, s[0:3], 0 offset:228
	buffer_load_dword v133, off, s[0:3], 0 offset:248
	;; [unrolled: 1-line block ×7, first 2 shown]
	s_waitcnt vmcnt(23) lgkmcnt(0)
	v_fma_f64 v[111:112], v[135:136], v[115:116], v[111:112]
	s_waitcnt vmcnt(18)
	v_fma_f64 v[119:120], v[119:120], v[117:118], v[111:112]
	ds_read2_b64 v[111:114], v110 offset0:75 offset1:76
	ds_read2_b64 v[115:118], v110 offset0:77 offset1:78
	buffer_load_dword v134, off, s[0:3], 0 offset:252
	s_waitcnt vmcnt(18) lgkmcnt(1)
	v_fma_f64 v[111:112], v[143:144], v[111:112], v[119:120]
	s_waitcnt vmcnt(17)
	v_fma_f64 v[111:112], v[141:142], v[113:114], v[111:112]
	buffer_load_dword v120, off, s[0:3], 0 offset:260
	buffer_load_dword v135, off, s[0:3], 0 offset:280
	;; [unrolled: 1-line block ×8, first 2 shown]
	s_waitcnt vmcnt(24) lgkmcnt(0)
	v_fma_f64 v[111:112], v[121:122], v[115:116], v[111:112]
	s_waitcnt vmcnt(19)
	v_fma_f64 v[121:122], v[123:124], v[117:118], v[111:112]
	ds_read2_b64 v[111:114], v110 offset0:79 offset1:80
	ds_read2_b64 v[115:118], v110 offset0:81 offset1:82
	s_waitcnt vmcnt(18) lgkmcnt(1)
	v_fma_f64 v[111:112], v[129:130], v[111:112], v[121:122]
	s_waitcnt vmcnt(17)
	v_fma_f64 v[111:112], v[127:128], v[113:114], v[111:112]
	buffer_load_dword v122, off, s[0:3], 0 offset:292
	buffer_load_dword v123, off, s[0:3], 0 offset:312
	;; [unrolled: 1-line block ×7, first 2 shown]
	s_waitcnt vmcnt(23) lgkmcnt(0)
	v_fma_f64 v[111:112], v[125:126], v[115:116], v[111:112]
	s_waitcnt vmcnt(18)
	v_fma_f64 v[124:125], v[131:132], v[117:118], v[111:112]
	ds_read2_b64 v[111:114], v110 offset0:83 offset1:84
	ds_read2_b64 v[115:118], v110 offset0:85 offset1:86
	s_waitcnt vmcnt(17) lgkmcnt(1)
	v_fma_f64 v[111:112], v[139:140], v[111:112], v[124:125]
	buffer_load_dword v124, off, s[0:3], 0 offset:316
	s_waitcnt vmcnt(17)
	v_fma_f64 v[111:112], v[137:138], v[113:114], v[111:112]
	buffer_load_dword v126, off, s[0:3], 0 offset:324
	buffer_load_dword v131, off, s[0:3], 0 offset:344
	;; [unrolled: 1-line block ×7, first 2 shown]
	s_waitcnt vmcnt(23) lgkmcnt(0)
	v_fma_f64 v[111:112], v[133:134], v[115:116], v[111:112]
	s_waitcnt vmcnt(18)
	v_fma_f64 v[119:120], v[119:120], v[117:118], v[111:112]
	ds_read2_b64 v[111:114], v110 offset0:87 offset1:88
	ds_read2_b64 v[115:118], v110 offset0:89 offset1:90
	buffer_load_dword v132, off, s[0:3], 0 offset:348
	s_waitcnt vmcnt(18) lgkmcnt(1)
	v_fma_f64 v[111:112], v[143:144], v[111:112], v[119:120]
	s_waitcnt vmcnt(17)
	v_fma_f64 v[111:112], v[141:142], v[113:114], v[111:112]
	buffer_load_dword v120, off, s[0:3], 0 offset:356
	buffer_load_dword v133, off, s[0:3], 0 offset:376
	;; [unrolled: 1-line block ×8, first 2 shown]
	s_waitcnt vmcnt(24) lgkmcnt(0)
	v_fma_f64 v[111:112], v[135:136], v[115:116], v[111:112]
	s_waitcnt vmcnt(19)
	v_fma_f64 v[121:122], v[121:122], v[117:118], v[111:112]
	ds_read2_b64 v[111:114], v110 offset0:91 offset1:92
	ds_read2_b64 v[115:118], v110 offset0:93 offset1:94
	s_waitcnt vmcnt(18) lgkmcnt(1)
	v_fma_f64 v[111:112], v[129:130], v[111:112], v[121:122]
	s_waitcnt vmcnt(17)
	v_fma_f64 v[111:112], v[127:128], v[113:114], v[111:112]
	buffer_load_dword v122, off, s[0:3], 0 offset:388
	buffer_load_dword v127, off, s[0:3], 0 offset:408
	;; [unrolled: 1-line block ×7, first 2 shown]
	s_waitcnt vmcnt(23) lgkmcnt(0)
	v_fma_f64 v[111:112], v[123:124], v[115:116], v[111:112]
	s_waitcnt vmcnt(18)
	v_fma_f64 v[123:124], v[125:126], v[117:118], v[111:112]
	ds_read2_b64 v[111:114], v110 offset0:95 offset1:96
	ds_read2_b64 v[115:118], v110 offset0:97 offset1:98
	buffer_load_dword v128, off, s[0:3], 0 offset:412
	s_waitcnt vmcnt(18) lgkmcnt(1)
	v_fma_f64 v[111:112], v[139:140], v[111:112], v[123:124]
	buffer_load_dword v124, off, s[0:3], 0 offset:420
	buffer_load_dword v125, off, s[0:3], 0 offset:424
	buffer_load_dword v123, off, s[0:3], 0 offset:416
	buffer_load_dword v126, off, s[0:3], 0 offset:428
	s_waitcnt vmcnt(21)
	v_fma_f64 v[111:112], v[137:138], v[113:114], v[111:112]
	s_waitcnt vmcnt(20) lgkmcnt(0)
	v_fma_f64 v[111:112], v[131:132], v[115:116], v[111:112]
	buffer_load_dword v131, off, s[0:3], 0 offset:64
	buffer_load_dword v132, off, s[0:3], 0 offset:68
	s_waitcnt vmcnt(17)
	v_fma_f64 v[119:120], v[119:120], v[117:118], v[111:112]
	ds_read2_b64 v[111:114], v110 offset0:99 offset1:100
	ds_read2_b64 v[115:118], v110 offset0:101 offset1:102
	s_waitcnt vmcnt(16) lgkmcnt(1)
	v_fma_f64 v[111:112], v[143:144], v[111:112], v[119:120]
	s_waitcnt vmcnt(15)
	v_fma_f64 v[111:112], v[141:142], v[113:114], v[111:112]
	s_waitcnt vmcnt(14) lgkmcnt(0)
	v_fma_f64 v[111:112], v[133:134], v[115:116], v[111:112]
	s_waitcnt vmcnt(9)
	v_fma_f64 v[119:120], v[121:122], v[117:118], v[111:112]
	ds_read2_b64 v[111:114], v110 offset0:103 offset1:104
	ds_read2_b64 v[115:118], v110 offset0:105 offset1:106
	s_waitcnt vmcnt(8) lgkmcnt(1)
	v_fma_f64 v[111:112], v[135:136], v[111:112], v[119:120]
	s_waitcnt vmcnt(7)
	v_fma_f64 v[111:112], v[129:130], v[113:114], v[111:112]
	ds_read_b64 v[113:114], v110 offset:856
	s_waitcnt vmcnt(6) lgkmcnt(1)
	v_fma_f64 v[111:112], v[127:128], v[115:116], v[111:112]
	s_waitcnt vmcnt(3)
	v_fma_f64 v[111:112], v[123:124], v[117:118], v[111:112]
	s_waitcnt vmcnt(2) lgkmcnt(0)
	v_fma_f64 v[111:112], v[125:126], v[113:114], v[111:112]
	s_waitcnt vmcnt(0)
	v_add_f64 v[111:112], v[131:132], -v[111:112]
	buffer_store_dword v112, off, s[0:3], 0 offset:68
	buffer_store_dword v111, off, s[0:3], 0 offset:64
	s_and_saveexec_b64 s[4:5], vcc
	s_cbranch_execz .LBB117_317
; %bb.316:
	buffer_load_dword v111, off, s[0:3], 0 offset:56
	buffer_load_dword v112, off, s[0:3], 0 offset:60
	s_waitcnt vmcnt(0)
	ds_write_b64 v109, v[111:112]
	buffer_store_dword v110, off, s[0:3], 0 offset:56
	buffer_store_dword v110, off, s[0:3], 0 offset:60
.LBB117_317:
	s_or_b64 exec, exec, s[4:5]
	s_waitcnt lgkmcnt(0)
	; wave barrier
	buffer_load_dword v119, off, s[0:3], 0 offset:64
	buffer_load_dword v120, off, s[0:3], 0 offset:68
	;; [unrolled: 1-line block ×21, first 2 shown]
	ds_read_b128 v[111:114], v110 offset:496
	ds_read_b128 v[115:118], v110 offset:512
	buffer_load_dword v136, off, s[0:3], 0 offset:148
	v_cmp_lt_u32_e32 vcc, 6, v0
	s_waitcnt vmcnt(20) lgkmcnt(1)
	v_fma_f64 v[111:112], v[119:120], v[111:112], 0
	s_waitcnt vmcnt(18)
	v_fma_f64 v[111:112], v[121:122], v[113:114], v[111:112]
	buffer_load_dword v120, off, s[0:3], 0 offset:156
	buffer_load_dword v121, off, s[0:3], 0 offset:176
	;; [unrolled: 1-line block ×7, first 2 shown]
	s_waitcnt vmcnt(23) lgkmcnt(0)
	v_fma_f64 v[111:112], v[123:124], v[115:116], v[111:112]
	s_waitcnt vmcnt(21)
	v_fma_f64 v[122:123], v[125:126], v[117:118], v[111:112]
	ds_read_b128 v[111:114], v110 offset:528
	ds_read_b128 v[115:118], v110 offset:544
	s_waitcnt vmcnt(19) lgkmcnt(1)
	v_fma_f64 v[111:112], v[127:128], v[111:112], v[122:123]
	buffer_load_dword v122, off, s[0:3], 0 offset:180
	s_waitcnt vmcnt(18)
	v_fma_f64 v[111:112], v[129:130], v[113:114], v[111:112]
	buffer_load_dword v124, off, s[0:3], 0 offset:188
	buffer_load_dword v125, off, s[0:3], 0 offset:208
	buffer_load_dword v127, off, s[0:3], 0 offset:200
	buffer_load_dword v129, off, s[0:3], 0 offset:192
	buffer_load_dword v123, off, s[0:3], 0 offset:184
	buffer_load_dword v130, off, s[0:3], 0 offset:196
	buffer_load_dword v128, off, s[0:3], 0 offset:204
	buffer_load_dword v126, off, s[0:3], 0 offset:212
	s_waitcnt vmcnt(24) lgkmcnt(0)
	v_fma_f64 v[111:112], v[131:132], v[115:116], v[111:112]
	s_waitcnt vmcnt(19)
	v_fma_f64 v[131:132], v[133:134], v[117:118], v[111:112]
	ds_read_b128 v[111:114], v110 offset:560
	ds_read_b128 v[115:118], v110 offset:576
	s_waitcnt vmcnt(18) lgkmcnt(1)
	v_fma_f64 v[111:112], v[139:140], v[111:112], v[131:132]
	s_waitcnt vmcnt(17)
	v_fma_f64 v[111:112], v[137:138], v[113:114], v[111:112]
	buffer_load_dword v132, off, s[0:3], 0 offset:220
	buffer_load_dword v133, off, s[0:3], 0 offset:240
	;; [unrolled: 1-line block ×7, first 2 shown]
	s_waitcnt vmcnt(23) lgkmcnt(0)
	v_fma_f64 v[111:112], v[135:136], v[115:116], v[111:112]
	s_waitcnt vmcnt(18)
	v_fma_f64 v[119:120], v[119:120], v[117:118], v[111:112]
	ds_read_b128 v[111:114], v110 offset:592
	ds_read_b128 v[115:118], v110 offset:608
	buffer_load_dword v134, off, s[0:3], 0 offset:244
	s_waitcnt vmcnt(18) lgkmcnt(1)
	v_fma_f64 v[111:112], v[143:144], v[111:112], v[119:120]
	s_waitcnt vmcnt(17)
	v_fma_f64 v[111:112], v[141:142], v[113:114], v[111:112]
	buffer_load_dword v120, off, s[0:3], 0 offset:252
	buffer_load_dword v135, off, s[0:3], 0 offset:272
	;; [unrolled: 1-line block ×8, first 2 shown]
	s_waitcnt vmcnt(24) lgkmcnt(0)
	v_fma_f64 v[111:112], v[121:122], v[115:116], v[111:112]
	s_waitcnt vmcnt(19)
	v_fma_f64 v[121:122], v[123:124], v[117:118], v[111:112]
	ds_read_b128 v[111:114], v110 offset:624
	ds_read_b128 v[115:118], v110 offset:640
	s_waitcnt vmcnt(18) lgkmcnt(1)
	v_fma_f64 v[111:112], v[129:130], v[111:112], v[121:122]
	s_waitcnt vmcnt(17)
	v_fma_f64 v[111:112], v[127:128], v[113:114], v[111:112]
	buffer_load_dword v122, off, s[0:3], 0 offset:284
	buffer_load_dword v123, off, s[0:3], 0 offset:304
	buffer_load_dword v127, off, s[0:3], 0 offset:296
	buffer_load_dword v129, off, s[0:3], 0 offset:288
	buffer_load_dword v121, off, s[0:3], 0 offset:280
	buffer_load_dword v130, off, s[0:3], 0 offset:292
	buffer_load_dword v128, off, s[0:3], 0 offset:300
	s_waitcnt vmcnt(23) lgkmcnt(0)
	v_fma_f64 v[111:112], v[125:126], v[115:116], v[111:112]
	s_waitcnt vmcnt(18)
	v_fma_f64 v[124:125], v[131:132], v[117:118], v[111:112]
	ds_read_b128 v[111:114], v110 offset:656
	ds_read_b128 v[115:118], v110 offset:672
	s_waitcnt vmcnt(17) lgkmcnt(1)
	v_fma_f64 v[111:112], v[139:140], v[111:112], v[124:125]
	buffer_load_dword v124, off, s[0:3], 0 offset:308
	s_waitcnt vmcnt(17)
	v_fma_f64 v[111:112], v[137:138], v[113:114], v[111:112]
	buffer_load_dword v126, off, s[0:3], 0 offset:316
	buffer_load_dword v131, off, s[0:3], 0 offset:336
	;; [unrolled: 1-line block ×7, first 2 shown]
	s_waitcnt vmcnt(23) lgkmcnt(0)
	v_fma_f64 v[111:112], v[133:134], v[115:116], v[111:112]
	s_waitcnt vmcnt(18)
	v_fma_f64 v[119:120], v[119:120], v[117:118], v[111:112]
	ds_read_b128 v[111:114], v110 offset:688
	ds_read_b128 v[115:118], v110 offset:704
	buffer_load_dword v132, off, s[0:3], 0 offset:340
	s_waitcnt vmcnt(18) lgkmcnt(1)
	v_fma_f64 v[111:112], v[143:144], v[111:112], v[119:120]
	s_waitcnt vmcnt(17)
	v_fma_f64 v[111:112], v[141:142], v[113:114], v[111:112]
	buffer_load_dword v120, off, s[0:3], 0 offset:348
	buffer_load_dword v133, off, s[0:3], 0 offset:368
	;; [unrolled: 1-line block ×8, first 2 shown]
	s_waitcnt vmcnt(24) lgkmcnt(0)
	v_fma_f64 v[111:112], v[135:136], v[115:116], v[111:112]
	s_waitcnt vmcnt(19)
	v_fma_f64 v[121:122], v[121:122], v[117:118], v[111:112]
	ds_read_b128 v[111:114], v110 offset:720
	ds_read_b128 v[115:118], v110 offset:736
	s_waitcnt vmcnt(18) lgkmcnt(1)
	v_fma_f64 v[111:112], v[129:130], v[111:112], v[121:122]
	s_waitcnt vmcnt(17)
	v_fma_f64 v[111:112], v[127:128], v[113:114], v[111:112]
	buffer_load_dword v122, off, s[0:3], 0 offset:380
	buffer_load_dword v127, off, s[0:3], 0 offset:400
	buffer_load_dword v129, off, s[0:3], 0 offset:392
	buffer_load_dword v135, off, s[0:3], 0 offset:384
	buffer_load_dword v121, off, s[0:3], 0 offset:376
	buffer_load_dword v136, off, s[0:3], 0 offset:388
	buffer_load_dword v130, off, s[0:3], 0 offset:396
	buffer_load_dword v128, off, s[0:3], 0 offset:404
	s_waitcnt vmcnt(24) lgkmcnt(0)
	v_fma_f64 v[111:112], v[123:124], v[115:116], v[111:112]
	s_waitcnt vmcnt(19)
	v_fma_f64 v[123:124], v[125:126], v[117:118], v[111:112]
	ds_read_b128 v[111:114], v110 offset:752
	ds_read_b128 v[115:118], v110 offset:768
	s_waitcnt vmcnt(18) lgkmcnt(1)
	v_fma_f64 v[111:112], v[139:140], v[111:112], v[123:124]
	s_waitcnt vmcnt(17)
	v_fma_f64 v[111:112], v[137:138], v[113:114], v[111:112]
	buffer_load_dword v124, off, s[0:3], 0 offset:412
	buffer_load_dword v125, off, s[0:3], 0 offset:424
	;; [unrolled: 1-line block ×6, first 2 shown]
	s_waitcnt vmcnt(22) lgkmcnt(0)
	v_fma_f64 v[111:112], v[131:132], v[115:116], v[111:112]
	s_waitcnt vmcnt(17)
	v_fma_f64 v[119:120], v[119:120], v[117:118], v[111:112]
	ds_read_b128 v[111:114], v110 offset:784
	buffer_load_dword v131, off, s[0:3], 0 offset:56
	buffer_load_dword v132, off, s[0:3], 0 offset:60
	ds_read_b128 v[115:118], v110 offset:800
	s_waitcnt vmcnt(18) lgkmcnt(1)
	v_fma_f64 v[111:112], v[143:144], v[111:112], v[119:120]
	s_waitcnt vmcnt(17)
	v_fma_f64 v[111:112], v[141:142], v[113:114], v[111:112]
	s_waitcnt vmcnt(16) lgkmcnt(0)
	v_fma_f64 v[111:112], v[133:134], v[115:116], v[111:112]
	s_waitcnt vmcnt(11)
	v_fma_f64 v[119:120], v[121:122], v[117:118], v[111:112]
	ds_read_b128 v[111:114], v110 offset:816
	ds_read_b128 v[115:118], v110 offset:832
	s_waitcnt vmcnt(10) lgkmcnt(1)
	v_fma_f64 v[111:112], v[135:136], v[111:112], v[119:120]
	s_waitcnt vmcnt(9)
	v_fma_f64 v[111:112], v[129:130], v[113:114], v[111:112]
	s_waitcnt vmcnt(8) lgkmcnt(0)
	v_fma_f64 v[111:112], v[127:128], v[115:116], v[111:112]
	s_waitcnt vmcnt(4)
	v_fma_f64 v[114:115], v[123:124], v[117:118], v[111:112]
	ds_read_b128 v[110:113], v110 offset:848
	s_waitcnt vmcnt(3) lgkmcnt(0)
	v_fma_f64 v[110:111], v[137:138], v[110:111], v[114:115]
	s_waitcnt vmcnt(2)
	v_fma_f64 v[110:111], v[125:126], v[112:113], v[110:111]
	s_waitcnt vmcnt(0)
	v_add_f64 v[110:111], v[131:132], -v[110:111]
	buffer_store_dword v111, off, s[0:3], 0 offset:60
	buffer_store_dword v110, off, s[0:3], 0 offset:56
	s_and_saveexec_b64 s[4:5], vcc
	s_cbranch_execz .LBB117_319
; %bb.318:
	buffer_load_dword v110, off, s[0:3], 0 offset:48
	buffer_load_dword v111, off, s[0:3], 0 offset:52
	v_mov_b32_e32 v112, 0
	buffer_store_dword v112, off, s[0:3], 0 offset:48
	buffer_store_dword v112, off, s[0:3], 0 offset:52
	s_waitcnt vmcnt(2)
	ds_write_b64 v109, v[110:111]
.LBB117_319:
	s_or_b64 exec, exec, s[4:5]
	s_waitcnt lgkmcnt(0)
	; wave barrier
	buffer_load_dword v119, off, s[0:3], 0 offset:56
	buffer_load_dword v120, off, s[0:3], 0 offset:60
	;; [unrolled: 1-line block ×21, first 2 shown]
	v_mov_b32_e32 v110, 0
	ds_read2_b64 v[111:114], v110 offset0:61 offset1:62
	ds_read2_b64 v[115:118], v110 offset0:63 offset1:64
	buffer_load_dword v136, off, s[0:3], 0 offset:140
	v_cmp_lt_u32_e32 vcc, 5, v0
	s_waitcnt vmcnt(20) lgkmcnt(1)
	v_fma_f64 v[111:112], v[119:120], v[111:112], 0
	s_waitcnt vmcnt(18)
	v_fma_f64 v[111:112], v[121:122], v[113:114], v[111:112]
	buffer_load_dword v120, off, s[0:3], 0 offset:148
	buffer_load_dword v121, off, s[0:3], 0 offset:168
	;; [unrolled: 1-line block ×7, first 2 shown]
	s_waitcnt vmcnt(23) lgkmcnt(0)
	v_fma_f64 v[111:112], v[123:124], v[115:116], v[111:112]
	s_waitcnt vmcnt(21)
	v_fma_f64 v[122:123], v[125:126], v[117:118], v[111:112]
	ds_read2_b64 v[111:114], v110 offset0:65 offset1:66
	ds_read2_b64 v[115:118], v110 offset0:67 offset1:68
	s_waitcnt vmcnt(19) lgkmcnt(1)
	v_fma_f64 v[111:112], v[127:128], v[111:112], v[122:123]
	buffer_load_dword v122, off, s[0:3], 0 offset:172
	s_waitcnt vmcnt(18)
	v_fma_f64 v[111:112], v[129:130], v[113:114], v[111:112]
	buffer_load_dword v124, off, s[0:3], 0 offset:180
	buffer_load_dword v125, off, s[0:3], 0 offset:200
	buffer_load_dword v127, off, s[0:3], 0 offset:192
	buffer_load_dword v129, off, s[0:3], 0 offset:184
	buffer_load_dword v123, off, s[0:3], 0 offset:176
	buffer_load_dword v130, off, s[0:3], 0 offset:188
	buffer_load_dword v128, off, s[0:3], 0 offset:196
	buffer_load_dword v126, off, s[0:3], 0 offset:204
	s_waitcnt vmcnt(24) lgkmcnt(0)
	v_fma_f64 v[111:112], v[131:132], v[115:116], v[111:112]
	s_waitcnt vmcnt(19)
	v_fma_f64 v[131:132], v[133:134], v[117:118], v[111:112]
	ds_read2_b64 v[111:114], v110 offset0:69 offset1:70
	ds_read2_b64 v[115:118], v110 offset0:71 offset1:72
	s_waitcnt vmcnt(18) lgkmcnt(1)
	v_fma_f64 v[111:112], v[139:140], v[111:112], v[131:132]
	s_waitcnt vmcnt(17)
	v_fma_f64 v[111:112], v[137:138], v[113:114], v[111:112]
	buffer_load_dword v132, off, s[0:3], 0 offset:212
	buffer_load_dword v133, off, s[0:3], 0 offset:232
	;; [unrolled: 1-line block ×7, first 2 shown]
	s_waitcnt vmcnt(23) lgkmcnt(0)
	v_fma_f64 v[111:112], v[135:136], v[115:116], v[111:112]
	s_waitcnt vmcnt(18)
	v_fma_f64 v[119:120], v[119:120], v[117:118], v[111:112]
	ds_read2_b64 v[111:114], v110 offset0:73 offset1:74
	ds_read2_b64 v[115:118], v110 offset0:75 offset1:76
	buffer_load_dword v134, off, s[0:3], 0 offset:236
	s_waitcnt vmcnt(18) lgkmcnt(1)
	v_fma_f64 v[111:112], v[143:144], v[111:112], v[119:120]
	s_waitcnt vmcnt(17)
	v_fma_f64 v[111:112], v[141:142], v[113:114], v[111:112]
	buffer_load_dword v120, off, s[0:3], 0 offset:244
	buffer_load_dword v135, off, s[0:3], 0 offset:264
	;; [unrolled: 1-line block ×8, first 2 shown]
	s_waitcnt vmcnt(24) lgkmcnt(0)
	v_fma_f64 v[111:112], v[121:122], v[115:116], v[111:112]
	s_waitcnt vmcnt(19)
	v_fma_f64 v[121:122], v[123:124], v[117:118], v[111:112]
	ds_read2_b64 v[111:114], v110 offset0:77 offset1:78
	ds_read2_b64 v[115:118], v110 offset0:79 offset1:80
	s_waitcnt vmcnt(18) lgkmcnt(1)
	v_fma_f64 v[111:112], v[129:130], v[111:112], v[121:122]
	s_waitcnt vmcnt(17)
	v_fma_f64 v[111:112], v[127:128], v[113:114], v[111:112]
	buffer_load_dword v122, off, s[0:3], 0 offset:276
	buffer_load_dword v123, off, s[0:3], 0 offset:296
	;; [unrolled: 1-line block ×7, first 2 shown]
	s_waitcnt vmcnt(23) lgkmcnt(0)
	v_fma_f64 v[111:112], v[125:126], v[115:116], v[111:112]
	s_waitcnt vmcnt(18)
	v_fma_f64 v[124:125], v[131:132], v[117:118], v[111:112]
	ds_read2_b64 v[111:114], v110 offset0:81 offset1:82
	ds_read2_b64 v[115:118], v110 offset0:83 offset1:84
	s_waitcnt vmcnt(17) lgkmcnt(1)
	v_fma_f64 v[111:112], v[139:140], v[111:112], v[124:125]
	buffer_load_dword v124, off, s[0:3], 0 offset:300
	s_waitcnt vmcnt(17)
	v_fma_f64 v[111:112], v[137:138], v[113:114], v[111:112]
	buffer_load_dword v126, off, s[0:3], 0 offset:308
	buffer_load_dword v131, off, s[0:3], 0 offset:328
	;; [unrolled: 1-line block ×7, first 2 shown]
	s_waitcnt vmcnt(23) lgkmcnt(0)
	v_fma_f64 v[111:112], v[133:134], v[115:116], v[111:112]
	s_waitcnt vmcnt(18)
	v_fma_f64 v[119:120], v[119:120], v[117:118], v[111:112]
	ds_read2_b64 v[111:114], v110 offset0:85 offset1:86
	ds_read2_b64 v[115:118], v110 offset0:87 offset1:88
	buffer_load_dword v132, off, s[0:3], 0 offset:332
	s_waitcnt vmcnt(18) lgkmcnt(1)
	v_fma_f64 v[111:112], v[143:144], v[111:112], v[119:120]
	s_waitcnt vmcnt(17)
	v_fma_f64 v[111:112], v[141:142], v[113:114], v[111:112]
	buffer_load_dword v120, off, s[0:3], 0 offset:340
	buffer_load_dword v133, off, s[0:3], 0 offset:360
	buffer_load_dword v141, off, s[0:3], 0 offset:352
	buffer_load_dword v143, off, s[0:3], 0 offset:344
	buffer_load_dword v119, off, s[0:3], 0 offset:336
	buffer_load_dword v144, off, s[0:3], 0 offset:348
	buffer_load_dword v142, off, s[0:3], 0 offset:356
	buffer_load_dword v134, off, s[0:3], 0 offset:364
	s_waitcnt vmcnt(24) lgkmcnt(0)
	v_fma_f64 v[111:112], v[135:136], v[115:116], v[111:112]
	s_waitcnt vmcnt(19)
	v_fma_f64 v[121:122], v[121:122], v[117:118], v[111:112]
	ds_read2_b64 v[111:114], v110 offset0:89 offset1:90
	ds_read2_b64 v[115:118], v110 offset0:91 offset1:92
	s_waitcnt vmcnt(18) lgkmcnt(1)
	v_fma_f64 v[111:112], v[129:130], v[111:112], v[121:122]
	s_waitcnt vmcnt(17)
	v_fma_f64 v[111:112], v[127:128], v[113:114], v[111:112]
	buffer_load_dword v122, off, s[0:3], 0 offset:372
	buffer_load_dword v127, off, s[0:3], 0 offset:392
	buffer_load_dword v129, off, s[0:3], 0 offset:384
	buffer_load_dword v135, off, s[0:3], 0 offset:376
	buffer_load_dword v121, off, s[0:3], 0 offset:368
	buffer_load_dword v136, off, s[0:3], 0 offset:380
	buffer_load_dword v130, off, s[0:3], 0 offset:388
	buffer_load_dword v128, off, s[0:3], 0 offset:396
	s_waitcnt vmcnt(24) lgkmcnt(0)
	v_fma_f64 v[111:112], v[123:124], v[115:116], v[111:112]
	s_waitcnt vmcnt(19)
	v_fma_f64 v[123:124], v[125:126], v[117:118], v[111:112]
	ds_read2_b64 v[111:114], v110 offset0:93 offset1:94
	ds_read2_b64 v[115:118], v110 offset0:95 offset1:96
	;; [unrolled: 18-line block ×3, first 2 shown]
	s_waitcnt vmcnt(18) lgkmcnt(1)
	v_fma_f64 v[111:112], v[143:144], v[111:112], v[119:120]
	buffer_load_dword v119, off, s[0:3], 0 offset:48
	buffer_load_dword v120, off, s[0:3], 0 offset:52
	s_waitcnt vmcnt(19)
	v_fma_f64 v[111:112], v[141:142], v[113:114], v[111:112]
	s_waitcnt vmcnt(18) lgkmcnt(0)
	v_fma_f64 v[111:112], v[133:134], v[115:116], v[111:112]
	s_waitcnt vmcnt(13)
	v_fma_f64 v[121:122], v[121:122], v[117:118], v[111:112]
	ds_read2_b64 v[111:114], v110 offset0:101 offset1:102
	ds_read2_b64 v[115:118], v110 offset0:103 offset1:104
	s_waitcnt vmcnt(12) lgkmcnt(1)
	v_fma_f64 v[111:112], v[135:136], v[111:112], v[121:122]
	s_waitcnt vmcnt(11)
	v_fma_f64 v[111:112], v[129:130], v[113:114], v[111:112]
	s_waitcnt vmcnt(10) lgkmcnt(0)
	v_fma_f64 v[111:112], v[127:128], v[115:116], v[111:112]
	s_waitcnt vmcnt(5)
	v_fma_f64 v[115:116], v[123:124], v[117:118], v[111:112]
	ds_read2_b64 v[111:114], v110 offset0:105 offset1:106
	ds_read_b64 v[117:118], v110 offset:856
	s_waitcnt vmcnt(4) lgkmcnt(1)
	v_fma_f64 v[111:112], v[139:140], v[111:112], v[115:116]
	s_waitcnt vmcnt(3)
	v_fma_f64 v[111:112], v[137:138], v[113:114], v[111:112]
	s_waitcnt vmcnt(2) lgkmcnt(0)
	v_fma_f64 v[111:112], v[125:126], v[117:118], v[111:112]
	s_waitcnt vmcnt(0)
	v_add_f64 v[111:112], v[119:120], -v[111:112]
	buffer_store_dword v112, off, s[0:3], 0 offset:52
	buffer_store_dword v111, off, s[0:3], 0 offset:48
	s_and_saveexec_b64 s[4:5], vcc
	s_cbranch_execz .LBB117_321
; %bb.320:
	buffer_load_dword v111, off, s[0:3], 0 offset:40
	buffer_load_dword v112, off, s[0:3], 0 offset:44
	s_waitcnt vmcnt(0)
	ds_write_b64 v109, v[111:112]
	buffer_store_dword v110, off, s[0:3], 0 offset:40
	buffer_store_dword v110, off, s[0:3], 0 offset:44
.LBB117_321:
	s_or_b64 exec, exec, s[4:5]
	s_waitcnt lgkmcnt(0)
	; wave barrier
	buffer_load_dword v119, off, s[0:3], 0 offset:48
	buffer_load_dword v120, off, s[0:3], 0 offset:52
	buffer_load_dword v121, off, s[0:3], 0 offset:56
	buffer_load_dword v122, off, s[0:3], 0 offset:60
	buffer_load_dword v123, off, s[0:3], 0 offset:64
	buffer_load_dword v124, off, s[0:3], 0 offset:68
	buffer_load_dword v125, off, s[0:3], 0 offset:72
	buffer_load_dword v126, off, s[0:3], 0 offset:76
	buffer_load_dword v127, off, s[0:3], 0 offset:80
	buffer_load_dword v128, off, s[0:3], 0 offset:84
	buffer_load_dword v129, off, s[0:3], 0 offset:88
	buffer_load_dword v130, off, s[0:3], 0 offset:92
	buffer_load_dword v131, off, s[0:3], 0 offset:96
	buffer_load_dword v132, off, s[0:3], 0 offset:100
	buffer_load_dword v134, off, s[0:3], 0 offset:108
	buffer_load_dword v135, off, s[0:3], 0 offset:128
	buffer_load_dword v137, off, s[0:3], 0 offset:120
	buffer_load_dword v139, off, s[0:3], 0 offset:112
	buffer_load_dword v133, off, s[0:3], 0 offset:104
	buffer_load_dword v140, off, s[0:3], 0 offset:116
	buffer_load_dword v138, off, s[0:3], 0 offset:124
	ds_read_b128 v[111:114], v110 offset:480
	ds_read_b128 v[115:118], v110 offset:496
	buffer_load_dword v136, off, s[0:3], 0 offset:132
	v_cmp_lt_u32_e32 vcc, 4, v0
	s_waitcnt vmcnt(20) lgkmcnt(1)
	v_fma_f64 v[111:112], v[119:120], v[111:112], 0
	s_waitcnt vmcnt(18)
	v_fma_f64 v[111:112], v[121:122], v[113:114], v[111:112]
	buffer_load_dword v120, off, s[0:3], 0 offset:140
	buffer_load_dword v121, off, s[0:3], 0 offset:160
	;; [unrolled: 1-line block ×7, first 2 shown]
	s_waitcnt vmcnt(23) lgkmcnt(0)
	v_fma_f64 v[111:112], v[123:124], v[115:116], v[111:112]
	s_waitcnt vmcnt(21)
	v_fma_f64 v[122:123], v[125:126], v[117:118], v[111:112]
	ds_read_b128 v[111:114], v110 offset:512
	ds_read_b128 v[115:118], v110 offset:528
	s_waitcnt vmcnt(19) lgkmcnt(1)
	v_fma_f64 v[111:112], v[127:128], v[111:112], v[122:123]
	buffer_load_dword v122, off, s[0:3], 0 offset:164
	s_waitcnt vmcnt(18)
	v_fma_f64 v[111:112], v[129:130], v[113:114], v[111:112]
	buffer_load_dword v124, off, s[0:3], 0 offset:172
	buffer_load_dword v125, off, s[0:3], 0 offset:192
	;; [unrolled: 1-line block ×8, first 2 shown]
	s_waitcnt vmcnt(24) lgkmcnt(0)
	v_fma_f64 v[111:112], v[131:132], v[115:116], v[111:112]
	s_waitcnt vmcnt(19)
	v_fma_f64 v[131:132], v[133:134], v[117:118], v[111:112]
	ds_read_b128 v[111:114], v110 offset:544
	ds_read_b128 v[115:118], v110 offset:560
	s_waitcnt vmcnt(18) lgkmcnt(1)
	v_fma_f64 v[111:112], v[139:140], v[111:112], v[131:132]
	s_waitcnt vmcnt(17)
	v_fma_f64 v[111:112], v[137:138], v[113:114], v[111:112]
	buffer_load_dword v132, off, s[0:3], 0 offset:204
	buffer_load_dword v133, off, s[0:3], 0 offset:224
	;; [unrolled: 1-line block ×7, first 2 shown]
	s_waitcnt vmcnt(23) lgkmcnt(0)
	v_fma_f64 v[111:112], v[135:136], v[115:116], v[111:112]
	s_waitcnt vmcnt(18)
	v_fma_f64 v[119:120], v[119:120], v[117:118], v[111:112]
	ds_read_b128 v[111:114], v110 offset:576
	ds_read_b128 v[115:118], v110 offset:592
	buffer_load_dword v134, off, s[0:3], 0 offset:228
	s_waitcnt vmcnt(18) lgkmcnt(1)
	v_fma_f64 v[111:112], v[143:144], v[111:112], v[119:120]
	s_waitcnt vmcnt(17)
	v_fma_f64 v[111:112], v[141:142], v[113:114], v[111:112]
	buffer_load_dword v120, off, s[0:3], 0 offset:236
	buffer_load_dword v135, off, s[0:3], 0 offset:256
	buffer_load_dword v141, off, s[0:3], 0 offset:248
	buffer_load_dword v143, off, s[0:3], 0 offset:240
	buffer_load_dword v119, off, s[0:3], 0 offset:232
	buffer_load_dword v144, off, s[0:3], 0 offset:244
	buffer_load_dword v142, off, s[0:3], 0 offset:252
	buffer_load_dword v136, off, s[0:3], 0 offset:260
	s_waitcnt vmcnt(24) lgkmcnt(0)
	v_fma_f64 v[111:112], v[121:122], v[115:116], v[111:112]
	s_waitcnt vmcnt(19)
	v_fma_f64 v[121:122], v[123:124], v[117:118], v[111:112]
	ds_read_b128 v[111:114], v110 offset:608
	ds_read_b128 v[115:118], v110 offset:624
	s_waitcnt vmcnt(18) lgkmcnt(1)
	v_fma_f64 v[111:112], v[129:130], v[111:112], v[121:122]
	s_waitcnt vmcnt(17)
	v_fma_f64 v[111:112], v[127:128], v[113:114], v[111:112]
	buffer_load_dword v122, off, s[0:3], 0 offset:268
	buffer_load_dword v123, off, s[0:3], 0 offset:288
	;; [unrolled: 1-line block ×7, first 2 shown]
	s_waitcnt vmcnt(23) lgkmcnt(0)
	v_fma_f64 v[111:112], v[125:126], v[115:116], v[111:112]
	s_waitcnt vmcnt(18)
	v_fma_f64 v[124:125], v[131:132], v[117:118], v[111:112]
	ds_read_b128 v[111:114], v110 offset:640
	ds_read_b128 v[115:118], v110 offset:656
	s_waitcnt vmcnt(17) lgkmcnt(1)
	v_fma_f64 v[111:112], v[139:140], v[111:112], v[124:125]
	buffer_load_dword v124, off, s[0:3], 0 offset:292
	s_waitcnt vmcnt(17)
	v_fma_f64 v[111:112], v[137:138], v[113:114], v[111:112]
	buffer_load_dword v126, off, s[0:3], 0 offset:300
	buffer_load_dword v131, off, s[0:3], 0 offset:320
	;; [unrolled: 1-line block ×7, first 2 shown]
	s_waitcnt vmcnt(23) lgkmcnt(0)
	v_fma_f64 v[111:112], v[133:134], v[115:116], v[111:112]
	s_waitcnt vmcnt(18)
	v_fma_f64 v[119:120], v[119:120], v[117:118], v[111:112]
	ds_read_b128 v[111:114], v110 offset:672
	ds_read_b128 v[115:118], v110 offset:688
	buffer_load_dword v132, off, s[0:3], 0 offset:324
	s_waitcnt vmcnt(18) lgkmcnt(1)
	v_fma_f64 v[111:112], v[143:144], v[111:112], v[119:120]
	s_waitcnt vmcnt(17)
	v_fma_f64 v[111:112], v[141:142], v[113:114], v[111:112]
	buffer_load_dword v120, off, s[0:3], 0 offset:332
	buffer_load_dword v133, off, s[0:3], 0 offset:352
	buffer_load_dword v141, off, s[0:3], 0 offset:344
	buffer_load_dword v143, off, s[0:3], 0 offset:336
	buffer_load_dword v119, off, s[0:3], 0 offset:328
	buffer_load_dword v144, off, s[0:3], 0 offset:340
	buffer_load_dword v142, off, s[0:3], 0 offset:348
	buffer_load_dword v134, off, s[0:3], 0 offset:356
	s_waitcnt vmcnt(24) lgkmcnt(0)
	v_fma_f64 v[111:112], v[135:136], v[115:116], v[111:112]
	s_waitcnt vmcnt(19)
	v_fma_f64 v[121:122], v[121:122], v[117:118], v[111:112]
	ds_read_b128 v[111:114], v110 offset:704
	ds_read_b128 v[115:118], v110 offset:720
	s_waitcnt vmcnt(18) lgkmcnt(1)
	v_fma_f64 v[111:112], v[129:130], v[111:112], v[121:122]
	s_waitcnt vmcnt(17)
	v_fma_f64 v[111:112], v[127:128], v[113:114], v[111:112]
	buffer_load_dword v122, off, s[0:3], 0 offset:364
	buffer_load_dword v127, off, s[0:3], 0 offset:384
	buffer_load_dword v129, off, s[0:3], 0 offset:376
	buffer_load_dword v135, off, s[0:3], 0 offset:368
	buffer_load_dword v121, off, s[0:3], 0 offset:360
	buffer_load_dword v136, off, s[0:3], 0 offset:372
	buffer_load_dword v130, off, s[0:3], 0 offset:380
	buffer_load_dword v128, off, s[0:3], 0 offset:388
	s_waitcnt vmcnt(24) lgkmcnt(0)
	v_fma_f64 v[111:112], v[123:124], v[115:116], v[111:112]
	s_waitcnt vmcnt(19)
	v_fma_f64 v[123:124], v[125:126], v[117:118], v[111:112]
	ds_read_b128 v[111:114], v110 offset:736
	ds_read_b128 v[115:118], v110 offset:752
	;; [unrolled: 18-line block ×3, first 2 shown]
	s_waitcnt vmcnt(18) lgkmcnt(1)
	v_fma_f64 v[111:112], v[143:144], v[111:112], v[119:120]
	buffer_load_dword v120, off, s[0:3], 0 offset:428
	buffer_load_dword v119, off, s[0:3], 0 offset:424
	;; [unrolled: 1-line block ×4, first 2 shown]
	s_waitcnt vmcnt(21)
	v_fma_f64 v[111:112], v[141:142], v[113:114], v[111:112]
	s_waitcnt vmcnt(20) lgkmcnt(0)
	v_fma_f64 v[111:112], v[133:134], v[115:116], v[111:112]
	s_waitcnt vmcnt(15)
	v_fma_f64 v[121:122], v[121:122], v[117:118], v[111:112]
	ds_read_b128 v[111:114], v110 offset:800
	ds_read_b128 v[115:118], v110 offset:816
	s_waitcnt vmcnt(14) lgkmcnt(1)
	v_fma_f64 v[111:112], v[135:136], v[111:112], v[121:122]
	s_waitcnt vmcnt(13)
	v_fma_f64 v[111:112], v[129:130], v[113:114], v[111:112]
	s_waitcnt vmcnt(12) lgkmcnt(0)
	v_fma_f64 v[111:112], v[127:128], v[115:116], v[111:112]
	s_waitcnt vmcnt(7)
	v_fma_f64 v[121:122], v[123:124], v[117:118], v[111:112]
	ds_read_b128 v[111:114], v110 offset:832
	ds_read_b128 v[115:118], v110 offset:848
	s_waitcnt vmcnt(6) lgkmcnt(1)
	v_fma_f64 v[110:111], v[139:140], v[111:112], v[121:122]
	s_waitcnt vmcnt(5)
	v_fma_f64 v[110:111], v[137:138], v[113:114], v[110:111]
	s_waitcnt vmcnt(4) lgkmcnt(0)
	v_fma_f64 v[110:111], v[125:126], v[115:116], v[110:111]
	s_waitcnt vmcnt(2)
	v_fma_f64 v[110:111], v[119:120], v[117:118], v[110:111]
	s_waitcnt vmcnt(0)
	v_add_f64 v[110:111], v[131:132], -v[110:111]
	buffer_store_dword v111, off, s[0:3], 0 offset:44
	buffer_store_dword v110, off, s[0:3], 0 offset:40
	s_and_saveexec_b64 s[4:5], vcc
	s_cbranch_execz .LBB117_323
; %bb.322:
	buffer_load_dword v110, off, s[0:3], 0 offset:32
	buffer_load_dword v111, off, s[0:3], 0 offset:36
	v_mov_b32_e32 v112, 0
	buffer_store_dword v112, off, s[0:3], 0 offset:32
	buffer_store_dword v112, off, s[0:3], 0 offset:36
	s_waitcnt vmcnt(2)
	ds_write_b64 v109, v[110:111]
.LBB117_323:
	s_or_b64 exec, exec, s[4:5]
	s_waitcnt lgkmcnt(0)
	; wave barrier
	buffer_load_dword v119, off, s[0:3], 0 offset:40
	buffer_load_dword v120, off, s[0:3], 0 offset:44
	;; [unrolled: 1-line block ×21, first 2 shown]
	v_mov_b32_e32 v110, 0
	ds_read2_b64 v[111:114], v110 offset0:59 offset1:60
	ds_read2_b64 v[115:118], v110 offset0:61 offset1:62
	buffer_load_dword v136, off, s[0:3], 0 offset:124
	v_cmp_lt_u32_e32 vcc, 3, v0
	s_waitcnt vmcnt(20) lgkmcnt(1)
	v_fma_f64 v[111:112], v[119:120], v[111:112], 0
	s_waitcnt vmcnt(18)
	v_fma_f64 v[111:112], v[121:122], v[113:114], v[111:112]
	buffer_load_dword v120, off, s[0:3], 0 offset:132
	buffer_load_dword v121, off, s[0:3], 0 offset:152
	buffer_load_dword v141, off, s[0:3], 0 offset:144
	buffer_load_dword v143, off, s[0:3], 0 offset:136
	buffer_load_dword v119, off, s[0:3], 0 offset:128
	buffer_load_dword v144, off, s[0:3], 0 offset:140
	buffer_load_dword v142, off, s[0:3], 0 offset:148
	s_waitcnt vmcnt(23) lgkmcnt(0)
	v_fma_f64 v[111:112], v[123:124], v[115:116], v[111:112]
	s_waitcnt vmcnt(21)
	v_fma_f64 v[122:123], v[125:126], v[117:118], v[111:112]
	ds_read2_b64 v[111:114], v110 offset0:63 offset1:64
	ds_read2_b64 v[115:118], v110 offset0:65 offset1:66
	s_waitcnt vmcnt(19) lgkmcnt(1)
	v_fma_f64 v[111:112], v[127:128], v[111:112], v[122:123]
	buffer_load_dword v122, off, s[0:3], 0 offset:156
	s_waitcnt vmcnt(18)
	v_fma_f64 v[111:112], v[129:130], v[113:114], v[111:112]
	buffer_load_dword v124, off, s[0:3], 0 offset:164
	buffer_load_dword v125, off, s[0:3], 0 offset:184
	buffer_load_dword v127, off, s[0:3], 0 offset:176
	buffer_load_dword v129, off, s[0:3], 0 offset:168
	buffer_load_dword v123, off, s[0:3], 0 offset:160
	buffer_load_dword v130, off, s[0:3], 0 offset:172
	buffer_load_dword v128, off, s[0:3], 0 offset:180
	buffer_load_dword v126, off, s[0:3], 0 offset:188
	s_waitcnt vmcnt(24) lgkmcnt(0)
	v_fma_f64 v[111:112], v[131:132], v[115:116], v[111:112]
	s_waitcnt vmcnt(19)
	v_fma_f64 v[131:132], v[133:134], v[117:118], v[111:112]
	ds_read2_b64 v[111:114], v110 offset0:67 offset1:68
	ds_read2_b64 v[115:118], v110 offset0:69 offset1:70
	s_waitcnt vmcnt(18) lgkmcnt(1)
	v_fma_f64 v[111:112], v[139:140], v[111:112], v[131:132]
	s_waitcnt vmcnt(17)
	v_fma_f64 v[111:112], v[137:138], v[113:114], v[111:112]
	buffer_load_dword v132, off, s[0:3], 0 offset:196
	buffer_load_dword v133, off, s[0:3], 0 offset:216
	;; [unrolled: 1-line block ×7, first 2 shown]
	s_waitcnt vmcnt(23) lgkmcnt(0)
	v_fma_f64 v[111:112], v[135:136], v[115:116], v[111:112]
	s_waitcnt vmcnt(18)
	v_fma_f64 v[119:120], v[119:120], v[117:118], v[111:112]
	ds_read2_b64 v[111:114], v110 offset0:71 offset1:72
	ds_read2_b64 v[115:118], v110 offset0:73 offset1:74
	buffer_load_dword v134, off, s[0:3], 0 offset:220
	s_waitcnt vmcnt(18) lgkmcnt(1)
	v_fma_f64 v[111:112], v[143:144], v[111:112], v[119:120]
	s_waitcnt vmcnt(17)
	v_fma_f64 v[111:112], v[141:142], v[113:114], v[111:112]
	buffer_load_dword v120, off, s[0:3], 0 offset:228
	buffer_load_dword v135, off, s[0:3], 0 offset:248
	;; [unrolled: 1-line block ×7, first 2 shown]
	s_waitcnt vmcnt(23) lgkmcnt(0)
	v_fma_f64 v[111:112], v[121:122], v[115:116], v[111:112]
	s_waitcnt vmcnt(18)
	v_fma_f64 v[121:122], v[123:124], v[117:118], v[111:112]
	ds_read2_b64 v[111:114], v110 offset0:75 offset1:76
	ds_read2_b64 v[115:118], v110 offset0:77 offset1:78
	buffer_load_dword v136, off, s[0:3], 0 offset:252
	s_waitcnt vmcnt(18) lgkmcnt(1)
	v_fma_f64 v[111:112], v[129:130], v[111:112], v[121:122]
	s_waitcnt vmcnt(17)
	v_fma_f64 v[111:112], v[127:128], v[113:114], v[111:112]
	buffer_load_dword v122, off, s[0:3], 0 offset:260
	buffer_load_dword v123, off, s[0:3], 0 offset:280
	;; [unrolled: 1-line block ×7, first 2 shown]
	s_waitcnt vmcnt(23) lgkmcnt(0)
	v_fma_f64 v[111:112], v[125:126], v[115:116], v[111:112]
	s_waitcnt vmcnt(18)
	v_fma_f64 v[124:125], v[131:132], v[117:118], v[111:112]
	ds_read2_b64 v[111:114], v110 offset0:79 offset1:80
	ds_read2_b64 v[115:118], v110 offset0:81 offset1:82
	s_waitcnt vmcnt(17) lgkmcnt(1)
	v_fma_f64 v[111:112], v[139:140], v[111:112], v[124:125]
	buffer_load_dword v124, off, s[0:3], 0 offset:284
	s_waitcnt vmcnt(17)
	v_fma_f64 v[111:112], v[137:138], v[113:114], v[111:112]
	buffer_load_dword v126, off, s[0:3], 0 offset:292
	buffer_load_dword v131, off, s[0:3], 0 offset:312
	;; [unrolled: 1-line block ×7, first 2 shown]
	s_waitcnt vmcnt(23) lgkmcnt(0)
	v_fma_f64 v[111:112], v[133:134], v[115:116], v[111:112]
	s_waitcnt vmcnt(18)
	v_fma_f64 v[119:120], v[119:120], v[117:118], v[111:112]
	ds_read2_b64 v[111:114], v110 offset0:83 offset1:84
	ds_read2_b64 v[115:118], v110 offset0:85 offset1:86
	buffer_load_dword v132, off, s[0:3], 0 offset:316
	s_waitcnt vmcnt(18) lgkmcnt(1)
	v_fma_f64 v[111:112], v[143:144], v[111:112], v[119:120]
	s_waitcnt vmcnt(17)
	v_fma_f64 v[111:112], v[141:142], v[113:114], v[111:112]
	buffer_load_dword v120, off, s[0:3], 0 offset:324
	buffer_load_dword v133, off, s[0:3], 0 offset:344
	buffer_load_dword v141, off, s[0:3], 0 offset:336
	buffer_load_dword v143, off, s[0:3], 0 offset:328
	buffer_load_dword v119, off, s[0:3], 0 offset:320
	buffer_load_dword v144, off, s[0:3], 0 offset:332
	buffer_load_dword v142, off, s[0:3], 0 offset:340
	s_waitcnt vmcnt(23) lgkmcnt(0)
	v_fma_f64 v[111:112], v[135:136], v[115:116], v[111:112]
	s_waitcnt vmcnt(18)
	v_fma_f64 v[121:122], v[121:122], v[117:118], v[111:112]
	ds_read2_b64 v[111:114], v110 offset0:87 offset1:88
	ds_read2_b64 v[115:118], v110 offset0:89 offset1:90
	buffer_load_dword v134, off, s[0:3], 0 offset:348
	s_waitcnt vmcnt(18) lgkmcnt(1)
	v_fma_f64 v[111:112], v[129:130], v[111:112], v[121:122]
	s_waitcnt vmcnt(17)
	v_fma_f64 v[111:112], v[127:128], v[113:114], v[111:112]
	buffer_load_dword v122, off, s[0:3], 0 offset:356
	buffer_load_dword v127, off, s[0:3], 0 offset:376
	;; [unrolled: 1-line block ×8, first 2 shown]
	s_waitcnt vmcnt(24) lgkmcnt(0)
	v_fma_f64 v[111:112], v[123:124], v[115:116], v[111:112]
	s_waitcnt vmcnt(19)
	v_fma_f64 v[123:124], v[125:126], v[117:118], v[111:112]
	ds_read2_b64 v[111:114], v110 offset0:91 offset1:92
	ds_read2_b64 v[115:118], v110 offset0:93 offset1:94
	s_waitcnt vmcnt(18) lgkmcnt(1)
	v_fma_f64 v[111:112], v[139:140], v[111:112], v[123:124]
	s_waitcnt vmcnt(17)
	v_fma_f64 v[111:112], v[137:138], v[113:114], v[111:112]
	buffer_load_dword v124, off, s[0:3], 0 offset:388
	buffer_load_dword v125, off, s[0:3], 0 offset:408
	;; [unrolled: 1-line block ×7, first 2 shown]
	s_waitcnt vmcnt(23) lgkmcnt(0)
	v_fma_f64 v[111:112], v[131:132], v[115:116], v[111:112]
	s_waitcnt vmcnt(18)
	v_fma_f64 v[119:120], v[119:120], v[117:118], v[111:112]
	ds_read2_b64 v[111:114], v110 offset0:95 offset1:96
	ds_read2_b64 v[115:118], v110 offset0:97 offset1:98
	buffer_load_dword v126, off, s[0:3], 0 offset:412
	s_waitcnt vmcnt(18) lgkmcnt(1)
	v_fma_f64 v[111:112], v[143:144], v[111:112], v[119:120]
	buffer_load_dword v120, off, s[0:3], 0 offset:420
	buffer_load_dword v131, off, s[0:3], 0 offset:424
	;; [unrolled: 1-line block ×4, first 2 shown]
	s_waitcnt vmcnt(21)
	v_fma_f64 v[111:112], v[141:142], v[113:114], v[111:112]
	s_waitcnt vmcnt(20) lgkmcnt(0)
	v_fma_f64 v[111:112], v[133:134], v[115:116], v[111:112]
	buffer_load_dword v133, off, s[0:3], 0 offset:32
	buffer_load_dword v134, off, s[0:3], 0 offset:36
	s_waitcnt vmcnt(17)
	v_fma_f64 v[121:122], v[121:122], v[117:118], v[111:112]
	ds_read2_b64 v[111:114], v110 offset0:99 offset1:100
	ds_read2_b64 v[115:118], v110 offset0:101 offset1:102
	s_waitcnt vmcnt(16) lgkmcnt(1)
	v_fma_f64 v[111:112], v[135:136], v[111:112], v[121:122]
	s_waitcnt vmcnt(15)
	v_fma_f64 v[111:112], v[129:130], v[113:114], v[111:112]
	s_waitcnt vmcnt(14) lgkmcnt(0)
	v_fma_f64 v[111:112], v[127:128], v[115:116], v[111:112]
	s_waitcnt vmcnt(9)
	v_fma_f64 v[121:122], v[123:124], v[117:118], v[111:112]
	ds_read2_b64 v[111:114], v110 offset0:103 offset1:104
	ds_read2_b64 v[115:118], v110 offset0:105 offset1:106
	s_waitcnt vmcnt(8) lgkmcnt(1)
	v_fma_f64 v[111:112], v[139:140], v[111:112], v[121:122]
	s_waitcnt vmcnt(7)
	v_fma_f64 v[111:112], v[137:138], v[113:114], v[111:112]
	ds_read_b64 v[113:114], v110 offset:856
	s_waitcnt vmcnt(6) lgkmcnt(1)
	v_fma_f64 v[111:112], v[125:126], v[115:116], v[111:112]
	s_waitcnt vmcnt(3)
	v_fma_f64 v[111:112], v[119:120], v[117:118], v[111:112]
	s_waitcnt vmcnt(2) lgkmcnt(0)
	v_fma_f64 v[111:112], v[131:132], v[113:114], v[111:112]
	s_waitcnt vmcnt(0)
	v_add_f64 v[111:112], v[133:134], -v[111:112]
	buffer_store_dword v112, off, s[0:3], 0 offset:36
	buffer_store_dword v111, off, s[0:3], 0 offset:32
	s_and_saveexec_b64 s[4:5], vcc
	s_cbranch_execz .LBB117_325
; %bb.324:
	buffer_load_dword v111, off, s[0:3], 0 offset:24
	buffer_load_dword v112, off, s[0:3], 0 offset:28
	s_waitcnt vmcnt(0)
	ds_write_b64 v109, v[111:112]
	buffer_store_dword v110, off, s[0:3], 0 offset:24
	buffer_store_dword v110, off, s[0:3], 0 offset:28
.LBB117_325:
	s_or_b64 exec, exec, s[4:5]
	s_waitcnt lgkmcnt(0)
	; wave barrier
	buffer_load_dword v119, off, s[0:3], 0 offset:32
	buffer_load_dword v120, off, s[0:3], 0 offset:36
	;; [unrolled: 1-line block ×22, first 2 shown]
	ds_read_b128 v[111:114], v110 offset:464
	ds_read_b128 v[115:118], v110 offset:480
	v_cmp_lt_u32_e32 vcc, 2, v0
	s_waitcnt vmcnt(20) lgkmcnt(1)
	v_fma_f64 v[111:112], v[119:120], v[111:112], 0
	s_waitcnt vmcnt(18)
	v_fma_f64 v[111:112], v[121:122], v[113:114], v[111:112]
	buffer_load_dword v120, off, s[0:3], 0 offset:124
	buffer_load_dword v121, off, s[0:3], 0 offset:144
	;; [unrolled: 1-line block ×7, first 2 shown]
	s_waitcnt vmcnt(23) lgkmcnt(0)
	v_fma_f64 v[111:112], v[123:124], v[115:116], v[111:112]
	s_waitcnt vmcnt(21)
	v_fma_f64 v[122:123], v[125:126], v[117:118], v[111:112]
	ds_read_b128 v[111:114], v110 offset:496
	ds_read_b128 v[115:118], v110 offset:512
	s_waitcnt vmcnt(19) lgkmcnt(1)
	v_fma_f64 v[111:112], v[127:128], v[111:112], v[122:123]
	buffer_load_dword v122, off, s[0:3], 0 offset:148
	s_waitcnt vmcnt(18)
	v_fma_f64 v[111:112], v[129:130], v[113:114], v[111:112]
	buffer_load_dword v124, off, s[0:3], 0 offset:156
	buffer_load_dword v125, off, s[0:3], 0 offset:176
	;; [unrolled: 1-line block ×8, first 2 shown]
	s_waitcnt vmcnt(24) lgkmcnt(0)
	v_fma_f64 v[111:112], v[131:132], v[115:116], v[111:112]
	s_waitcnt vmcnt(19)
	v_fma_f64 v[131:132], v[133:134], v[117:118], v[111:112]
	ds_read_b128 v[111:114], v110 offset:528
	ds_read_b128 v[115:118], v110 offset:544
	s_waitcnt vmcnt(18) lgkmcnt(1)
	v_fma_f64 v[111:112], v[139:140], v[111:112], v[131:132]
	s_waitcnt vmcnt(17)
	v_fma_f64 v[111:112], v[137:138], v[113:114], v[111:112]
	buffer_load_dword v132, off, s[0:3], 0 offset:188
	buffer_load_dword v133, off, s[0:3], 0 offset:208
	;; [unrolled: 1-line block ×8, first 2 shown]
	s_waitcnt vmcnt(24) lgkmcnt(0)
	v_fma_f64 v[111:112], v[135:136], v[115:116], v[111:112]
	s_waitcnt vmcnt(19)
	v_fma_f64 v[119:120], v[119:120], v[117:118], v[111:112]
	ds_read_b128 v[111:114], v110 offset:560
	ds_read_b128 v[115:118], v110 offset:576
	s_waitcnt vmcnt(18) lgkmcnt(1)
	v_fma_f64 v[111:112], v[143:144], v[111:112], v[119:120]
	s_waitcnt vmcnt(17)
	v_fma_f64 v[111:112], v[141:142], v[113:114], v[111:112]
	buffer_load_dword v120, off, s[0:3], 0 offset:220
	buffer_load_dword v135, off, s[0:3], 0 offset:240
	;; [unrolled: 1-line block ×7, first 2 shown]
	s_waitcnt vmcnt(23) lgkmcnt(0)
	v_fma_f64 v[111:112], v[121:122], v[115:116], v[111:112]
	s_waitcnt vmcnt(18)
	v_fma_f64 v[121:122], v[123:124], v[117:118], v[111:112]
	ds_read_b128 v[111:114], v110 offset:592
	ds_read_b128 v[115:118], v110 offset:608
	buffer_load_dword v136, off, s[0:3], 0 offset:244
	s_waitcnt vmcnt(18) lgkmcnt(1)
	v_fma_f64 v[111:112], v[129:130], v[111:112], v[121:122]
	s_waitcnt vmcnt(17)
	v_fma_f64 v[111:112], v[127:128], v[113:114], v[111:112]
	buffer_load_dword v122, off, s[0:3], 0 offset:252
	buffer_load_dword v123, off, s[0:3], 0 offset:272
	buffer_load_dword v127, off, s[0:3], 0 offset:264
	buffer_load_dword v129, off, s[0:3], 0 offset:256
	buffer_load_dword v121, off, s[0:3], 0 offset:248
	buffer_load_dword v130, off, s[0:3], 0 offset:260
	buffer_load_dword v128, off, s[0:3], 0 offset:268
	s_waitcnt vmcnt(23) lgkmcnt(0)
	v_fma_f64 v[111:112], v[125:126], v[115:116], v[111:112]
	s_waitcnt vmcnt(18)
	v_fma_f64 v[124:125], v[131:132], v[117:118], v[111:112]
	ds_read_b128 v[111:114], v110 offset:624
	ds_read_b128 v[115:118], v110 offset:640
	s_waitcnt vmcnt(17) lgkmcnt(1)
	v_fma_f64 v[111:112], v[139:140], v[111:112], v[124:125]
	buffer_load_dword v124, off, s[0:3], 0 offset:276
	s_waitcnt vmcnt(17)
	v_fma_f64 v[111:112], v[137:138], v[113:114], v[111:112]
	buffer_load_dword v126, off, s[0:3], 0 offset:284
	buffer_load_dword v131, off, s[0:3], 0 offset:304
	;; [unrolled: 1-line block ×8, first 2 shown]
	s_waitcnt vmcnt(24) lgkmcnt(0)
	v_fma_f64 v[111:112], v[133:134], v[115:116], v[111:112]
	s_waitcnt vmcnt(19)
	v_fma_f64 v[119:120], v[119:120], v[117:118], v[111:112]
	ds_read_b128 v[111:114], v110 offset:656
	ds_read_b128 v[115:118], v110 offset:672
	s_waitcnt vmcnt(18) lgkmcnt(1)
	v_fma_f64 v[111:112], v[143:144], v[111:112], v[119:120]
	s_waitcnt vmcnt(17)
	v_fma_f64 v[111:112], v[141:142], v[113:114], v[111:112]
	buffer_load_dword v120, off, s[0:3], 0 offset:316
	buffer_load_dword v133, off, s[0:3], 0 offset:336
	;; [unrolled: 1-line block ×7, first 2 shown]
	s_waitcnt vmcnt(23) lgkmcnt(0)
	v_fma_f64 v[111:112], v[135:136], v[115:116], v[111:112]
	s_waitcnt vmcnt(18)
	v_fma_f64 v[121:122], v[121:122], v[117:118], v[111:112]
	ds_read_b128 v[111:114], v110 offset:688
	ds_read_b128 v[115:118], v110 offset:704
	buffer_load_dword v134, off, s[0:3], 0 offset:340
	s_waitcnt vmcnt(18) lgkmcnt(1)
	v_fma_f64 v[111:112], v[129:130], v[111:112], v[121:122]
	s_waitcnt vmcnt(17)
	v_fma_f64 v[111:112], v[127:128], v[113:114], v[111:112]
	buffer_load_dword v122, off, s[0:3], 0 offset:348
	buffer_load_dword v127, off, s[0:3], 0 offset:368
	;; [unrolled: 1-line block ×8, first 2 shown]
	s_waitcnt vmcnt(24) lgkmcnt(0)
	v_fma_f64 v[111:112], v[123:124], v[115:116], v[111:112]
	s_waitcnt vmcnt(19)
	v_fma_f64 v[123:124], v[125:126], v[117:118], v[111:112]
	ds_read_b128 v[111:114], v110 offset:720
	ds_read_b128 v[115:118], v110 offset:736
	s_waitcnt vmcnt(18) lgkmcnt(1)
	v_fma_f64 v[111:112], v[139:140], v[111:112], v[123:124]
	s_waitcnt vmcnt(17)
	v_fma_f64 v[111:112], v[137:138], v[113:114], v[111:112]
	buffer_load_dword v124, off, s[0:3], 0 offset:380
	buffer_load_dword v125, off, s[0:3], 0 offset:400
	;; [unrolled: 1-line block ×8, first 2 shown]
	s_waitcnt vmcnt(24) lgkmcnt(0)
	v_fma_f64 v[111:112], v[131:132], v[115:116], v[111:112]
	s_waitcnt vmcnt(19)
	v_fma_f64 v[119:120], v[119:120], v[117:118], v[111:112]
	ds_read_b128 v[111:114], v110 offset:752
	ds_read_b128 v[115:118], v110 offset:768
	s_waitcnt vmcnt(18) lgkmcnt(1)
	v_fma_f64 v[111:112], v[143:144], v[111:112], v[119:120]
	s_waitcnt vmcnt(17)
	v_fma_f64 v[111:112], v[141:142], v[113:114], v[111:112]
	buffer_load_dword v120, off, s[0:3], 0 offset:412
	buffer_load_dword v131, off, s[0:3], 0 offset:424
	;; [unrolled: 1-line block ×6, first 2 shown]
	s_waitcnt vmcnt(22) lgkmcnt(0)
	v_fma_f64 v[111:112], v[133:134], v[115:116], v[111:112]
	s_waitcnt vmcnt(17)
	v_fma_f64 v[121:122], v[121:122], v[117:118], v[111:112]
	ds_read_b128 v[111:114], v110 offset:784
	buffer_load_dword v133, off, s[0:3], 0 offset:24
	buffer_load_dword v134, off, s[0:3], 0 offset:28
	ds_read_b128 v[115:118], v110 offset:800
	s_waitcnt vmcnt(18) lgkmcnt(1)
	v_fma_f64 v[111:112], v[135:136], v[111:112], v[121:122]
	s_waitcnt vmcnt(17)
	v_fma_f64 v[111:112], v[129:130], v[113:114], v[111:112]
	s_waitcnt vmcnt(16) lgkmcnt(0)
	v_fma_f64 v[111:112], v[127:128], v[115:116], v[111:112]
	s_waitcnt vmcnt(11)
	v_fma_f64 v[121:122], v[123:124], v[117:118], v[111:112]
	ds_read_b128 v[111:114], v110 offset:816
	ds_read_b128 v[115:118], v110 offset:832
	s_waitcnt vmcnt(10) lgkmcnt(1)
	v_fma_f64 v[111:112], v[139:140], v[111:112], v[121:122]
	s_waitcnt vmcnt(9)
	v_fma_f64 v[111:112], v[137:138], v[113:114], v[111:112]
	s_waitcnt vmcnt(8) lgkmcnt(0)
	v_fma_f64 v[111:112], v[125:126], v[115:116], v[111:112]
	s_waitcnt vmcnt(4)
	v_fma_f64 v[114:115], v[119:120], v[117:118], v[111:112]
	ds_read_b128 v[110:113], v110 offset:848
	s_waitcnt vmcnt(3) lgkmcnt(0)
	v_fma_f64 v[110:111], v[141:142], v[110:111], v[114:115]
	s_waitcnt vmcnt(2)
	v_fma_f64 v[110:111], v[131:132], v[112:113], v[110:111]
	s_waitcnt vmcnt(0)
	v_add_f64 v[110:111], v[133:134], -v[110:111]
	buffer_store_dword v111, off, s[0:3], 0 offset:28
	buffer_store_dword v110, off, s[0:3], 0 offset:24
	s_and_saveexec_b64 s[4:5], vcc
	s_cbranch_execz .LBB117_327
; %bb.326:
	buffer_load_dword v110, off, s[0:3], 0 offset:16
	buffer_load_dword v111, off, s[0:3], 0 offset:20
	v_mov_b32_e32 v112, 0
	buffer_store_dword v112, off, s[0:3], 0 offset:16
	buffer_store_dword v112, off, s[0:3], 0 offset:20
	s_waitcnt vmcnt(2)
	ds_write_b64 v109, v[110:111]
.LBB117_327:
	s_or_b64 exec, exec, s[4:5]
	s_waitcnt lgkmcnt(0)
	; wave barrier
	buffer_load_dword v119, off, s[0:3], 0 offset:24
	buffer_load_dword v120, off, s[0:3], 0 offset:28
	;; [unrolled: 1-line block ×22, first 2 shown]
	v_mov_b32_e32 v110, 0
	ds_read2_b64 v[111:114], v110 offset0:57 offset1:58
	ds_read2_b64 v[115:118], v110 offset0:59 offset1:60
	v_cmp_lt_u32_e32 vcc, 1, v0
	s_waitcnt vmcnt(20) lgkmcnt(1)
	v_fma_f64 v[111:112], v[119:120], v[111:112], 0
	s_waitcnt vmcnt(18)
	v_fma_f64 v[111:112], v[121:122], v[113:114], v[111:112]
	buffer_load_dword v120, off, s[0:3], 0 offset:116
	buffer_load_dword v121, off, s[0:3], 0 offset:136
	;; [unrolled: 1-line block ×7, first 2 shown]
	s_waitcnt vmcnt(23) lgkmcnt(0)
	v_fma_f64 v[111:112], v[123:124], v[115:116], v[111:112]
	s_waitcnt vmcnt(21)
	v_fma_f64 v[122:123], v[125:126], v[117:118], v[111:112]
	ds_read2_b64 v[111:114], v110 offset0:61 offset1:62
	ds_read2_b64 v[115:118], v110 offset0:63 offset1:64
	s_waitcnt vmcnt(19) lgkmcnt(1)
	v_fma_f64 v[111:112], v[127:128], v[111:112], v[122:123]
	buffer_load_dword v122, off, s[0:3], 0 offset:140
	s_waitcnt vmcnt(18)
	v_fma_f64 v[111:112], v[129:130], v[113:114], v[111:112]
	buffer_load_dword v124, off, s[0:3], 0 offset:148
	buffer_load_dword v125, off, s[0:3], 0 offset:168
	;; [unrolled: 1-line block ×8, first 2 shown]
	s_waitcnt vmcnt(24) lgkmcnt(0)
	v_fma_f64 v[111:112], v[131:132], v[115:116], v[111:112]
	s_waitcnt vmcnt(19)
	v_fma_f64 v[131:132], v[133:134], v[117:118], v[111:112]
	ds_read2_b64 v[111:114], v110 offset0:65 offset1:66
	ds_read2_b64 v[115:118], v110 offset0:67 offset1:68
	s_waitcnt vmcnt(18) lgkmcnt(1)
	v_fma_f64 v[111:112], v[139:140], v[111:112], v[131:132]
	s_waitcnt vmcnt(17)
	v_fma_f64 v[111:112], v[137:138], v[113:114], v[111:112]
	buffer_load_dword v132, off, s[0:3], 0 offset:180
	buffer_load_dword v133, off, s[0:3], 0 offset:200
	;; [unrolled: 1-line block ×8, first 2 shown]
	s_waitcnt vmcnt(24) lgkmcnt(0)
	v_fma_f64 v[111:112], v[135:136], v[115:116], v[111:112]
	s_waitcnt vmcnt(19)
	v_fma_f64 v[119:120], v[119:120], v[117:118], v[111:112]
	ds_read2_b64 v[111:114], v110 offset0:69 offset1:70
	ds_read2_b64 v[115:118], v110 offset0:71 offset1:72
	s_waitcnt vmcnt(18) lgkmcnt(1)
	v_fma_f64 v[111:112], v[143:144], v[111:112], v[119:120]
	s_waitcnt vmcnt(17)
	v_fma_f64 v[111:112], v[141:142], v[113:114], v[111:112]
	buffer_load_dword v120, off, s[0:3], 0 offset:212
	buffer_load_dword v135, off, s[0:3], 0 offset:232
	;; [unrolled: 1-line block ×7, first 2 shown]
	s_waitcnt vmcnt(23) lgkmcnt(0)
	v_fma_f64 v[111:112], v[121:122], v[115:116], v[111:112]
	s_waitcnt vmcnt(18)
	v_fma_f64 v[121:122], v[123:124], v[117:118], v[111:112]
	ds_read2_b64 v[111:114], v110 offset0:73 offset1:74
	ds_read2_b64 v[115:118], v110 offset0:75 offset1:76
	buffer_load_dword v136, off, s[0:3], 0 offset:236
	s_waitcnt vmcnt(18) lgkmcnt(1)
	v_fma_f64 v[111:112], v[129:130], v[111:112], v[121:122]
	s_waitcnt vmcnt(17)
	v_fma_f64 v[111:112], v[127:128], v[113:114], v[111:112]
	buffer_load_dword v122, off, s[0:3], 0 offset:244
	buffer_load_dword v123, off, s[0:3], 0 offset:264
	;; [unrolled: 1-line block ×7, first 2 shown]
	s_waitcnt vmcnt(23) lgkmcnt(0)
	v_fma_f64 v[111:112], v[125:126], v[115:116], v[111:112]
	s_waitcnt vmcnt(18)
	v_fma_f64 v[124:125], v[131:132], v[117:118], v[111:112]
	ds_read2_b64 v[111:114], v110 offset0:77 offset1:78
	ds_read2_b64 v[115:118], v110 offset0:79 offset1:80
	s_waitcnt vmcnt(17) lgkmcnt(1)
	v_fma_f64 v[111:112], v[139:140], v[111:112], v[124:125]
	buffer_load_dword v124, off, s[0:3], 0 offset:268
	s_waitcnt vmcnt(17)
	v_fma_f64 v[111:112], v[137:138], v[113:114], v[111:112]
	buffer_load_dword v126, off, s[0:3], 0 offset:276
	buffer_load_dword v131, off, s[0:3], 0 offset:296
	;; [unrolled: 1-line block ×8, first 2 shown]
	s_waitcnt vmcnt(24) lgkmcnt(0)
	v_fma_f64 v[111:112], v[133:134], v[115:116], v[111:112]
	s_waitcnt vmcnt(19)
	v_fma_f64 v[119:120], v[119:120], v[117:118], v[111:112]
	ds_read2_b64 v[111:114], v110 offset0:81 offset1:82
	ds_read2_b64 v[115:118], v110 offset0:83 offset1:84
	s_waitcnt vmcnt(18) lgkmcnt(1)
	v_fma_f64 v[111:112], v[143:144], v[111:112], v[119:120]
	s_waitcnt vmcnt(17)
	v_fma_f64 v[111:112], v[141:142], v[113:114], v[111:112]
	buffer_load_dword v120, off, s[0:3], 0 offset:308
	buffer_load_dword v133, off, s[0:3], 0 offset:328
	;; [unrolled: 1-line block ×7, first 2 shown]
	s_waitcnt vmcnt(23) lgkmcnt(0)
	v_fma_f64 v[111:112], v[135:136], v[115:116], v[111:112]
	s_waitcnt vmcnt(18)
	v_fma_f64 v[121:122], v[121:122], v[117:118], v[111:112]
	ds_read2_b64 v[111:114], v110 offset0:85 offset1:86
	ds_read2_b64 v[115:118], v110 offset0:87 offset1:88
	buffer_load_dword v134, off, s[0:3], 0 offset:332
	s_waitcnt vmcnt(18) lgkmcnt(1)
	v_fma_f64 v[111:112], v[129:130], v[111:112], v[121:122]
	s_waitcnt vmcnt(17)
	v_fma_f64 v[111:112], v[127:128], v[113:114], v[111:112]
	buffer_load_dword v122, off, s[0:3], 0 offset:340
	buffer_load_dword v127, off, s[0:3], 0 offset:360
	buffer_load_dword v129, off, s[0:3], 0 offset:352
	buffer_load_dword v135, off, s[0:3], 0 offset:344
	buffer_load_dword v121, off, s[0:3], 0 offset:336
	buffer_load_dword v136, off, s[0:3], 0 offset:348
	buffer_load_dword v130, off, s[0:3], 0 offset:356
	buffer_load_dword v128, off, s[0:3], 0 offset:364
	s_waitcnt vmcnt(24) lgkmcnt(0)
	v_fma_f64 v[111:112], v[123:124], v[115:116], v[111:112]
	s_waitcnt vmcnt(19)
	v_fma_f64 v[123:124], v[125:126], v[117:118], v[111:112]
	ds_read2_b64 v[111:114], v110 offset0:89 offset1:90
	ds_read2_b64 v[115:118], v110 offset0:91 offset1:92
	s_waitcnt vmcnt(18) lgkmcnt(1)
	v_fma_f64 v[111:112], v[139:140], v[111:112], v[123:124]
	s_waitcnt vmcnt(17)
	v_fma_f64 v[111:112], v[137:138], v[113:114], v[111:112]
	buffer_load_dword v124, off, s[0:3], 0 offset:372
	buffer_load_dword v125, off, s[0:3], 0 offset:392
	buffer_load_dword v137, off, s[0:3], 0 offset:384
	buffer_load_dword v139, off, s[0:3], 0 offset:376
	buffer_load_dword v123, off, s[0:3], 0 offset:368
	buffer_load_dword v140, off, s[0:3], 0 offset:380
	buffer_load_dword v138, off, s[0:3], 0 offset:388
	buffer_load_dword v126, off, s[0:3], 0 offset:396
	s_waitcnt vmcnt(24) lgkmcnt(0)
	v_fma_f64 v[111:112], v[131:132], v[115:116], v[111:112]
	s_waitcnt vmcnt(19)
	v_fma_f64 v[119:120], v[119:120], v[117:118], v[111:112]
	ds_read2_b64 v[111:114], v110 offset0:93 offset1:94
	ds_read2_b64 v[115:118], v110 offset0:95 offset1:96
	;; [unrolled: 18-line block ×3, first 2 shown]
	s_waitcnt vmcnt(18) lgkmcnt(1)
	v_fma_f64 v[111:112], v[135:136], v[111:112], v[121:122]
	buffer_load_dword v121, off, s[0:3], 0 offset:16
	buffer_load_dword v122, off, s[0:3], 0 offset:20
	s_waitcnt vmcnt(19)
	v_fma_f64 v[111:112], v[129:130], v[113:114], v[111:112]
	s_waitcnt vmcnt(18) lgkmcnt(0)
	v_fma_f64 v[111:112], v[127:128], v[115:116], v[111:112]
	s_waitcnt vmcnt(13)
	v_fma_f64 v[123:124], v[123:124], v[117:118], v[111:112]
	ds_read2_b64 v[111:114], v110 offset0:101 offset1:102
	ds_read2_b64 v[115:118], v110 offset0:103 offset1:104
	s_waitcnt vmcnt(12) lgkmcnt(1)
	v_fma_f64 v[111:112], v[139:140], v[111:112], v[123:124]
	s_waitcnt vmcnt(11)
	v_fma_f64 v[111:112], v[137:138], v[113:114], v[111:112]
	s_waitcnt vmcnt(10) lgkmcnt(0)
	v_fma_f64 v[111:112], v[125:126], v[115:116], v[111:112]
	s_waitcnt vmcnt(5)
	v_fma_f64 v[115:116], v[119:120], v[117:118], v[111:112]
	ds_read2_b64 v[111:114], v110 offset0:105 offset1:106
	ds_read_b64 v[117:118], v110 offset:856
	s_waitcnt vmcnt(4) lgkmcnt(1)
	v_fma_f64 v[111:112], v[143:144], v[111:112], v[115:116]
	s_waitcnt vmcnt(3)
	v_fma_f64 v[111:112], v[141:142], v[113:114], v[111:112]
	s_waitcnt vmcnt(2) lgkmcnt(0)
	v_fma_f64 v[111:112], v[131:132], v[117:118], v[111:112]
	s_waitcnt vmcnt(0)
	v_add_f64 v[111:112], v[121:122], -v[111:112]
	buffer_store_dword v112, off, s[0:3], 0 offset:20
	buffer_store_dword v111, off, s[0:3], 0 offset:16
	s_and_saveexec_b64 s[4:5], vcc
	s_cbranch_execz .LBB117_329
; %bb.328:
	buffer_load_dword v111, off, s[0:3], 0 offset:8
	buffer_load_dword v112, off, s[0:3], 0 offset:12
	s_waitcnt vmcnt(0)
	ds_write_b64 v109, v[111:112]
	buffer_store_dword v110, off, s[0:3], 0 offset:8
	buffer_store_dword v110, off, s[0:3], 0 offset:12
.LBB117_329:
	s_or_b64 exec, exec, s[4:5]
	s_waitcnt lgkmcnt(0)
	; wave barrier
	buffer_load_dword v119, off, s[0:3], 0 offset:16
	buffer_load_dword v120, off, s[0:3], 0 offset:20
	buffer_load_dword v121, off, s[0:3], 0 offset:24
	buffer_load_dword v122, off, s[0:3], 0 offset:28
	buffer_load_dword v123, off, s[0:3], 0 offset:32
	buffer_load_dword v124, off, s[0:3], 0 offset:36
	buffer_load_dword v125, off, s[0:3], 0 offset:40
	buffer_load_dword v126, off, s[0:3], 0 offset:44
	buffer_load_dword v127, off, s[0:3], 0 offset:48
	buffer_load_dword v128, off, s[0:3], 0 offset:52
	buffer_load_dword v129, off, s[0:3], 0 offset:56
	buffer_load_dword v130, off, s[0:3], 0 offset:60
	buffer_load_dword v131, off, s[0:3], 0 offset:64
	buffer_load_dword v132, off, s[0:3], 0 offset:68
	buffer_load_dword v134, off, s[0:3], 0 offset:76
	buffer_load_dword v135, off, s[0:3], 0 offset:96
	buffer_load_dword v137, off, s[0:3], 0 offset:88
	buffer_load_dword v139, off, s[0:3], 0 offset:80
	buffer_load_dword v133, off, s[0:3], 0 offset:72
	buffer_load_dword v140, off, s[0:3], 0 offset:84
	buffer_load_dword v138, off, s[0:3], 0 offset:92
	buffer_load_dword v136, off, s[0:3], 0 offset:100
	ds_read_b128 v[111:114], v110 offset:448
	ds_read_b128 v[115:118], v110 offset:464
	v_cmp_ne_u32_e32 vcc, 0, v0
	s_waitcnt vmcnt(20) lgkmcnt(1)
	v_fma_f64 v[111:112], v[119:120], v[111:112], 0
	s_waitcnt vmcnt(18)
	v_fma_f64 v[111:112], v[121:122], v[113:114], v[111:112]
	buffer_load_dword v120, off, s[0:3], 0 offset:108
	buffer_load_dword v121, off, s[0:3], 0 offset:128
	;; [unrolled: 1-line block ×7, first 2 shown]
	s_waitcnt vmcnt(23) lgkmcnt(0)
	v_fma_f64 v[111:112], v[123:124], v[115:116], v[111:112]
	s_waitcnt vmcnt(21)
	v_fma_f64 v[122:123], v[125:126], v[117:118], v[111:112]
	ds_read_b128 v[111:114], v110 offset:480
	ds_read_b128 v[115:118], v110 offset:496
	s_waitcnt vmcnt(19) lgkmcnt(1)
	v_fma_f64 v[111:112], v[127:128], v[111:112], v[122:123]
	buffer_load_dword v122, off, s[0:3], 0 offset:132
	s_waitcnt vmcnt(18)
	v_fma_f64 v[111:112], v[129:130], v[113:114], v[111:112]
	buffer_load_dword v124, off, s[0:3], 0 offset:140
	buffer_load_dword v125, off, s[0:3], 0 offset:160
	;; [unrolled: 1-line block ×8, first 2 shown]
	s_waitcnt vmcnt(24) lgkmcnt(0)
	v_fma_f64 v[111:112], v[131:132], v[115:116], v[111:112]
	s_waitcnt vmcnt(19)
	v_fma_f64 v[131:132], v[133:134], v[117:118], v[111:112]
	ds_read_b128 v[111:114], v110 offset:512
	ds_read_b128 v[115:118], v110 offset:528
	s_waitcnt vmcnt(18) lgkmcnt(1)
	v_fma_f64 v[111:112], v[139:140], v[111:112], v[131:132]
	s_waitcnt vmcnt(17)
	v_fma_f64 v[111:112], v[137:138], v[113:114], v[111:112]
	buffer_load_dword v132, off, s[0:3], 0 offset:172
	buffer_load_dword v133, off, s[0:3], 0 offset:192
	;; [unrolled: 1-line block ×8, first 2 shown]
	s_waitcnt vmcnt(24) lgkmcnt(0)
	v_fma_f64 v[111:112], v[135:136], v[115:116], v[111:112]
	s_waitcnt vmcnt(19)
	v_fma_f64 v[119:120], v[119:120], v[117:118], v[111:112]
	ds_read_b128 v[111:114], v110 offset:544
	ds_read_b128 v[115:118], v110 offset:560
	s_waitcnt vmcnt(18) lgkmcnt(1)
	v_fma_f64 v[111:112], v[143:144], v[111:112], v[119:120]
	s_waitcnt vmcnt(17)
	v_fma_f64 v[111:112], v[141:142], v[113:114], v[111:112]
	buffer_load_dword v120, off, s[0:3], 0 offset:204
	buffer_load_dword v135, off, s[0:3], 0 offset:224
	;; [unrolled: 1-line block ×7, first 2 shown]
	s_waitcnt vmcnt(23) lgkmcnt(0)
	v_fma_f64 v[111:112], v[121:122], v[115:116], v[111:112]
	s_waitcnt vmcnt(18)
	v_fma_f64 v[121:122], v[123:124], v[117:118], v[111:112]
	ds_read_b128 v[111:114], v110 offset:576
	ds_read_b128 v[115:118], v110 offset:592
	buffer_load_dword v136, off, s[0:3], 0 offset:228
	s_waitcnt vmcnt(18) lgkmcnt(1)
	v_fma_f64 v[111:112], v[129:130], v[111:112], v[121:122]
	s_waitcnt vmcnt(17)
	v_fma_f64 v[111:112], v[127:128], v[113:114], v[111:112]
	buffer_load_dword v122, off, s[0:3], 0 offset:236
	buffer_load_dword v123, off, s[0:3], 0 offset:256
	;; [unrolled: 1-line block ×7, first 2 shown]
	s_waitcnt vmcnt(23) lgkmcnt(0)
	v_fma_f64 v[111:112], v[125:126], v[115:116], v[111:112]
	s_waitcnt vmcnt(18)
	v_fma_f64 v[124:125], v[131:132], v[117:118], v[111:112]
	ds_read_b128 v[111:114], v110 offset:608
	ds_read_b128 v[115:118], v110 offset:624
	s_waitcnt vmcnt(17) lgkmcnt(1)
	v_fma_f64 v[111:112], v[139:140], v[111:112], v[124:125]
	buffer_load_dword v124, off, s[0:3], 0 offset:260
	s_waitcnt vmcnt(17)
	v_fma_f64 v[111:112], v[137:138], v[113:114], v[111:112]
	buffer_load_dword v126, off, s[0:3], 0 offset:268
	buffer_load_dword v131, off, s[0:3], 0 offset:288
	;; [unrolled: 1-line block ×8, first 2 shown]
	s_waitcnt vmcnt(24) lgkmcnt(0)
	v_fma_f64 v[111:112], v[133:134], v[115:116], v[111:112]
	s_waitcnt vmcnt(19)
	v_fma_f64 v[119:120], v[119:120], v[117:118], v[111:112]
	ds_read_b128 v[111:114], v110 offset:640
	ds_read_b128 v[115:118], v110 offset:656
	s_waitcnt vmcnt(18) lgkmcnt(1)
	v_fma_f64 v[111:112], v[143:144], v[111:112], v[119:120]
	s_waitcnt vmcnt(17)
	v_fma_f64 v[111:112], v[141:142], v[113:114], v[111:112]
	buffer_load_dword v120, off, s[0:3], 0 offset:300
	buffer_load_dword v133, off, s[0:3], 0 offset:320
	;; [unrolled: 1-line block ×7, first 2 shown]
	s_waitcnt vmcnt(23) lgkmcnt(0)
	v_fma_f64 v[111:112], v[135:136], v[115:116], v[111:112]
	s_waitcnt vmcnt(18)
	v_fma_f64 v[121:122], v[121:122], v[117:118], v[111:112]
	ds_read_b128 v[111:114], v110 offset:672
	ds_read_b128 v[115:118], v110 offset:688
	buffer_load_dword v134, off, s[0:3], 0 offset:324
	s_waitcnt vmcnt(18) lgkmcnt(1)
	v_fma_f64 v[111:112], v[129:130], v[111:112], v[121:122]
	s_waitcnt vmcnt(17)
	v_fma_f64 v[111:112], v[127:128], v[113:114], v[111:112]
	buffer_load_dword v122, off, s[0:3], 0 offset:332
	buffer_load_dword v127, off, s[0:3], 0 offset:352
	buffer_load_dword v129, off, s[0:3], 0 offset:344
	buffer_load_dword v135, off, s[0:3], 0 offset:336
	buffer_load_dword v121, off, s[0:3], 0 offset:328
	buffer_load_dword v136, off, s[0:3], 0 offset:340
	buffer_load_dword v130, off, s[0:3], 0 offset:348
	buffer_load_dword v128, off, s[0:3], 0 offset:356
	s_waitcnt vmcnt(24) lgkmcnt(0)
	v_fma_f64 v[111:112], v[123:124], v[115:116], v[111:112]
	s_waitcnt vmcnt(19)
	v_fma_f64 v[123:124], v[125:126], v[117:118], v[111:112]
	ds_read_b128 v[111:114], v110 offset:704
	ds_read_b128 v[115:118], v110 offset:720
	s_waitcnt vmcnt(18) lgkmcnt(1)
	v_fma_f64 v[111:112], v[139:140], v[111:112], v[123:124]
	s_waitcnt vmcnt(17)
	v_fma_f64 v[111:112], v[137:138], v[113:114], v[111:112]
	buffer_load_dword v124, off, s[0:3], 0 offset:364
	buffer_load_dword v125, off, s[0:3], 0 offset:384
	buffer_load_dword v137, off, s[0:3], 0 offset:376
	buffer_load_dword v139, off, s[0:3], 0 offset:368
	buffer_load_dword v123, off, s[0:3], 0 offset:360
	buffer_load_dword v140, off, s[0:3], 0 offset:372
	buffer_load_dword v138, off, s[0:3], 0 offset:380
	buffer_load_dword v126, off, s[0:3], 0 offset:388
	s_waitcnt vmcnt(24) lgkmcnt(0)
	v_fma_f64 v[111:112], v[131:132], v[115:116], v[111:112]
	s_waitcnt vmcnt(19)
	v_fma_f64 v[119:120], v[119:120], v[117:118], v[111:112]
	ds_read_b128 v[111:114], v110 offset:736
	ds_read_b128 v[115:118], v110 offset:752
	;; [unrolled: 18-line block ×3, first 2 shown]
	s_waitcnt vmcnt(18) lgkmcnt(1)
	v_fma_f64 v[111:112], v[135:136], v[111:112], v[121:122]
	buffer_load_dword v122, off, s[0:3], 0 offset:428
	buffer_load_dword v121, off, s[0:3], 0 offset:424
	s_waitcnt vmcnt(19)
	v_fma_f64 v[111:112], v[129:130], v[113:114], v[111:112]
	buffer_load_dword v129, off, s[0:3], 0 offset:8
	buffer_load_dword v130, off, s[0:3], 0 offset:12
	s_waitcnt vmcnt(20) lgkmcnt(0)
	v_fma_f64 v[111:112], v[127:128], v[115:116], v[111:112]
	s_waitcnt vmcnt(15)
	v_fma_f64 v[123:124], v[123:124], v[117:118], v[111:112]
	ds_read_b128 v[111:114], v110 offset:800
	ds_read_b128 v[115:118], v110 offset:816
	s_waitcnt vmcnt(14) lgkmcnt(1)
	v_fma_f64 v[111:112], v[139:140], v[111:112], v[123:124]
	s_waitcnt vmcnt(13)
	v_fma_f64 v[111:112], v[137:138], v[113:114], v[111:112]
	s_waitcnt vmcnt(12) lgkmcnt(0)
	v_fma_f64 v[111:112], v[125:126], v[115:116], v[111:112]
	s_waitcnt vmcnt(7)
	v_fma_f64 v[119:120], v[119:120], v[117:118], v[111:112]
	ds_read_b128 v[111:114], v110 offset:832
	ds_read_b128 v[115:118], v110 offset:848
	s_waitcnt vmcnt(6) lgkmcnt(1)
	v_fma_f64 v[110:111], v[143:144], v[111:112], v[119:120]
	s_waitcnt vmcnt(5)
	v_fma_f64 v[110:111], v[141:142], v[113:114], v[110:111]
	s_waitcnt vmcnt(4) lgkmcnt(0)
	v_fma_f64 v[110:111], v[131:132], v[115:116], v[110:111]
	s_waitcnt vmcnt(2)
	v_fma_f64 v[110:111], v[121:122], v[117:118], v[110:111]
	s_waitcnt vmcnt(0)
	v_add_f64 v[110:111], v[129:130], -v[110:111]
	buffer_store_dword v111, off, s[0:3], 0 offset:12
	buffer_store_dword v110, off, s[0:3], 0 offset:8
	s_and_saveexec_b64 s[4:5], vcc
	s_cbranch_execz .LBB117_331
; %bb.330:
	buffer_load_dword v110, off, s[0:3], 0
	buffer_load_dword v111, off, s[0:3], 0 offset:4
	v_mov_b32_e32 v0, 0
	buffer_store_dword v0, off, s[0:3], 0
	buffer_store_dword v0, off, s[0:3], 0 offset:4
	s_waitcnt vmcnt(2)
	ds_write_b64 v109, v[110:111]
.LBB117_331:
	s_or_b64 exec, exec, s[4:5]
	s_waitcnt lgkmcnt(0)
	; wave barrier
	buffer_load_dword v117, off, s[0:3], 0 offset:8
	buffer_load_dword v118, off, s[0:3], 0 offset:12
	;; [unrolled: 1-line block ×22, first 2 shown]
	v_mov_b32_e32 v0, 0
	ds_read2_b64 v[109:112], v0 offset0:55 offset1:56
	ds_read2_b64 v[113:116], v0 offset0:57 offset1:58
	s_and_b64 vcc, exec, s[14:15]
	s_waitcnt vmcnt(20) lgkmcnt(1)
	v_fma_f64 v[109:110], v[117:118], v[109:110], 0
	s_waitcnt vmcnt(18)
	v_fma_f64 v[109:110], v[119:120], v[111:112], v[109:110]
	buffer_load_dword v118, off, s[0:3], 0 offset:100
	buffer_load_dword v119, off, s[0:3], 0 offset:120
	buffer_load_dword v139, off, s[0:3], 0 offset:112
	buffer_load_dword v141, off, s[0:3], 0 offset:104
	buffer_load_dword v117, off, s[0:3], 0 offset:96
	buffer_load_dword v142, off, s[0:3], 0 offset:108
	buffer_load_dword v140, off, s[0:3], 0 offset:116
	s_waitcnt vmcnt(23) lgkmcnt(0)
	v_fma_f64 v[109:110], v[121:122], v[113:114], v[109:110]
	s_waitcnt vmcnt(21)
	v_fma_f64 v[120:121], v[123:124], v[115:116], v[109:110]
	ds_read2_b64 v[109:112], v0 offset0:59 offset1:60
	ds_read2_b64 v[113:116], v0 offset0:61 offset1:62
	s_waitcnt vmcnt(19) lgkmcnt(1)
	v_fma_f64 v[109:110], v[125:126], v[109:110], v[120:121]
	buffer_load_dword v120, off, s[0:3], 0 offset:124
	s_waitcnt vmcnt(18)
	v_fma_f64 v[109:110], v[127:128], v[111:112], v[109:110]
	buffer_load_dword v122, off, s[0:3], 0 offset:132
	buffer_load_dword v123, off, s[0:3], 0 offset:152
	;; [unrolled: 1-line block ×7, first 2 shown]
	s_waitcnt vmcnt(23) lgkmcnt(0)
	v_fma_f64 v[109:110], v[129:130], v[113:114], v[109:110]
	s_waitcnt vmcnt(18)
	v_fma_f64 v[129:130], v[131:132], v[115:116], v[109:110]
	ds_read2_b64 v[109:112], v0 offset0:63 offset1:64
	ds_read2_b64 v[113:116], v0 offset0:65 offset1:66
	buffer_load_dword v124, off, s[0:3], 0 offset:156
	s_waitcnt vmcnt(18) lgkmcnt(1)
	v_fma_f64 v[109:110], v[137:138], v[109:110], v[129:130]
	s_waitcnt vmcnt(17)
	v_fma_f64 v[109:110], v[135:136], v[111:112], v[109:110]
	buffer_load_dword v130, off, s[0:3], 0 offset:164
	buffer_load_dword v131, off, s[0:3], 0 offset:184
	;; [unrolled: 1-line block ×8, first 2 shown]
	s_waitcnt vmcnt(24) lgkmcnt(0)
	v_fma_f64 v[109:110], v[133:134], v[113:114], v[109:110]
	s_waitcnt vmcnt(19)
	v_fma_f64 v[117:118], v[117:118], v[115:116], v[109:110]
	ds_read2_b64 v[109:112], v0 offset0:67 offset1:68
	ds_read2_b64 v[113:116], v0 offset0:69 offset1:70
	s_waitcnt vmcnt(18) lgkmcnt(1)
	v_fma_f64 v[109:110], v[141:142], v[109:110], v[117:118]
	s_waitcnt vmcnt(17)
	v_fma_f64 v[109:110], v[139:140], v[111:112], v[109:110]
	buffer_load_dword v118, off, s[0:3], 0 offset:196
	buffer_load_dword v133, off, s[0:3], 0 offset:216
	;; [unrolled: 1-line block ×7, first 2 shown]
	s_waitcnt vmcnt(23) lgkmcnt(0)
	v_fma_f64 v[109:110], v[119:120], v[113:114], v[109:110]
	s_waitcnt vmcnt(18)
	v_fma_f64 v[119:120], v[121:122], v[115:116], v[109:110]
	ds_read2_b64 v[109:112], v0 offset0:71 offset1:72
	ds_read2_b64 v[113:116], v0 offset0:73 offset1:74
	buffer_load_dword v134, off, s[0:3], 0 offset:220
	s_waitcnt vmcnt(18) lgkmcnt(1)
	v_fma_f64 v[109:110], v[127:128], v[109:110], v[119:120]
	s_waitcnt vmcnt(17)
	v_fma_f64 v[109:110], v[125:126], v[111:112], v[109:110]
	buffer_load_dword v120, off, s[0:3], 0 offset:228
	buffer_load_dword v121, off, s[0:3], 0 offset:248
	;; [unrolled: 1-line block ×7, first 2 shown]
	s_waitcnt vmcnt(23) lgkmcnt(0)
	v_fma_f64 v[109:110], v[123:124], v[113:114], v[109:110]
	s_waitcnt vmcnt(18)
	v_fma_f64 v[122:123], v[129:130], v[115:116], v[109:110]
	ds_read2_b64 v[109:112], v0 offset0:75 offset1:76
	ds_read2_b64 v[113:116], v0 offset0:77 offset1:78
	s_waitcnt vmcnt(17) lgkmcnt(1)
	v_fma_f64 v[109:110], v[137:138], v[109:110], v[122:123]
	buffer_load_dword v122, off, s[0:3], 0 offset:252
	s_waitcnt vmcnt(17)
	v_fma_f64 v[109:110], v[135:136], v[111:112], v[109:110]
	buffer_load_dword v124, off, s[0:3], 0 offset:260
	buffer_load_dword v129, off, s[0:3], 0 offset:280
	;; [unrolled: 1-line block ×8, first 2 shown]
	s_waitcnt vmcnt(24) lgkmcnt(0)
	v_fma_f64 v[109:110], v[131:132], v[113:114], v[109:110]
	s_waitcnt vmcnt(19)
	v_fma_f64 v[117:118], v[117:118], v[115:116], v[109:110]
	ds_read2_b64 v[109:112], v0 offset0:79 offset1:80
	ds_read2_b64 v[113:116], v0 offset0:81 offset1:82
	s_waitcnt vmcnt(18) lgkmcnt(1)
	v_fma_f64 v[109:110], v[141:142], v[109:110], v[117:118]
	s_waitcnt vmcnt(17)
	v_fma_f64 v[109:110], v[139:140], v[111:112], v[109:110]
	buffer_load_dword v118, off, s[0:3], 0 offset:292
	buffer_load_dword v131, off, s[0:3], 0 offset:312
	;; [unrolled: 1-line block ×7, first 2 shown]
	s_waitcnt vmcnt(23) lgkmcnt(0)
	v_fma_f64 v[109:110], v[133:134], v[113:114], v[109:110]
	s_waitcnt vmcnt(18)
	v_fma_f64 v[119:120], v[119:120], v[115:116], v[109:110]
	ds_read2_b64 v[109:112], v0 offset0:83 offset1:84
	ds_read2_b64 v[113:116], v0 offset0:85 offset1:86
	buffer_load_dword v132, off, s[0:3], 0 offset:316
	s_waitcnt vmcnt(18) lgkmcnt(1)
	v_fma_f64 v[109:110], v[127:128], v[109:110], v[119:120]
	s_waitcnt vmcnt(17)
	v_fma_f64 v[109:110], v[125:126], v[111:112], v[109:110]
	buffer_load_dword v120, off, s[0:3], 0 offset:324
	buffer_load_dword v125, off, s[0:3], 0 offset:344
	buffer_load_dword v127, off, s[0:3], 0 offset:336
	buffer_load_dword v133, off, s[0:3], 0 offset:328
	buffer_load_dword v119, off, s[0:3], 0 offset:320
	buffer_load_dword v134, off, s[0:3], 0 offset:332
	buffer_load_dword v128, off, s[0:3], 0 offset:340
	s_waitcnt vmcnt(23) lgkmcnt(0)
	v_fma_f64 v[109:110], v[121:122], v[113:114], v[109:110]
	s_waitcnt vmcnt(18)
	v_fma_f64 v[121:122], v[123:124], v[115:116], v[109:110]
	ds_read2_b64 v[109:112], v0 offset0:87 offset1:88
	ds_read2_b64 v[113:116], v0 offset0:89 offset1:90
	buffer_load_dword v126, off, s[0:3], 0 offset:348
	s_waitcnt vmcnt(18) lgkmcnt(1)
	v_fma_f64 v[109:110], v[137:138], v[109:110], v[121:122]
	s_waitcnt vmcnt(17)
	v_fma_f64 v[109:110], v[135:136], v[111:112], v[109:110]
	buffer_load_dword v122, off, s[0:3], 0 offset:356
	buffer_load_dword v123, off, s[0:3], 0 offset:376
	;; [unrolled: 1-line block ×8, first 2 shown]
	s_waitcnt vmcnt(24) lgkmcnt(0)
	v_fma_f64 v[109:110], v[129:130], v[113:114], v[109:110]
	s_waitcnt vmcnt(19)
	v_fma_f64 v[117:118], v[117:118], v[115:116], v[109:110]
	ds_read2_b64 v[109:112], v0 offset0:91 offset1:92
	ds_read2_b64 v[113:116], v0 offset0:93 offset1:94
	s_waitcnt vmcnt(18) lgkmcnt(1)
	v_fma_f64 v[109:110], v[141:142], v[109:110], v[117:118]
	s_waitcnt vmcnt(17)
	v_fma_f64 v[109:110], v[139:140], v[111:112], v[109:110]
	buffer_load_dword v130, off, s[0:3], 0 offset:388
	buffer_load_dword v139, off, s[0:3], 0 offset:408
	;; [unrolled: 1-line block ×7, first 2 shown]
	s_waitcnt vmcnt(23) lgkmcnt(0)
	v_fma_f64 v[109:110], v[131:132], v[113:114], v[109:110]
	s_waitcnt vmcnt(18)
	v_fma_f64 v[117:118], v[119:120], v[115:116], v[109:110]
	ds_read2_b64 v[109:112], v0 offset0:95 offset1:96
	ds_read2_b64 v[113:116], v0 offset0:97 offset1:98
	buffer_load_dword v140, off, s[0:3], 0 offset:412
	s_waitcnt vmcnt(18) lgkmcnt(1)
	v_fma_f64 v[109:110], v[133:134], v[109:110], v[117:118]
	s_waitcnt vmcnt(17)
	v_fma_f64 v[111:112], v[127:128], v[111:112], v[109:110]
	buffer_load_dword v110, off, s[0:3], 0 offset:420
	buffer_load_dword v119, off, s[0:3], 0 offset:424
	;; [unrolled: 1-line block ×4, first 2 shown]
	s_waitcnt vmcnt(20) lgkmcnt(0)
	v_fma_f64 v[111:112], v[125:126], v[113:114], v[111:112]
	buffer_load_dword v125, off, s[0:3], 0
	buffer_load_dword v126, off, s[0:3], 0 offset:4
	s_waitcnt vmcnt(17)
	v_fma_f64 v[121:122], v[121:122], v[115:116], v[111:112]
	ds_read2_b64 v[111:114], v0 offset0:99 offset1:100
	ds_read2_b64 v[115:118], v0 offset0:101 offset1:102
	s_waitcnt vmcnt(16) lgkmcnt(1)
	v_fma_f64 v[111:112], v[137:138], v[111:112], v[121:122]
	s_waitcnt vmcnt(15)
	v_fma_f64 v[111:112], v[135:136], v[113:114], v[111:112]
	s_waitcnt vmcnt(14) lgkmcnt(0)
	v_fma_f64 v[111:112], v[123:124], v[115:116], v[111:112]
	s_waitcnt vmcnt(9)
	v_fma_f64 v[121:122], v[129:130], v[117:118], v[111:112]
	ds_read2_b64 v[111:114], v0 offset0:103 offset1:104
	ds_read2_b64 v[115:118], v0 offset0:105 offset1:106
	s_waitcnt vmcnt(8) lgkmcnt(1)
	v_fma_f64 v[111:112], v[143:144], v[111:112], v[121:122]
	s_waitcnt vmcnt(7)
	v_fma_f64 v[111:112], v[141:142], v[113:114], v[111:112]
	ds_read_b64 v[113:114], v0 offset:856
	s_waitcnt vmcnt(6) lgkmcnt(1)
	v_fma_f64 v[111:112], v[139:140], v[115:116], v[111:112]
	s_waitcnt vmcnt(3)
	v_fma_f64 v[111:112], v[109:110], v[117:118], v[111:112]
	s_waitcnt vmcnt(2) lgkmcnt(0)
	v_fma_f64 v[111:112], v[119:120], v[113:114], v[111:112]
	s_waitcnt vmcnt(0)
	v_add_f64 v[111:112], v[125:126], -v[111:112]
	buffer_store_dword v112, off, s[0:3], 0 offset:4
	buffer_store_dword v111, off, s[0:3], 0
	s_cbranch_vccz .LBB117_438
; %bb.332:
	global_load_dword v0, v0, s[12:13] offset:208
	s_waitcnt vmcnt(0)
	v_add_u32_e32 v0, -1, v0
	v_cmp_ne_u32_e32 vcc, 52, v0
	s_cbranch_vccz .LBB117_334
; %bb.333:
	v_lshlrev_b32_e32 v0, 3, v0
	buffer_load_dword v111, v0, s[0:3], 0 offen offset:4
	buffer_load_dword v112, v0, s[0:3], 0 offen
	s_waitcnt vmcnt(1)
	buffer_store_dword v111, off, s[0:3], 0 offset:420
	s_waitcnt vmcnt(1)
	buffer_store_dword v112, off, s[0:3], 0 offset:416
	buffer_store_dword v110, v0, s[0:3], 0 offen offset:4
	buffer_store_dword v109, v0, s[0:3], 0 offen
.LBB117_334:
	v_mov_b32_e32 v0, 0
	global_load_dword v109, v0, s[12:13] offset:204
	s_waitcnt vmcnt(0)
	v_add_u32_e32 v109, -1, v109
	v_cmp_eq_u32_e32 vcc, 51, v109
	s_cbranch_vccnz .LBB117_336
; %bb.335:
	v_lshlrev_b32_e32 v109, 3, v109
	buffer_load_dword v110, v109, s[0:3], 0 offen
	buffer_load_dword v111, v109, s[0:3], 0 offen offset:4
	buffer_load_dword v112, off, s[0:3], 0 offset:408
	buffer_load_dword v113, off, s[0:3], 0 offset:412
	s_waitcnt vmcnt(3)
	buffer_store_dword v110, off, s[0:3], 0 offset:408
	s_waitcnt vmcnt(3)
	buffer_store_dword v111, off, s[0:3], 0 offset:412
	s_waitcnt vmcnt(3)
	buffer_store_dword v112, v109, s[0:3], 0 offen
	s_waitcnt vmcnt(3)
	buffer_store_dword v113, v109, s[0:3], 0 offen offset:4
.LBB117_336:
	global_load_dword v0, v0, s[12:13] offset:200
	s_waitcnt vmcnt(0)
	v_add_u32_e32 v0, -1, v0
	v_cmp_eq_u32_e32 vcc, 50, v0
	s_cbranch_vccnz .LBB117_338
; %bb.337:
	v_lshlrev_b32_e32 v0, 3, v0
	buffer_load_dword v109, v0, s[0:3], 0 offen
	buffer_load_dword v110, v0, s[0:3], 0 offen offset:4
	buffer_load_dword v111, off, s[0:3], 0 offset:404
	buffer_load_dword v112, off, s[0:3], 0 offset:400
	s_waitcnt vmcnt(3)
	buffer_store_dword v109, off, s[0:3], 0 offset:400
	s_waitcnt vmcnt(3)
	buffer_store_dword v110, off, s[0:3], 0 offset:404
	s_waitcnt vmcnt(3)
	buffer_store_dword v111, v0, s[0:3], 0 offen offset:4
	s_waitcnt vmcnt(3)
	buffer_store_dword v112, v0, s[0:3], 0 offen
.LBB117_338:
	v_mov_b32_e32 v0, 0
	global_load_dword v109, v0, s[12:13] offset:196
	s_waitcnt vmcnt(0)
	v_add_u32_e32 v109, -1, v109
	v_cmp_eq_u32_e32 vcc, 49, v109
	s_cbranch_vccnz .LBB117_340
; %bb.339:
	v_lshlrev_b32_e32 v109, 3, v109
	buffer_load_dword v110, v109, s[0:3], 0 offen
	buffer_load_dword v111, v109, s[0:3], 0 offen offset:4
	buffer_load_dword v112, off, s[0:3], 0 offset:392
	buffer_load_dword v113, off, s[0:3], 0 offset:396
	s_waitcnt vmcnt(3)
	buffer_store_dword v110, off, s[0:3], 0 offset:392
	s_waitcnt vmcnt(3)
	buffer_store_dword v111, off, s[0:3], 0 offset:396
	s_waitcnt vmcnt(3)
	buffer_store_dword v112, v109, s[0:3], 0 offen
	s_waitcnt vmcnt(3)
	buffer_store_dword v113, v109, s[0:3], 0 offen offset:4
.LBB117_340:
	global_load_dword v0, v0, s[12:13] offset:192
	s_waitcnt vmcnt(0)
	v_add_u32_e32 v0, -1, v0
	v_cmp_eq_u32_e32 vcc, 48, v0
	s_cbranch_vccnz .LBB117_342
; %bb.341:
	v_lshlrev_b32_e32 v0, 3, v0
	buffer_load_dword v109, v0, s[0:3], 0 offen
	buffer_load_dword v110, v0, s[0:3], 0 offen offset:4
	buffer_load_dword v111, off, s[0:3], 0 offset:388
	buffer_load_dword v112, off, s[0:3], 0 offset:384
	s_waitcnt vmcnt(3)
	buffer_store_dword v109, off, s[0:3], 0 offset:384
	s_waitcnt vmcnt(3)
	buffer_store_dword v110, off, s[0:3], 0 offset:388
	s_waitcnt vmcnt(3)
	buffer_store_dword v111, v0, s[0:3], 0 offen offset:4
	s_waitcnt vmcnt(3)
	buffer_store_dword v112, v0, s[0:3], 0 offen
.LBB117_342:
	;; [unrolled: 41-line block ×25, first 2 shown]
	v_mov_b32_e32 v0, 0
	global_load_dword v109, v0, s[12:13] offset:4
	s_waitcnt vmcnt(0)
	v_add_u32_e32 v109, -1, v109
	v_cmp_eq_u32_e32 vcc, 1, v109
	s_cbranch_vccnz .LBB117_436
; %bb.435:
	v_lshlrev_b32_e32 v109, 3, v109
	buffer_load_dword v110, v109, s[0:3], 0 offen
	buffer_load_dword v111, v109, s[0:3], 0 offen offset:4
	buffer_load_dword v112, off, s[0:3], 0 offset:8
	buffer_load_dword v113, off, s[0:3], 0 offset:12
	s_waitcnt vmcnt(3)
	buffer_store_dword v110, off, s[0:3], 0 offset:8
	s_waitcnt vmcnt(3)
	buffer_store_dword v111, off, s[0:3], 0 offset:12
	s_waitcnt vmcnt(3)
	buffer_store_dword v112, v109, s[0:3], 0 offen
	s_waitcnt vmcnt(3)
	buffer_store_dword v113, v109, s[0:3], 0 offen offset:4
.LBB117_436:
	global_load_dword v0, v0, s[12:13]
	s_nop 0
	buffer_load_dword v111, off, s[0:3], 0
	buffer_load_dword v112, off, s[0:3], 0 offset:4
	s_waitcnt vmcnt(2)
	v_add_u32_e32 v0, -1, v0
	v_cmp_eq_u32_e32 vcc, 0, v0
	s_cbranch_vccnz .LBB117_438
; %bb.437:
	v_lshlrev_b32_e32 v0, 3, v0
	buffer_load_dword v109, v0, s[0:3], 0 offen offset:4
	buffer_load_dword v110, v0, s[0:3], 0 offen
	s_waitcnt vmcnt(1)
	buffer_store_dword v109, off, s[0:3], 0 offset:4
	s_waitcnt vmcnt(1)
	buffer_store_dword v110, off, s[0:3], 0
	buffer_store_dword v112, v0, s[0:3], 0 offen offset:4
	buffer_store_dword v111, v0, s[0:3], 0 offen
	buffer_load_dword v111, off, s[0:3], 0
	s_nop 0
	buffer_load_dword v112, off, s[0:3], 0 offset:4
.LBB117_438:
	s_waitcnt vmcnt(0)
	flat_store_dwordx2 v[1:2], v[111:112]
	buffer_load_dword v0, off, s[0:3], 0 offset:8
	s_nop 0
	buffer_load_dword v1, off, s[0:3], 0 offset:12
	s_waitcnt vmcnt(0)
	flat_store_dwordx2 v[3:4], v[0:1]
	buffer_load_dword v0, off, s[0:3], 0 offset:16
	s_nop 0
	buffer_load_dword v1, off, s[0:3], 0 offset:20
	;; [unrolled: 5-line block ×53, first 2 shown]
	s_waitcnt vmcnt(0)
	flat_store_dwordx2 v[107:108], v[0:1]
	s_endpgm
	.section	.rodata,"a",@progbits
	.p2align	6, 0x0
	.amdhsa_kernel _ZN9rocsolver6v33100L18getri_kernel_smallILi54EdPKPdEEvT1_iilPiilS6_bb
		.amdhsa_group_segment_fixed_size 872
		.amdhsa_private_segment_fixed_size 448
		.amdhsa_kernarg_size 60
		.amdhsa_user_sgpr_count 6
		.amdhsa_user_sgpr_private_segment_buffer 1
		.amdhsa_user_sgpr_dispatch_ptr 0
		.amdhsa_user_sgpr_queue_ptr 0
		.amdhsa_user_sgpr_kernarg_segment_ptr 1
		.amdhsa_user_sgpr_dispatch_id 0
		.amdhsa_user_sgpr_flat_scratch_init 0
		.amdhsa_user_sgpr_private_segment_size 0
		.amdhsa_uses_dynamic_stack 0
		.amdhsa_system_sgpr_private_segment_wavefront_offset 1
		.amdhsa_system_sgpr_workgroup_id_x 1
		.amdhsa_system_sgpr_workgroup_id_y 0
		.amdhsa_system_sgpr_workgroup_id_z 0
		.amdhsa_system_sgpr_workgroup_info 0
		.amdhsa_system_vgpr_workitem_id 0
		.amdhsa_next_free_vgpr 145
		.amdhsa_next_free_sgpr 21
		.amdhsa_reserve_vcc 1
		.amdhsa_reserve_flat_scratch 0
		.amdhsa_float_round_mode_32 0
		.amdhsa_float_round_mode_16_64 0
		.amdhsa_float_denorm_mode_32 3
		.amdhsa_float_denorm_mode_16_64 3
		.amdhsa_dx10_clamp 1
		.amdhsa_ieee_mode 1
		.amdhsa_fp16_overflow 0
		.amdhsa_exception_fp_ieee_invalid_op 0
		.amdhsa_exception_fp_denorm_src 0
		.amdhsa_exception_fp_ieee_div_zero 0
		.amdhsa_exception_fp_ieee_overflow 0
		.amdhsa_exception_fp_ieee_underflow 0
		.amdhsa_exception_fp_ieee_inexact 0
		.amdhsa_exception_int_div_zero 0
	.end_amdhsa_kernel
	.section	.text._ZN9rocsolver6v33100L18getri_kernel_smallILi54EdPKPdEEvT1_iilPiilS6_bb,"axG",@progbits,_ZN9rocsolver6v33100L18getri_kernel_smallILi54EdPKPdEEvT1_iilPiilS6_bb,comdat
.Lfunc_end117:
	.size	_ZN9rocsolver6v33100L18getri_kernel_smallILi54EdPKPdEEvT1_iilPiilS6_bb, .Lfunc_end117-_ZN9rocsolver6v33100L18getri_kernel_smallILi54EdPKPdEEvT1_iilPiilS6_bb
                                        ; -- End function
	.set _ZN9rocsolver6v33100L18getri_kernel_smallILi54EdPKPdEEvT1_iilPiilS6_bb.num_vgpr, 145
	.set _ZN9rocsolver6v33100L18getri_kernel_smallILi54EdPKPdEEvT1_iilPiilS6_bb.num_agpr, 0
	.set _ZN9rocsolver6v33100L18getri_kernel_smallILi54EdPKPdEEvT1_iilPiilS6_bb.numbered_sgpr, 21
	.set _ZN9rocsolver6v33100L18getri_kernel_smallILi54EdPKPdEEvT1_iilPiilS6_bb.num_named_barrier, 0
	.set _ZN9rocsolver6v33100L18getri_kernel_smallILi54EdPKPdEEvT1_iilPiilS6_bb.private_seg_size, 448
	.set _ZN9rocsolver6v33100L18getri_kernel_smallILi54EdPKPdEEvT1_iilPiilS6_bb.uses_vcc, 1
	.set _ZN9rocsolver6v33100L18getri_kernel_smallILi54EdPKPdEEvT1_iilPiilS6_bb.uses_flat_scratch, 0
	.set _ZN9rocsolver6v33100L18getri_kernel_smallILi54EdPKPdEEvT1_iilPiilS6_bb.has_dyn_sized_stack, 0
	.set _ZN9rocsolver6v33100L18getri_kernel_smallILi54EdPKPdEEvT1_iilPiilS6_bb.has_recursion, 0
	.set _ZN9rocsolver6v33100L18getri_kernel_smallILi54EdPKPdEEvT1_iilPiilS6_bb.has_indirect_call, 0
	.section	.AMDGPU.csdata,"",@progbits
; Kernel info:
; codeLenInByte = 72724
; TotalNumSgprs: 25
; NumVgprs: 145
; ScratchSize: 448
; MemoryBound: 1
; FloatMode: 240
; IeeeMode: 1
; LDSByteSize: 872 bytes/workgroup (compile time only)
; SGPRBlocks: 3
; VGPRBlocks: 36
; NumSGPRsForWavesPerEU: 25
; NumVGPRsForWavesPerEU: 145
; Occupancy: 1
; WaveLimiterHint : 1
; COMPUTE_PGM_RSRC2:SCRATCH_EN: 1
; COMPUTE_PGM_RSRC2:USER_SGPR: 6
; COMPUTE_PGM_RSRC2:TRAP_HANDLER: 0
; COMPUTE_PGM_RSRC2:TGID_X_EN: 1
; COMPUTE_PGM_RSRC2:TGID_Y_EN: 0
; COMPUTE_PGM_RSRC2:TGID_Z_EN: 0
; COMPUTE_PGM_RSRC2:TIDIG_COMP_CNT: 0
	.section	.text._ZN9rocsolver6v33100L18getri_kernel_smallILi55EdPKPdEEvT1_iilPiilS6_bb,"axG",@progbits,_ZN9rocsolver6v33100L18getri_kernel_smallILi55EdPKPdEEvT1_iilPiilS6_bb,comdat
	.globl	_ZN9rocsolver6v33100L18getri_kernel_smallILi55EdPKPdEEvT1_iilPiilS6_bb ; -- Begin function _ZN9rocsolver6v33100L18getri_kernel_smallILi55EdPKPdEEvT1_iilPiilS6_bb
	.p2align	8
	.type	_ZN9rocsolver6v33100L18getri_kernel_smallILi55EdPKPdEEvT1_iilPiilS6_bb,@function
_ZN9rocsolver6v33100L18getri_kernel_smallILi55EdPKPdEEvT1_iilPiilS6_bb: ; @_ZN9rocsolver6v33100L18getri_kernel_smallILi55EdPKPdEEvT1_iilPiilS6_bb
; %bb.0:
	s_add_u32 s0, s0, s7
	s_addc_u32 s1, s1, 0
	v_cmp_gt_u32_e32 vcc, 55, v0
	s_and_saveexec_b64 s[8:9], vcc
	s_cbranch_execz .LBB118_228
; %bb.1:
	s_load_dword s18, s[4:5], 0x38
	s_load_dwordx2 s[12:13], s[4:5], 0x0
	s_load_dwordx4 s[8:11], s[4:5], 0x28
	s_waitcnt lgkmcnt(0)
	s_bitcmp1_b32 s18, 8
	s_cselect_b64 s[14:15], -1, 0
	s_ashr_i32 s7, s6, 31
	s_lshl_b64 s[16:17], s[6:7], 3
	s_add_u32 s12, s12, s16
	s_addc_u32 s13, s13, s17
	s_load_dwordx2 s[16:17], s[12:13], 0x0
	s_bfe_u32 s12, s18, 0x10008
	s_cmp_eq_u32 s12, 0
                                        ; implicit-def: $sgpr12_sgpr13
	s_cbranch_scc1 .LBB118_3
; %bb.2:
	s_load_dword s12, s[4:5], 0x20
	s_load_dwordx2 s[18:19], s[4:5], 0x18
	s_mul_i32 s13, s8, s7
	s_mul_hi_u32 s20, s8, s6
	s_add_i32 s20, s20, s13
	s_mul_i32 s9, s9, s6
	s_add_i32 s9, s20, s9
	s_mul_i32 s8, s8, s6
	s_waitcnt lgkmcnt(0)
	s_ashr_i32 s13, s12, 31
	s_lshl_b64 s[8:9], s[8:9], 2
	s_add_u32 s18, s18, s8
	s_addc_u32 s19, s19, s9
	s_lshl_b64 s[8:9], s[12:13], 2
	s_add_u32 s12, s18, s8
	s_addc_u32 s13, s19, s9
.LBB118_3:
	s_load_dwordx2 s[8:9], s[4:5], 0x8
	s_load_dword s18, s[4:5], 0x38
	v_lshlrev_b32_e32 v113, 3, v0
	s_waitcnt lgkmcnt(0)
	s_ashr_i32 s5, s8, 31
	s_mov_b32 s4, s8
	s_lshl_b64 s[4:5], s[4:5], 3
	s_add_u32 s4, s16, s4
	s_addc_u32 s5, s17, s5
	v_mov_b32_e32 v2, s5
	v_add_co_u32_e32 v1, vcc, s4, v113
	v_addc_co_u32_e32 v2, vcc, 0, v2, vcc
	flat_load_dwordx2 v[5:6], v[1:2]
	s_mov_b32 s16, s9
	s_ashr_i32 s17, s9, 31
	s_lshl_b64 s[16:17], s[16:17], 3
	v_mov_b32_e32 v4, s17
	v_add_co_u32_e32 v3, vcc, s16, v1
	v_addc_co_u32_e32 v4, vcc, v2, v4, vcc
	s_add_i32 s8, s9, s9
	v_add_u32_e32 v9, s8, v0
	v_ashrrev_i32_e32 v10, 31, v9
	v_mov_b32_e32 v11, s5
	v_add_u32_e32 v12, s9, v9
	v_ashrrev_i32_e32 v13, 31, v12
	v_mov_b32_e32 v14, s5
	v_mov_b32_e32 v15, s5
	;; [unrolled: 1-line block ×51, first 2 shown]
	s_bitcmp0_b32 s18, 0
	s_waitcnt vmcnt(0) lgkmcnt(0)
	buffer_store_dword v6, off, s[0:3], 0 offset:4
	buffer_store_dword v5, off, s[0:3], 0
	flat_load_dwordx2 v[7:8], v[3:4]
	v_lshlrev_b64 v[5:6], 3, v[9:10]
	s_waitcnt vmcnt(0) lgkmcnt(0)
	buffer_store_dword v8, off, s[0:3], 0 offset:12
	buffer_store_dword v7, off, s[0:3], 0 offset:8
	v_add_co_u32_e32 v5, vcc, s4, v5
	v_addc_co_u32_e32 v6, vcc, v11, v6, vcc
	flat_load_dwordx2 v[10:11], v[5:6]
	v_lshlrev_b64 v[7:8], 3, v[12:13]
	s_waitcnt vmcnt(0) lgkmcnt(0)
	buffer_store_dword v11, off, s[0:3], 0 offset:20
	buffer_store_dword v10, off, s[0:3], 0 offset:16
	v_add_co_u32_e32 v7, vcc, s4, v7
	v_addc_co_u32_e32 v8, vcc, v14, v8, vcc
	flat_load_dwordx2 v[13:14], v[7:8]
	v_add_u32_e32 v11, s9, v12
	v_ashrrev_i32_e32 v12, 31, v11
	v_lshlrev_b64 v[9:10], 3, v[11:12]
	s_waitcnt vmcnt(0) lgkmcnt(0)
	buffer_store_dword v14, off, s[0:3], 0 offset:28
	buffer_store_dword v13, off, s[0:3], 0 offset:24
	v_add_co_u32_e32 v9, vcc, s4, v9
	v_addc_co_u32_e32 v10, vcc, v15, v10, vcc
	flat_load_dwordx2 v[13:14], v[9:10]
	v_add_u32_e32 v15, s9, v11
	v_ashrrev_i32_e32 v16, 31, v15
	v_lshlrev_b64 v[11:12], 3, v[15:16]
	v_add_u32_e32 v18, s9, v15
	v_add_co_u32_e32 v11, vcc, s4, v11
	v_addc_co_u32_e32 v12, vcc, v17, v12, vcc
	v_ashrrev_i32_e32 v19, 31, v18
	s_waitcnt vmcnt(0) lgkmcnt(0)
	buffer_store_dword v14, off, s[0:3], 0 offset:36
	buffer_store_dword v13, off, s[0:3], 0 offset:32
	flat_load_dwordx2 v[16:17], v[11:12]
	v_lshlrev_b64 v[13:14], 3, v[18:19]
	s_waitcnt vmcnt(0) lgkmcnt(0)
	buffer_store_dword v17, off, s[0:3], 0 offset:44
	buffer_store_dword v16, off, s[0:3], 0 offset:40
	v_add_co_u32_e32 v13, vcc, s4, v13
	v_addc_co_u32_e32 v14, vcc, v20, v14, vcc
	flat_load_dwordx2 v[19:20], v[13:14]
	v_add_u32_e32 v17, s9, v18
	v_ashrrev_i32_e32 v18, 31, v17
	v_lshlrev_b64 v[15:16], 3, v[17:18]
	s_waitcnt vmcnt(0) lgkmcnt(0)
	buffer_store_dword v20, off, s[0:3], 0 offset:52
	buffer_store_dword v19, off, s[0:3], 0 offset:48
	v_add_co_u32_e32 v15, vcc, s4, v15
	v_addc_co_u32_e32 v16, vcc, v21, v16, vcc
	flat_load_dwordx2 v[19:20], v[15:16]
	v_add_u32_e32 v21, s9, v17
	v_ashrrev_i32_e32 v22, 31, v21
	v_lshlrev_b64 v[17:18], 3, v[21:22]
	v_add_u32_e32 v24, s9, v21
	v_add_co_u32_e32 v17, vcc, s4, v17
	v_addc_co_u32_e32 v18, vcc, v23, v18, vcc
	v_ashrrev_i32_e32 v25, 31, v24
	s_waitcnt vmcnt(0) lgkmcnt(0)
	buffer_store_dword v20, off, s[0:3], 0 offset:60
	buffer_store_dword v19, off, s[0:3], 0 offset:56
	;; [unrolled: 27-line block ×7, first 2 shown]
	flat_load_dwordx2 v[52:53], v[47:48]
	v_lshlrev_b64 v[49:50], 3, v[54:55]
	s_waitcnt vmcnt(0) lgkmcnt(0)
	buffer_store_dword v53, off, s[0:3], 0 offset:188
	buffer_store_dword v52, off, s[0:3], 0 offset:184
	v_add_co_u32_e32 v49, vcc, s4, v49
	v_addc_co_u32_e32 v50, vcc, v56, v50, vcc
	flat_load_dwordx2 v[55:56], v[49:50]
	v_add_u32_e32 v53, s9, v54
	v_ashrrev_i32_e32 v54, 31, v53
	v_lshlrev_b64 v[51:52], 3, v[53:54]
	s_waitcnt vmcnt(0) lgkmcnt(0)
	buffer_store_dword v56, off, s[0:3], 0 offset:196
	buffer_store_dword v55, off, s[0:3], 0 offset:192
	v_add_co_u32_e32 v51, vcc, s4, v51
	v_addc_co_u32_e32 v52, vcc, v57, v52, vcc
	flat_load_dwordx2 v[55:56], v[51:52]
	v_add_u32_e32 v57, s9, v53
	v_ashrrev_i32_e32 v58, 31, v57
	v_lshlrev_b64 v[53:54], 3, v[57:58]
	v_add_u32_e32 v60, s9, v57
	v_add_co_u32_e32 v53, vcc, s4, v53
	v_addc_co_u32_e32 v54, vcc, v59, v54, vcc
	s_waitcnt vmcnt(0) lgkmcnt(0)
	buffer_store_dword v56, off, s[0:3], 0 offset:204
	buffer_store_dword v55, off, s[0:3], 0 offset:200
	flat_load_dwordx2 v[58:59], v[53:54]
	v_ashrrev_i32_e32 v61, 31, v60
	v_lshlrev_b64 v[55:56], 3, v[60:61]
	s_waitcnt vmcnt(0) lgkmcnt(0)
	buffer_store_dword v59, off, s[0:3], 0 offset:212
	buffer_store_dword v58, off, s[0:3], 0 offset:208
	v_add_co_u32_e32 v55, vcc, s4, v55
	v_addc_co_u32_e32 v56, vcc, v62, v56, vcc
	flat_load_dwordx2 v[61:62], v[55:56]
	v_add_u32_e32 v59, s9, v60
	v_ashrrev_i32_e32 v60, 31, v59
	v_lshlrev_b64 v[57:58], 3, v[59:60]
	s_waitcnt vmcnt(0) lgkmcnt(0)
	buffer_store_dword v62, off, s[0:3], 0 offset:220
	buffer_store_dword v61, off, s[0:3], 0 offset:216
	v_add_co_u32_e32 v57, vcc, s4, v57
	v_addc_co_u32_e32 v58, vcc, v63, v58, vcc
	flat_load_dwordx2 v[61:62], v[57:58]
	v_add_u32_e32 v63, s9, v59
	v_ashrrev_i32_e32 v64, 31, v63
	v_lshlrev_b64 v[59:60], 3, v[63:64]
	s_waitcnt vmcnt(0) lgkmcnt(0)
	buffer_store_dword v62, off, s[0:3], 0 offset:228
	buffer_store_dword v61, off, s[0:3], 0 offset:224
	v_add_co_u32_e32 v59, vcc, s4, v59
	v_addc_co_u32_e32 v60, vcc, v65, v60, vcc
	flat_load_dwordx2 v[64:65], v[59:60]
	v_add_u32_e32 v66, s9, v63
	v_ashrrev_i32_e32 v67, 31, v66
	v_lshlrev_b64 v[61:62], 3, v[66:67]
	s_waitcnt vmcnt(0) lgkmcnt(0)
	buffer_store_dword v65, off, s[0:3], 0 offset:236
	buffer_store_dword v64, off, s[0:3], 0 offset:232
	v_add_co_u32_e32 v61, vcc, s4, v61
	v_addc_co_u32_e32 v62, vcc, v68, v62, vcc
	flat_load_dwordx2 v[67:68], v[61:62]
	v_add_u32_e32 v65, s9, v66
	v_ashrrev_i32_e32 v66, 31, v65
	v_lshlrev_b64 v[63:64], 3, v[65:66]
	s_waitcnt vmcnt(0) lgkmcnt(0)
	buffer_store_dword v68, off, s[0:3], 0 offset:244
	buffer_store_dword v67, off, s[0:3], 0 offset:240
	v_add_co_u32_e32 v63, vcc, s4, v63
	v_addc_co_u32_e32 v64, vcc, v69, v64, vcc
	flat_load_dwordx2 v[67:68], v[63:64]
	v_add_u32_e32 v69, s9, v65
	v_ashrrev_i32_e32 v70, 31, v69
	v_lshlrev_b64 v[65:66], 3, v[69:70]
	s_waitcnt vmcnt(0) lgkmcnt(0)
	buffer_store_dword v68, off, s[0:3], 0 offset:252
	buffer_store_dword v67, off, s[0:3], 0 offset:248
	v_add_co_u32_e32 v65, vcc, s4, v65
	v_addc_co_u32_e32 v66, vcc, v71, v66, vcc
	flat_load_dwordx2 v[70:71], v[65:66]
	v_add_u32_e32 v72, s9, v69
	v_ashrrev_i32_e32 v73, 31, v72
	v_lshlrev_b64 v[67:68], 3, v[72:73]
	s_waitcnt vmcnt(0) lgkmcnt(0)
	buffer_store_dword v71, off, s[0:3], 0 offset:260
	buffer_store_dword v70, off, s[0:3], 0 offset:256
	v_add_co_u32_e32 v67, vcc, s4, v67
	v_addc_co_u32_e32 v68, vcc, v74, v68, vcc
	flat_load_dwordx2 v[73:74], v[67:68]
	v_add_u32_e32 v71, s9, v72
	v_ashrrev_i32_e32 v72, 31, v71
	v_lshlrev_b64 v[69:70], 3, v[71:72]
	s_waitcnt vmcnt(0) lgkmcnt(0)
	buffer_store_dword v74, off, s[0:3], 0 offset:268
	buffer_store_dword v73, off, s[0:3], 0 offset:264
	v_add_co_u32_e32 v69, vcc, s4, v69
	v_addc_co_u32_e32 v70, vcc, v75, v70, vcc
	flat_load_dwordx2 v[73:74], v[69:70]
	v_add_u32_e32 v75, s9, v71
	v_ashrrev_i32_e32 v76, 31, v75
	v_lshlrev_b64 v[71:72], 3, v[75:76]
	s_waitcnt vmcnt(0) lgkmcnt(0)
	buffer_store_dword v74, off, s[0:3], 0 offset:276
	buffer_store_dword v73, off, s[0:3], 0 offset:272
	v_add_co_u32_e32 v71, vcc, s4, v71
	v_addc_co_u32_e32 v72, vcc, v77, v72, vcc
	flat_load_dwordx2 v[76:77], v[71:72]
	v_add_u32_e32 v78, s9, v75
	v_ashrrev_i32_e32 v79, 31, v78
	v_lshlrev_b64 v[73:74], 3, v[78:79]
	s_waitcnt vmcnt(0) lgkmcnt(0)
	buffer_store_dword v77, off, s[0:3], 0 offset:284
	buffer_store_dword v76, off, s[0:3], 0 offset:280
	v_add_co_u32_e32 v73, vcc, s4, v73
	v_addc_co_u32_e32 v74, vcc, v80, v74, vcc
	flat_load_dwordx2 v[79:80], v[73:74]
	v_add_u32_e32 v77, s9, v78
	v_ashrrev_i32_e32 v78, 31, v77
	v_lshlrev_b64 v[75:76], 3, v[77:78]
	s_waitcnt vmcnt(0) lgkmcnt(0)
	buffer_store_dword v80, off, s[0:3], 0 offset:292
	buffer_store_dword v79, off, s[0:3], 0 offset:288
	v_add_co_u32_e32 v75, vcc, s4, v75
	v_addc_co_u32_e32 v76, vcc, v81, v76, vcc
	flat_load_dwordx2 v[79:80], v[75:76]
	v_add_u32_e32 v81, s9, v77
	v_ashrrev_i32_e32 v82, 31, v81
	v_lshlrev_b64 v[77:78], 3, v[81:82]
	s_waitcnt vmcnt(0) lgkmcnt(0)
	buffer_store_dword v80, off, s[0:3], 0 offset:300
	buffer_store_dword v79, off, s[0:3], 0 offset:296
	v_add_co_u32_e32 v77, vcc, s4, v77
	v_addc_co_u32_e32 v78, vcc, v83, v78, vcc
	flat_load_dwordx2 v[82:83], v[77:78]
	v_add_u32_e32 v84, s9, v81
	v_ashrrev_i32_e32 v85, 31, v84
	v_lshlrev_b64 v[79:80], 3, v[84:85]
	s_waitcnt vmcnt(0) lgkmcnt(0)
	buffer_store_dword v83, off, s[0:3], 0 offset:308
	buffer_store_dword v82, off, s[0:3], 0 offset:304
	v_add_co_u32_e32 v79, vcc, s4, v79
	v_addc_co_u32_e32 v80, vcc, v86, v80, vcc
	flat_load_dwordx2 v[85:86], v[79:80]
	v_add_u32_e32 v83, s9, v84
	v_ashrrev_i32_e32 v84, 31, v83
	v_lshlrev_b64 v[81:82], 3, v[83:84]
	s_waitcnt vmcnt(0) lgkmcnt(0)
	buffer_store_dword v86, off, s[0:3], 0 offset:316
	buffer_store_dword v85, off, s[0:3], 0 offset:312
	v_add_co_u32_e32 v81, vcc, s4, v81
	v_addc_co_u32_e32 v82, vcc, v87, v82, vcc
	flat_load_dwordx2 v[85:86], v[81:82]
	v_add_u32_e32 v87, s9, v83
	v_ashrrev_i32_e32 v88, 31, v87
	v_lshlrev_b64 v[83:84], 3, v[87:88]
	s_waitcnt vmcnt(0) lgkmcnt(0)
	buffer_store_dword v86, off, s[0:3], 0 offset:324
	buffer_store_dword v85, off, s[0:3], 0 offset:320
	v_add_co_u32_e32 v83, vcc, s4, v83
	v_addc_co_u32_e32 v84, vcc, v89, v84, vcc
	flat_load_dwordx2 v[88:89], v[83:84]
	v_add_u32_e32 v90, s9, v87
	v_ashrrev_i32_e32 v91, 31, v90
	v_lshlrev_b64 v[85:86], 3, v[90:91]
	s_waitcnt vmcnt(0) lgkmcnt(0)
	buffer_store_dword v89, off, s[0:3], 0 offset:332
	buffer_store_dword v88, off, s[0:3], 0 offset:328
	v_add_co_u32_e32 v85, vcc, s4, v85
	v_addc_co_u32_e32 v86, vcc, v92, v86, vcc
	flat_load_dwordx2 v[91:92], v[85:86]
	v_add_u32_e32 v89, s9, v90
	v_ashrrev_i32_e32 v90, 31, v89
	v_lshlrev_b64 v[87:88], 3, v[89:90]
	s_waitcnt vmcnt(0) lgkmcnt(0)
	buffer_store_dword v92, off, s[0:3], 0 offset:340
	buffer_store_dword v91, off, s[0:3], 0 offset:336
	v_add_co_u32_e32 v87, vcc, s4, v87
	v_addc_co_u32_e32 v88, vcc, v93, v88, vcc
	flat_load_dwordx2 v[91:92], v[87:88]
	v_add_u32_e32 v93, s9, v89
	v_ashrrev_i32_e32 v94, 31, v93
	v_lshlrev_b64 v[89:90], 3, v[93:94]
	s_waitcnt vmcnt(0) lgkmcnt(0)
	buffer_store_dword v92, off, s[0:3], 0 offset:348
	buffer_store_dword v91, off, s[0:3], 0 offset:344
	v_add_co_u32_e32 v89, vcc, s4, v89
	v_addc_co_u32_e32 v90, vcc, v95, v90, vcc
	flat_load_dwordx2 v[94:95], v[89:90]
	v_add_u32_e32 v96, s9, v93
	v_ashrrev_i32_e32 v97, 31, v96
	v_lshlrev_b64 v[91:92], 3, v[96:97]
	s_waitcnt vmcnt(0) lgkmcnt(0)
	buffer_store_dword v95, off, s[0:3], 0 offset:356
	buffer_store_dword v94, off, s[0:3], 0 offset:352
	v_add_co_u32_e32 v91, vcc, s4, v91
	v_addc_co_u32_e32 v92, vcc, v98, v92, vcc
	flat_load_dwordx2 v[97:98], v[91:92]
	v_add_u32_e32 v95, s9, v96
	v_ashrrev_i32_e32 v96, 31, v95
	v_lshlrev_b64 v[93:94], 3, v[95:96]
	s_waitcnt vmcnt(0) lgkmcnt(0)
	buffer_store_dword v98, off, s[0:3], 0 offset:364
	buffer_store_dword v97, off, s[0:3], 0 offset:360
	v_add_co_u32_e32 v93, vcc, s4, v93
	v_addc_co_u32_e32 v94, vcc, v99, v94, vcc
	flat_load_dwordx2 v[97:98], v[93:94]
	v_add_u32_e32 v99, s9, v95
	v_ashrrev_i32_e32 v100, 31, v99
	v_lshlrev_b64 v[95:96], 3, v[99:100]
	s_waitcnt vmcnt(0) lgkmcnt(0)
	buffer_store_dword v98, off, s[0:3], 0 offset:372
	buffer_store_dword v97, off, s[0:3], 0 offset:368
	v_add_co_u32_e32 v95, vcc, s4, v95
	v_addc_co_u32_e32 v96, vcc, v101, v96, vcc
	flat_load_dwordx2 v[100:101], v[95:96]
	v_add_u32_e32 v102, s9, v99
	v_ashrrev_i32_e32 v103, 31, v102
	v_lshlrev_b64 v[97:98], 3, v[102:103]
	s_waitcnt vmcnt(0) lgkmcnt(0)
	buffer_store_dword v101, off, s[0:3], 0 offset:380
	buffer_store_dword v100, off, s[0:3], 0 offset:376
	v_add_co_u32_e32 v97, vcc, s4, v97
	v_addc_co_u32_e32 v98, vcc, v104, v98, vcc
	flat_load_dwordx2 v[103:104], v[97:98]
	v_add_u32_e32 v101, s9, v102
	v_ashrrev_i32_e32 v102, 31, v101
	v_lshlrev_b64 v[99:100], 3, v[101:102]
	s_waitcnt vmcnt(0) lgkmcnt(0)
	buffer_store_dword v104, off, s[0:3], 0 offset:388
	buffer_store_dword v103, off, s[0:3], 0 offset:384
	v_add_co_u32_e32 v99, vcc, s4, v99
	v_addc_co_u32_e32 v100, vcc, v105, v100, vcc
	flat_load_dwordx2 v[103:104], v[99:100]
	v_add_u32_e32 v105, s9, v101
	v_ashrrev_i32_e32 v106, 31, v105
	v_lshlrev_b64 v[101:102], 3, v[105:106]
	s_waitcnt vmcnt(0) lgkmcnt(0)
	buffer_store_dword v104, off, s[0:3], 0 offset:396
	buffer_store_dword v103, off, s[0:3], 0 offset:392
	v_add_co_u32_e32 v101, vcc, s4, v101
	v_addc_co_u32_e32 v102, vcc, v107, v102, vcc
	flat_load_dwordx2 v[106:107], v[101:102]
	v_add_u32_e32 v108, s9, v105
	v_ashrrev_i32_e32 v109, 31, v108
	v_lshlrev_b64 v[103:104], 3, v[108:109]
	s_waitcnt vmcnt(0) lgkmcnt(0)
	buffer_store_dword v107, off, s[0:3], 0 offset:404
	buffer_store_dword v106, off, s[0:3], 0 offset:400
	v_add_co_u32_e32 v103, vcc, s4, v103
	v_addc_co_u32_e32 v104, vcc, v110, v104, vcc
	flat_load_dwordx2 v[109:110], v[103:104]
	v_add_u32_e32 v107, s9, v108
	v_ashrrev_i32_e32 v108, 31, v107
	v_lshlrev_b64 v[105:106], 3, v[107:108]
	s_waitcnt vmcnt(0) lgkmcnt(0)
	buffer_store_dword v110, off, s[0:3], 0 offset:412
	buffer_store_dword v109, off, s[0:3], 0 offset:408
	v_add_co_u32_e32 v105, vcc, s4, v105
	v_addc_co_u32_e32 v106, vcc, v111, v106, vcc
	flat_load_dwordx2 v[109:110], v[105:106]
	v_add_u32_e32 v111, s9, v107
	v_ashrrev_i32_e32 v112, 31, v111
	v_lshlrev_b64 v[107:108], 3, v[111:112]
	s_waitcnt vmcnt(0) lgkmcnt(0)
	buffer_store_dword v110, off, s[0:3], 0 offset:420
	buffer_store_dword v109, off, s[0:3], 0 offset:416
	v_add_co_u32_e32 v107, vcc, s4, v107
	v_addc_co_u32_e32 v108, vcc, v114, v108, vcc
	flat_load_dwordx2 v[114:115], v[107:108]
	v_add_u32_e32 v109, s9, v111
	v_ashrrev_i32_e32 v110, 31, v109
	v_lshlrev_b64 v[109:110], 3, v[109:110]
	v_mov_b32_e32 v112, s5
	v_add_co_u32_e32 v109, vcc, s4, v109
	v_addc_co_u32_e32 v110, vcc, v112, v110, vcc
	s_waitcnt vmcnt(0) lgkmcnt(0)
	buffer_store_dword v115, off, s[0:3], 0 offset:428
	buffer_store_dword v114, off, s[0:3], 0 offset:424
	flat_load_dwordx2 v[111:112], v[109:110]
	s_mov_b64 s[8:9], -1
	s_waitcnt vmcnt(0) lgkmcnt(0)
	buffer_store_dword v112, off, s[0:3], 0 offset:436
	buffer_store_dword v111, off, s[0:3], 0 offset:432
	s_cbranch_scc1 .LBB118_226
; %bb.4:
	v_cmp_eq_u32_e64 s[4:5], 0, v0
	s_and_saveexec_b64 s[8:9], s[4:5]
; %bb.5:
	v_mov_b32_e32 v111, 0
	ds_write_b32 v111, v111 offset:440
; %bb.6:
	s_or_b64 exec, exec, s[8:9]
	v_mov_b32_e32 v111, 0
	v_lshl_add_u32 v111, v0, 3, v111
	s_waitcnt lgkmcnt(0)
	; wave barrier
	buffer_load_dword v114, v111, s[0:3], 0 offen
	buffer_load_dword v115, v111, s[0:3], 0 offen offset:4
	s_waitcnt vmcnt(0)
	v_cmp_eq_f64_e32 vcc, 0, v[114:115]
	s_and_saveexec_b64 s[16:17], vcc
	s_cbranch_execz .LBB118_10
; %bb.7:
	v_mov_b32_e32 v112, 0
	ds_read_b32 v115, v112 offset:440
	v_add_u32_e32 v114, 1, v0
	s_waitcnt lgkmcnt(0)
	v_readfirstlane_b32 s8, v115
	s_cmp_eq_u32 s8, 0
	s_cselect_b64 s[18:19], -1, 0
	v_cmp_gt_i32_e32 vcc, s8, v114
	s_or_b64 s[18:19], s[18:19], vcc
	s_and_b64 exec, exec, s[18:19]
	s_cbranch_execz .LBB118_10
; %bb.8:
	s_mov_b64 s[18:19], 0
	v_mov_b32_e32 v115, s8
.LBB118_9:                              ; =>This Inner Loop Header: Depth=1
	ds_cmpst_rtn_b32 v115, v112, v115, v114 offset:440
	s_waitcnt lgkmcnt(0)
	v_cmp_ne_u32_e32 vcc, 0, v115
	v_cmp_le_i32_e64 s[8:9], v115, v114
	s_and_b64 s[8:9], vcc, s[8:9]
	s_and_b64 s[8:9], exec, s[8:9]
	s_or_b64 s[18:19], s[8:9], s[18:19]
	s_andn2_b64 exec, exec, s[18:19]
	s_cbranch_execnz .LBB118_9
.LBB118_10:
	s_or_b64 exec, exec, s[16:17]
	v_mov_b32_e32 v114, 0
	; wave barrier
	ds_read_b32 v112, v114 offset:440
	s_and_saveexec_b64 s[8:9], s[4:5]
	s_cbranch_execz .LBB118_12
; %bb.11:
	s_lshl_b64 s[16:17], s[6:7], 2
	s_add_u32 s16, s10, s16
	s_addc_u32 s17, s11, s17
	s_waitcnt lgkmcnt(0)
	global_store_dword v114, v112, s[16:17]
.LBB118_12:
	s_or_b64 exec, exec, s[8:9]
	s_waitcnt lgkmcnt(0)
	v_cmp_ne_u32_e32 vcc, 0, v112
	s_mov_b64 s[8:9], 0
	s_cbranch_vccnz .LBB118_226
; %bb.13:
	buffer_load_dword v114, v111, s[0:3], 0 offen
	buffer_load_dword v115, v111, s[0:3], 0 offen offset:4
	s_waitcnt vmcnt(0)
	v_div_scale_f64 v[116:117], s[8:9], v[114:115], v[114:115], 1.0
	v_rcp_f64_e32 v[118:119], v[116:117]
	v_fma_f64 v[120:121], -v[116:117], v[118:119], 1.0
	v_fma_f64 v[118:119], v[118:119], v[120:121], v[118:119]
	v_div_scale_f64 v[120:121], vcc, 1.0, v[114:115], 1.0
	v_fma_f64 v[122:123], -v[116:117], v[118:119], 1.0
	v_fma_f64 v[118:119], v[118:119], v[122:123], v[118:119]
	v_mul_f64 v[122:123], v[120:121], v[118:119]
	v_fma_f64 v[116:117], -v[116:117], v[122:123], v[120:121]
	v_div_fmas_f64 v[116:117], v[116:117], v[118:119], v[122:123]
	v_div_fixup_f64 v[115:116], v[116:117], v[114:115], 1.0
	v_add_u32_e32 v114, 0x1c0, v113
	buffer_store_dword v116, v111, s[0:3], 0 offen offset:4
	buffer_store_dword v115, v111, s[0:3], 0 offen
	buffer_load_dword v118, off, s[0:3], 0 offset:12
	buffer_load_dword v117, off, s[0:3], 0 offset:8
	v_xor_b32_e32 v116, 0x80000000, v116
	s_waitcnt vmcnt(0)
	ds_write2_b64 v113, v[115:116], v[117:118] offset1:56
	s_waitcnt lgkmcnt(0)
	; wave barrier
	s_and_saveexec_b64 s[8:9], s[4:5]
	s_cbranch_execz .LBB118_15
; %bb.14:
	buffer_load_dword v115, v111, s[0:3], 0 offen
	buffer_load_dword v116, v111, s[0:3], 0 offen offset:4
	ds_read_b64 v[117:118], v114
	v_mov_b32_e32 v112, 0
	ds_read_b64 v[119:120], v112 offset:8
	s_waitcnt vmcnt(0) lgkmcnt(1)
	v_fma_f64 v[115:116], v[115:116], v[117:118], 0
	s_waitcnt lgkmcnt(0)
	v_mul_f64 v[115:116], v[115:116], v[119:120]
	buffer_store_dword v115, off, s[0:3], 0 offset:8
	buffer_store_dword v116, off, s[0:3], 0 offset:12
.LBB118_15:
	s_or_b64 exec, exec, s[8:9]
	; wave barrier
	buffer_load_dword v115, off, s[0:3], 0 offset:16
	buffer_load_dword v116, off, s[0:3], 0 offset:20
	v_cmp_gt_u32_e32 vcc, 2, v0
	s_waitcnt vmcnt(0)
	ds_write_b64 v114, v[115:116]
	s_waitcnt lgkmcnt(0)
	; wave barrier
	s_and_saveexec_b64 s[8:9], vcc
	s_cbranch_execz .LBB118_17
; %bb.16:
	buffer_load_dword v115, v111, s[0:3], 0 offen
	buffer_load_dword v116, v111, s[0:3], 0 offen offset:4
                                        ; kill: killed $vgpr111
	s_nop 0
	buffer_load_dword v111, off, s[0:3], 0 offset:8
	buffer_load_dword v112, off, s[0:3], 0 offset:12
	ds_read_b64 v[117:118], v114
	s_waitcnt vmcnt(2) lgkmcnt(0)
	v_fma_f64 v[119:120], v[115:116], v[117:118], 0
	v_mov_b32_e32 v115, 0
	ds_read2_b64 v[115:118], v115 offset0:2 offset1:57
	s_waitcnt vmcnt(0) lgkmcnt(0)
	v_fma_f64 v[111:112], v[111:112], v[117:118], v[119:120]
	v_cndmask_b32_e64 v112, v120, v112, s[4:5]
	v_cndmask_b32_e64 v111, v119, v111, s[4:5]
	v_mul_f64 v[111:112], v[111:112], v[115:116]
	buffer_store_dword v112, off, s[0:3], 0 offset:20
	buffer_store_dword v111, off, s[0:3], 0 offset:16
.LBB118_17:
	s_or_b64 exec, exec, s[8:9]
	; wave barrier
	buffer_load_dword v111, off, s[0:3], 0 offset:24
	buffer_load_dword v112, off, s[0:3], 0 offset:28
	v_cmp_gt_u32_e32 vcc, 3, v0
	v_add_u32_e32 v115, -1, v0
	s_waitcnt vmcnt(0)
	ds_write_b64 v114, v[111:112]
	s_waitcnt lgkmcnt(0)
	; wave barrier
	s_and_saveexec_b64 s[4:5], vcc
	s_cbranch_execz .LBB118_21
; %bb.18:
	v_mov_b32_e32 v111, 0
	v_add_u32_e32 v116, -1, v0
	v_add_u32_e32 v117, 0x1c0, v113
	v_mov_b32_e32 v118, v113
	v_mov_b32_e32 v112, 0
	s_mov_b64 s[8:9], 0
.LBB118_19:                             ; =>This Inner Loop Header: Depth=1
	buffer_load_dword v119, v118, s[0:3], 0 offen
	buffer_load_dword v120, v118, s[0:3], 0 offen offset:4
	ds_read_b64 v[121:122], v117
	v_add_u32_e32 v116, 1, v116
	v_cmp_lt_u32_e32 vcc, 1, v116
	v_add_u32_e32 v117, 8, v117
	s_or_b64 s[8:9], vcc, s[8:9]
	v_add_u32_e32 v118, 8, v118
	s_waitcnt vmcnt(0) lgkmcnt(0)
	v_fma_f64 v[111:112], v[119:120], v[121:122], v[111:112]
	s_andn2_b64 exec, exec, s[8:9]
	s_cbranch_execnz .LBB118_19
; %bb.20:
	s_or_b64 exec, exec, s[8:9]
	v_mov_b32_e32 v116, 0
	ds_read_b64 v[116:117], v116 offset:24
	s_waitcnt lgkmcnt(0)
	v_mul_f64 v[111:112], v[111:112], v[116:117]
	buffer_store_dword v112, off, s[0:3], 0 offset:28
	buffer_store_dword v111, off, s[0:3], 0 offset:24
.LBB118_21:
	s_or_b64 exec, exec, s[4:5]
	; wave barrier
	buffer_load_dword v111, off, s[0:3], 0 offset:32
	buffer_load_dword v112, off, s[0:3], 0 offset:36
	v_cmp_gt_u32_e32 vcc, 4, v0
	s_waitcnt vmcnt(0)
	ds_write_b64 v114, v[111:112]
	s_waitcnt lgkmcnt(0)
	; wave barrier
	s_and_saveexec_b64 s[4:5], vcc
	s_cbranch_execz .LBB118_25
; %bb.22:
	v_mov_b32_e32 v111, 0
	v_add_u32_e32 v116, -1, v0
	v_add_u32_e32 v117, 0x1c0, v113
	v_mov_b32_e32 v118, v113
	v_mov_b32_e32 v112, 0
	s_mov_b64 s[8:9], 0
.LBB118_23:                             ; =>This Inner Loop Header: Depth=1
	buffer_load_dword v119, v118, s[0:3], 0 offen
	buffer_load_dword v120, v118, s[0:3], 0 offen offset:4
	ds_read_b64 v[121:122], v117
	v_add_u32_e32 v116, 1, v116
	v_cmp_lt_u32_e32 vcc, 2, v116
	v_add_u32_e32 v117, 8, v117
	s_or_b64 s[8:9], vcc, s[8:9]
	v_add_u32_e32 v118, 8, v118
	s_waitcnt vmcnt(0) lgkmcnt(0)
	v_fma_f64 v[111:112], v[119:120], v[121:122], v[111:112]
	s_andn2_b64 exec, exec, s[8:9]
	s_cbranch_execnz .LBB118_23
; %bb.24:
	s_or_b64 exec, exec, s[8:9]
	v_mov_b32_e32 v116, 0
	ds_read_b64 v[116:117], v116 offset:32
	s_waitcnt lgkmcnt(0)
	v_mul_f64 v[111:112], v[111:112], v[116:117]
	buffer_store_dword v112, off, s[0:3], 0 offset:36
	buffer_store_dword v111, off, s[0:3], 0 offset:32
.LBB118_25:
	s_or_b64 exec, exec, s[4:5]
	; wave barrier
	buffer_load_dword v111, off, s[0:3], 0 offset:40
	buffer_load_dword v112, off, s[0:3], 0 offset:44
	v_cmp_gt_u32_e32 vcc, 5, v0
	;; [unrolled: 40-line block ×21, first 2 shown]
	s_waitcnt vmcnt(0)
	ds_write_b64 v114, v[111:112]
	s_waitcnt lgkmcnt(0)
	; wave barrier
	s_and_saveexec_b64 s[4:5], vcc
	s_cbranch_execz .LBB118_105
; %bb.102:
	v_mov_b32_e32 v111, 0
	v_add_u32_e32 v116, -1, v0
	v_add_u32_e32 v117, 0x1c0, v113
	v_mov_b32_e32 v118, v113
	v_mov_b32_e32 v112, 0
	s_mov_b64 s[8:9], 0
.LBB118_103:                            ; =>This Inner Loop Header: Depth=1
	buffer_load_dword v119, v118, s[0:3], 0 offen
	buffer_load_dword v120, v118, s[0:3], 0 offen offset:4
	ds_read_b64 v[121:122], v117
	v_add_u32_e32 v116, 1, v116
	v_cmp_lt_u32_e32 vcc, 22, v116
	v_add_u32_e32 v117, 8, v117
	s_or_b64 s[8:9], vcc, s[8:9]
	v_add_u32_e32 v118, 8, v118
	s_waitcnt vmcnt(0) lgkmcnt(0)
	v_fma_f64 v[111:112], v[119:120], v[121:122], v[111:112]
	s_andn2_b64 exec, exec, s[8:9]
	s_cbranch_execnz .LBB118_103
; %bb.104:
	s_or_b64 exec, exec, s[8:9]
	v_mov_b32_e32 v116, 0
	ds_read_b64 v[116:117], v116 offset:192
	s_waitcnt lgkmcnt(0)
	v_mul_f64 v[111:112], v[111:112], v[116:117]
	buffer_store_dword v112, off, s[0:3], 0 offset:196
	buffer_store_dword v111, off, s[0:3], 0 offset:192
.LBB118_105:
	s_or_b64 exec, exec, s[4:5]
	; wave barrier
	buffer_load_dword v111, off, s[0:3], 0 offset:200
	buffer_load_dword v112, off, s[0:3], 0 offset:204
	v_cmp_gt_u32_e32 vcc, 25, v0
	s_waitcnt vmcnt(0)
	ds_write_b64 v114, v[111:112]
	s_waitcnt lgkmcnt(0)
	; wave barrier
	s_and_saveexec_b64 s[4:5], vcc
	s_cbranch_execz .LBB118_109
; %bb.106:
	v_mov_b32_e32 v111, 0
	v_add_u32_e32 v116, -1, v0
	v_add_u32_e32 v117, 0x1c0, v113
	v_mov_b32_e32 v118, v113
	v_mov_b32_e32 v112, 0
	s_mov_b64 s[8:9], 0
.LBB118_107:                            ; =>This Inner Loop Header: Depth=1
	buffer_load_dword v119, v118, s[0:3], 0 offen
	buffer_load_dword v120, v118, s[0:3], 0 offen offset:4
	ds_read_b64 v[121:122], v117
	v_add_u32_e32 v116, 1, v116
	v_cmp_lt_u32_e32 vcc, 23, v116
	v_add_u32_e32 v117, 8, v117
	s_or_b64 s[8:9], vcc, s[8:9]
	v_add_u32_e32 v118, 8, v118
	s_waitcnt vmcnt(0) lgkmcnt(0)
	v_fma_f64 v[111:112], v[119:120], v[121:122], v[111:112]
	s_andn2_b64 exec, exec, s[8:9]
	s_cbranch_execnz .LBB118_107
; %bb.108:
	s_or_b64 exec, exec, s[8:9]
	v_mov_b32_e32 v116, 0
	ds_read_b64 v[116:117], v116 offset:200
	s_waitcnt lgkmcnt(0)
	v_mul_f64 v[111:112], v[111:112], v[116:117]
	buffer_store_dword v112, off, s[0:3], 0 offset:204
	buffer_store_dword v111, off, s[0:3], 0 offset:200
.LBB118_109:
	s_or_b64 exec, exec, s[4:5]
	; wave barrier
	buffer_load_dword v111, off, s[0:3], 0 offset:208
	buffer_load_dword v112, off, s[0:3], 0 offset:212
	v_cmp_gt_u32_e32 vcc, 26, v0
	;; [unrolled: 40-line block ×29, first 2 shown]
	s_waitcnt vmcnt(0)
	ds_write_b64 v114, v[111:112]
	s_waitcnt lgkmcnt(0)
	; wave barrier
	s_and_saveexec_b64 s[4:5], vcc
	s_cbranch_execz .LBB118_221
; %bb.218:
	v_mov_b32_e32 v111, 0
	v_add_u32_e32 v116, -1, v0
	v_add_u32_e32 v117, 0x1c0, v113
	v_mov_b32_e32 v118, v113
	v_mov_b32_e32 v112, 0
	s_mov_b64 s[8:9], 0
.LBB118_219:                            ; =>This Inner Loop Header: Depth=1
	buffer_load_dword v119, v118, s[0:3], 0 offen
	buffer_load_dword v120, v118, s[0:3], 0 offen offset:4
	ds_read_b64 v[121:122], v117
	v_add_u32_e32 v116, 1, v116
	v_cmp_lt_u32_e32 vcc, 51, v116
	v_add_u32_e32 v117, 8, v117
	s_or_b64 s[8:9], vcc, s[8:9]
	v_add_u32_e32 v118, 8, v118
	s_waitcnt vmcnt(0) lgkmcnt(0)
	v_fma_f64 v[111:112], v[119:120], v[121:122], v[111:112]
	s_andn2_b64 exec, exec, s[8:9]
	s_cbranch_execnz .LBB118_219
; %bb.220:
	s_or_b64 exec, exec, s[8:9]
	v_mov_b32_e32 v116, 0
	ds_read_b64 v[116:117], v116 offset:424
	s_waitcnt lgkmcnt(0)
	v_mul_f64 v[111:112], v[111:112], v[116:117]
	buffer_store_dword v112, off, s[0:3], 0 offset:428
	buffer_store_dword v111, off, s[0:3], 0 offset:424
.LBB118_221:
	s_or_b64 exec, exec, s[4:5]
	; wave barrier
	buffer_load_dword v111, off, s[0:3], 0 offset:432
	buffer_load_dword v112, off, s[0:3], 0 offset:436
	v_cmp_ne_u32_e32 vcc, 54, v0
	s_waitcnt vmcnt(0)
	ds_write_b64 v114, v[111:112]
	s_waitcnt lgkmcnt(0)
	; wave barrier
	s_and_saveexec_b64 s[4:5], vcc
	s_cbranch_execz .LBB118_225
; %bb.222:
	v_mov_b32_e32 v111, 0
	v_add_u32_e32 v114, 0x1c0, v113
	v_mov_b32_e32 v112, 0
	s_mov_b64 s[8:9], 0
.LBB118_223:                            ; =>This Inner Loop Header: Depth=1
	buffer_load_dword v116, v113, s[0:3], 0 offen
	buffer_load_dword v117, v113, s[0:3], 0 offen offset:4
	ds_read_b64 v[118:119], v114
	v_add_u32_e32 v115, 1, v115
	v_cmp_lt_u32_e32 vcc, 52, v115
	v_add_u32_e32 v114, 8, v114
	s_or_b64 s[8:9], vcc, s[8:9]
	v_add_u32_e32 v113, 8, v113
	s_waitcnt vmcnt(0) lgkmcnt(0)
	v_fma_f64 v[111:112], v[116:117], v[118:119], v[111:112]
	s_andn2_b64 exec, exec, s[8:9]
	s_cbranch_execnz .LBB118_223
; %bb.224:
	s_or_b64 exec, exec, s[8:9]
	v_mov_b32_e32 v113, 0
	ds_read_b64 v[113:114], v113 offset:432
	s_waitcnt lgkmcnt(0)
	v_mul_f64 v[111:112], v[111:112], v[113:114]
	buffer_store_dword v112, off, s[0:3], 0 offset:436
	buffer_store_dword v111, off, s[0:3], 0 offset:432
.LBB118_225:
	s_or_b64 exec, exec, s[4:5]
	s_mov_b64 s[8:9], -1
	; wave barrier
.LBB118_226:
	s_and_b64 vcc, exec, s[8:9]
	s_cbranch_vccz .LBB118_228
; %bb.227:
	s_lshl_b64 s[4:5], s[6:7], 2
	s_add_u32 s4, s10, s4
	s_addc_u32 s5, s11, s5
	v_mov_b32_e32 v111, 0
	global_load_dword v111, v111, s[4:5]
	s_waitcnt vmcnt(0)
	v_cmp_ne_u32_e32 vcc, 0, v111
	s_cbranch_vccz .LBB118_229
.LBB118_228:
	s_endpgm
.LBB118_229:
	v_mov_b32_e32 v111, 0x1c0
	v_lshl_add_u32 v111, v0, 3, v111
	v_cmp_eq_u32_e32 vcc, 54, v0
	s_and_saveexec_b64 s[4:5], vcc
	s_cbranch_execz .LBB118_231
; %bb.230:
	buffer_load_dword v112, off, s[0:3], 0 offset:424
	buffer_load_dword v113, off, s[0:3], 0 offset:428
	v_mov_b32_e32 v114, 0
	buffer_store_dword v114, off, s[0:3], 0 offset:424
	buffer_store_dword v114, off, s[0:3], 0 offset:428
	s_waitcnt vmcnt(2)
	ds_write_b64 v111, v[112:113]
.LBB118_231:
	s_or_b64 exec, exec, s[4:5]
	s_waitcnt lgkmcnt(0)
	; wave barrier
	buffer_load_dword v113, off, s[0:3], 0 offset:432
	buffer_load_dword v114, off, s[0:3], 0 offset:436
	buffer_load_dword v115, off, s[0:3], 0 offset:424
	buffer_load_dword v116, off, s[0:3], 0 offset:428
	v_mov_b32_e32 v112, 0
	ds_read_b64 v[117:118], v112 offset:880
	v_cmp_lt_u32_e32 vcc, 52, v0
	s_waitcnt vmcnt(2) lgkmcnt(0)
	v_fma_f64 v[113:114], v[113:114], v[117:118], 0
	s_waitcnt vmcnt(0)
	v_add_f64 v[113:114], v[115:116], -v[113:114]
	buffer_store_dword v113, off, s[0:3], 0 offset:424
	buffer_store_dword v114, off, s[0:3], 0 offset:428
	s_and_saveexec_b64 s[4:5], vcc
	s_cbranch_execz .LBB118_233
; %bb.232:
	buffer_load_dword v113, off, s[0:3], 0 offset:416
	buffer_load_dword v114, off, s[0:3], 0 offset:420
	s_waitcnt vmcnt(0)
	ds_write_b64 v111, v[113:114]
	buffer_store_dword v112, off, s[0:3], 0 offset:416
	buffer_store_dword v112, off, s[0:3], 0 offset:420
.LBB118_233:
	s_or_b64 exec, exec, s[4:5]
	s_waitcnt lgkmcnt(0)
	; wave barrier
	buffer_load_dword v116, off, s[0:3], 0 offset:424
	buffer_load_dword v117, off, s[0:3], 0 offset:428
	;; [unrolled: 1-line block ×6, first 2 shown]
	ds_read2_b64 v[112:115], v112 offset0:109 offset1:110
	v_cmp_lt_u32_e32 vcc, 51, v0
	s_waitcnt vmcnt(4) lgkmcnt(0)
	v_fma_f64 v[112:113], v[116:117], v[112:113], 0
	s_waitcnt vmcnt(2)
	v_fma_f64 v[112:113], v[118:119], v[114:115], v[112:113]
	s_waitcnt vmcnt(0)
	v_add_f64 v[112:113], v[120:121], -v[112:113]
	buffer_store_dword v112, off, s[0:3], 0 offset:416
	buffer_store_dword v113, off, s[0:3], 0 offset:420
	s_and_saveexec_b64 s[4:5], vcc
	s_cbranch_execz .LBB118_235
; %bb.234:
	buffer_load_dword v112, off, s[0:3], 0 offset:408
	buffer_load_dword v113, off, s[0:3], 0 offset:412
	v_mov_b32_e32 v114, 0
	buffer_store_dword v114, off, s[0:3], 0 offset:408
	buffer_store_dword v114, off, s[0:3], 0 offset:412
	s_waitcnt vmcnt(2)
	ds_write_b64 v111, v[112:113]
.LBB118_235:
	s_or_b64 exec, exec, s[4:5]
	s_waitcnt lgkmcnt(0)
	; wave barrier
	buffer_load_dword v117, off, s[0:3], 0 offset:416
	buffer_load_dword v118, off, s[0:3], 0 offset:420
	;; [unrolled: 1-line block ×8, first 2 shown]
	v_mov_b32_e32 v112, 0
	ds_read_b128 v[113:116], v112 offset:864
	v_cmp_lt_u32_e32 vcc, 50, v0
	s_waitcnt vmcnt(6) lgkmcnt(0)
	v_fma_f64 v[113:114], v[117:118], v[113:114], 0
	s_waitcnt vmcnt(4)
	v_fma_f64 v[113:114], v[119:120], v[115:116], v[113:114]
	ds_read_b64 v[115:116], v112 offset:880
	s_waitcnt vmcnt(2) lgkmcnt(0)
	v_fma_f64 v[113:114], v[121:122], v[115:116], v[113:114]
	s_waitcnt vmcnt(0)
	v_add_f64 v[113:114], v[123:124], -v[113:114]
	buffer_store_dword v113, off, s[0:3], 0 offset:408
	buffer_store_dword v114, off, s[0:3], 0 offset:412
	s_and_saveexec_b64 s[4:5], vcc
	s_cbranch_execz .LBB118_237
; %bb.236:
	buffer_load_dword v113, off, s[0:3], 0 offset:400
	buffer_load_dword v114, off, s[0:3], 0 offset:404
	s_waitcnt vmcnt(0)
	ds_write_b64 v111, v[113:114]
	buffer_store_dword v112, off, s[0:3], 0 offset:400
	buffer_store_dword v112, off, s[0:3], 0 offset:404
.LBB118_237:
	s_or_b64 exec, exec, s[4:5]
	s_waitcnt lgkmcnt(0)
	; wave barrier
	buffer_load_dword v117, off, s[0:3], 0 offset:408
	buffer_load_dword v118, off, s[0:3], 0 offset:412
	;; [unrolled: 1-line block ×10, first 2 shown]
	ds_read2_b64 v[113:116], v112 offset0:107 offset1:108
	v_cmp_lt_u32_e32 vcc, 49, v0
	s_waitcnt vmcnt(8) lgkmcnt(0)
	v_fma_f64 v[113:114], v[117:118], v[113:114], 0
	s_waitcnt vmcnt(6)
	v_fma_f64 v[116:117], v[119:120], v[115:116], v[113:114]
	ds_read2_b64 v[112:115], v112 offset0:109 offset1:110
	s_waitcnt vmcnt(4) lgkmcnt(0)
	v_fma_f64 v[112:113], v[121:122], v[112:113], v[116:117]
	s_waitcnt vmcnt(2)
	v_fma_f64 v[112:113], v[123:124], v[114:115], v[112:113]
	s_waitcnt vmcnt(0)
	v_add_f64 v[112:113], v[125:126], -v[112:113]
	buffer_store_dword v112, off, s[0:3], 0 offset:400
	buffer_store_dword v113, off, s[0:3], 0 offset:404
	s_and_saveexec_b64 s[4:5], vcc
	s_cbranch_execz .LBB118_239
; %bb.238:
	buffer_load_dword v112, off, s[0:3], 0 offset:392
	buffer_load_dword v113, off, s[0:3], 0 offset:396
	v_mov_b32_e32 v114, 0
	buffer_store_dword v114, off, s[0:3], 0 offset:392
	buffer_store_dword v114, off, s[0:3], 0 offset:396
	s_waitcnt vmcnt(2)
	ds_write_b64 v111, v[112:113]
.LBB118_239:
	s_or_b64 exec, exec, s[4:5]
	s_waitcnt lgkmcnt(0)
	; wave barrier
	buffer_load_dword v121, off, s[0:3], 0 offset:400
	buffer_load_dword v122, off, s[0:3], 0 offset:404
	;; [unrolled: 1-line block ×12, first 2 shown]
	v_mov_b32_e32 v112, 0
	ds_read_b128 v[113:116], v112 offset:848
	ds_read_b128 v[117:120], v112 offset:864
	v_cmp_lt_u32_e32 vcc, 48, v0
	s_waitcnt vmcnt(10) lgkmcnt(1)
	v_fma_f64 v[113:114], v[121:122], v[113:114], 0
	s_waitcnt vmcnt(8)
	v_fma_f64 v[113:114], v[123:124], v[115:116], v[113:114]
	ds_read_b64 v[115:116], v112 offset:880
	s_waitcnt vmcnt(6) lgkmcnt(1)
	v_fma_f64 v[113:114], v[125:126], v[117:118], v[113:114]
	s_waitcnt vmcnt(4)
	v_fma_f64 v[113:114], v[127:128], v[119:120], v[113:114]
	s_waitcnt vmcnt(2) lgkmcnt(0)
	v_fma_f64 v[113:114], v[129:130], v[115:116], v[113:114]
	s_waitcnt vmcnt(0)
	v_add_f64 v[113:114], v[131:132], -v[113:114]
	buffer_store_dword v113, off, s[0:3], 0 offset:392
	buffer_store_dword v114, off, s[0:3], 0 offset:396
	s_and_saveexec_b64 s[4:5], vcc
	s_cbranch_execz .LBB118_241
; %bb.240:
	buffer_load_dword v113, off, s[0:3], 0 offset:384
	buffer_load_dword v114, off, s[0:3], 0 offset:388
	s_waitcnt vmcnt(0)
	ds_write_b64 v111, v[113:114]
	buffer_store_dword v112, off, s[0:3], 0 offset:384
	buffer_store_dword v112, off, s[0:3], 0 offset:388
.LBB118_241:
	s_or_b64 exec, exec, s[4:5]
	s_waitcnt lgkmcnt(0)
	; wave barrier
	buffer_load_dword v121, off, s[0:3], 0 offset:392
	buffer_load_dword v122, off, s[0:3], 0 offset:396
	;; [unrolled: 1-line block ×14, first 2 shown]
	ds_read2_b64 v[113:116], v112 offset0:105 offset1:106
	ds_read2_b64 v[117:120], v112 offset0:107 offset1:108
	v_cmp_lt_u32_e32 vcc, 47, v0
	s_waitcnt vmcnt(12) lgkmcnt(1)
	v_fma_f64 v[113:114], v[121:122], v[113:114], 0
	s_waitcnt vmcnt(10)
	v_fma_f64 v[113:114], v[123:124], v[115:116], v[113:114]
	s_waitcnt vmcnt(8) lgkmcnt(0)
	v_fma_f64 v[113:114], v[125:126], v[117:118], v[113:114]
	s_waitcnt vmcnt(6)
	v_fma_f64 v[116:117], v[127:128], v[119:120], v[113:114]
	ds_read2_b64 v[112:115], v112 offset0:109 offset1:110
	s_waitcnt vmcnt(4) lgkmcnt(0)
	v_fma_f64 v[112:113], v[129:130], v[112:113], v[116:117]
	s_waitcnt vmcnt(2)
	v_fma_f64 v[112:113], v[131:132], v[114:115], v[112:113]
	s_waitcnt vmcnt(0)
	v_add_f64 v[112:113], v[133:134], -v[112:113]
	buffer_store_dword v112, off, s[0:3], 0 offset:384
	buffer_store_dword v113, off, s[0:3], 0 offset:388
	s_and_saveexec_b64 s[4:5], vcc
	s_cbranch_execz .LBB118_243
; %bb.242:
	buffer_load_dword v112, off, s[0:3], 0 offset:376
	buffer_load_dword v113, off, s[0:3], 0 offset:380
	v_mov_b32_e32 v114, 0
	buffer_store_dword v114, off, s[0:3], 0 offset:376
	buffer_store_dword v114, off, s[0:3], 0 offset:380
	s_waitcnt vmcnt(2)
	ds_write_b64 v111, v[112:113]
.LBB118_243:
	s_or_b64 exec, exec, s[4:5]
	s_waitcnt lgkmcnt(0)
	; wave barrier
	buffer_load_dword v121, off, s[0:3], 0 offset:384
	buffer_load_dword v122, off, s[0:3], 0 offset:388
	;; [unrolled: 1-line block ×16, first 2 shown]
	v_mov_b32_e32 v112, 0
	ds_read_b128 v[113:116], v112 offset:832
	ds_read_b128 v[117:120], v112 offset:848
	v_cmp_lt_u32_e32 vcc, 46, v0
	s_waitcnt vmcnt(14) lgkmcnt(1)
	v_fma_f64 v[113:114], v[121:122], v[113:114], 0
	s_waitcnt vmcnt(12)
	v_fma_f64 v[113:114], v[123:124], v[115:116], v[113:114]
	s_waitcnt vmcnt(10) lgkmcnt(0)
	v_fma_f64 v[113:114], v[125:126], v[117:118], v[113:114]
	s_waitcnt vmcnt(8)
	v_fma_f64 v[117:118], v[127:128], v[119:120], v[113:114]
	ds_read_b128 v[113:116], v112 offset:864
	ds_read_b64 v[119:120], v112 offset:880
	s_waitcnt vmcnt(6) lgkmcnt(1)
	v_fma_f64 v[113:114], v[129:130], v[113:114], v[117:118]
	s_waitcnt vmcnt(4)
	v_fma_f64 v[113:114], v[131:132], v[115:116], v[113:114]
	s_waitcnt vmcnt(2) lgkmcnt(0)
	v_fma_f64 v[113:114], v[133:134], v[119:120], v[113:114]
	s_waitcnt vmcnt(0)
	v_add_f64 v[113:114], v[135:136], -v[113:114]
	buffer_store_dword v113, off, s[0:3], 0 offset:376
	buffer_store_dword v114, off, s[0:3], 0 offset:380
	s_and_saveexec_b64 s[4:5], vcc
	s_cbranch_execz .LBB118_245
; %bb.244:
	buffer_load_dword v113, off, s[0:3], 0 offset:368
	buffer_load_dword v114, off, s[0:3], 0 offset:372
	s_waitcnt vmcnt(0)
	ds_write_b64 v111, v[113:114]
	buffer_store_dword v112, off, s[0:3], 0 offset:368
	buffer_store_dword v112, off, s[0:3], 0 offset:372
.LBB118_245:
	s_or_b64 exec, exec, s[4:5]
	s_waitcnt lgkmcnt(0)
	; wave barrier
	buffer_load_dword v121, off, s[0:3], 0 offset:376
	buffer_load_dword v122, off, s[0:3], 0 offset:380
	;; [unrolled: 1-line block ×18, first 2 shown]
	ds_read2_b64 v[113:116], v112 offset0:103 offset1:104
	ds_read2_b64 v[117:120], v112 offset0:105 offset1:106
	v_cmp_lt_u32_e32 vcc, 45, v0
	s_waitcnt vmcnt(16) lgkmcnt(1)
	v_fma_f64 v[113:114], v[121:122], v[113:114], 0
	s_waitcnt vmcnt(14)
	v_fma_f64 v[113:114], v[123:124], v[115:116], v[113:114]
	s_waitcnt vmcnt(12) lgkmcnt(0)
	v_fma_f64 v[113:114], v[125:126], v[117:118], v[113:114]
	s_waitcnt vmcnt(10)
	v_fma_f64 v[121:122], v[127:128], v[119:120], v[113:114]
	ds_read2_b64 v[113:116], v112 offset0:107 offset1:108
	ds_read2_b64 v[117:120], v112 offset0:109 offset1:110
	s_waitcnt vmcnt(8) lgkmcnt(1)
	v_fma_f64 v[112:113], v[129:130], v[113:114], v[121:122]
	s_waitcnt vmcnt(6)
	v_fma_f64 v[112:113], v[131:132], v[115:116], v[112:113]
	s_waitcnt vmcnt(4) lgkmcnt(0)
	v_fma_f64 v[112:113], v[133:134], v[117:118], v[112:113]
	s_waitcnt vmcnt(2)
	v_fma_f64 v[112:113], v[135:136], v[119:120], v[112:113]
	s_waitcnt vmcnt(0)
	v_add_f64 v[112:113], v[137:138], -v[112:113]
	buffer_store_dword v112, off, s[0:3], 0 offset:368
	buffer_store_dword v113, off, s[0:3], 0 offset:372
	s_and_saveexec_b64 s[4:5], vcc
	s_cbranch_execz .LBB118_247
; %bb.246:
	buffer_load_dword v112, off, s[0:3], 0 offset:360
	buffer_load_dword v113, off, s[0:3], 0 offset:364
	v_mov_b32_e32 v114, 0
	buffer_store_dword v114, off, s[0:3], 0 offset:360
	buffer_store_dword v114, off, s[0:3], 0 offset:364
	s_waitcnt vmcnt(2)
	ds_write_b64 v111, v[112:113]
.LBB118_247:
	s_or_b64 exec, exec, s[4:5]
	s_waitcnt lgkmcnt(0)
	; wave barrier
	buffer_load_dword v121, off, s[0:3], 0 offset:368
	buffer_load_dword v122, off, s[0:3], 0 offset:372
	;; [unrolled: 1-line block ×20, first 2 shown]
	v_mov_b32_e32 v112, 0
	ds_read_b128 v[113:116], v112 offset:816
	ds_read_b128 v[117:120], v112 offset:832
	v_cmp_lt_u32_e32 vcc, 44, v0
	s_waitcnt vmcnt(18) lgkmcnt(1)
	v_fma_f64 v[113:114], v[121:122], v[113:114], 0
	s_waitcnt vmcnt(16)
	v_fma_f64 v[113:114], v[123:124], v[115:116], v[113:114]
	s_waitcnt vmcnt(14) lgkmcnt(0)
	v_fma_f64 v[113:114], v[125:126], v[117:118], v[113:114]
	s_waitcnt vmcnt(12)
	v_fma_f64 v[121:122], v[127:128], v[119:120], v[113:114]
	ds_read_b128 v[113:116], v112 offset:848
	ds_read_b128 v[117:120], v112 offset:864
	s_waitcnt vmcnt(10) lgkmcnt(1)
	v_fma_f64 v[113:114], v[129:130], v[113:114], v[121:122]
	s_waitcnt vmcnt(8)
	v_fma_f64 v[113:114], v[131:132], v[115:116], v[113:114]
	ds_read_b64 v[115:116], v112 offset:880
	s_waitcnt vmcnt(6) lgkmcnt(1)
	v_fma_f64 v[113:114], v[133:134], v[117:118], v[113:114]
	s_waitcnt vmcnt(3)
	v_fma_f64 v[113:114], v[135:136], v[119:120], v[113:114]
	s_waitcnt vmcnt(2) lgkmcnt(0)
	v_fma_f64 v[113:114], v[137:138], v[115:116], v[113:114]
	s_waitcnt vmcnt(0)
	v_add_f64 v[113:114], v[139:140], -v[113:114]
	buffer_store_dword v113, off, s[0:3], 0 offset:360
	buffer_store_dword v114, off, s[0:3], 0 offset:364
	s_and_saveexec_b64 s[4:5], vcc
	s_cbranch_execz .LBB118_249
; %bb.248:
	buffer_load_dword v113, off, s[0:3], 0 offset:352
	buffer_load_dword v114, off, s[0:3], 0 offset:356
	s_waitcnt vmcnt(0)
	ds_write_b64 v111, v[113:114]
	buffer_store_dword v112, off, s[0:3], 0 offset:352
	buffer_store_dword v112, off, s[0:3], 0 offset:356
.LBB118_249:
	s_or_b64 exec, exec, s[4:5]
	s_waitcnt lgkmcnt(0)
	; wave barrier
	buffer_load_dword v121, off, s[0:3], 0 offset:360
	buffer_load_dword v122, off, s[0:3], 0 offset:364
	;; [unrolled: 1-line block ×20, first 2 shown]
	ds_read2_b64 v[113:116], v112 offset0:101 offset1:102
	buffer_load_dword v141, off, s[0:3], 0 offset:352
	buffer_load_dword v142, off, s[0:3], 0 offset:356
	ds_read2_b64 v[117:120], v112 offset0:103 offset1:104
	v_cmp_lt_u32_e32 vcc, 43, v0
	s_waitcnt vmcnt(20) lgkmcnt(1)
	v_fma_f64 v[113:114], v[121:122], v[113:114], 0
	s_waitcnt vmcnt(18)
	v_fma_f64 v[113:114], v[123:124], v[115:116], v[113:114]
	s_waitcnt vmcnt(16) lgkmcnt(0)
	v_fma_f64 v[113:114], v[125:126], v[117:118], v[113:114]
	s_waitcnt vmcnt(14)
	v_fma_f64 v[121:122], v[127:128], v[119:120], v[113:114]
	ds_read2_b64 v[113:116], v112 offset0:105 offset1:106
	ds_read2_b64 v[117:120], v112 offset0:107 offset1:108
	s_waitcnt vmcnt(12) lgkmcnt(1)
	v_fma_f64 v[113:114], v[129:130], v[113:114], v[121:122]
	s_waitcnt vmcnt(10)
	v_fma_f64 v[113:114], v[131:132], v[115:116], v[113:114]
	s_waitcnt vmcnt(8) lgkmcnt(0)
	v_fma_f64 v[113:114], v[133:134], v[117:118], v[113:114]
	s_waitcnt vmcnt(4)
	v_fma_f64 v[116:117], v[135:136], v[119:120], v[113:114]
	ds_read2_b64 v[112:115], v112 offset0:109 offset1:110
	s_waitcnt vmcnt(3) lgkmcnt(0)
	v_fma_f64 v[112:113], v[139:140], v[112:113], v[116:117]
	s_waitcnt vmcnt(2)
	v_fma_f64 v[112:113], v[137:138], v[114:115], v[112:113]
	s_waitcnt vmcnt(0)
	v_add_f64 v[112:113], v[141:142], -v[112:113]
	buffer_store_dword v112, off, s[0:3], 0 offset:352
	buffer_store_dword v113, off, s[0:3], 0 offset:356
	s_and_saveexec_b64 s[4:5], vcc
	s_cbranch_execz .LBB118_251
; %bb.250:
	buffer_load_dword v112, off, s[0:3], 0 offset:344
	buffer_load_dword v113, off, s[0:3], 0 offset:348
	v_mov_b32_e32 v114, 0
	buffer_store_dword v114, off, s[0:3], 0 offset:344
	buffer_store_dword v114, off, s[0:3], 0 offset:348
	s_waitcnt vmcnt(2)
	ds_write_b64 v111, v[112:113]
.LBB118_251:
	s_or_b64 exec, exec, s[4:5]
	s_waitcnt lgkmcnt(0)
	; wave barrier
	buffer_load_dword v121, off, s[0:3], 0 offset:352
	buffer_load_dword v122, off, s[0:3], 0 offset:356
	;; [unrolled: 1-line block ×21, first 2 shown]
	v_mov_b32_e32 v112, 0
	ds_read_b128 v[113:116], v112 offset:800
	ds_read_b128 v[117:120], v112 offset:816
	buffer_load_dword v138, off, s[0:3], 0 offset:436
	v_cmp_lt_u32_e32 vcc, 42, v0
	s_waitcnt vmcnt(20) lgkmcnt(1)
	v_fma_f64 v[113:114], v[121:122], v[113:114], 0
	buffer_load_dword v121, off, s[0:3], 0 offset:344
	buffer_load_dword v122, off, s[0:3], 0 offset:348
	s_waitcnt vmcnt(20)
	v_fma_f64 v[113:114], v[123:124], v[115:116], v[113:114]
	s_waitcnt vmcnt(18) lgkmcnt(0)
	v_fma_f64 v[113:114], v[125:126], v[117:118], v[113:114]
	s_waitcnt vmcnt(16)
	v_fma_f64 v[123:124], v[127:128], v[119:120], v[113:114]
	ds_read_b128 v[113:116], v112 offset:832
	ds_read_b128 v[117:120], v112 offset:848
	s_waitcnt vmcnt(14) lgkmcnt(1)
	v_fma_f64 v[113:114], v[129:130], v[113:114], v[123:124]
	s_waitcnt vmcnt(12)
	v_fma_f64 v[113:114], v[131:132], v[115:116], v[113:114]
	s_waitcnt vmcnt(10) lgkmcnt(0)
	v_fma_f64 v[113:114], v[133:134], v[117:118], v[113:114]
	s_waitcnt vmcnt(5)
	v_fma_f64 v[117:118], v[135:136], v[119:120], v[113:114]
	ds_read_b128 v[113:116], v112 offset:864
	ds_read_b64 v[119:120], v112 offset:880
	s_waitcnt vmcnt(4) lgkmcnt(1)
	v_fma_f64 v[113:114], v[141:142], v[113:114], v[117:118]
	s_waitcnt vmcnt(3)
	v_fma_f64 v[113:114], v[139:140], v[115:116], v[113:114]
	s_waitcnt vmcnt(2) lgkmcnt(0)
	v_fma_f64 v[113:114], v[137:138], v[119:120], v[113:114]
	s_waitcnt vmcnt(0)
	v_add_f64 v[113:114], v[121:122], -v[113:114]
	buffer_store_dword v114, off, s[0:3], 0 offset:348
	buffer_store_dword v113, off, s[0:3], 0 offset:344
	s_and_saveexec_b64 s[4:5], vcc
	s_cbranch_execz .LBB118_253
; %bb.252:
	buffer_load_dword v113, off, s[0:3], 0 offset:336
	buffer_load_dword v114, off, s[0:3], 0 offset:340
	s_waitcnt vmcnt(0)
	ds_write_b64 v111, v[113:114]
	buffer_store_dword v112, off, s[0:3], 0 offset:336
	buffer_store_dword v112, off, s[0:3], 0 offset:340
.LBB118_253:
	s_or_b64 exec, exec, s[4:5]
	s_waitcnt lgkmcnt(0)
	; wave barrier
	buffer_load_dword v121, off, s[0:3], 0 offset:344
	buffer_load_dword v122, off, s[0:3], 0 offset:348
	buffer_load_dword v123, off, s[0:3], 0 offset:352
	buffer_load_dword v124, off, s[0:3], 0 offset:356
	buffer_load_dword v125, off, s[0:3], 0 offset:360
	buffer_load_dword v126, off, s[0:3], 0 offset:364
	buffer_load_dword v127, off, s[0:3], 0 offset:368
	buffer_load_dword v128, off, s[0:3], 0 offset:372
	buffer_load_dword v129, off, s[0:3], 0 offset:376
	buffer_load_dword v130, off, s[0:3], 0 offset:380
	buffer_load_dword v131, off, s[0:3], 0 offset:384
	buffer_load_dword v132, off, s[0:3], 0 offset:388
	buffer_load_dword v133, off, s[0:3], 0 offset:392
	buffer_load_dword v134, off, s[0:3], 0 offset:396
	buffer_load_dword v136, off, s[0:3], 0 offset:404
	buffer_load_dword v137, off, s[0:3], 0 offset:424
	buffer_load_dword v139, off, s[0:3], 0 offset:416
	buffer_load_dword v141, off, s[0:3], 0 offset:408
	buffer_load_dword v135, off, s[0:3], 0 offset:400
	buffer_load_dword v142, off, s[0:3], 0 offset:412
	buffer_load_dword v140, off, s[0:3], 0 offset:420
	ds_read2_b64 v[113:116], v112 offset0:99 offset1:100
	ds_read2_b64 v[117:120], v112 offset0:101 offset1:102
	buffer_load_dword v138, off, s[0:3], 0 offset:428
	v_cmp_lt_u32_e32 vcc, 41, v0
	s_waitcnt vmcnt(20) lgkmcnt(1)
	v_fma_f64 v[113:114], v[121:122], v[113:114], 0
	buffer_load_dword v122, off, s[0:3], 0 offset:436
	buffer_load_dword v121, off, s[0:3], 0 offset:432
	s_waitcnt vmcnt(20)
	v_fma_f64 v[113:114], v[123:124], v[115:116], v[113:114]
	buffer_load_dword v123, off, s[0:3], 0 offset:336
	buffer_load_dword v124, off, s[0:3], 0 offset:340
	s_waitcnt vmcnt(20) lgkmcnt(0)
	v_fma_f64 v[113:114], v[125:126], v[117:118], v[113:114]
	s_waitcnt vmcnt(18)
	v_fma_f64 v[125:126], v[127:128], v[119:120], v[113:114]
	ds_read2_b64 v[113:116], v112 offset0:103 offset1:104
	ds_read2_b64 v[117:120], v112 offset0:105 offset1:106
	s_waitcnt vmcnt(16) lgkmcnt(1)
	v_fma_f64 v[113:114], v[129:130], v[113:114], v[125:126]
	s_waitcnt vmcnt(14)
	v_fma_f64 v[113:114], v[131:132], v[115:116], v[113:114]
	s_waitcnt vmcnt(12) lgkmcnt(0)
	v_fma_f64 v[113:114], v[133:134], v[117:118], v[113:114]
	s_waitcnt vmcnt(7)
	v_fma_f64 v[125:126], v[135:136], v[119:120], v[113:114]
	ds_read2_b64 v[113:116], v112 offset0:107 offset1:108
	ds_read2_b64 v[117:120], v112 offset0:109 offset1:110
	s_waitcnt vmcnt(6) lgkmcnt(1)
	v_fma_f64 v[112:113], v[141:142], v[113:114], v[125:126]
	s_waitcnt vmcnt(5)
	v_fma_f64 v[112:113], v[139:140], v[115:116], v[112:113]
	s_waitcnt vmcnt(4) lgkmcnt(0)
	v_fma_f64 v[112:113], v[137:138], v[117:118], v[112:113]
	s_waitcnt vmcnt(2)
	v_fma_f64 v[112:113], v[121:122], v[119:120], v[112:113]
	s_waitcnt vmcnt(0)
	v_add_f64 v[112:113], v[123:124], -v[112:113]
	buffer_store_dword v113, off, s[0:3], 0 offset:340
	buffer_store_dword v112, off, s[0:3], 0 offset:336
	s_and_saveexec_b64 s[4:5], vcc
	s_cbranch_execz .LBB118_255
; %bb.254:
	buffer_load_dword v112, off, s[0:3], 0 offset:328
	buffer_load_dword v113, off, s[0:3], 0 offset:332
	v_mov_b32_e32 v114, 0
	buffer_store_dword v114, off, s[0:3], 0 offset:328
	buffer_store_dword v114, off, s[0:3], 0 offset:332
	s_waitcnt vmcnt(2)
	ds_write_b64 v111, v[112:113]
.LBB118_255:
	s_or_b64 exec, exec, s[4:5]
	s_waitcnt lgkmcnt(0)
	; wave barrier
	buffer_load_dword v121, off, s[0:3], 0 offset:336
	buffer_load_dword v122, off, s[0:3], 0 offset:340
	;; [unrolled: 1-line block ×21, first 2 shown]
	v_mov_b32_e32 v112, 0
	ds_read_b128 v[113:116], v112 offset:784
	ds_read_b128 v[117:120], v112 offset:800
	buffer_load_dword v138, off, s[0:3], 0 offset:420
	v_cmp_lt_u32_e32 vcc, 40, v0
	s_waitcnt vmcnt(20) lgkmcnt(1)
	v_fma_f64 v[113:114], v[121:122], v[113:114], 0
	s_waitcnt vmcnt(18)
	v_fma_f64 v[113:114], v[123:124], v[115:116], v[113:114]
	buffer_load_dword v122, off, s[0:3], 0 offset:428
	buffer_load_dword v123, off, s[0:3], 0 offset:432
	;; [unrolled: 1-line block ×4, first 2 shown]
	s_waitcnt vmcnt(20) lgkmcnt(0)
	v_fma_f64 v[113:114], v[125:126], v[117:118], v[113:114]
	buffer_load_dword v125, off, s[0:3], 0 offset:328
	buffer_load_dword v126, off, s[0:3], 0 offset:332
	s_waitcnt vmcnt(20)
	v_fma_f64 v[127:128], v[127:128], v[119:120], v[113:114]
	ds_read_b128 v[113:116], v112 offset:816
	ds_read_b128 v[117:120], v112 offset:832
	s_waitcnt vmcnt(18) lgkmcnt(1)
	v_fma_f64 v[113:114], v[129:130], v[113:114], v[127:128]
	s_waitcnt vmcnt(16)
	v_fma_f64 v[113:114], v[131:132], v[115:116], v[113:114]
	s_waitcnt vmcnt(14) lgkmcnt(0)
	v_fma_f64 v[113:114], v[133:134], v[117:118], v[113:114]
	s_waitcnt vmcnt(9)
	v_fma_f64 v[127:128], v[135:136], v[119:120], v[113:114]
	ds_read_b128 v[113:116], v112 offset:848
	ds_read_b128 v[117:120], v112 offset:864
	s_waitcnt vmcnt(8) lgkmcnt(1)
	v_fma_f64 v[113:114], v[141:142], v[113:114], v[127:128]
	s_waitcnt vmcnt(7)
	v_fma_f64 v[113:114], v[139:140], v[115:116], v[113:114]
	ds_read_b64 v[115:116], v112 offset:880
	s_waitcnt vmcnt(6) lgkmcnt(1)
	v_fma_f64 v[113:114], v[137:138], v[117:118], v[113:114]
	s_waitcnt vmcnt(3)
	v_fma_f64 v[113:114], v[121:122], v[119:120], v[113:114]
	s_waitcnt vmcnt(2) lgkmcnt(0)
	v_fma_f64 v[113:114], v[123:124], v[115:116], v[113:114]
	s_waitcnt vmcnt(0)
	v_add_f64 v[113:114], v[125:126], -v[113:114]
	buffer_store_dword v114, off, s[0:3], 0 offset:332
	buffer_store_dword v113, off, s[0:3], 0 offset:328
	s_and_saveexec_b64 s[4:5], vcc
	s_cbranch_execz .LBB118_257
; %bb.256:
	buffer_load_dword v113, off, s[0:3], 0 offset:320
	buffer_load_dword v114, off, s[0:3], 0 offset:324
	s_waitcnt vmcnt(0)
	ds_write_b64 v111, v[113:114]
	buffer_store_dword v112, off, s[0:3], 0 offset:320
	buffer_store_dword v112, off, s[0:3], 0 offset:324
.LBB118_257:
	s_or_b64 exec, exec, s[4:5]
	s_waitcnt lgkmcnt(0)
	; wave barrier
	buffer_load_dword v121, off, s[0:3], 0 offset:328
	buffer_load_dword v122, off, s[0:3], 0 offset:332
	buffer_load_dword v123, off, s[0:3], 0 offset:336
	buffer_load_dword v124, off, s[0:3], 0 offset:340
	buffer_load_dword v125, off, s[0:3], 0 offset:344
	buffer_load_dword v126, off, s[0:3], 0 offset:348
	buffer_load_dword v127, off, s[0:3], 0 offset:352
	buffer_load_dword v128, off, s[0:3], 0 offset:356
	buffer_load_dword v129, off, s[0:3], 0 offset:360
	buffer_load_dword v130, off, s[0:3], 0 offset:364
	buffer_load_dword v131, off, s[0:3], 0 offset:368
	buffer_load_dword v132, off, s[0:3], 0 offset:372
	buffer_load_dword v133, off, s[0:3], 0 offset:376
	buffer_load_dword v134, off, s[0:3], 0 offset:380
	buffer_load_dword v136, off, s[0:3], 0 offset:388
	buffer_load_dword v137, off, s[0:3], 0 offset:408
	buffer_load_dword v139, off, s[0:3], 0 offset:400
	buffer_load_dword v141, off, s[0:3], 0 offset:392
	buffer_load_dword v135, off, s[0:3], 0 offset:384
	buffer_load_dword v142, off, s[0:3], 0 offset:396
	buffer_load_dword v140, off, s[0:3], 0 offset:404
	buffer_load_dword v138, off, s[0:3], 0 offset:412
	ds_read2_b64 v[113:116], v112 offset0:97 offset1:98
	ds_read2_b64 v[117:120], v112 offset0:99 offset1:100
	v_cmp_lt_u32_e32 vcc, 39, v0
	s_waitcnt vmcnt(20) lgkmcnt(1)
	v_fma_f64 v[113:114], v[121:122], v[113:114], 0
	s_waitcnt vmcnt(18)
	v_fma_f64 v[113:114], v[123:124], v[115:116], v[113:114]
	buffer_load_dword v122, off, s[0:3], 0 offset:420
	buffer_load_dword v123, off, s[0:3], 0 offset:432
	buffer_load_dword v143, off, s[0:3], 0 offset:424
	buffer_load_dword v121, off, s[0:3], 0 offset:416
	buffer_load_dword v144, off, s[0:3], 0 offset:428
	buffer_load_dword v124, off, s[0:3], 0 offset:436
	s_waitcnt vmcnt(22) lgkmcnt(0)
	v_fma_f64 v[113:114], v[125:126], v[117:118], v[113:114]
	s_waitcnt vmcnt(20)
	v_fma_f64 v[125:126], v[127:128], v[119:120], v[113:114]
	ds_read2_b64 v[113:116], v112 offset0:101 offset1:102
	buffer_load_dword v127, off, s[0:3], 0 offset:320
	buffer_load_dword v128, off, s[0:3], 0 offset:324
	ds_read2_b64 v[117:120], v112 offset0:103 offset1:104
	s_waitcnt vmcnt(20) lgkmcnt(1)
	v_fma_f64 v[113:114], v[129:130], v[113:114], v[125:126]
	s_waitcnt vmcnt(18)
	v_fma_f64 v[113:114], v[131:132], v[115:116], v[113:114]
	s_waitcnt vmcnt(16) lgkmcnt(0)
	v_fma_f64 v[113:114], v[133:134], v[117:118], v[113:114]
	s_waitcnt vmcnt(11)
	v_fma_f64 v[125:126], v[135:136], v[119:120], v[113:114]
	ds_read2_b64 v[113:116], v112 offset0:105 offset1:106
	ds_read2_b64 v[117:120], v112 offset0:107 offset1:108
	s_waitcnt vmcnt(10) lgkmcnt(1)
	v_fma_f64 v[113:114], v[141:142], v[113:114], v[125:126]
	s_waitcnt vmcnt(9)
	v_fma_f64 v[113:114], v[139:140], v[115:116], v[113:114]
	s_waitcnt vmcnt(8) lgkmcnt(0)
	v_fma_f64 v[113:114], v[137:138], v[117:118], v[113:114]
	s_waitcnt vmcnt(4)
	v_fma_f64 v[116:117], v[121:122], v[119:120], v[113:114]
	ds_read2_b64 v[112:115], v112 offset0:109 offset1:110
	s_waitcnt vmcnt(3) lgkmcnt(0)
	v_fma_f64 v[112:113], v[143:144], v[112:113], v[116:117]
	s_waitcnt vmcnt(2)
	v_fma_f64 v[112:113], v[123:124], v[114:115], v[112:113]
	s_waitcnt vmcnt(0)
	v_add_f64 v[112:113], v[127:128], -v[112:113]
	buffer_store_dword v113, off, s[0:3], 0 offset:324
	buffer_store_dword v112, off, s[0:3], 0 offset:320
	s_and_saveexec_b64 s[4:5], vcc
	s_cbranch_execz .LBB118_259
; %bb.258:
	buffer_load_dword v112, off, s[0:3], 0 offset:312
	buffer_load_dword v113, off, s[0:3], 0 offset:316
	v_mov_b32_e32 v114, 0
	buffer_store_dword v114, off, s[0:3], 0 offset:312
	buffer_store_dword v114, off, s[0:3], 0 offset:316
	s_waitcnt vmcnt(2)
	ds_write_b64 v111, v[112:113]
.LBB118_259:
	s_or_b64 exec, exec, s[4:5]
	s_waitcnt lgkmcnt(0)
	; wave barrier
	buffer_load_dword v121, off, s[0:3], 0 offset:320
	buffer_load_dword v122, off, s[0:3], 0 offset:324
	;; [unrolled: 1-line block ×22, first 2 shown]
	v_mov_b32_e32 v112, 0
	ds_read_b128 v[113:116], v112 offset:768
	ds_read_b128 v[117:120], v112 offset:784
	v_cmp_lt_u32_e32 vcc, 38, v0
	s_waitcnt vmcnt(20) lgkmcnt(1)
	v_fma_f64 v[113:114], v[121:122], v[113:114], 0
	s_waitcnt vmcnt(18)
	v_fma_f64 v[113:114], v[123:124], v[115:116], v[113:114]
	buffer_load_dword v122, off, s[0:3], 0 offset:412
	buffer_load_dword v123, off, s[0:3], 0 offset:432
	;; [unrolled: 1-line block ×8, first 2 shown]
	s_waitcnt vmcnt(24) lgkmcnt(0)
	v_fma_f64 v[113:114], v[125:126], v[117:118], v[113:114]
	s_waitcnt vmcnt(22)
	v_fma_f64 v[125:126], v[127:128], v[119:120], v[113:114]
	ds_read_b128 v[113:116], v112 offset:800
	ds_read_b128 v[117:120], v112 offset:816
	s_waitcnt vmcnt(20) lgkmcnt(1)
	v_fma_f64 v[113:114], v[129:130], v[113:114], v[125:126]
	buffer_load_dword v125, off, s[0:3], 0 offset:312
	buffer_load_dword v126, off, s[0:3], 0 offset:316
	s_waitcnt vmcnt(20)
	v_fma_f64 v[113:114], v[131:132], v[115:116], v[113:114]
	s_waitcnt vmcnt(18) lgkmcnt(0)
	v_fma_f64 v[113:114], v[133:134], v[117:118], v[113:114]
	s_waitcnt vmcnt(13)
	v_fma_f64 v[127:128], v[135:136], v[119:120], v[113:114]
	ds_read_b128 v[113:116], v112 offset:832
	ds_read_b128 v[117:120], v112 offset:848
	s_waitcnt vmcnt(12) lgkmcnt(1)
	v_fma_f64 v[113:114], v[141:142], v[113:114], v[127:128]
	s_waitcnt vmcnt(11)
	v_fma_f64 v[113:114], v[139:140], v[115:116], v[113:114]
	s_waitcnt vmcnt(10) lgkmcnt(0)
	v_fma_f64 v[113:114], v[137:138], v[117:118], v[113:114]
	s_waitcnt vmcnt(5)
	v_fma_f64 v[117:118], v[121:122], v[119:120], v[113:114]
	ds_read_b128 v[113:116], v112 offset:864
	ds_read_b64 v[119:120], v112 offset:880
	s_waitcnt vmcnt(4) lgkmcnt(1)
	v_fma_f64 v[113:114], v[145:146], v[113:114], v[117:118]
	s_waitcnt vmcnt(3)
	v_fma_f64 v[113:114], v[143:144], v[115:116], v[113:114]
	s_waitcnt vmcnt(2) lgkmcnt(0)
	v_fma_f64 v[113:114], v[123:124], v[119:120], v[113:114]
	s_waitcnt vmcnt(0)
	v_add_f64 v[113:114], v[125:126], -v[113:114]
	buffer_store_dword v114, off, s[0:3], 0 offset:316
	buffer_store_dword v113, off, s[0:3], 0 offset:312
	s_and_saveexec_b64 s[4:5], vcc
	s_cbranch_execz .LBB118_261
; %bb.260:
	buffer_load_dword v113, off, s[0:3], 0 offset:304
	buffer_load_dword v114, off, s[0:3], 0 offset:308
	s_waitcnt vmcnt(0)
	ds_write_b64 v111, v[113:114]
	buffer_store_dword v112, off, s[0:3], 0 offset:304
	buffer_store_dword v112, off, s[0:3], 0 offset:308
.LBB118_261:
	s_or_b64 exec, exec, s[4:5]
	s_waitcnt lgkmcnt(0)
	; wave barrier
	buffer_load_dword v121, off, s[0:3], 0 offset:312
	buffer_load_dword v122, off, s[0:3], 0 offset:316
	buffer_load_dword v123, off, s[0:3], 0 offset:320
	buffer_load_dword v124, off, s[0:3], 0 offset:324
	buffer_load_dword v125, off, s[0:3], 0 offset:328
	buffer_load_dword v126, off, s[0:3], 0 offset:332
	buffer_load_dword v127, off, s[0:3], 0 offset:336
	buffer_load_dword v128, off, s[0:3], 0 offset:340
	buffer_load_dword v129, off, s[0:3], 0 offset:344
	buffer_load_dword v130, off, s[0:3], 0 offset:348
	buffer_load_dword v131, off, s[0:3], 0 offset:352
	buffer_load_dword v132, off, s[0:3], 0 offset:356
	buffer_load_dword v133, off, s[0:3], 0 offset:360
	buffer_load_dword v134, off, s[0:3], 0 offset:364
	buffer_load_dword v136, off, s[0:3], 0 offset:372
	buffer_load_dword v137, off, s[0:3], 0 offset:392
	buffer_load_dword v139, off, s[0:3], 0 offset:384
	buffer_load_dword v141, off, s[0:3], 0 offset:376
	buffer_load_dword v135, off, s[0:3], 0 offset:368
	buffer_load_dword v142, off, s[0:3], 0 offset:380
	buffer_load_dword v140, off, s[0:3], 0 offset:388
	buffer_load_dword v138, off, s[0:3], 0 offset:396
	ds_read2_b64 v[113:116], v112 offset0:95 offset1:96
	ds_read2_b64 v[117:120], v112 offset0:97 offset1:98
	v_cmp_lt_u32_e32 vcc, 37, v0
	s_waitcnt vmcnt(20) lgkmcnt(1)
	v_fma_f64 v[113:114], v[121:122], v[113:114], 0
	s_waitcnt vmcnt(18)
	v_fma_f64 v[113:114], v[123:124], v[115:116], v[113:114]
	buffer_load_dword v122, off, s[0:3], 0 offset:404
	buffer_load_dword v123, off, s[0:3], 0 offset:424
	;; [unrolled: 1-line block ×8, first 2 shown]
	s_waitcnt vmcnt(24) lgkmcnt(0)
	v_fma_f64 v[113:114], v[125:126], v[117:118], v[113:114]
	s_waitcnt vmcnt(22)
	v_fma_f64 v[125:126], v[127:128], v[119:120], v[113:114]
	ds_read2_b64 v[113:116], v112 offset0:99 offset1:100
	ds_read2_b64 v[117:120], v112 offset0:101 offset1:102
	s_waitcnt vmcnt(20) lgkmcnt(1)
	v_fma_f64 v[113:114], v[129:130], v[113:114], v[125:126]
	buffer_load_dword v126, off, s[0:3], 0 offset:436
	buffer_load_dword v125, off, s[0:3], 0 offset:432
	;; [unrolled: 1-line block ×4, first 2 shown]
	s_waitcnt vmcnt(22)
	v_fma_f64 v[113:114], v[131:132], v[115:116], v[113:114]
	s_waitcnt vmcnt(20) lgkmcnt(0)
	v_fma_f64 v[113:114], v[133:134], v[117:118], v[113:114]
	s_waitcnt vmcnt(15)
	v_fma_f64 v[129:130], v[135:136], v[119:120], v[113:114]
	ds_read2_b64 v[113:116], v112 offset0:103 offset1:104
	ds_read2_b64 v[117:120], v112 offset0:105 offset1:106
	s_waitcnt vmcnt(14) lgkmcnt(1)
	v_fma_f64 v[113:114], v[141:142], v[113:114], v[129:130]
	s_waitcnt vmcnt(13)
	v_fma_f64 v[113:114], v[139:140], v[115:116], v[113:114]
	s_waitcnt vmcnt(12) lgkmcnt(0)
	v_fma_f64 v[113:114], v[137:138], v[117:118], v[113:114]
	s_waitcnt vmcnt(7)
	v_fma_f64 v[121:122], v[121:122], v[119:120], v[113:114]
	ds_read2_b64 v[113:116], v112 offset0:107 offset1:108
	ds_read2_b64 v[117:120], v112 offset0:109 offset1:110
	s_waitcnt vmcnt(6) lgkmcnt(1)
	v_fma_f64 v[112:113], v[145:146], v[113:114], v[121:122]
	s_waitcnt vmcnt(5)
	v_fma_f64 v[112:113], v[143:144], v[115:116], v[112:113]
	s_waitcnt vmcnt(4) lgkmcnt(0)
	v_fma_f64 v[112:113], v[123:124], v[117:118], v[112:113]
	s_waitcnt vmcnt(2)
	v_fma_f64 v[112:113], v[125:126], v[119:120], v[112:113]
	s_waitcnt vmcnt(0)
	v_add_f64 v[112:113], v[127:128], -v[112:113]
	buffer_store_dword v113, off, s[0:3], 0 offset:308
	buffer_store_dword v112, off, s[0:3], 0 offset:304
	s_and_saveexec_b64 s[4:5], vcc
	s_cbranch_execz .LBB118_263
; %bb.262:
	buffer_load_dword v112, off, s[0:3], 0 offset:296
	buffer_load_dword v113, off, s[0:3], 0 offset:300
	v_mov_b32_e32 v114, 0
	buffer_store_dword v114, off, s[0:3], 0 offset:296
	buffer_store_dword v114, off, s[0:3], 0 offset:300
	s_waitcnt vmcnt(2)
	ds_write_b64 v111, v[112:113]
.LBB118_263:
	s_or_b64 exec, exec, s[4:5]
	s_waitcnt lgkmcnt(0)
	; wave barrier
	buffer_load_dword v121, off, s[0:3], 0 offset:304
	buffer_load_dword v122, off, s[0:3], 0 offset:308
	buffer_load_dword v123, off, s[0:3], 0 offset:312
	buffer_load_dword v124, off, s[0:3], 0 offset:316
	buffer_load_dword v125, off, s[0:3], 0 offset:320
	buffer_load_dword v126, off, s[0:3], 0 offset:324
	buffer_load_dword v127, off, s[0:3], 0 offset:328
	buffer_load_dword v128, off, s[0:3], 0 offset:332
	buffer_load_dword v129, off, s[0:3], 0 offset:336
	buffer_load_dword v130, off, s[0:3], 0 offset:340
	buffer_load_dword v131, off, s[0:3], 0 offset:344
	buffer_load_dword v132, off, s[0:3], 0 offset:348
	buffer_load_dword v133, off, s[0:3], 0 offset:352
	buffer_load_dword v134, off, s[0:3], 0 offset:356
	buffer_load_dword v136, off, s[0:3], 0 offset:364
	buffer_load_dword v137, off, s[0:3], 0 offset:384
	buffer_load_dword v139, off, s[0:3], 0 offset:376
	buffer_load_dword v141, off, s[0:3], 0 offset:368
	buffer_load_dword v135, off, s[0:3], 0 offset:360
	buffer_load_dword v142, off, s[0:3], 0 offset:372
	buffer_load_dword v140, off, s[0:3], 0 offset:380
	buffer_load_dword v138, off, s[0:3], 0 offset:388
	v_mov_b32_e32 v112, 0
	ds_read_b128 v[113:116], v112 offset:752
	ds_read_b128 v[117:120], v112 offset:768
	v_cmp_lt_u32_e32 vcc, 36, v0
	s_waitcnt vmcnt(20) lgkmcnt(1)
	v_fma_f64 v[113:114], v[121:122], v[113:114], 0
	s_waitcnt vmcnt(18)
	v_fma_f64 v[113:114], v[123:124], v[115:116], v[113:114]
	buffer_load_dword v122, off, s[0:3], 0 offset:396
	buffer_load_dword v123, off, s[0:3], 0 offset:416
	;; [unrolled: 1-line block ×7, first 2 shown]
	s_waitcnt vmcnt(23) lgkmcnt(0)
	v_fma_f64 v[113:114], v[125:126], v[117:118], v[113:114]
	s_waitcnt vmcnt(21)
	v_fma_f64 v[124:125], v[127:128], v[119:120], v[113:114]
	ds_read_b128 v[113:116], v112 offset:784
	ds_read_b128 v[117:120], v112 offset:800
	s_waitcnt vmcnt(19) lgkmcnt(1)
	v_fma_f64 v[113:114], v[129:130], v[113:114], v[124:125]
	buffer_load_dword v124, off, s[0:3], 0 offset:420
	buffer_load_dword v126, off, s[0:3], 0 offset:428
	;; [unrolled: 1-line block ×7, first 2 shown]
	s_waitcnt vmcnt(24)
	v_fma_f64 v[113:114], v[131:132], v[115:116], v[113:114]
	s_waitcnt vmcnt(22) lgkmcnt(0)
	v_fma_f64 v[113:114], v[133:134], v[117:118], v[113:114]
	s_waitcnt vmcnt(17)
	v_fma_f64 v[131:132], v[135:136], v[119:120], v[113:114]
	ds_read_b128 v[113:116], v112 offset:816
	ds_read_b128 v[117:120], v112 offset:832
	s_waitcnt vmcnt(16) lgkmcnt(1)
	v_fma_f64 v[113:114], v[141:142], v[113:114], v[131:132]
	s_waitcnt vmcnt(15)
	v_fma_f64 v[113:114], v[139:140], v[115:116], v[113:114]
	s_waitcnt vmcnt(14) lgkmcnt(0)
	v_fma_f64 v[113:114], v[137:138], v[117:118], v[113:114]
	s_waitcnt vmcnt(9)
	v_fma_f64 v[121:122], v[121:122], v[119:120], v[113:114]
	ds_read_b128 v[113:116], v112 offset:848
	ds_read_b128 v[117:120], v112 offset:864
	s_waitcnt vmcnt(8) lgkmcnt(1)
	v_fma_f64 v[113:114], v[145:146], v[113:114], v[121:122]
	s_waitcnt vmcnt(7)
	v_fma_f64 v[113:114], v[143:144], v[115:116], v[113:114]
	ds_read_b64 v[115:116], v112 offset:880
	s_waitcnt vmcnt(6) lgkmcnt(1)
	v_fma_f64 v[113:114], v[123:124], v[117:118], v[113:114]
	s_waitcnt vmcnt(3)
	v_fma_f64 v[113:114], v[125:126], v[119:120], v[113:114]
	s_waitcnt vmcnt(2) lgkmcnt(0)
	v_fma_f64 v[113:114], v[127:128], v[115:116], v[113:114]
	s_waitcnt vmcnt(0)
	v_add_f64 v[113:114], v[129:130], -v[113:114]
	buffer_store_dword v114, off, s[0:3], 0 offset:300
	buffer_store_dword v113, off, s[0:3], 0 offset:296
	s_and_saveexec_b64 s[4:5], vcc
	s_cbranch_execz .LBB118_265
; %bb.264:
	buffer_load_dword v113, off, s[0:3], 0 offset:288
	buffer_load_dword v114, off, s[0:3], 0 offset:292
	s_waitcnt vmcnt(0)
	ds_write_b64 v111, v[113:114]
	buffer_store_dword v112, off, s[0:3], 0 offset:288
	buffer_store_dword v112, off, s[0:3], 0 offset:292
.LBB118_265:
	s_or_b64 exec, exec, s[4:5]
	s_waitcnt lgkmcnt(0)
	; wave barrier
	buffer_load_dword v121, off, s[0:3], 0 offset:296
	buffer_load_dword v122, off, s[0:3], 0 offset:300
	;; [unrolled: 1-line block ×22, first 2 shown]
	ds_read2_b64 v[113:116], v112 offset0:93 offset1:94
	ds_read2_b64 v[117:120], v112 offset0:95 offset1:96
	v_cmp_lt_u32_e32 vcc, 35, v0
	s_waitcnt vmcnt(20) lgkmcnt(1)
	v_fma_f64 v[113:114], v[121:122], v[113:114], 0
	s_waitcnt vmcnt(18)
	v_fma_f64 v[113:114], v[123:124], v[115:116], v[113:114]
	buffer_load_dword v122, off, s[0:3], 0 offset:388
	buffer_load_dword v123, off, s[0:3], 0 offset:408
	;; [unrolled: 1-line block ×7, first 2 shown]
	s_waitcnt vmcnt(23) lgkmcnt(0)
	v_fma_f64 v[113:114], v[125:126], v[117:118], v[113:114]
	s_waitcnt vmcnt(21)
	v_fma_f64 v[124:125], v[127:128], v[119:120], v[113:114]
	ds_read2_b64 v[113:116], v112 offset0:97 offset1:98
	ds_read2_b64 v[117:120], v112 offset0:99 offset1:100
	s_waitcnt vmcnt(19) lgkmcnt(1)
	v_fma_f64 v[113:114], v[129:130], v[113:114], v[124:125]
	buffer_load_dword v124, off, s[0:3], 0 offset:412
	buffer_load_dword v126, off, s[0:3], 0 offset:420
	;; [unrolled: 1-line block ×7, first 2 shown]
	s_waitcnt vmcnt(24)
	v_fma_f64 v[113:114], v[131:132], v[115:116], v[113:114]
	s_waitcnt vmcnt(22) lgkmcnt(0)
	v_fma_f64 v[113:114], v[133:134], v[117:118], v[113:114]
	s_waitcnt vmcnt(17)
	v_fma_f64 v[131:132], v[135:136], v[119:120], v[113:114]
	ds_read2_b64 v[113:116], v112 offset0:101 offset1:102
	buffer_load_dword v133, off, s[0:3], 0 offset:288
	buffer_load_dword v134, off, s[0:3], 0 offset:292
	ds_read2_b64 v[117:120], v112 offset0:103 offset1:104
	s_waitcnt vmcnt(18) lgkmcnt(1)
	v_fma_f64 v[113:114], v[141:142], v[113:114], v[131:132]
	s_waitcnt vmcnt(17)
	v_fma_f64 v[113:114], v[139:140], v[115:116], v[113:114]
	s_waitcnt vmcnt(16) lgkmcnt(0)
	v_fma_f64 v[113:114], v[137:138], v[117:118], v[113:114]
	s_waitcnt vmcnt(11)
	v_fma_f64 v[121:122], v[121:122], v[119:120], v[113:114]
	ds_read2_b64 v[113:116], v112 offset0:105 offset1:106
	ds_read2_b64 v[117:120], v112 offset0:107 offset1:108
	s_waitcnt vmcnt(10) lgkmcnt(1)
	v_fma_f64 v[113:114], v[145:146], v[113:114], v[121:122]
	s_waitcnt vmcnt(9)
	v_fma_f64 v[113:114], v[143:144], v[115:116], v[113:114]
	s_waitcnt vmcnt(8) lgkmcnt(0)
	v_fma_f64 v[113:114], v[123:124], v[117:118], v[113:114]
	s_waitcnt vmcnt(4)
	v_fma_f64 v[116:117], v[125:126], v[119:120], v[113:114]
	ds_read2_b64 v[112:115], v112 offset0:109 offset1:110
	s_waitcnt vmcnt(3) lgkmcnt(0)
	v_fma_f64 v[112:113], v[129:130], v[112:113], v[116:117]
	s_waitcnt vmcnt(2)
	v_fma_f64 v[112:113], v[127:128], v[114:115], v[112:113]
	s_waitcnt vmcnt(0)
	v_add_f64 v[112:113], v[133:134], -v[112:113]
	buffer_store_dword v113, off, s[0:3], 0 offset:292
	buffer_store_dword v112, off, s[0:3], 0 offset:288
	s_and_saveexec_b64 s[4:5], vcc
	s_cbranch_execz .LBB118_267
; %bb.266:
	buffer_load_dword v112, off, s[0:3], 0 offset:280
	buffer_load_dword v113, off, s[0:3], 0 offset:284
	v_mov_b32_e32 v114, 0
	buffer_store_dword v114, off, s[0:3], 0 offset:280
	buffer_store_dword v114, off, s[0:3], 0 offset:284
	s_waitcnt vmcnt(2)
	ds_write_b64 v111, v[112:113]
.LBB118_267:
	s_or_b64 exec, exec, s[4:5]
	s_waitcnt lgkmcnt(0)
	; wave barrier
	buffer_load_dword v121, off, s[0:3], 0 offset:288
	buffer_load_dword v122, off, s[0:3], 0 offset:292
	;; [unrolled: 1-line block ×22, first 2 shown]
	v_mov_b32_e32 v112, 0
	ds_read_b128 v[113:116], v112 offset:736
	ds_read_b128 v[117:120], v112 offset:752
	v_cmp_lt_u32_e32 vcc, 34, v0
	s_waitcnt vmcnt(20) lgkmcnt(1)
	v_fma_f64 v[113:114], v[121:122], v[113:114], 0
	s_waitcnt vmcnt(18)
	v_fma_f64 v[113:114], v[123:124], v[115:116], v[113:114]
	buffer_load_dword v122, off, s[0:3], 0 offset:380
	buffer_load_dword v123, off, s[0:3], 0 offset:400
	;; [unrolled: 1-line block ×7, first 2 shown]
	s_waitcnt vmcnt(23) lgkmcnt(0)
	v_fma_f64 v[113:114], v[125:126], v[117:118], v[113:114]
	s_waitcnt vmcnt(21)
	v_fma_f64 v[124:125], v[127:128], v[119:120], v[113:114]
	ds_read_b128 v[113:116], v112 offset:768
	ds_read_b128 v[117:120], v112 offset:784
	s_waitcnt vmcnt(19) lgkmcnt(1)
	v_fma_f64 v[113:114], v[129:130], v[113:114], v[124:125]
	buffer_load_dword v124, off, s[0:3], 0 offset:404
	s_waitcnt vmcnt(18)
	v_fma_f64 v[113:114], v[131:132], v[115:116], v[113:114]
	buffer_load_dword v126, off, s[0:3], 0 offset:412
	buffer_load_dword v127, off, s[0:3], 0 offset:432
	;; [unrolled: 1-line block ×8, first 2 shown]
	s_waitcnt vmcnt(24) lgkmcnt(0)
	v_fma_f64 v[113:114], v[133:134], v[117:118], v[113:114]
	s_waitcnt vmcnt(19)
	v_fma_f64 v[133:134], v[135:136], v[119:120], v[113:114]
	ds_read_b128 v[113:116], v112 offset:800
	ds_read_b128 v[117:120], v112 offset:816
	s_waitcnt vmcnt(18) lgkmcnt(1)
	v_fma_f64 v[113:114], v[141:142], v[113:114], v[133:134]
	buffer_load_dword v133, off, s[0:3], 0 offset:280
	buffer_load_dword v134, off, s[0:3], 0 offset:284
	s_waitcnt vmcnt(19)
	v_fma_f64 v[113:114], v[139:140], v[115:116], v[113:114]
	s_waitcnt vmcnt(18) lgkmcnt(0)
	v_fma_f64 v[113:114], v[137:138], v[117:118], v[113:114]
	s_waitcnt vmcnt(13)
	v_fma_f64 v[121:122], v[121:122], v[119:120], v[113:114]
	ds_read_b128 v[113:116], v112 offset:832
	ds_read_b128 v[117:120], v112 offset:848
	s_waitcnt vmcnt(12) lgkmcnt(1)
	v_fma_f64 v[113:114], v[145:146], v[113:114], v[121:122]
	s_waitcnt vmcnt(11)
	v_fma_f64 v[113:114], v[143:144], v[115:116], v[113:114]
	s_waitcnt vmcnt(10) lgkmcnt(0)
	v_fma_f64 v[113:114], v[123:124], v[117:118], v[113:114]
	s_waitcnt vmcnt(5)
	v_fma_f64 v[117:118], v[125:126], v[119:120], v[113:114]
	ds_read_b128 v[113:116], v112 offset:864
	ds_read_b64 v[119:120], v112 offset:880
	s_waitcnt vmcnt(4) lgkmcnt(1)
	v_fma_f64 v[113:114], v[131:132], v[113:114], v[117:118]
	s_waitcnt vmcnt(3)
	v_fma_f64 v[113:114], v[129:130], v[115:116], v[113:114]
	s_waitcnt vmcnt(2) lgkmcnt(0)
	v_fma_f64 v[113:114], v[127:128], v[119:120], v[113:114]
	s_waitcnt vmcnt(0)
	v_add_f64 v[113:114], v[133:134], -v[113:114]
	buffer_store_dword v114, off, s[0:3], 0 offset:284
	buffer_store_dword v113, off, s[0:3], 0 offset:280
	s_and_saveexec_b64 s[4:5], vcc
	s_cbranch_execz .LBB118_269
; %bb.268:
	buffer_load_dword v113, off, s[0:3], 0 offset:272
	buffer_load_dword v114, off, s[0:3], 0 offset:276
	s_waitcnt vmcnt(0)
	ds_write_b64 v111, v[113:114]
	buffer_store_dword v112, off, s[0:3], 0 offset:272
	buffer_store_dword v112, off, s[0:3], 0 offset:276
.LBB118_269:
	s_or_b64 exec, exec, s[4:5]
	s_waitcnt lgkmcnt(0)
	; wave barrier
	buffer_load_dword v121, off, s[0:3], 0 offset:280
	buffer_load_dword v122, off, s[0:3], 0 offset:284
	buffer_load_dword v123, off, s[0:3], 0 offset:288
	buffer_load_dword v124, off, s[0:3], 0 offset:292
	buffer_load_dword v125, off, s[0:3], 0 offset:296
	buffer_load_dword v126, off, s[0:3], 0 offset:300
	buffer_load_dword v127, off, s[0:3], 0 offset:304
	buffer_load_dword v128, off, s[0:3], 0 offset:308
	buffer_load_dword v129, off, s[0:3], 0 offset:312
	buffer_load_dword v130, off, s[0:3], 0 offset:316
	buffer_load_dword v131, off, s[0:3], 0 offset:320
	buffer_load_dword v132, off, s[0:3], 0 offset:324
	buffer_load_dword v133, off, s[0:3], 0 offset:328
	buffer_load_dword v134, off, s[0:3], 0 offset:332
	buffer_load_dword v136, off, s[0:3], 0 offset:340
	buffer_load_dword v137, off, s[0:3], 0 offset:360
	buffer_load_dword v139, off, s[0:3], 0 offset:352
	buffer_load_dword v141, off, s[0:3], 0 offset:344
	buffer_load_dword v135, off, s[0:3], 0 offset:336
	buffer_load_dword v142, off, s[0:3], 0 offset:348
	buffer_load_dword v140, off, s[0:3], 0 offset:356
	buffer_load_dword v138, off, s[0:3], 0 offset:364
	ds_read2_b64 v[113:116], v112 offset0:91 offset1:92
	ds_read2_b64 v[117:120], v112 offset0:93 offset1:94
	v_cmp_lt_u32_e32 vcc, 33, v0
	s_waitcnt vmcnt(20) lgkmcnt(1)
	v_fma_f64 v[113:114], v[121:122], v[113:114], 0
	s_waitcnt vmcnt(18)
	v_fma_f64 v[113:114], v[123:124], v[115:116], v[113:114]
	buffer_load_dword v122, off, s[0:3], 0 offset:372
	buffer_load_dword v123, off, s[0:3], 0 offset:392
	;; [unrolled: 1-line block ×7, first 2 shown]
	s_waitcnt vmcnt(23) lgkmcnt(0)
	v_fma_f64 v[113:114], v[125:126], v[117:118], v[113:114]
	s_waitcnt vmcnt(21)
	v_fma_f64 v[124:125], v[127:128], v[119:120], v[113:114]
	ds_read2_b64 v[113:116], v112 offset0:95 offset1:96
	ds_read2_b64 v[117:120], v112 offset0:97 offset1:98
	s_waitcnt vmcnt(19) lgkmcnt(1)
	v_fma_f64 v[113:114], v[129:130], v[113:114], v[124:125]
	buffer_load_dword v124, off, s[0:3], 0 offset:396
	s_waitcnt vmcnt(18)
	v_fma_f64 v[113:114], v[131:132], v[115:116], v[113:114]
	buffer_load_dword v126, off, s[0:3], 0 offset:404
	buffer_load_dword v127, off, s[0:3], 0 offset:424
	;; [unrolled: 1-line block ×8, first 2 shown]
	s_waitcnt vmcnt(24) lgkmcnt(0)
	v_fma_f64 v[113:114], v[133:134], v[117:118], v[113:114]
	s_waitcnt vmcnt(19)
	v_fma_f64 v[133:134], v[135:136], v[119:120], v[113:114]
	ds_read2_b64 v[113:116], v112 offset0:99 offset1:100
	ds_read2_b64 v[117:120], v112 offset0:101 offset1:102
	s_waitcnt vmcnt(18) lgkmcnt(1)
	v_fma_f64 v[113:114], v[141:142], v[113:114], v[133:134]
	buffer_load_dword v134, off, s[0:3], 0 offset:436
	buffer_load_dword v133, off, s[0:3], 0 offset:432
	;; [unrolled: 1-line block ×4, first 2 shown]
	s_waitcnt vmcnt(21)
	v_fma_f64 v[113:114], v[139:140], v[115:116], v[113:114]
	s_waitcnt vmcnt(20) lgkmcnt(0)
	v_fma_f64 v[113:114], v[137:138], v[117:118], v[113:114]
	s_waitcnt vmcnt(15)
	v_fma_f64 v[121:122], v[121:122], v[119:120], v[113:114]
	ds_read2_b64 v[113:116], v112 offset0:103 offset1:104
	ds_read2_b64 v[117:120], v112 offset0:105 offset1:106
	s_waitcnt vmcnt(14) lgkmcnt(1)
	v_fma_f64 v[113:114], v[145:146], v[113:114], v[121:122]
	s_waitcnt vmcnt(13)
	v_fma_f64 v[113:114], v[143:144], v[115:116], v[113:114]
	s_waitcnt vmcnt(12) lgkmcnt(0)
	v_fma_f64 v[113:114], v[123:124], v[117:118], v[113:114]
	s_waitcnt vmcnt(7)
	v_fma_f64 v[121:122], v[125:126], v[119:120], v[113:114]
	ds_read2_b64 v[113:116], v112 offset0:107 offset1:108
	ds_read2_b64 v[117:120], v112 offset0:109 offset1:110
	s_waitcnt vmcnt(6) lgkmcnt(1)
	v_fma_f64 v[112:113], v[131:132], v[113:114], v[121:122]
	s_waitcnt vmcnt(5)
	v_fma_f64 v[112:113], v[129:130], v[115:116], v[112:113]
	s_waitcnt vmcnt(4) lgkmcnt(0)
	v_fma_f64 v[112:113], v[127:128], v[117:118], v[112:113]
	s_waitcnt vmcnt(2)
	v_fma_f64 v[112:113], v[133:134], v[119:120], v[112:113]
	s_waitcnt vmcnt(0)
	v_add_f64 v[112:113], v[135:136], -v[112:113]
	buffer_store_dword v113, off, s[0:3], 0 offset:276
	buffer_store_dword v112, off, s[0:3], 0 offset:272
	s_and_saveexec_b64 s[4:5], vcc
	s_cbranch_execz .LBB118_271
; %bb.270:
	buffer_load_dword v112, off, s[0:3], 0 offset:264
	buffer_load_dword v113, off, s[0:3], 0 offset:268
	v_mov_b32_e32 v114, 0
	buffer_store_dword v114, off, s[0:3], 0 offset:264
	buffer_store_dword v114, off, s[0:3], 0 offset:268
	s_waitcnt vmcnt(2)
	ds_write_b64 v111, v[112:113]
.LBB118_271:
	s_or_b64 exec, exec, s[4:5]
	s_waitcnt lgkmcnt(0)
	; wave barrier
	buffer_load_dword v121, off, s[0:3], 0 offset:272
	buffer_load_dword v122, off, s[0:3], 0 offset:276
	;; [unrolled: 1-line block ×21, first 2 shown]
	v_mov_b32_e32 v112, 0
	ds_read_b128 v[113:116], v112 offset:720
	ds_read_b128 v[117:120], v112 offset:736
	buffer_load_dword v138, off, s[0:3], 0 offset:356
	v_cmp_lt_u32_e32 vcc, 32, v0
	s_waitcnt vmcnt(20) lgkmcnt(1)
	v_fma_f64 v[113:114], v[121:122], v[113:114], 0
	s_waitcnt vmcnt(18)
	v_fma_f64 v[113:114], v[123:124], v[115:116], v[113:114]
	buffer_load_dword v122, off, s[0:3], 0 offset:364
	buffer_load_dword v123, off, s[0:3], 0 offset:384
	;; [unrolled: 1-line block ×7, first 2 shown]
	s_waitcnt vmcnt(23) lgkmcnt(0)
	v_fma_f64 v[113:114], v[125:126], v[117:118], v[113:114]
	s_waitcnt vmcnt(21)
	v_fma_f64 v[124:125], v[127:128], v[119:120], v[113:114]
	ds_read_b128 v[113:116], v112 offset:752
	ds_read_b128 v[117:120], v112 offset:768
	s_waitcnt vmcnt(19) lgkmcnt(1)
	v_fma_f64 v[113:114], v[129:130], v[113:114], v[124:125]
	buffer_load_dword v124, off, s[0:3], 0 offset:388
	s_waitcnt vmcnt(18)
	v_fma_f64 v[113:114], v[131:132], v[115:116], v[113:114]
	buffer_load_dword v126, off, s[0:3], 0 offset:396
	buffer_load_dword v127, off, s[0:3], 0 offset:416
	;; [unrolled: 1-line block ×7, first 2 shown]
	s_waitcnt vmcnt(23) lgkmcnt(0)
	v_fma_f64 v[113:114], v[133:134], v[117:118], v[113:114]
	s_waitcnt vmcnt(18)
	v_fma_f64 v[133:134], v[135:136], v[119:120], v[113:114]
	ds_read_b128 v[113:116], v112 offset:784
	ds_read_b128 v[117:120], v112 offset:800
	buffer_load_dword v128, off, s[0:3], 0 offset:420
	s_waitcnt vmcnt(18) lgkmcnt(1)
	v_fma_f64 v[113:114], v[141:142], v[113:114], v[133:134]
	buffer_load_dword v134, off, s[0:3], 0 offset:428
	buffer_load_dword v135, off, s[0:3], 0 offset:432
	;; [unrolled: 1-line block ×4, first 2 shown]
	s_waitcnt vmcnt(21)
	v_fma_f64 v[113:114], v[139:140], v[115:116], v[113:114]
	s_waitcnt vmcnt(20) lgkmcnt(0)
	v_fma_f64 v[113:114], v[137:138], v[117:118], v[113:114]
	buffer_load_dword v137, off, s[0:3], 0 offset:264
	buffer_load_dword v138, off, s[0:3], 0 offset:268
	s_waitcnt vmcnt(17)
	v_fma_f64 v[121:122], v[121:122], v[119:120], v[113:114]
	ds_read_b128 v[113:116], v112 offset:816
	ds_read_b128 v[117:120], v112 offset:832
	s_waitcnt vmcnt(16) lgkmcnt(1)
	v_fma_f64 v[113:114], v[145:146], v[113:114], v[121:122]
	s_waitcnt vmcnt(15)
	v_fma_f64 v[113:114], v[143:144], v[115:116], v[113:114]
	s_waitcnt vmcnt(14) lgkmcnt(0)
	v_fma_f64 v[113:114], v[123:124], v[117:118], v[113:114]
	s_waitcnt vmcnt(9)
	v_fma_f64 v[121:122], v[125:126], v[119:120], v[113:114]
	ds_read_b128 v[113:116], v112 offset:848
	ds_read_b128 v[117:120], v112 offset:864
	s_waitcnt vmcnt(8) lgkmcnt(1)
	v_fma_f64 v[113:114], v[131:132], v[113:114], v[121:122]
	s_waitcnt vmcnt(7)
	v_fma_f64 v[113:114], v[129:130], v[115:116], v[113:114]
	ds_read_b64 v[115:116], v112 offset:880
	s_waitcnt vmcnt(6) lgkmcnt(1)
	v_fma_f64 v[113:114], v[127:128], v[117:118], v[113:114]
	s_waitcnt vmcnt(3)
	v_fma_f64 v[113:114], v[133:134], v[119:120], v[113:114]
	s_waitcnt vmcnt(2) lgkmcnt(0)
	v_fma_f64 v[113:114], v[135:136], v[115:116], v[113:114]
	s_waitcnt vmcnt(0)
	v_add_f64 v[113:114], v[137:138], -v[113:114]
	buffer_store_dword v114, off, s[0:3], 0 offset:268
	buffer_store_dword v113, off, s[0:3], 0 offset:264
	s_and_saveexec_b64 s[4:5], vcc
	s_cbranch_execz .LBB118_273
; %bb.272:
	buffer_load_dword v113, off, s[0:3], 0 offset:256
	buffer_load_dword v114, off, s[0:3], 0 offset:260
	s_waitcnt vmcnt(0)
	ds_write_b64 v111, v[113:114]
	buffer_store_dword v112, off, s[0:3], 0 offset:256
	buffer_store_dword v112, off, s[0:3], 0 offset:260
.LBB118_273:
	s_or_b64 exec, exec, s[4:5]
	s_waitcnt lgkmcnt(0)
	; wave barrier
	buffer_load_dword v121, off, s[0:3], 0 offset:264
	buffer_load_dword v122, off, s[0:3], 0 offset:268
	;; [unrolled: 1-line block ×21, first 2 shown]
	ds_read2_b64 v[113:116], v112 offset0:89 offset1:90
	ds_read2_b64 v[117:120], v112 offset0:91 offset1:92
	buffer_load_dword v138, off, s[0:3], 0 offset:348
	v_cmp_lt_u32_e32 vcc, 31, v0
	s_waitcnt vmcnt(20) lgkmcnt(1)
	v_fma_f64 v[113:114], v[121:122], v[113:114], 0
	s_waitcnt vmcnt(18)
	v_fma_f64 v[113:114], v[123:124], v[115:116], v[113:114]
	buffer_load_dword v122, off, s[0:3], 0 offset:356
	buffer_load_dword v123, off, s[0:3], 0 offset:376
	;; [unrolled: 1-line block ×7, first 2 shown]
	s_waitcnt vmcnt(23) lgkmcnt(0)
	v_fma_f64 v[113:114], v[125:126], v[117:118], v[113:114]
	s_waitcnt vmcnt(21)
	v_fma_f64 v[124:125], v[127:128], v[119:120], v[113:114]
	ds_read2_b64 v[113:116], v112 offset0:93 offset1:94
	ds_read2_b64 v[117:120], v112 offset0:95 offset1:96
	s_waitcnt vmcnt(19) lgkmcnt(1)
	v_fma_f64 v[113:114], v[129:130], v[113:114], v[124:125]
	buffer_load_dword v124, off, s[0:3], 0 offset:380
	s_waitcnt vmcnt(18)
	v_fma_f64 v[113:114], v[131:132], v[115:116], v[113:114]
	buffer_load_dword v126, off, s[0:3], 0 offset:388
	buffer_load_dword v127, off, s[0:3], 0 offset:408
	;; [unrolled: 1-line block ×8, first 2 shown]
	s_waitcnt vmcnt(24) lgkmcnt(0)
	v_fma_f64 v[113:114], v[133:134], v[117:118], v[113:114]
	s_waitcnt vmcnt(19)
	v_fma_f64 v[133:134], v[135:136], v[119:120], v[113:114]
	ds_read2_b64 v[113:116], v112 offset0:97 offset1:98
	ds_read2_b64 v[117:120], v112 offset0:99 offset1:100
	s_waitcnt vmcnt(18) lgkmcnt(1)
	v_fma_f64 v[113:114], v[141:142], v[113:114], v[133:134]
	s_waitcnt vmcnt(17)
	v_fma_f64 v[113:114], v[139:140], v[115:116], v[113:114]
	buffer_load_dword v134, off, s[0:3], 0 offset:420
	buffer_load_dword v135, off, s[0:3], 0 offset:432
	;; [unrolled: 1-line block ×6, first 2 shown]
	s_waitcnt vmcnt(22) lgkmcnt(0)
	v_fma_f64 v[113:114], v[137:138], v[117:118], v[113:114]
	s_waitcnt vmcnt(17)
	v_fma_f64 v[121:122], v[121:122], v[119:120], v[113:114]
	ds_read2_b64 v[113:116], v112 offset0:101 offset1:102
	buffer_load_dword v137, off, s[0:3], 0 offset:256
	buffer_load_dword v138, off, s[0:3], 0 offset:260
	ds_read2_b64 v[117:120], v112 offset0:103 offset1:104
	s_waitcnt vmcnt(18) lgkmcnt(1)
	v_fma_f64 v[113:114], v[145:146], v[113:114], v[121:122]
	s_waitcnt vmcnt(17)
	v_fma_f64 v[113:114], v[143:144], v[115:116], v[113:114]
	s_waitcnt vmcnt(16) lgkmcnt(0)
	v_fma_f64 v[113:114], v[123:124], v[117:118], v[113:114]
	s_waitcnt vmcnt(11)
	v_fma_f64 v[121:122], v[125:126], v[119:120], v[113:114]
	ds_read2_b64 v[113:116], v112 offset0:105 offset1:106
	ds_read2_b64 v[117:120], v112 offset0:107 offset1:108
	s_waitcnt vmcnt(10) lgkmcnt(1)
	v_fma_f64 v[113:114], v[131:132], v[113:114], v[121:122]
	s_waitcnt vmcnt(9)
	v_fma_f64 v[113:114], v[129:130], v[115:116], v[113:114]
	s_waitcnt vmcnt(8) lgkmcnt(0)
	v_fma_f64 v[113:114], v[127:128], v[117:118], v[113:114]
	s_waitcnt vmcnt(4)
	v_fma_f64 v[116:117], v[133:134], v[119:120], v[113:114]
	ds_read2_b64 v[112:115], v112 offset0:109 offset1:110
	s_waitcnt vmcnt(3) lgkmcnt(0)
	v_fma_f64 v[112:113], v[139:140], v[112:113], v[116:117]
	s_waitcnt vmcnt(2)
	v_fma_f64 v[112:113], v[135:136], v[114:115], v[112:113]
	s_waitcnt vmcnt(0)
	v_add_f64 v[112:113], v[137:138], -v[112:113]
	buffer_store_dword v113, off, s[0:3], 0 offset:260
	buffer_store_dword v112, off, s[0:3], 0 offset:256
	s_and_saveexec_b64 s[4:5], vcc
	s_cbranch_execz .LBB118_275
; %bb.274:
	buffer_load_dword v112, off, s[0:3], 0 offset:248
	buffer_load_dword v113, off, s[0:3], 0 offset:252
	v_mov_b32_e32 v114, 0
	buffer_store_dword v114, off, s[0:3], 0 offset:248
	buffer_store_dword v114, off, s[0:3], 0 offset:252
	s_waitcnt vmcnt(2)
	ds_write_b64 v111, v[112:113]
.LBB118_275:
	s_or_b64 exec, exec, s[4:5]
	s_waitcnt lgkmcnt(0)
	; wave barrier
	buffer_load_dword v121, off, s[0:3], 0 offset:256
	buffer_load_dword v122, off, s[0:3], 0 offset:260
	;; [unrolled: 1-line block ×21, first 2 shown]
	v_mov_b32_e32 v112, 0
	ds_read_b128 v[113:116], v112 offset:704
	ds_read_b128 v[117:120], v112 offset:720
	buffer_load_dword v138, off, s[0:3], 0 offset:340
	v_cmp_lt_u32_e32 vcc, 30, v0
	s_waitcnt vmcnt(20) lgkmcnt(1)
	v_fma_f64 v[113:114], v[121:122], v[113:114], 0
	s_waitcnt vmcnt(18)
	v_fma_f64 v[113:114], v[123:124], v[115:116], v[113:114]
	buffer_load_dword v122, off, s[0:3], 0 offset:348
	buffer_load_dword v123, off, s[0:3], 0 offset:368
	buffer_load_dword v143, off, s[0:3], 0 offset:360
	buffer_load_dword v145, off, s[0:3], 0 offset:352
	buffer_load_dword v121, off, s[0:3], 0 offset:344
	buffer_load_dword v146, off, s[0:3], 0 offset:356
	buffer_load_dword v144, off, s[0:3], 0 offset:364
	s_waitcnt vmcnt(23) lgkmcnt(0)
	v_fma_f64 v[113:114], v[125:126], v[117:118], v[113:114]
	s_waitcnt vmcnt(21)
	v_fma_f64 v[124:125], v[127:128], v[119:120], v[113:114]
	ds_read_b128 v[113:116], v112 offset:736
	ds_read_b128 v[117:120], v112 offset:752
	s_waitcnt vmcnt(19) lgkmcnt(1)
	v_fma_f64 v[113:114], v[129:130], v[113:114], v[124:125]
	buffer_load_dword v124, off, s[0:3], 0 offset:372
	s_waitcnt vmcnt(18)
	v_fma_f64 v[113:114], v[131:132], v[115:116], v[113:114]
	buffer_load_dword v126, off, s[0:3], 0 offset:380
	buffer_load_dword v127, off, s[0:3], 0 offset:400
	;; [unrolled: 1-line block ×8, first 2 shown]
	s_waitcnt vmcnt(24) lgkmcnt(0)
	v_fma_f64 v[113:114], v[133:134], v[117:118], v[113:114]
	s_waitcnt vmcnt(19)
	v_fma_f64 v[133:134], v[135:136], v[119:120], v[113:114]
	ds_read_b128 v[113:116], v112 offset:768
	ds_read_b128 v[117:120], v112 offset:784
	s_waitcnt vmcnt(18) lgkmcnt(1)
	v_fma_f64 v[113:114], v[141:142], v[113:114], v[133:134]
	s_waitcnt vmcnt(17)
	v_fma_f64 v[113:114], v[139:140], v[115:116], v[113:114]
	buffer_load_dword v134, off, s[0:3], 0 offset:412
	buffer_load_dword v135, off, s[0:3], 0 offset:432
	;; [unrolled: 1-line block ×8, first 2 shown]
	s_waitcnt vmcnt(24) lgkmcnt(0)
	v_fma_f64 v[113:114], v[137:138], v[117:118], v[113:114]
	s_waitcnt vmcnt(19)
	v_fma_f64 v[121:122], v[121:122], v[119:120], v[113:114]
	ds_read_b128 v[113:116], v112 offset:800
	ds_read_b128 v[117:120], v112 offset:816
	s_waitcnt vmcnt(18) lgkmcnt(1)
	v_fma_f64 v[113:114], v[145:146], v[113:114], v[121:122]
	buffer_load_dword v121, off, s[0:3], 0 offset:248
	buffer_load_dword v122, off, s[0:3], 0 offset:252
	s_waitcnt vmcnt(19)
	v_fma_f64 v[113:114], v[143:144], v[115:116], v[113:114]
	s_waitcnt vmcnt(18) lgkmcnt(0)
	v_fma_f64 v[113:114], v[123:124], v[117:118], v[113:114]
	s_waitcnt vmcnt(13)
	v_fma_f64 v[123:124], v[125:126], v[119:120], v[113:114]
	ds_read_b128 v[113:116], v112 offset:832
	ds_read_b128 v[117:120], v112 offset:848
	s_waitcnt vmcnt(12) lgkmcnt(1)
	v_fma_f64 v[113:114], v[131:132], v[113:114], v[123:124]
	s_waitcnt vmcnt(11)
	v_fma_f64 v[113:114], v[129:130], v[115:116], v[113:114]
	s_waitcnt vmcnt(10) lgkmcnt(0)
	v_fma_f64 v[113:114], v[127:128], v[117:118], v[113:114]
	s_waitcnt vmcnt(5)
	v_fma_f64 v[117:118], v[133:134], v[119:120], v[113:114]
	ds_read_b128 v[113:116], v112 offset:864
	ds_read_b64 v[119:120], v112 offset:880
	s_waitcnt vmcnt(4) lgkmcnt(1)
	v_fma_f64 v[113:114], v[141:142], v[113:114], v[117:118]
	s_waitcnt vmcnt(3)
	v_fma_f64 v[113:114], v[139:140], v[115:116], v[113:114]
	s_waitcnt vmcnt(2) lgkmcnt(0)
	v_fma_f64 v[113:114], v[135:136], v[119:120], v[113:114]
	s_waitcnt vmcnt(0)
	v_add_f64 v[113:114], v[121:122], -v[113:114]
	buffer_store_dword v114, off, s[0:3], 0 offset:252
	buffer_store_dword v113, off, s[0:3], 0 offset:248
	s_and_saveexec_b64 s[4:5], vcc
	s_cbranch_execz .LBB118_277
; %bb.276:
	buffer_load_dword v113, off, s[0:3], 0 offset:240
	buffer_load_dword v114, off, s[0:3], 0 offset:244
	s_waitcnt vmcnt(0)
	ds_write_b64 v111, v[113:114]
	buffer_store_dword v112, off, s[0:3], 0 offset:240
	buffer_store_dword v112, off, s[0:3], 0 offset:244
.LBB118_277:
	s_or_b64 exec, exec, s[4:5]
	s_waitcnt lgkmcnt(0)
	; wave barrier
	buffer_load_dword v121, off, s[0:3], 0 offset:248
	buffer_load_dword v122, off, s[0:3], 0 offset:252
	;; [unrolled: 1-line block ×21, first 2 shown]
	ds_read2_b64 v[113:116], v112 offset0:87 offset1:88
	ds_read2_b64 v[117:120], v112 offset0:89 offset1:90
	buffer_load_dword v138, off, s[0:3], 0 offset:332
	v_cmp_lt_u32_e32 vcc, 29, v0
	s_waitcnt vmcnt(20) lgkmcnt(1)
	v_fma_f64 v[113:114], v[121:122], v[113:114], 0
	s_waitcnt vmcnt(18)
	v_fma_f64 v[113:114], v[123:124], v[115:116], v[113:114]
	buffer_load_dword v122, off, s[0:3], 0 offset:340
	buffer_load_dword v123, off, s[0:3], 0 offset:360
	;; [unrolled: 1-line block ×7, first 2 shown]
	s_waitcnt vmcnt(23) lgkmcnt(0)
	v_fma_f64 v[113:114], v[125:126], v[117:118], v[113:114]
	s_waitcnt vmcnt(21)
	v_fma_f64 v[124:125], v[127:128], v[119:120], v[113:114]
	ds_read2_b64 v[113:116], v112 offset0:91 offset1:92
	ds_read2_b64 v[117:120], v112 offset0:93 offset1:94
	s_waitcnt vmcnt(19) lgkmcnt(1)
	v_fma_f64 v[113:114], v[129:130], v[113:114], v[124:125]
	buffer_load_dword v124, off, s[0:3], 0 offset:364
	s_waitcnt vmcnt(18)
	v_fma_f64 v[113:114], v[131:132], v[115:116], v[113:114]
	buffer_load_dword v126, off, s[0:3], 0 offset:372
	buffer_load_dword v127, off, s[0:3], 0 offset:392
	;; [unrolled: 1-line block ×8, first 2 shown]
	s_waitcnt vmcnt(24) lgkmcnt(0)
	v_fma_f64 v[113:114], v[133:134], v[117:118], v[113:114]
	s_waitcnt vmcnt(19)
	v_fma_f64 v[133:134], v[135:136], v[119:120], v[113:114]
	ds_read2_b64 v[113:116], v112 offset0:95 offset1:96
	ds_read2_b64 v[117:120], v112 offset0:97 offset1:98
	s_waitcnt vmcnt(18) lgkmcnt(1)
	v_fma_f64 v[113:114], v[141:142], v[113:114], v[133:134]
	s_waitcnt vmcnt(17)
	v_fma_f64 v[113:114], v[139:140], v[115:116], v[113:114]
	buffer_load_dword v134, off, s[0:3], 0 offset:404
	buffer_load_dword v135, off, s[0:3], 0 offset:424
	;; [unrolled: 1-line block ×8, first 2 shown]
	s_waitcnt vmcnt(24) lgkmcnt(0)
	v_fma_f64 v[113:114], v[137:138], v[117:118], v[113:114]
	s_waitcnt vmcnt(19)
	v_fma_f64 v[121:122], v[121:122], v[119:120], v[113:114]
	ds_read2_b64 v[113:116], v112 offset0:99 offset1:100
	ds_read2_b64 v[117:120], v112 offset0:101 offset1:102
	s_waitcnt vmcnt(18) lgkmcnt(1)
	v_fma_f64 v[113:114], v[145:146], v[113:114], v[121:122]
	buffer_load_dword v122, off, s[0:3], 0 offset:436
	buffer_load_dword v121, off, s[0:3], 0 offset:432
	;; [unrolled: 1-line block ×4, first 2 shown]
	s_waitcnt vmcnt(21)
	v_fma_f64 v[113:114], v[143:144], v[115:116], v[113:114]
	s_waitcnt vmcnt(20) lgkmcnt(0)
	v_fma_f64 v[113:114], v[123:124], v[117:118], v[113:114]
	s_waitcnt vmcnt(15)
	v_fma_f64 v[123:124], v[125:126], v[119:120], v[113:114]
	ds_read2_b64 v[113:116], v112 offset0:103 offset1:104
	ds_read2_b64 v[117:120], v112 offset0:105 offset1:106
	s_waitcnt vmcnt(14) lgkmcnt(1)
	v_fma_f64 v[113:114], v[131:132], v[113:114], v[123:124]
	s_waitcnt vmcnt(13)
	v_fma_f64 v[113:114], v[129:130], v[115:116], v[113:114]
	s_waitcnt vmcnt(12) lgkmcnt(0)
	v_fma_f64 v[113:114], v[127:128], v[117:118], v[113:114]
	s_waitcnt vmcnt(7)
	v_fma_f64 v[123:124], v[133:134], v[119:120], v[113:114]
	ds_read2_b64 v[113:116], v112 offset0:107 offset1:108
	ds_read2_b64 v[117:120], v112 offset0:109 offset1:110
	s_waitcnt vmcnt(6) lgkmcnt(1)
	v_fma_f64 v[112:113], v[141:142], v[113:114], v[123:124]
	s_waitcnt vmcnt(5)
	v_fma_f64 v[112:113], v[139:140], v[115:116], v[112:113]
	s_waitcnt vmcnt(4) lgkmcnt(0)
	v_fma_f64 v[112:113], v[135:136], v[117:118], v[112:113]
	s_waitcnt vmcnt(2)
	v_fma_f64 v[112:113], v[121:122], v[119:120], v[112:113]
	s_waitcnt vmcnt(0)
	v_add_f64 v[112:113], v[137:138], -v[112:113]
	buffer_store_dword v113, off, s[0:3], 0 offset:244
	buffer_store_dword v112, off, s[0:3], 0 offset:240
	s_and_saveexec_b64 s[4:5], vcc
	s_cbranch_execz .LBB118_279
; %bb.278:
	buffer_load_dword v112, off, s[0:3], 0 offset:232
	buffer_load_dword v113, off, s[0:3], 0 offset:236
	v_mov_b32_e32 v114, 0
	buffer_store_dword v114, off, s[0:3], 0 offset:232
	buffer_store_dword v114, off, s[0:3], 0 offset:236
	s_waitcnt vmcnt(2)
	ds_write_b64 v111, v[112:113]
.LBB118_279:
	s_or_b64 exec, exec, s[4:5]
	s_waitcnt lgkmcnt(0)
	; wave barrier
	buffer_load_dword v121, off, s[0:3], 0 offset:240
	buffer_load_dword v122, off, s[0:3], 0 offset:244
	buffer_load_dword v123, off, s[0:3], 0 offset:248
	buffer_load_dword v124, off, s[0:3], 0 offset:252
	buffer_load_dword v125, off, s[0:3], 0 offset:256
	buffer_load_dword v126, off, s[0:3], 0 offset:260
	buffer_load_dword v127, off, s[0:3], 0 offset:264
	buffer_load_dword v128, off, s[0:3], 0 offset:268
	buffer_load_dword v129, off, s[0:3], 0 offset:272
	buffer_load_dword v130, off, s[0:3], 0 offset:276
	buffer_load_dword v131, off, s[0:3], 0 offset:280
	buffer_load_dword v132, off, s[0:3], 0 offset:284
	buffer_load_dword v133, off, s[0:3], 0 offset:288
	buffer_load_dword v134, off, s[0:3], 0 offset:292
	buffer_load_dword v136, off, s[0:3], 0 offset:300
	buffer_load_dword v137, off, s[0:3], 0 offset:320
	buffer_load_dword v139, off, s[0:3], 0 offset:312
	buffer_load_dword v141, off, s[0:3], 0 offset:304
	buffer_load_dword v135, off, s[0:3], 0 offset:296
	buffer_load_dword v142, off, s[0:3], 0 offset:308
	buffer_load_dword v140, off, s[0:3], 0 offset:316
	v_mov_b32_e32 v112, 0
	ds_read_b128 v[113:116], v112 offset:688
	ds_read_b128 v[117:120], v112 offset:704
	buffer_load_dword v138, off, s[0:3], 0 offset:324
	v_cmp_lt_u32_e32 vcc, 28, v0
	s_waitcnt vmcnt(20) lgkmcnt(1)
	v_fma_f64 v[113:114], v[121:122], v[113:114], 0
	s_waitcnt vmcnt(18)
	v_fma_f64 v[113:114], v[123:124], v[115:116], v[113:114]
	buffer_load_dword v122, off, s[0:3], 0 offset:332
	buffer_load_dword v123, off, s[0:3], 0 offset:352
	;; [unrolled: 1-line block ×7, first 2 shown]
	s_waitcnt vmcnt(23) lgkmcnt(0)
	v_fma_f64 v[113:114], v[125:126], v[117:118], v[113:114]
	s_waitcnt vmcnt(21)
	v_fma_f64 v[124:125], v[127:128], v[119:120], v[113:114]
	ds_read_b128 v[113:116], v112 offset:720
	ds_read_b128 v[117:120], v112 offset:736
	s_waitcnt vmcnt(19) lgkmcnt(1)
	v_fma_f64 v[113:114], v[129:130], v[113:114], v[124:125]
	buffer_load_dword v124, off, s[0:3], 0 offset:356
	s_waitcnt vmcnt(18)
	v_fma_f64 v[113:114], v[131:132], v[115:116], v[113:114]
	buffer_load_dword v126, off, s[0:3], 0 offset:364
	buffer_load_dword v127, off, s[0:3], 0 offset:384
	;; [unrolled: 1-line block ×8, first 2 shown]
	s_waitcnt vmcnt(24) lgkmcnt(0)
	v_fma_f64 v[113:114], v[133:134], v[117:118], v[113:114]
	s_waitcnt vmcnt(19)
	v_fma_f64 v[133:134], v[135:136], v[119:120], v[113:114]
	ds_read_b128 v[113:116], v112 offset:752
	ds_read_b128 v[117:120], v112 offset:768
	s_waitcnt vmcnt(18) lgkmcnt(1)
	v_fma_f64 v[113:114], v[141:142], v[113:114], v[133:134]
	s_waitcnt vmcnt(17)
	v_fma_f64 v[113:114], v[139:140], v[115:116], v[113:114]
	buffer_load_dword v134, off, s[0:3], 0 offset:396
	buffer_load_dword v135, off, s[0:3], 0 offset:416
	;; [unrolled: 1-line block ×7, first 2 shown]
	s_waitcnt vmcnt(23) lgkmcnt(0)
	v_fma_f64 v[113:114], v[137:138], v[117:118], v[113:114]
	s_waitcnt vmcnt(18)
	v_fma_f64 v[121:122], v[121:122], v[119:120], v[113:114]
	ds_read_b128 v[113:116], v112 offset:784
	ds_read_b128 v[117:120], v112 offset:800
	buffer_load_dword v136, off, s[0:3], 0 offset:420
	s_waitcnt vmcnt(18) lgkmcnt(1)
	v_fma_f64 v[113:114], v[145:146], v[113:114], v[121:122]
	buffer_load_dword v122, off, s[0:3], 0 offset:428
	buffer_load_dword v137, off, s[0:3], 0 offset:432
	;; [unrolled: 1-line block ×4, first 2 shown]
	s_waitcnt vmcnt(21)
	v_fma_f64 v[113:114], v[143:144], v[115:116], v[113:114]
	s_waitcnt vmcnt(20) lgkmcnt(0)
	v_fma_f64 v[113:114], v[123:124], v[117:118], v[113:114]
	buffer_load_dword v123, off, s[0:3], 0 offset:232
	buffer_load_dword v124, off, s[0:3], 0 offset:236
	s_waitcnt vmcnt(17)
	v_fma_f64 v[125:126], v[125:126], v[119:120], v[113:114]
	ds_read_b128 v[113:116], v112 offset:816
	ds_read_b128 v[117:120], v112 offset:832
	s_waitcnt vmcnt(16) lgkmcnt(1)
	v_fma_f64 v[113:114], v[131:132], v[113:114], v[125:126]
	s_waitcnt vmcnt(15)
	v_fma_f64 v[113:114], v[129:130], v[115:116], v[113:114]
	s_waitcnt vmcnt(14) lgkmcnt(0)
	v_fma_f64 v[113:114], v[127:128], v[117:118], v[113:114]
	s_waitcnt vmcnt(9)
	v_fma_f64 v[125:126], v[133:134], v[119:120], v[113:114]
	ds_read_b128 v[113:116], v112 offset:848
	ds_read_b128 v[117:120], v112 offset:864
	s_waitcnt vmcnt(8) lgkmcnt(1)
	v_fma_f64 v[113:114], v[141:142], v[113:114], v[125:126]
	s_waitcnt vmcnt(7)
	v_fma_f64 v[113:114], v[139:140], v[115:116], v[113:114]
	ds_read_b64 v[115:116], v112 offset:880
	s_waitcnt vmcnt(6) lgkmcnt(1)
	v_fma_f64 v[113:114], v[135:136], v[117:118], v[113:114]
	s_waitcnt vmcnt(3)
	v_fma_f64 v[113:114], v[121:122], v[119:120], v[113:114]
	s_waitcnt vmcnt(2) lgkmcnt(0)
	v_fma_f64 v[113:114], v[137:138], v[115:116], v[113:114]
	s_waitcnt vmcnt(0)
	v_add_f64 v[113:114], v[123:124], -v[113:114]
	buffer_store_dword v114, off, s[0:3], 0 offset:236
	buffer_store_dword v113, off, s[0:3], 0 offset:232
	s_and_saveexec_b64 s[4:5], vcc
	s_cbranch_execz .LBB118_281
; %bb.280:
	buffer_load_dword v113, off, s[0:3], 0 offset:224
	buffer_load_dword v114, off, s[0:3], 0 offset:228
	s_waitcnt vmcnt(0)
	ds_write_b64 v111, v[113:114]
	buffer_store_dword v112, off, s[0:3], 0 offset:224
	buffer_store_dword v112, off, s[0:3], 0 offset:228
.LBB118_281:
	s_or_b64 exec, exec, s[4:5]
	s_waitcnt lgkmcnt(0)
	; wave barrier
	buffer_load_dword v121, off, s[0:3], 0 offset:232
	buffer_load_dword v122, off, s[0:3], 0 offset:236
	;; [unrolled: 1-line block ×22, first 2 shown]
	ds_read2_b64 v[113:116], v112 offset0:85 offset1:86
	ds_read2_b64 v[117:120], v112 offset0:87 offset1:88
	v_cmp_lt_u32_e32 vcc, 27, v0
	s_waitcnt vmcnt(20) lgkmcnt(1)
	v_fma_f64 v[113:114], v[121:122], v[113:114], 0
	s_waitcnt vmcnt(18)
	v_fma_f64 v[113:114], v[123:124], v[115:116], v[113:114]
	buffer_load_dword v122, off, s[0:3], 0 offset:324
	buffer_load_dword v123, off, s[0:3], 0 offset:344
	;; [unrolled: 1-line block ×7, first 2 shown]
	s_waitcnt vmcnt(23) lgkmcnt(0)
	v_fma_f64 v[113:114], v[125:126], v[117:118], v[113:114]
	s_waitcnt vmcnt(21)
	v_fma_f64 v[124:125], v[127:128], v[119:120], v[113:114]
	ds_read2_b64 v[113:116], v112 offset0:89 offset1:90
	ds_read2_b64 v[117:120], v112 offset0:91 offset1:92
	s_waitcnt vmcnt(19) lgkmcnt(1)
	v_fma_f64 v[113:114], v[129:130], v[113:114], v[124:125]
	buffer_load_dword v124, off, s[0:3], 0 offset:348
	s_waitcnt vmcnt(18)
	v_fma_f64 v[113:114], v[131:132], v[115:116], v[113:114]
	buffer_load_dword v126, off, s[0:3], 0 offset:356
	buffer_load_dword v127, off, s[0:3], 0 offset:376
	;; [unrolled: 1-line block ×8, first 2 shown]
	s_waitcnt vmcnt(24) lgkmcnt(0)
	v_fma_f64 v[113:114], v[133:134], v[117:118], v[113:114]
	s_waitcnt vmcnt(19)
	v_fma_f64 v[133:134], v[135:136], v[119:120], v[113:114]
	ds_read2_b64 v[113:116], v112 offset0:93 offset1:94
	ds_read2_b64 v[117:120], v112 offset0:95 offset1:96
	s_waitcnt vmcnt(18) lgkmcnt(1)
	v_fma_f64 v[113:114], v[141:142], v[113:114], v[133:134]
	s_waitcnt vmcnt(17)
	v_fma_f64 v[113:114], v[139:140], v[115:116], v[113:114]
	buffer_load_dword v134, off, s[0:3], 0 offset:388
	buffer_load_dword v135, off, s[0:3], 0 offset:408
	;; [unrolled: 1-line block ×8, first 2 shown]
	s_waitcnt vmcnt(24) lgkmcnt(0)
	v_fma_f64 v[113:114], v[137:138], v[117:118], v[113:114]
	s_waitcnt vmcnt(19)
	v_fma_f64 v[121:122], v[121:122], v[119:120], v[113:114]
	ds_read2_b64 v[113:116], v112 offset0:97 offset1:98
	ds_read2_b64 v[117:120], v112 offset0:99 offset1:100
	s_waitcnt vmcnt(18) lgkmcnt(1)
	v_fma_f64 v[113:114], v[145:146], v[113:114], v[121:122]
	s_waitcnt vmcnt(17)
	v_fma_f64 v[113:114], v[143:144], v[115:116], v[113:114]
	buffer_load_dword v122, off, s[0:3], 0 offset:420
	buffer_load_dword v137, off, s[0:3], 0 offset:432
	;; [unrolled: 1-line block ×6, first 2 shown]
	s_waitcnt vmcnt(22) lgkmcnt(0)
	v_fma_f64 v[113:114], v[123:124], v[117:118], v[113:114]
	s_waitcnt vmcnt(17)
	v_fma_f64 v[123:124], v[125:126], v[119:120], v[113:114]
	ds_read2_b64 v[113:116], v112 offset0:101 offset1:102
	buffer_load_dword v125, off, s[0:3], 0 offset:224
	buffer_load_dword v126, off, s[0:3], 0 offset:228
	ds_read2_b64 v[117:120], v112 offset0:103 offset1:104
	s_waitcnt vmcnt(18) lgkmcnt(1)
	v_fma_f64 v[113:114], v[131:132], v[113:114], v[123:124]
	s_waitcnt vmcnt(17)
	v_fma_f64 v[113:114], v[129:130], v[115:116], v[113:114]
	s_waitcnt vmcnt(16) lgkmcnt(0)
	v_fma_f64 v[113:114], v[127:128], v[117:118], v[113:114]
	s_waitcnt vmcnt(11)
	v_fma_f64 v[123:124], v[133:134], v[119:120], v[113:114]
	ds_read2_b64 v[113:116], v112 offset0:105 offset1:106
	ds_read2_b64 v[117:120], v112 offset0:107 offset1:108
	s_waitcnt vmcnt(10) lgkmcnt(1)
	v_fma_f64 v[113:114], v[141:142], v[113:114], v[123:124]
	s_waitcnt vmcnt(9)
	v_fma_f64 v[113:114], v[139:140], v[115:116], v[113:114]
	s_waitcnt vmcnt(8) lgkmcnt(0)
	v_fma_f64 v[113:114], v[135:136], v[117:118], v[113:114]
	s_waitcnt vmcnt(4)
	v_fma_f64 v[116:117], v[121:122], v[119:120], v[113:114]
	ds_read2_b64 v[112:115], v112 offset0:109 offset1:110
	s_waitcnt vmcnt(3) lgkmcnt(0)
	v_fma_f64 v[112:113], v[143:144], v[112:113], v[116:117]
	s_waitcnt vmcnt(2)
	v_fma_f64 v[112:113], v[137:138], v[114:115], v[112:113]
	s_waitcnt vmcnt(0)
	v_add_f64 v[112:113], v[125:126], -v[112:113]
	buffer_store_dword v113, off, s[0:3], 0 offset:228
	buffer_store_dword v112, off, s[0:3], 0 offset:224
	s_and_saveexec_b64 s[4:5], vcc
	s_cbranch_execz .LBB118_283
; %bb.282:
	buffer_load_dword v112, off, s[0:3], 0 offset:216
	buffer_load_dword v113, off, s[0:3], 0 offset:220
	v_mov_b32_e32 v114, 0
	buffer_store_dword v114, off, s[0:3], 0 offset:216
	buffer_store_dword v114, off, s[0:3], 0 offset:220
	s_waitcnt vmcnt(2)
	ds_write_b64 v111, v[112:113]
.LBB118_283:
	s_or_b64 exec, exec, s[4:5]
	s_waitcnt lgkmcnt(0)
	; wave barrier
	buffer_load_dword v121, off, s[0:3], 0 offset:224
	buffer_load_dword v122, off, s[0:3], 0 offset:228
	;; [unrolled: 1-line block ×22, first 2 shown]
	v_mov_b32_e32 v112, 0
	ds_read_b128 v[113:116], v112 offset:672
	ds_read_b128 v[117:120], v112 offset:688
	v_cmp_lt_u32_e32 vcc, 26, v0
	s_waitcnt vmcnt(20) lgkmcnt(1)
	v_fma_f64 v[113:114], v[121:122], v[113:114], 0
	s_waitcnt vmcnt(18)
	v_fma_f64 v[113:114], v[123:124], v[115:116], v[113:114]
	buffer_load_dword v122, off, s[0:3], 0 offset:316
	buffer_load_dword v123, off, s[0:3], 0 offset:336
	;; [unrolled: 1-line block ×7, first 2 shown]
	s_waitcnt vmcnt(23) lgkmcnt(0)
	v_fma_f64 v[113:114], v[125:126], v[117:118], v[113:114]
	s_waitcnt vmcnt(21)
	v_fma_f64 v[124:125], v[127:128], v[119:120], v[113:114]
	ds_read_b128 v[113:116], v112 offset:704
	ds_read_b128 v[117:120], v112 offset:720
	s_waitcnt vmcnt(19) lgkmcnt(1)
	v_fma_f64 v[113:114], v[129:130], v[113:114], v[124:125]
	buffer_load_dword v124, off, s[0:3], 0 offset:340
	s_waitcnt vmcnt(18)
	v_fma_f64 v[113:114], v[131:132], v[115:116], v[113:114]
	buffer_load_dword v126, off, s[0:3], 0 offset:348
	buffer_load_dword v127, off, s[0:3], 0 offset:368
	buffer_load_dword v129, off, s[0:3], 0 offset:360
	buffer_load_dword v131, off, s[0:3], 0 offset:352
	buffer_load_dword v125, off, s[0:3], 0 offset:344
	buffer_load_dword v132, off, s[0:3], 0 offset:356
	buffer_load_dword v130, off, s[0:3], 0 offset:364
	buffer_load_dword v128, off, s[0:3], 0 offset:372
	s_waitcnt vmcnt(24) lgkmcnt(0)
	v_fma_f64 v[113:114], v[133:134], v[117:118], v[113:114]
	s_waitcnt vmcnt(19)
	v_fma_f64 v[133:134], v[135:136], v[119:120], v[113:114]
	ds_read_b128 v[113:116], v112 offset:736
	ds_read_b128 v[117:120], v112 offset:752
	s_waitcnt vmcnt(18) lgkmcnt(1)
	v_fma_f64 v[113:114], v[141:142], v[113:114], v[133:134]
	s_waitcnt vmcnt(17)
	v_fma_f64 v[113:114], v[139:140], v[115:116], v[113:114]
	buffer_load_dword v134, off, s[0:3], 0 offset:380
	buffer_load_dword v135, off, s[0:3], 0 offset:400
	buffer_load_dword v139, off, s[0:3], 0 offset:392
	buffer_load_dword v141, off, s[0:3], 0 offset:384
	buffer_load_dword v133, off, s[0:3], 0 offset:376
	buffer_load_dword v142, off, s[0:3], 0 offset:388
	buffer_load_dword v140, off, s[0:3], 0 offset:396
	buffer_load_dword v136, off, s[0:3], 0 offset:404
	s_waitcnt vmcnt(24) lgkmcnt(0)
	v_fma_f64 v[113:114], v[137:138], v[117:118], v[113:114]
	s_waitcnt vmcnt(19)
	v_fma_f64 v[121:122], v[121:122], v[119:120], v[113:114]
	ds_read_b128 v[113:116], v112 offset:768
	ds_read_b128 v[117:120], v112 offset:784
	s_waitcnt vmcnt(18) lgkmcnt(1)
	v_fma_f64 v[113:114], v[145:146], v[113:114], v[121:122]
	;; [unrolled: 18-line block ×3, first 2 shown]
	buffer_load_dword v123, off, s[0:3], 0 offset:216
	buffer_load_dword v124, off, s[0:3], 0 offset:220
	s_waitcnt vmcnt(19)
	v_fma_f64 v[113:114], v[129:130], v[115:116], v[113:114]
	s_waitcnt vmcnt(18) lgkmcnt(0)
	v_fma_f64 v[113:114], v[127:128], v[117:118], v[113:114]
	s_waitcnt vmcnt(13)
	v_fma_f64 v[125:126], v[133:134], v[119:120], v[113:114]
	ds_read_b128 v[113:116], v112 offset:832
	ds_read_b128 v[117:120], v112 offset:848
	s_waitcnt vmcnt(12) lgkmcnt(1)
	v_fma_f64 v[113:114], v[141:142], v[113:114], v[125:126]
	s_waitcnt vmcnt(11)
	v_fma_f64 v[113:114], v[139:140], v[115:116], v[113:114]
	s_waitcnt vmcnt(10) lgkmcnt(0)
	v_fma_f64 v[113:114], v[135:136], v[117:118], v[113:114]
	s_waitcnt vmcnt(5)
	v_fma_f64 v[117:118], v[121:122], v[119:120], v[113:114]
	ds_read_b128 v[113:116], v112 offset:864
	ds_read_b64 v[119:120], v112 offset:880
	s_waitcnt vmcnt(4) lgkmcnt(1)
	v_fma_f64 v[113:114], v[145:146], v[113:114], v[117:118]
	s_waitcnt vmcnt(3)
	v_fma_f64 v[113:114], v[143:144], v[115:116], v[113:114]
	s_waitcnt vmcnt(2) lgkmcnt(0)
	v_fma_f64 v[113:114], v[137:138], v[119:120], v[113:114]
	s_waitcnt vmcnt(0)
	v_add_f64 v[113:114], v[123:124], -v[113:114]
	buffer_store_dword v114, off, s[0:3], 0 offset:220
	buffer_store_dword v113, off, s[0:3], 0 offset:216
	s_and_saveexec_b64 s[4:5], vcc
	s_cbranch_execz .LBB118_285
; %bb.284:
	buffer_load_dword v113, off, s[0:3], 0 offset:208
	buffer_load_dword v114, off, s[0:3], 0 offset:212
	s_waitcnt vmcnt(0)
	ds_write_b64 v111, v[113:114]
	buffer_store_dword v112, off, s[0:3], 0 offset:208
	buffer_store_dword v112, off, s[0:3], 0 offset:212
.LBB118_285:
	s_or_b64 exec, exec, s[4:5]
	s_waitcnt lgkmcnt(0)
	; wave barrier
	buffer_load_dword v121, off, s[0:3], 0 offset:216
	buffer_load_dword v122, off, s[0:3], 0 offset:220
	;; [unrolled: 1-line block ×22, first 2 shown]
	ds_read2_b64 v[113:116], v112 offset0:83 offset1:84
	ds_read2_b64 v[117:120], v112 offset0:85 offset1:86
	v_cmp_lt_u32_e32 vcc, 25, v0
	s_waitcnt vmcnt(20) lgkmcnt(1)
	v_fma_f64 v[113:114], v[121:122], v[113:114], 0
	s_waitcnt vmcnt(18)
	v_fma_f64 v[113:114], v[123:124], v[115:116], v[113:114]
	buffer_load_dword v122, off, s[0:3], 0 offset:308
	buffer_load_dword v123, off, s[0:3], 0 offset:328
	;; [unrolled: 1-line block ×7, first 2 shown]
	s_waitcnt vmcnt(23) lgkmcnt(0)
	v_fma_f64 v[113:114], v[125:126], v[117:118], v[113:114]
	s_waitcnt vmcnt(21)
	v_fma_f64 v[124:125], v[127:128], v[119:120], v[113:114]
	ds_read2_b64 v[113:116], v112 offset0:87 offset1:88
	ds_read2_b64 v[117:120], v112 offset0:89 offset1:90
	s_waitcnt vmcnt(19) lgkmcnt(1)
	v_fma_f64 v[113:114], v[129:130], v[113:114], v[124:125]
	buffer_load_dword v124, off, s[0:3], 0 offset:332
	s_waitcnt vmcnt(18)
	v_fma_f64 v[113:114], v[131:132], v[115:116], v[113:114]
	buffer_load_dword v126, off, s[0:3], 0 offset:340
	buffer_load_dword v127, off, s[0:3], 0 offset:360
	buffer_load_dword v129, off, s[0:3], 0 offset:352
	buffer_load_dword v131, off, s[0:3], 0 offset:344
	buffer_load_dword v125, off, s[0:3], 0 offset:336
	buffer_load_dword v132, off, s[0:3], 0 offset:348
	buffer_load_dword v130, off, s[0:3], 0 offset:356
	buffer_load_dword v128, off, s[0:3], 0 offset:364
	s_waitcnt vmcnt(24) lgkmcnt(0)
	v_fma_f64 v[113:114], v[133:134], v[117:118], v[113:114]
	s_waitcnt vmcnt(19)
	v_fma_f64 v[133:134], v[135:136], v[119:120], v[113:114]
	ds_read2_b64 v[113:116], v112 offset0:91 offset1:92
	ds_read2_b64 v[117:120], v112 offset0:93 offset1:94
	s_waitcnt vmcnt(18) lgkmcnt(1)
	v_fma_f64 v[113:114], v[141:142], v[113:114], v[133:134]
	s_waitcnt vmcnt(17)
	v_fma_f64 v[113:114], v[139:140], v[115:116], v[113:114]
	buffer_load_dword v134, off, s[0:3], 0 offset:372
	buffer_load_dword v135, off, s[0:3], 0 offset:392
	buffer_load_dword v139, off, s[0:3], 0 offset:384
	buffer_load_dword v141, off, s[0:3], 0 offset:376
	buffer_load_dword v133, off, s[0:3], 0 offset:368
	buffer_load_dword v142, off, s[0:3], 0 offset:380
	buffer_load_dword v140, off, s[0:3], 0 offset:388
	buffer_load_dword v136, off, s[0:3], 0 offset:396
	s_waitcnt vmcnt(24) lgkmcnt(0)
	v_fma_f64 v[113:114], v[137:138], v[117:118], v[113:114]
	s_waitcnt vmcnt(19)
	v_fma_f64 v[121:122], v[121:122], v[119:120], v[113:114]
	ds_read2_b64 v[113:116], v112 offset0:95 offset1:96
	ds_read2_b64 v[117:120], v112 offset0:97 offset1:98
	s_waitcnt vmcnt(18) lgkmcnt(1)
	v_fma_f64 v[113:114], v[145:146], v[113:114], v[121:122]
	;; [unrolled: 18-line block ×3, first 2 shown]
	buffer_load_dword v124, off, s[0:3], 0 offset:436
	buffer_load_dword v123, off, s[0:3], 0 offset:432
	;; [unrolled: 1-line block ×4, first 2 shown]
	s_waitcnt vmcnt(21)
	v_fma_f64 v[113:114], v[129:130], v[115:116], v[113:114]
	s_waitcnt vmcnt(20) lgkmcnt(0)
	v_fma_f64 v[113:114], v[127:128], v[117:118], v[113:114]
	s_waitcnt vmcnt(15)
	v_fma_f64 v[127:128], v[133:134], v[119:120], v[113:114]
	ds_read2_b64 v[113:116], v112 offset0:103 offset1:104
	ds_read2_b64 v[117:120], v112 offset0:105 offset1:106
	s_waitcnt vmcnt(14) lgkmcnt(1)
	v_fma_f64 v[113:114], v[141:142], v[113:114], v[127:128]
	s_waitcnt vmcnt(13)
	v_fma_f64 v[113:114], v[139:140], v[115:116], v[113:114]
	s_waitcnt vmcnt(12) lgkmcnt(0)
	v_fma_f64 v[113:114], v[135:136], v[117:118], v[113:114]
	s_waitcnt vmcnt(7)
	v_fma_f64 v[121:122], v[121:122], v[119:120], v[113:114]
	ds_read2_b64 v[113:116], v112 offset0:107 offset1:108
	ds_read2_b64 v[117:120], v112 offset0:109 offset1:110
	s_waitcnt vmcnt(6) lgkmcnt(1)
	v_fma_f64 v[112:113], v[145:146], v[113:114], v[121:122]
	s_waitcnt vmcnt(5)
	v_fma_f64 v[112:113], v[143:144], v[115:116], v[112:113]
	s_waitcnt vmcnt(4) lgkmcnt(0)
	v_fma_f64 v[112:113], v[137:138], v[117:118], v[112:113]
	s_waitcnt vmcnt(2)
	v_fma_f64 v[112:113], v[123:124], v[119:120], v[112:113]
	s_waitcnt vmcnt(0)
	v_add_f64 v[112:113], v[125:126], -v[112:113]
	buffer_store_dword v113, off, s[0:3], 0 offset:212
	buffer_store_dword v112, off, s[0:3], 0 offset:208
	s_and_saveexec_b64 s[4:5], vcc
	s_cbranch_execz .LBB118_287
; %bb.286:
	buffer_load_dword v112, off, s[0:3], 0 offset:200
	buffer_load_dword v113, off, s[0:3], 0 offset:204
	v_mov_b32_e32 v114, 0
	buffer_store_dword v114, off, s[0:3], 0 offset:200
	buffer_store_dword v114, off, s[0:3], 0 offset:204
	s_waitcnt vmcnt(2)
	ds_write_b64 v111, v[112:113]
.LBB118_287:
	s_or_b64 exec, exec, s[4:5]
	s_waitcnt lgkmcnt(0)
	; wave barrier
	buffer_load_dword v121, off, s[0:3], 0 offset:208
	buffer_load_dword v122, off, s[0:3], 0 offset:212
	;; [unrolled: 1-line block ×22, first 2 shown]
	v_mov_b32_e32 v112, 0
	ds_read_b128 v[113:116], v112 offset:656
	ds_read_b128 v[117:120], v112 offset:672
	v_cmp_lt_u32_e32 vcc, 24, v0
	s_waitcnt vmcnt(20) lgkmcnt(1)
	v_fma_f64 v[113:114], v[121:122], v[113:114], 0
	s_waitcnt vmcnt(18)
	v_fma_f64 v[113:114], v[123:124], v[115:116], v[113:114]
	buffer_load_dword v122, off, s[0:3], 0 offset:300
	buffer_load_dword v123, off, s[0:3], 0 offset:320
	;; [unrolled: 1-line block ×7, first 2 shown]
	s_waitcnt vmcnt(23) lgkmcnt(0)
	v_fma_f64 v[113:114], v[125:126], v[117:118], v[113:114]
	s_waitcnt vmcnt(21)
	v_fma_f64 v[124:125], v[127:128], v[119:120], v[113:114]
	ds_read_b128 v[113:116], v112 offset:688
	ds_read_b128 v[117:120], v112 offset:704
	s_waitcnt vmcnt(19) lgkmcnt(1)
	v_fma_f64 v[113:114], v[129:130], v[113:114], v[124:125]
	buffer_load_dword v124, off, s[0:3], 0 offset:324
	s_waitcnt vmcnt(18)
	v_fma_f64 v[113:114], v[131:132], v[115:116], v[113:114]
	buffer_load_dword v126, off, s[0:3], 0 offset:332
	buffer_load_dword v127, off, s[0:3], 0 offset:352
	buffer_load_dword v129, off, s[0:3], 0 offset:344
	buffer_load_dword v131, off, s[0:3], 0 offset:336
	buffer_load_dword v125, off, s[0:3], 0 offset:328
	buffer_load_dword v132, off, s[0:3], 0 offset:340
	buffer_load_dword v130, off, s[0:3], 0 offset:348
	s_waitcnt vmcnt(23) lgkmcnt(0)
	v_fma_f64 v[113:114], v[133:134], v[117:118], v[113:114]
	s_waitcnt vmcnt(18)
	v_fma_f64 v[133:134], v[135:136], v[119:120], v[113:114]
	ds_read_b128 v[113:116], v112 offset:720
	ds_read_b128 v[117:120], v112 offset:736
	buffer_load_dword v128, off, s[0:3], 0 offset:356
	s_waitcnt vmcnt(18) lgkmcnt(1)
	v_fma_f64 v[113:114], v[141:142], v[113:114], v[133:134]
	s_waitcnt vmcnt(17)
	v_fma_f64 v[113:114], v[139:140], v[115:116], v[113:114]
	buffer_load_dword v134, off, s[0:3], 0 offset:364
	buffer_load_dword v135, off, s[0:3], 0 offset:384
	buffer_load_dword v139, off, s[0:3], 0 offset:376
	buffer_load_dword v141, off, s[0:3], 0 offset:368
	buffer_load_dword v133, off, s[0:3], 0 offset:360
	buffer_load_dword v142, off, s[0:3], 0 offset:372
	buffer_load_dword v140, off, s[0:3], 0 offset:380
	buffer_load_dword v136, off, s[0:3], 0 offset:388
	s_waitcnt vmcnt(24) lgkmcnt(0)
	v_fma_f64 v[113:114], v[137:138], v[117:118], v[113:114]
	s_waitcnt vmcnt(19)
	v_fma_f64 v[121:122], v[121:122], v[119:120], v[113:114]
	ds_read_b128 v[113:116], v112 offset:752
	ds_read_b128 v[117:120], v112 offset:768
	s_waitcnt vmcnt(18) lgkmcnt(1)
	v_fma_f64 v[113:114], v[145:146], v[113:114], v[121:122]
	s_waitcnt vmcnt(17)
	v_fma_f64 v[113:114], v[143:144], v[115:116], v[113:114]
	buffer_load_dword v122, off, s[0:3], 0 offset:396
	buffer_load_dword v137, off, s[0:3], 0 offset:416
	;; [unrolled: 1-line block ×7, first 2 shown]
	s_waitcnt vmcnt(23) lgkmcnt(0)
	v_fma_f64 v[113:114], v[123:124], v[117:118], v[113:114]
	s_waitcnt vmcnt(18)
	v_fma_f64 v[123:124], v[125:126], v[119:120], v[113:114]
	ds_read_b128 v[113:116], v112 offset:784
	ds_read_b128 v[117:120], v112 offset:800
	buffer_load_dword v138, off, s[0:3], 0 offset:420
	s_waitcnt vmcnt(18) lgkmcnt(1)
	v_fma_f64 v[113:114], v[131:132], v[113:114], v[123:124]
	buffer_load_dword v124, off, s[0:3], 0 offset:428
	buffer_load_dword v125, off, s[0:3], 0 offset:432
	;; [unrolled: 1-line block ×4, first 2 shown]
	s_waitcnt vmcnt(21)
	v_fma_f64 v[113:114], v[129:130], v[115:116], v[113:114]
	s_waitcnt vmcnt(20) lgkmcnt(0)
	v_fma_f64 v[113:114], v[127:128], v[117:118], v[113:114]
	buffer_load_dword v127, off, s[0:3], 0 offset:200
	buffer_load_dword v128, off, s[0:3], 0 offset:204
	s_waitcnt vmcnt(17)
	v_fma_f64 v[129:130], v[133:134], v[119:120], v[113:114]
	ds_read_b128 v[113:116], v112 offset:816
	ds_read_b128 v[117:120], v112 offset:832
	s_waitcnt vmcnt(16) lgkmcnt(1)
	v_fma_f64 v[113:114], v[141:142], v[113:114], v[129:130]
	s_waitcnt vmcnt(15)
	v_fma_f64 v[113:114], v[139:140], v[115:116], v[113:114]
	s_waitcnt vmcnt(14) lgkmcnt(0)
	v_fma_f64 v[113:114], v[135:136], v[117:118], v[113:114]
	s_waitcnt vmcnt(9)
	v_fma_f64 v[121:122], v[121:122], v[119:120], v[113:114]
	ds_read_b128 v[113:116], v112 offset:848
	ds_read_b128 v[117:120], v112 offset:864
	s_waitcnt vmcnt(8) lgkmcnt(1)
	v_fma_f64 v[113:114], v[145:146], v[113:114], v[121:122]
	s_waitcnt vmcnt(7)
	v_fma_f64 v[113:114], v[143:144], v[115:116], v[113:114]
	ds_read_b64 v[115:116], v112 offset:880
	s_waitcnt vmcnt(6) lgkmcnt(1)
	v_fma_f64 v[113:114], v[137:138], v[117:118], v[113:114]
	s_waitcnt vmcnt(3)
	v_fma_f64 v[113:114], v[123:124], v[119:120], v[113:114]
	s_waitcnt vmcnt(2) lgkmcnt(0)
	v_fma_f64 v[113:114], v[125:126], v[115:116], v[113:114]
	s_waitcnt vmcnt(0)
	v_add_f64 v[113:114], v[127:128], -v[113:114]
	buffer_store_dword v114, off, s[0:3], 0 offset:204
	buffer_store_dword v113, off, s[0:3], 0 offset:200
	s_and_saveexec_b64 s[4:5], vcc
	s_cbranch_execz .LBB118_289
; %bb.288:
	buffer_load_dword v113, off, s[0:3], 0 offset:192
	buffer_load_dword v114, off, s[0:3], 0 offset:196
	s_waitcnt vmcnt(0)
	ds_write_b64 v111, v[113:114]
	buffer_store_dword v112, off, s[0:3], 0 offset:192
	buffer_store_dword v112, off, s[0:3], 0 offset:196
.LBB118_289:
	s_or_b64 exec, exec, s[4:5]
	s_waitcnt lgkmcnt(0)
	; wave barrier
	buffer_load_dword v121, off, s[0:3], 0 offset:200
	buffer_load_dword v122, off, s[0:3], 0 offset:204
	;; [unrolled: 1-line block ×22, first 2 shown]
	ds_read2_b64 v[113:116], v112 offset0:81 offset1:82
	ds_read2_b64 v[117:120], v112 offset0:83 offset1:84
	v_cmp_lt_u32_e32 vcc, 23, v0
	s_waitcnt vmcnt(20) lgkmcnt(1)
	v_fma_f64 v[113:114], v[121:122], v[113:114], 0
	s_waitcnt vmcnt(18)
	v_fma_f64 v[113:114], v[123:124], v[115:116], v[113:114]
	buffer_load_dword v122, off, s[0:3], 0 offset:292
	buffer_load_dword v123, off, s[0:3], 0 offset:312
	;; [unrolled: 1-line block ×7, first 2 shown]
	s_waitcnt vmcnt(23) lgkmcnt(0)
	v_fma_f64 v[113:114], v[125:126], v[117:118], v[113:114]
	s_waitcnt vmcnt(21)
	v_fma_f64 v[124:125], v[127:128], v[119:120], v[113:114]
	ds_read2_b64 v[113:116], v112 offset0:85 offset1:86
	ds_read2_b64 v[117:120], v112 offset0:87 offset1:88
	s_waitcnt vmcnt(19) lgkmcnt(1)
	v_fma_f64 v[113:114], v[129:130], v[113:114], v[124:125]
	buffer_load_dword v124, off, s[0:3], 0 offset:316
	s_waitcnt vmcnt(18)
	v_fma_f64 v[113:114], v[131:132], v[115:116], v[113:114]
	buffer_load_dword v126, off, s[0:3], 0 offset:324
	buffer_load_dword v127, off, s[0:3], 0 offset:344
	;; [unrolled: 1-line block ×7, first 2 shown]
	s_waitcnt vmcnt(23) lgkmcnt(0)
	v_fma_f64 v[113:114], v[133:134], v[117:118], v[113:114]
	s_waitcnt vmcnt(18)
	v_fma_f64 v[133:134], v[135:136], v[119:120], v[113:114]
	ds_read2_b64 v[113:116], v112 offset0:89 offset1:90
	ds_read2_b64 v[117:120], v112 offset0:91 offset1:92
	buffer_load_dword v128, off, s[0:3], 0 offset:348
	s_waitcnt vmcnt(18) lgkmcnt(1)
	v_fma_f64 v[113:114], v[141:142], v[113:114], v[133:134]
	s_waitcnt vmcnt(17)
	v_fma_f64 v[113:114], v[139:140], v[115:116], v[113:114]
	buffer_load_dword v134, off, s[0:3], 0 offset:356
	buffer_load_dword v135, off, s[0:3], 0 offset:376
	;; [unrolled: 1-line block ×8, first 2 shown]
	s_waitcnt vmcnt(24) lgkmcnt(0)
	v_fma_f64 v[113:114], v[137:138], v[117:118], v[113:114]
	s_waitcnt vmcnt(19)
	v_fma_f64 v[121:122], v[121:122], v[119:120], v[113:114]
	ds_read2_b64 v[113:116], v112 offset0:93 offset1:94
	ds_read2_b64 v[117:120], v112 offset0:95 offset1:96
	s_waitcnt vmcnt(18) lgkmcnt(1)
	v_fma_f64 v[113:114], v[145:146], v[113:114], v[121:122]
	s_waitcnt vmcnt(17)
	v_fma_f64 v[113:114], v[143:144], v[115:116], v[113:114]
	buffer_load_dword v122, off, s[0:3], 0 offset:388
	buffer_load_dword v137, off, s[0:3], 0 offset:408
	;; [unrolled: 1-line block ×8, first 2 shown]
	s_waitcnt vmcnt(24) lgkmcnt(0)
	v_fma_f64 v[113:114], v[123:124], v[117:118], v[113:114]
	s_waitcnt vmcnt(19)
	v_fma_f64 v[123:124], v[125:126], v[119:120], v[113:114]
	ds_read2_b64 v[113:116], v112 offset0:97 offset1:98
	ds_read2_b64 v[117:120], v112 offset0:99 offset1:100
	s_waitcnt vmcnt(18) lgkmcnt(1)
	v_fma_f64 v[113:114], v[131:132], v[113:114], v[123:124]
	s_waitcnt vmcnt(17)
	v_fma_f64 v[113:114], v[129:130], v[115:116], v[113:114]
	buffer_load_dword v124, off, s[0:3], 0 offset:420
	buffer_load_dword v125, off, s[0:3], 0 offset:432
	;; [unrolled: 1-line block ×6, first 2 shown]
	s_waitcnt vmcnt(22) lgkmcnt(0)
	v_fma_f64 v[113:114], v[127:128], v[117:118], v[113:114]
	s_waitcnt vmcnt(17)
	v_fma_f64 v[127:128], v[133:134], v[119:120], v[113:114]
	ds_read2_b64 v[113:116], v112 offset0:101 offset1:102
	buffer_load_dword v131, off, s[0:3], 0 offset:192
	buffer_load_dword v132, off, s[0:3], 0 offset:196
	ds_read2_b64 v[117:120], v112 offset0:103 offset1:104
	s_waitcnt vmcnt(18) lgkmcnt(1)
	v_fma_f64 v[113:114], v[141:142], v[113:114], v[127:128]
	s_waitcnt vmcnt(17)
	v_fma_f64 v[113:114], v[139:140], v[115:116], v[113:114]
	s_waitcnt vmcnt(16) lgkmcnt(0)
	v_fma_f64 v[113:114], v[135:136], v[117:118], v[113:114]
	s_waitcnt vmcnt(11)
	v_fma_f64 v[121:122], v[121:122], v[119:120], v[113:114]
	ds_read2_b64 v[113:116], v112 offset0:105 offset1:106
	ds_read2_b64 v[117:120], v112 offset0:107 offset1:108
	s_waitcnt vmcnt(10) lgkmcnt(1)
	v_fma_f64 v[113:114], v[145:146], v[113:114], v[121:122]
	s_waitcnt vmcnt(9)
	v_fma_f64 v[113:114], v[143:144], v[115:116], v[113:114]
	s_waitcnt vmcnt(8) lgkmcnt(0)
	v_fma_f64 v[113:114], v[137:138], v[117:118], v[113:114]
	s_waitcnt vmcnt(4)
	v_fma_f64 v[116:117], v[123:124], v[119:120], v[113:114]
	ds_read2_b64 v[112:115], v112 offset0:109 offset1:110
	s_waitcnt vmcnt(3) lgkmcnt(0)
	v_fma_f64 v[112:113], v[129:130], v[112:113], v[116:117]
	s_waitcnt vmcnt(2)
	v_fma_f64 v[112:113], v[125:126], v[114:115], v[112:113]
	s_waitcnt vmcnt(0)
	v_add_f64 v[112:113], v[131:132], -v[112:113]
	buffer_store_dword v113, off, s[0:3], 0 offset:196
	buffer_store_dword v112, off, s[0:3], 0 offset:192
	s_and_saveexec_b64 s[4:5], vcc
	s_cbranch_execz .LBB118_291
; %bb.290:
	buffer_load_dword v112, off, s[0:3], 0 offset:184
	buffer_load_dword v113, off, s[0:3], 0 offset:188
	v_mov_b32_e32 v114, 0
	buffer_store_dword v114, off, s[0:3], 0 offset:184
	buffer_store_dword v114, off, s[0:3], 0 offset:188
	s_waitcnt vmcnt(2)
	ds_write_b64 v111, v[112:113]
.LBB118_291:
	s_or_b64 exec, exec, s[4:5]
	s_waitcnt lgkmcnt(0)
	; wave barrier
	buffer_load_dword v121, off, s[0:3], 0 offset:192
	buffer_load_dword v122, off, s[0:3], 0 offset:196
	;; [unrolled: 1-line block ×22, first 2 shown]
	v_mov_b32_e32 v112, 0
	ds_read_b128 v[113:116], v112 offset:640
	ds_read_b128 v[117:120], v112 offset:656
	v_cmp_lt_u32_e32 vcc, 22, v0
	s_waitcnt vmcnt(20) lgkmcnt(1)
	v_fma_f64 v[113:114], v[121:122], v[113:114], 0
	s_waitcnt vmcnt(18)
	v_fma_f64 v[113:114], v[123:124], v[115:116], v[113:114]
	buffer_load_dword v122, off, s[0:3], 0 offset:284
	buffer_load_dword v123, off, s[0:3], 0 offset:304
	;; [unrolled: 1-line block ×7, first 2 shown]
	s_waitcnt vmcnt(23) lgkmcnt(0)
	v_fma_f64 v[113:114], v[125:126], v[117:118], v[113:114]
	s_waitcnt vmcnt(21)
	v_fma_f64 v[124:125], v[127:128], v[119:120], v[113:114]
	ds_read_b128 v[113:116], v112 offset:672
	ds_read_b128 v[117:120], v112 offset:688
	s_waitcnt vmcnt(19) lgkmcnt(1)
	v_fma_f64 v[113:114], v[129:130], v[113:114], v[124:125]
	buffer_load_dword v124, off, s[0:3], 0 offset:308
	s_waitcnt vmcnt(18)
	v_fma_f64 v[113:114], v[131:132], v[115:116], v[113:114]
	buffer_load_dword v126, off, s[0:3], 0 offset:316
	buffer_load_dword v127, off, s[0:3], 0 offset:336
	;; [unrolled: 1-line block ×7, first 2 shown]
	s_waitcnt vmcnt(23) lgkmcnt(0)
	v_fma_f64 v[113:114], v[133:134], v[117:118], v[113:114]
	s_waitcnt vmcnt(18)
	v_fma_f64 v[133:134], v[135:136], v[119:120], v[113:114]
	ds_read_b128 v[113:116], v112 offset:704
	ds_read_b128 v[117:120], v112 offset:720
	buffer_load_dword v128, off, s[0:3], 0 offset:340
	s_waitcnt vmcnt(18) lgkmcnt(1)
	v_fma_f64 v[113:114], v[141:142], v[113:114], v[133:134]
	s_waitcnt vmcnt(17)
	v_fma_f64 v[113:114], v[139:140], v[115:116], v[113:114]
	buffer_load_dword v134, off, s[0:3], 0 offset:348
	buffer_load_dword v135, off, s[0:3], 0 offset:368
	buffer_load_dword v139, off, s[0:3], 0 offset:360
	buffer_load_dword v141, off, s[0:3], 0 offset:352
	buffer_load_dword v133, off, s[0:3], 0 offset:344
	buffer_load_dword v142, off, s[0:3], 0 offset:356
	buffer_load_dword v140, off, s[0:3], 0 offset:364
	buffer_load_dword v136, off, s[0:3], 0 offset:372
	s_waitcnt vmcnt(24) lgkmcnt(0)
	v_fma_f64 v[113:114], v[137:138], v[117:118], v[113:114]
	s_waitcnt vmcnt(19)
	v_fma_f64 v[121:122], v[121:122], v[119:120], v[113:114]
	ds_read_b128 v[113:116], v112 offset:736
	ds_read_b128 v[117:120], v112 offset:752
	s_waitcnt vmcnt(18) lgkmcnt(1)
	v_fma_f64 v[113:114], v[145:146], v[113:114], v[121:122]
	s_waitcnt vmcnt(17)
	v_fma_f64 v[113:114], v[143:144], v[115:116], v[113:114]
	buffer_load_dword v122, off, s[0:3], 0 offset:380
	buffer_load_dword v137, off, s[0:3], 0 offset:400
	buffer_load_dword v143, off, s[0:3], 0 offset:392
	buffer_load_dword v145, off, s[0:3], 0 offset:384
	buffer_load_dword v121, off, s[0:3], 0 offset:376
	buffer_load_dword v146, off, s[0:3], 0 offset:388
	buffer_load_dword v144, off, s[0:3], 0 offset:396
	buffer_load_dword v138, off, s[0:3], 0 offset:404
	s_waitcnt vmcnt(24) lgkmcnt(0)
	v_fma_f64 v[113:114], v[123:124], v[117:118], v[113:114]
	s_waitcnt vmcnt(19)
	v_fma_f64 v[123:124], v[125:126], v[119:120], v[113:114]
	ds_read_b128 v[113:116], v112 offset:768
	ds_read_b128 v[117:120], v112 offset:784
	;; [unrolled: 18-line block ×3, first 2 shown]
	s_waitcnt vmcnt(18) lgkmcnt(1)
	v_fma_f64 v[113:114], v[141:142], v[113:114], v[127:128]
	buffer_load_dword v127, off, s[0:3], 0 offset:184
	buffer_load_dword v128, off, s[0:3], 0 offset:188
	s_waitcnt vmcnt(19)
	v_fma_f64 v[113:114], v[139:140], v[115:116], v[113:114]
	s_waitcnt vmcnt(18) lgkmcnt(0)
	v_fma_f64 v[113:114], v[135:136], v[117:118], v[113:114]
	s_waitcnt vmcnt(13)
	v_fma_f64 v[121:122], v[121:122], v[119:120], v[113:114]
	ds_read_b128 v[113:116], v112 offset:832
	ds_read_b128 v[117:120], v112 offset:848
	s_waitcnt vmcnt(12) lgkmcnt(1)
	v_fma_f64 v[113:114], v[145:146], v[113:114], v[121:122]
	s_waitcnt vmcnt(11)
	v_fma_f64 v[113:114], v[143:144], v[115:116], v[113:114]
	s_waitcnt vmcnt(10) lgkmcnt(0)
	v_fma_f64 v[113:114], v[137:138], v[117:118], v[113:114]
	s_waitcnt vmcnt(5)
	v_fma_f64 v[117:118], v[123:124], v[119:120], v[113:114]
	ds_read_b128 v[113:116], v112 offset:864
	ds_read_b64 v[119:120], v112 offset:880
	s_waitcnt vmcnt(4) lgkmcnt(1)
	v_fma_f64 v[113:114], v[131:132], v[113:114], v[117:118]
	s_waitcnt vmcnt(3)
	v_fma_f64 v[113:114], v[129:130], v[115:116], v[113:114]
	s_waitcnt vmcnt(2) lgkmcnt(0)
	v_fma_f64 v[113:114], v[125:126], v[119:120], v[113:114]
	s_waitcnt vmcnt(0)
	v_add_f64 v[113:114], v[127:128], -v[113:114]
	buffer_store_dword v114, off, s[0:3], 0 offset:188
	buffer_store_dword v113, off, s[0:3], 0 offset:184
	s_and_saveexec_b64 s[4:5], vcc
	s_cbranch_execz .LBB118_293
; %bb.292:
	buffer_load_dword v113, off, s[0:3], 0 offset:176
	buffer_load_dword v114, off, s[0:3], 0 offset:180
	s_waitcnt vmcnt(0)
	ds_write_b64 v111, v[113:114]
	buffer_store_dword v112, off, s[0:3], 0 offset:176
	buffer_store_dword v112, off, s[0:3], 0 offset:180
.LBB118_293:
	s_or_b64 exec, exec, s[4:5]
	s_waitcnt lgkmcnt(0)
	; wave barrier
	buffer_load_dword v121, off, s[0:3], 0 offset:184
	buffer_load_dword v122, off, s[0:3], 0 offset:188
	;; [unrolled: 1-line block ×22, first 2 shown]
	ds_read2_b64 v[113:116], v112 offset0:79 offset1:80
	ds_read2_b64 v[117:120], v112 offset0:81 offset1:82
	v_cmp_lt_u32_e32 vcc, 21, v0
	s_waitcnt vmcnt(20) lgkmcnt(1)
	v_fma_f64 v[113:114], v[121:122], v[113:114], 0
	s_waitcnt vmcnt(18)
	v_fma_f64 v[113:114], v[123:124], v[115:116], v[113:114]
	buffer_load_dword v122, off, s[0:3], 0 offset:276
	buffer_load_dword v123, off, s[0:3], 0 offset:296
	;; [unrolled: 1-line block ×7, first 2 shown]
	s_waitcnt vmcnt(23) lgkmcnt(0)
	v_fma_f64 v[113:114], v[125:126], v[117:118], v[113:114]
	s_waitcnt vmcnt(21)
	v_fma_f64 v[124:125], v[127:128], v[119:120], v[113:114]
	ds_read2_b64 v[113:116], v112 offset0:83 offset1:84
	ds_read2_b64 v[117:120], v112 offset0:85 offset1:86
	s_waitcnt vmcnt(19) lgkmcnt(1)
	v_fma_f64 v[113:114], v[129:130], v[113:114], v[124:125]
	buffer_load_dword v124, off, s[0:3], 0 offset:300
	s_waitcnt vmcnt(18)
	v_fma_f64 v[113:114], v[131:132], v[115:116], v[113:114]
	buffer_load_dword v126, off, s[0:3], 0 offset:308
	buffer_load_dword v127, off, s[0:3], 0 offset:328
	;; [unrolled: 1-line block ×7, first 2 shown]
	s_waitcnt vmcnt(23) lgkmcnt(0)
	v_fma_f64 v[113:114], v[133:134], v[117:118], v[113:114]
	s_waitcnt vmcnt(18)
	v_fma_f64 v[133:134], v[135:136], v[119:120], v[113:114]
	ds_read2_b64 v[113:116], v112 offset0:87 offset1:88
	ds_read2_b64 v[117:120], v112 offset0:89 offset1:90
	buffer_load_dword v128, off, s[0:3], 0 offset:332
	s_waitcnt vmcnt(18) lgkmcnt(1)
	v_fma_f64 v[113:114], v[141:142], v[113:114], v[133:134]
	s_waitcnt vmcnt(17)
	v_fma_f64 v[113:114], v[139:140], v[115:116], v[113:114]
	buffer_load_dword v134, off, s[0:3], 0 offset:340
	buffer_load_dword v135, off, s[0:3], 0 offset:360
	buffer_load_dword v139, off, s[0:3], 0 offset:352
	buffer_load_dword v141, off, s[0:3], 0 offset:344
	buffer_load_dword v133, off, s[0:3], 0 offset:336
	buffer_load_dword v142, off, s[0:3], 0 offset:348
	buffer_load_dword v140, off, s[0:3], 0 offset:356
	buffer_load_dword v136, off, s[0:3], 0 offset:364
	s_waitcnt vmcnt(24) lgkmcnt(0)
	v_fma_f64 v[113:114], v[137:138], v[117:118], v[113:114]
	s_waitcnt vmcnt(19)
	v_fma_f64 v[121:122], v[121:122], v[119:120], v[113:114]
	ds_read2_b64 v[113:116], v112 offset0:91 offset1:92
	ds_read2_b64 v[117:120], v112 offset0:93 offset1:94
	s_waitcnt vmcnt(18) lgkmcnt(1)
	v_fma_f64 v[113:114], v[145:146], v[113:114], v[121:122]
	s_waitcnt vmcnt(17)
	v_fma_f64 v[113:114], v[143:144], v[115:116], v[113:114]
	buffer_load_dword v122, off, s[0:3], 0 offset:372
	buffer_load_dword v137, off, s[0:3], 0 offset:392
	buffer_load_dword v143, off, s[0:3], 0 offset:384
	buffer_load_dword v145, off, s[0:3], 0 offset:376
	buffer_load_dword v121, off, s[0:3], 0 offset:368
	buffer_load_dword v146, off, s[0:3], 0 offset:380
	buffer_load_dword v144, off, s[0:3], 0 offset:388
	buffer_load_dword v138, off, s[0:3], 0 offset:396
	s_waitcnt vmcnt(24) lgkmcnt(0)
	v_fma_f64 v[113:114], v[123:124], v[117:118], v[113:114]
	s_waitcnt vmcnt(19)
	v_fma_f64 v[123:124], v[125:126], v[119:120], v[113:114]
	ds_read2_b64 v[113:116], v112 offset0:95 offset1:96
	ds_read2_b64 v[117:120], v112 offset0:97 offset1:98
	;; [unrolled: 18-line block ×3, first 2 shown]
	s_waitcnt vmcnt(18) lgkmcnt(1)
	v_fma_f64 v[113:114], v[141:142], v[113:114], v[127:128]
	buffer_load_dword v128, off, s[0:3], 0 offset:436
	buffer_load_dword v127, off, s[0:3], 0 offset:432
	;; [unrolled: 1-line block ×4, first 2 shown]
	s_waitcnt vmcnt(21)
	v_fma_f64 v[113:114], v[139:140], v[115:116], v[113:114]
	s_waitcnt vmcnt(20) lgkmcnt(0)
	v_fma_f64 v[113:114], v[135:136], v[117:118], v[113:114]
	s_waitcnt vmcnt(15)
	v_fma_f64 v[121:122], v[121:122], v[119:120], v[113:114]
	ds_read2_b64 v[113:116], v112 offset0:103 offset1:104
	ds_read2_b64 v[117:120], v112 offset0:105 offset1:106
	s_waitcnt vmcnt(14) lgkmcnt(1)
	v_fma_f64 v[113:114], v[145:146], v[113:114], v[121:122]
	s_waitcnt vmcnt(13)
	v_fma_f64 v[113:114], v[143:144], v[115:116], v[113:114]
	s_waitcnt vmcnt(12) lgkmcnt(0)
	v_fma_f64 v[113:114], v[137:138], v[117:118], v[113:114]
	s_waitcnt vmcnt(7)
	v_fma_f64 v[121:122], v[123:124], v[119:120], v[113:114]
	ds_read2_b64 v[113:116], v112 offset0:107 offset1:108
	ds_read2_b64 v[117:120], v112 offset0:109 offset1:110
	s_waitcnt vmcnt(6) lgkmcnt(1)
	v_fma_f64 v[112:113], v[131:132], v[113:114], v[121:122]
	s_waitcnt vmcnt(5)
	v_fma_f64 v[112:113], v[129:130], v[115:116], v[112:113]
	s_waitcnt vmcnt(4) lgkmcnt(0)
	v_fma_f64 v[112:113], v[125:126], v[117:118], v[112:113]
	s_waitcnt vmcnt(2)
	v_fma_f64 v[112:113], v[127:128], v[119:120], v[112:113]
	s_waitcnt vmcnt(0)
	v_add_f64 v[112:113], v[133:134], -v[112:113]
	buffer_store_dword v113, off, s[0:3], 0 offset:180
	buffer_store_dword v112, off, s[0:3], 0 offset:176
	s_and_saveexec_b64 s[4:5], vcc
	s_cbranch_execz .LBB118_295
; %bb.294:
	buffer_load_dword v112, off, s[0:3], 0 offset:168
	buffer_load_dword v113, off, s[0:3], 0 offset:172
	v_mov_b32_e32 v114, 0
	buffer_store_dword v114, off, s[0:3], 0 offset:168
	buffer_store_dword v114, off, s[0:3], 0 offset:172
	s_waitcnt vmcnt(2)
	ds_write_b64 v111, v[112:113]
.LBB118_295:
	s_or_b64 exec, exec, s[4:5]
	s_waitcnt lgkmcnt(0)
	; wave barrier
	buffer_load_dword v121, off, s[0:3], 0 offset:176
	buffer_load_dword v122, off, s[0:3], 0 offset:180
	;; [unrolled: 1-line block ×21, first 2 shown]
	v_mov_b32_e32 v112, 0
	ds_read_b128 v[113:116], v112 offset:624
	ds_read_b128 v[117:120], v112 offset:640
	buffer_load_dword v138, off, s[0:3], 0 offset:260
	v_cmp_lt_u32_e32 vcc, 20, v0
	s_waitcnt vmcnt(20) lgkmcnt(1)
	v_fma_f64 v[113:114], v[121:122], v[113:114], 0
	s_waitcnt vmcnt(18)
	v_fma_f64 v[113:114], v[123:124], v[115:116], v[113:114]
	buffer_load_dword v122, off, s[0:3], 0 offset:268
	buffer_load_dword v123, off, s[0:3], 0 offset:288
	buffer_load_dword v143, off, s[0:3], 0 offset:280
	buffer_load_dword v145, off, s[0:3], 0 offset:272
	buffer_load_dword v121, off, s[0:3], 0 offset:264
	buffer_load_dword v146, off, s[0:3], 0 offset:276
	buffer_load_dword v144, off, s[0:3], 0 offset:284
	s_waitcnt vmcnt(23) lgkmcnt(0)
	v_fma_f64 v[113:114], v[125:126], v[117:118], v[113:114]
	s_waitcnt vmcnt(21)
	v_fma_f64 v[124:125], v[127:128], v[119:120], v[113:114]
	ds_read_b128 v[113:116], v112 offset:656
	ds_read_b128 v[117:120], v112 offset:672
	s_waitcnt vmcnt(19) lgkmcnt(1)
	v_fma_f64 v[113:114], v[129:130], v[113:114], v[124:125]
	buffer_load_dword v124, off, s[0:3], 0 offset:292
	s_waitcnt vmcnt(18)
	v_fma_f64 v[113:114], v[131:132], v[115:116], v[113:114]
	buffer_load_dword v126, off, s[0:3], 0 offset:300
	buffer_load_dword v127, off, s[0:3], 0 offset:320
	;; [unrolled: 1-line block ×7, first 2 shown]
	s_waitcnt vmcnt(23) lgkmcnt(0)
	v_fma_f64 v[113:114], v[133:134], v[117:118], v[113:114]
	s_waitcnt vmcnt(18)
	v_fma_f64 v[133:134], v[135:136], v[119:120], v[113:114]
	ds_read_b128 v[113:116], v112 offset:688
	ds_read_b128 v[117:120], v112 offset:704
	buffer_load_dword v128, off, s[0:3], 0 offset:324
	s_waitcnt vmcnt(18) lgkmcnt(1)
	v_fma_f64 v[113:114], v[141:142], v[113:114], v[133:134]
	s_waitcnt vmcnt(17)
	v_fma_f64 v[113:114], v[139:140], v[115:116], v[113:114]
	buffer_load_dword v134, off, s[0:3], 0 offset:332
	buffer_load_dword v135, off, s[0:3], 0 offset:352
	;; [unrolled: 1-line block ×7, first 2 shown]
	s_waitcnt vmcnt(23) lgkmcnt(0)
	v_fma_f64 v[113:114], v[137:138], v[117:118], v[113:114]
	s_waitcnt vmcnt(18)
	v_fma_f64 v[121:122], v[121:122], v[119:120], v[113:114]
	ds_read_b128 v[113:116], v112 offset:720
	ds_read_b128 v[117:120], v112 offset:736
	buffer_load_dword v136, off, s[0:3], 0 offset:356
	s_waitcnt vmcnt(18) lgkmcnt(1)
	v_fma_f64 v[113:114], v[145:146], v[113:114], v[121:122]
	s_waitcnt vmcnt(17)
	v_fma_f64 v[113:114], v[143:144], v[115:116], v[113:114]
	buffer_load_dword v122, off, s[0:3], 0 offset:364
	buffer_load_dword v137, off, s[0:3], 0 offset:384
	;; [unrolled: 1-line block ×8, first 2 shown]
	s_waitcnt vmcnt(24) lgkmcnt(0)
	v_fma_f64 v[113:114], v[123:124], v[117:118], v[113:114]
	s_waitcnt vmcnt(19)
	v_fma_f64 v[123:124], v[125:126], v[119:120], v[113:114]
	ds_read_b128 v[113:116], v112 offset:752
	ds_read_b128 v[117:120], v112 offset:768
	s_waitcnt vmcnt(18) lgkmcnt(1)
	v_fma_f64 v[113:114], v[131:132], v[113:114], v[123:124]
	s_waitcnt vmcnt(17)
	v_fma_f64 v[113:114], v[129:130], v[115:116], v[113:114]
	buffer_load_dword v124, off, s[0:3], 0 offset:396
	buffer_load_dword v125, off, s[0:3], 0 offset:416
	;; [unrolled: 1-line block ×7, first 2 shown]
	s_waitcnt vmcnt(23) lgkmcnt(0)
	v_fma_f64 v[113:114], v[127:128], v[117:118], v[113:114]
	s_waitcnt vmcnt(18)
	v_fma_f64 v[126:127], v[133:134], v[119:120], v[113:114]
	ds_read_b128 v[113:116], v112 offset:784
	ds_read_b128 v[117:120], v112 offset:800
	s_waitcnt vmcnt(17) lgkmcnt(1)
	v_fma_f64 v[113:114], v[141:142], v[113:114], v[126:127]
	buffer_load_dword v126, off, s[0:3], 0 offset:420
	buffer_load_dword v128, off, s[0:3], 0 offset:428
	buffer_load_dword v133, off, s[0:3], 0 offset:432
	buffer_load_dword v127, off, s[0:3], 0 offset:424
	buffer_load_dword v134, off, s[0:3], 0 offset:436
	s_waitcnt vmcnt(21)
	v_fma_f64 v[113:114], v[139:140], v[115:116], v[113:114]
	s_waitcnt vmcnt(20) lgkmcnt(0)
	v_fma_f64 v[113:114], v[135:136], v[117:118], v[113:114]
	buffer_load_dword v135, off, s[0:3], 0 offset:168
	buffer_load_dword v136, off, s[0:3], 0 offset:172
	s_waitcnt vmcnt(17)
	v_fma_f64 v[121:122], v[121:122], v[119:120], v[113:114]
	ds_read_b128 v[113:116], v112 offset:816
	ds_read_b128 v[117:120], v112 offset:832
	s_waitcnt vmcnt(16) lgkmcnt(1)
	v_fma_f64 v[113:114], v[145:146], v[113:114], v[121:122]
	s_waitcnt vmcnt(15)
	v_fma_f64 v[113:114], v[143:144], v[115:116], v[113:114]
	s_waitcnt vmcnt(14) lgkmcnt(0)
	v_fma_f64 v[113:114], v[137:138], v[117:118], v[113:114]
	s_waitcnt vmcnt(9)
	v_fma_f64 v[121:122], v[123:124], v[119:120], v[113:114]
	ds_read_b128 v[113:116], v112 offset:848
	ds_read_b128 v[117:120], v112 offset:864
	s_waitcnt vmcnt(8) lgkmcnt(1)
	v_fma_f64 v[113:114], v[131:132], v[113:114], v[121:122]
	s_waitcnt vmcnt(7)
	v_fma_f64 v[113:114], v[129:130], v[115:116], v[113:114]
	ds_read_b64 v[115:116], v112 offset:880
	s_waitcnt vmcnt(6) lgkmcnt(1)
	v_fma_f64 v[113:114], v[125:126], v[117:118], v[113:114]
	s_waitcnt vmcnt(3)
	v_fma_f64 v[113:114], v[127:128], v[119:120], v[113:114]
	s_waitcnt vmcnt(2) lgkmcnt(0)
	v_fma_f64 v[113:114], v[133:134], v[115:116], v[113:114]
	s_waitcnt vmcnt(0)
	v_add_f64 v[113:114], v[135:136], -v[113:114]
	buffer_store_dword v114, off, s[0:3], 0 offset:172
	buffer_store_dword v113, off, s[0:3], 0 offset:168
	s_and_saveexec_b64 s[4:5], vcc
	s_cbranch_execz .LBB118_297
; %bb.296:
	buffer_load_dword v113, off, s[0:3], 0 offset:160
	buffer_load_dword v114, off, s[0:3], 0 offset:164
	s_waitcnt vmcnt(0)
	ds_write_b64 v111, v[113:114]
	buffer_store_dword v112, off, s[0:3], 0 offset:160
	buffer_store_dword v112, off, s[0:3], 0 offset:164
.LBB118_297:
	s_or_b64 exec, exec, s[4:5]
	s_waitcnt lgkmcnt(0)
	; wave barrier
	buffer_load_dword v121, off, s[0:3], 0 offset:168
	buffer_load_dword v122, off, s[0:3], 0 offset:172
	;; [unrolled: 1-line block ×21, first 2 shown]
	ds_read2_b64 v[113:116], v112 offset0:77 offset1:78
	ds_read2_b64 v[117:120], v112 offset0:79 offset1:80
	buffer_load_dword v138, off, s[0:3], 0 offset:252
	v_cmp_lt_u32_e32 vcc, 19, v0
	s_waitcnt vmcnt(20) lgkmcnt(1)
	v_fma_f64 v[113:114], v[121:122], v[113:114], 0
	s_waitcnt vmcnt(18)
	v_fma_f64 v[113:114], v[123:124], v[115:116], v[113:114]
	buffer_load_dword v122, off, s[0:3], 0 offset:260
	buffer_load_dword v123, off, s[0:3], 0 offset:280
	;; [unrolled: 1-line block ×7, first 2 shown]
	s_waitcnt vmcnt(23) lgkmcnt(0)
	v_fma_f64 v[113:114], v[125:126], v[117:118], v[113:114]
	s_waitcnt vmcnt(21)
	v_fma_f64 v[124:125], v[127:128], v[119:120], v[113:114]
	ds_read2_b64 v[113:116], v112 offset0:81 offset1:82
	ds_read2_b64 v[117:120], v112 offset0:83 offset1:84
	s_waitcnt vmcnt(19) lgkmcnt(1)
	v_fma_f64 v[113:114], v[129:130], v[113:114], v[124:125]
	buffer_load_dword v124, off, s[0:3], 0 offset:284
	s_waitcnt vmcnt(18)
	v_fma_f64 v[113:114], v[131:132], v[115:116], v[113:114]
	buffer_load_dword v126, off, s[0:3], 0 offset:292
	buffer_load_dword v127, off, s[0:3], 0 offset:312
	;; [unrolled: 1-line block ×8, first 2 shown]
	s_waitcnt vmcnt(24) lgkmcnt(0)
	v_fma_f64 v[113:114], v[133:134], v[117:118], v[113:114]
	s_waitcnt vmcnt(19)
	v_fma_f64 v[133:134], v[135:136], v[119:120], v[113:114]
	ds_read2_b64 v[113:116], v112 offset0:85 offset1:86
	ds_read2_b64 v[117:120], v112 offset0:87 offset1:88
	s_waitcnt vmcnt(18) lgkmcnt(1)
	v_fma_f64 v[113:114], v[141:142], v[113:114], v[133:134]
	s_waitcnt vmcnt(17)
	v_fma_f64 v[113:114], v[139:140], v[115:116], v[113:114]
	buffer_load_dword v134, off, s[0:3], 0 offset:324
	buffer_load_dword v135, off, s[0:3], 0 offset:344
	;; [unrolled: 1-line block ×7, first 2 shown]
	s_waitcnt vmcnt(23) lgkmcnt(0)
	v_fma_f64 v[113:114], v[137:138], v[117:118], v[113:114]
	s_waitcnt vmcnt(18)
	v_fma_f64 v[121:122], v[121:122], v[119:120], v[113:114]
	ds_read2_b64 v[113:116], v112 offset0:89 offset1:90
	ds_read2_b64 v[117:120], v112 offset0:91 offset1:92
	buffer_load_dword v136, off, s[0:3], 0 offset:348
	s_waitcnt vmcnt(18) lgkmcnt(1)
	v_fma_f64 v[113:114], v[145:146], v[113:114], v[121:122]
	s_waitcnt vmcnt(17)
	v_fma_f64 v[113:114], v[143:144], v[115:116], v[113:114]
	buffer_load_dword v122, off, s[0:3], 0 offset:356
	buffer_load_dword v137, off, s[0:3], 0 offset:376
	;; [unrolled: 1-line block ×8, first 2 shown]
	s_waitcnt vmcnt(24) lgkmcnt(0)
	v_fma_f64 v[113:114], v[123:124], v[117:118], v[113:114]
	s_waitcnt vmcnt(19)
	v_fma_f64 v[123:124], v[125:126], v[119:120], v[113:114]
	ds_read2_b64 v[113:116], v112 offset0:93 offset1:94
	ds_read2_b64 v[117:120], v112 offset0:95 offset1:96
	s_waitcnt vmcnt(18) lgkmcnt(1)
	v_fma_f64 v[113:114], v[131:132], v[113:114], v[123:124]
	s_waitcnt vmcnt(17)
	v_fma_f64 v[113:114], v[129:130], v[115:116], v[113:114]
	buffer_load_dword v124, off, s[0:3], 0 offset:388
	buffer_load_dword v125, off, s[0:3], 0 offset:408
	;; [unrolled: 1-line block ×7, first 2 shown]
	s_waitcnt vmcnt(23) lgkmcnt(0)
	v_fma_f64 v[113:114], v[127:128], v[117:118], v[113:114]
	s_waitcnt vmcnt(18)
	v_fma_f64 v[126:127], v[133:134], v[119:120], v[113:114]
	ds_read2_b64 v[113:116], v112 offset0:97 offset1:98
	ds_read2_b64 v[117:120], v112 offset0:99 offset1:100
	s_waitcnt vmcnt(17) lgkmcnt(1)
	v_fma_f64 v[113:114], v[141:142], v[113:114], v[126:127]
	buffer_load_dword v126, off, s[0:3], 0 offset:412
	s_waitcnt vmcnt(17)
	v_fma_f64 v[113:114], v[139:140], v[115:116], v[113:114]
	buffer_load_dword v128, off, s[0:3], 0 offset:420
	buffer_load_dword v133, off, s[0:3], 0 offset:432
	;; [unrolled: 1-line block ×6, first 2 shown]
	s_waitcnt vmcnt(22) lgkmcnt(0)
	v_fma_f64 v[113:114], v[135:136], v[117:118], v[113:114]
	s_waitcnt vmcnt(17)
	v_fma_f64 v[121:122], v[121:122], v[119:120], v[113:114]
	ds_read2_b64 v[113:116], v112 offset0:101 offset1:102
	buffer_load_dword v135, off, s[0:3], 0 offset:160
	buffer_load_dword v136, off, s[0:3], 0 offset:164
	ds_read2_b64 v[117:120], v112 offset0:103 offset1:104
	s_waitcnt vmcnt(18) lgkmcnt(1)
	v_fma_f64 v[113:114], v[145:146], v[113:114], v[121:122]
	s_waitcnt vmcnt(17)
	v_fma_f64 v[113:114], v[143:144], v[115:116], v[113:114]
	s_waitcnt vmcnt(16) lgkmcnt(0)
	v_fma_f64 v[113:114], v[137:138], v[117:118], v[113:114]
	s_waitcnt vmcnt(11)
	v_fma_f64 v[121:122], v[123:124], v[119:120], v[113:114]
	ds_read2_b64 v[113:116], v112 offset0:105 offset1:106
	ds_read2_b64 v[117:120], v112 offset0:107 offset1:108
	s_waitcnt vmcnt(10) lgkmcnt(1)
	v_fma_f64 v[113:114], v[131:132], v[113:114], v[121:122]
	s_waitcnt vmcnt(9)
	v_fma_f64 v[113:114], v[129:130], v[115:116], v[113:114]
	s_waitcnt vmcnt(8) lgkmcnt(0)
	v_fma_f64 v[113:114], v[125:126], v[117:118], v[113:114]
	s_waitcnt vmcnt(4)
	v_fma_f64 v[116:117], v[127:128], v[119:120], v[113:114]
	ds_read2_b64 v[112:115], v112 offset0:109 offset1:110
	s_waitcnt vmcnt(3) lgkmcnt(0)
	v_fma_f64 v[112:113], v[139:140], v[112:113], v[116:117]
	s_waitcnt vmcnt(2)
	v_fma_f64 v[112:113], v[133:134], v[114:115], v[112:113]
	s_waitcnt vmcnt(0)
	v_add_f64 v[112:113], v[135:136], -v[112:113]
	buffer_store_dword v113, off, s[0:3], 0 offset:164
	buffer_store_dword v112, off, s[0:3], 0 offset:160
	s_and_saveexec_b64 s[4:5], vcc
	s_cbranch_execz .LBB118_299
; %bb.298:
	buffer_load_dword v112, off, s[0:3], 0 offset:152
	buffer_load_dword v113, off, s[0:3], 0 offset:156
	v_mov_b32_e32 v114, 0
	buffer_store_dword v114, off, s[0:3], 0 offset:152
	buffer_store_dword v114, off, s[0:3], 0 offset:156
	s_waitcnt vmcnt(2)
	ds_write_b64 v111, v[112:113]
.LBB118_299:
	s_or_b64 exec, exec, s[4:5]
	s_waitcnt lgkmcnt(0)
	; wave barrier
	buffer_load_dword v121, off, s[0:3], 0 offset:160
	buffer_load_dword v122, off, s[0:3], 0 offset:164
	;; [unrolled: 1-line block ×21, first 2 shown]
	v_mov_b32_e32 v112, 0
	ds_read_b128 v[113:116], v112 offset:608
	ds_read_b128 v[117:120], v112 offset:624
	buffer_load_dword v138, off, s[0:3], 0 offset:244
	v_cmp_lt_u32_e32 vcc, 18, v0
	s_waitcnt vmcnt(20) lgkmcnt(1)
	v_fma_f64 v[113:114], v[121:122], v[113:114], 0
	s_waitcnt vmcnt(18)
	v_fma_f64 v[113:114], v[123:124], v[115:116], v[113:114]
	buffer_load_dword v122, off, s[0:3], 0 offset:252
	buffer_load_dword v123, off, s[0:3], 0 offset:272
	;; [unrolled: 1-line block ×7, first 2 shown]
	s_waitcnt vmcnt(23) lgkmcnt(0)
	v_fma_f64 v[113:114], v[125:126], v[117:118], v[113:114]
	s_waitcnt vmcnt(21)
	v_fma_f64 v[124:125], v[127:128], v[119:120], v[113:114]
	ds_read_b128 v[113:116], v112 offset:640
	ds_read_b128 v[117:120], v112 offset:656
	s_waitcnt vmcnt(19) lgkmcnt(1)
	v_fma_f64 v[113:114], v[129:130], v[113:114], v[124:125]
	buffer_load_dword v124, off, s[0:3], 0 offset:276
	s_waitcnt vmcnt(18)
	v_fma_f64 v[113:114], v[131:132], v[115:116], v[113:114]
	buffer_load_dword v126, off, s[0:3], 0 offset:284
	buffer_load_dword v127, off, s[0:3], 0 offset:304
	;; [unrolled: 1-line block ×8, first 2 shown]
	s_waitcnt vmcnt(24) lgkmcnt(0)
	v_fma_f64 v[113:114], v[133:134], v[117:118], v[113:114]
	s_waitcnt vmcnt(19)
	v_fma_f64 v[133:134], v[135:136], v[119:120], v[113:114]
	ds_read_b128 v[113:116], v112 offset:672
	ds_read_b128 v[117:120], v112 offset:688
	s_waitcnt vmcnt(18) lgkmcnt(1)
	v_fma_f64 v[113:114], v[141:142], v[113:114], v[133:134]
	s_waitcnt vmcnt(17)
	v_fma_f64 v[113:114], v[139:140], v[115:116], v[113:114]
	buffer_load_dword v134, off, s[0:3], 0 offset:316
	buffer_load_dword v135, off, s[0:3], 0 offset:336
	;; [unrolled: 1-line block ×7, first 2 shown]
	s_waitcnt vmcnt(23) lgkmcnt(0)
	v_fma_f64 v[113:114], v[137:138], v[117:118], v[113:114]
	s_waitcnt vmcnt(18)
	v_fma_f64 v[121:122], v[121:122], v[119:120], v[113:114]
	ds_read_b128 v[113:116], v112 offset:704
	ds_read_b128 v[117:120], v112 offset:720
	buffer_load_dword v136, off, s[0:3], 0 offset:340
	s_waitcnt vmcnt(18) lgkmcnt(1)
	v_fma_f64 v[113:114], v[145:146], v[113:114], v[121:122]
	s_waitcnt vmcnt(17)
	v_fma_f64 v[113:114], v[143:144], v[115:116], v[113:114]
	buffer_load_dword v122, off, s[0:3], 0 offset:348
	buffer_load_dword v137, off, s[0:3], 0 offset:368
	;; [unrolled: 1-line block ×8, first 2 shown]
	s_waitcnt vmcnt(24) lgkmcnt(0)
	v_fma_f64 v[113:114], v[123:124], v[117:118], v[113:114]
	s_waitcnt vmcnt(19)
	v_fma_f64 v[123:124], v[125:126], v[119:120], v[113:114]
	ds_read_b128 v[113:116], v112 offset:736
	ds_read_b128 v[117:120], v112 offset:752
	s_waitcnt vmcnt(18) lgkmcnt(1)
	v_fma_f64 v[113:114], v[131:132], v[113:114], v[123:124]
	s_waitcnt vmcnt(17)
	v_fma_f64 v[113:114], v[129:130], v[115:116], v[113:114]
	buffer_load_dword v124, off, s[0:3], 0 offset:380
	buffer_load_dword v125, off, s[0:3], 0 offset:400
	buffer_load_dword v129, off, s[0:3], 0 offset:392
	buffer_load_dword v131, off, s[0:3], 0 offset:384
	buffer_load_dword v123, off, s[0:3], 0 offset:376
	buffer_load_dword v132, off, s[0:3], 0 offset:388
	buffer_load_dword v130, off, s[0:3], 0 offset:396
	s_waitcnt vmcnt(23) lgkmcnt(0)
	v_fma_f64 v[113:114], v[127:128], v[117:118], v[113:114]
	s_waitcnt vmcnt(18)
	v_fma_f64 v[126:127], v[133:134], v[119:120], v[113:114]
	ds_read_b128 v[113:116], v112 offset:768
	ds_read_b128 v[117:120], v112 offset:784
	s_waitcnt vmcnt(17) lgkmcnt(1)
	v_fma_f64 v[113:114], v[141:142], v[113:114], v[126:127]
	buffer_load_dword v126, off, s[0:3], 0 offset:404
	s_waitcnt vmcnt(17)
	v_fma_f64 v[113:114], v[139:140], v[115:116], v[113:114]
	buffer_load_dword v128, off, s[0:3], 0 offset:412
	buffer_load_dword v133, off, s[0:3], 0 offset:432
	;; [unrolled: 1-line block ×8, first 2 shown]
	s_waitcnt vmcnt(24) lgkmcnt(0)
	v_fma_f64 v[113:114], v[135:136], v[117:118], v[113:114]
	s_waitcnt vmcnt(19)
	v_fma_f64 v[121:122], v[121:122], v[119:120], v[113:114]
	ds_read_b128 v[113:116], v112 offset:800
	ds_read_b128 v[117:120], v112 offset:816
	s_waitcnt vmcnt(18) lgkmcnt(1)
	v_fma_f64 v[113:114], v[145:146], v[113:114], v[121:122]
	buffer_load_dword v121, off, s[0:3], 0 offset:152
	buffer_load_dword v122, off, s[0:3], 0 offset:156
	s_waitcnt vmcnt(19)
	v_fma_f64 v[113:114], v[143:144], v[115:116], v[113:114]
	s_waitcnt vmcnt(18) lgkmcnt(0)
	v_fma_f64 v[113:114], v[137:138], v[117:118], v[113:114]
	s_waitcnt vmcnt(13)
	v_fma_f64 v[123:124], v[123:124], v[119:120], v[113:114]
	ds_read_b128 v[113:116], v112 offset:832
	ds_read_b128 v[117:120], v112 offset:848
	s_waitcnt vmcnt(12) lgkmcnt(1)
	v_fma_f64 v[113:114], v[131:132], v[113:114], v[123:124]
	s_waitcnt vmcnt(11)
	v_fma_f64 v[113:114], v[129:130], v[115:116], v[113:114]
	s_waitcnt vmcnt(10) lgkmcnt(0)
	v_fma_f64 v[113:114], v[125:126], v[117:118], v[113:114]
	s_waitcnt vmcnt(5)
	v_fma_f64 v[117:118], v[127:128], v[119:120], v[113:114]
	ds_read_b128 v[113:116], v112 offset:864
	ds_read_b64 v[119:120], v112 offset:880
	s_waitcnt vmcnt(4) lgkmcnt(1)
	v_fma_f64 v[113:114], v[141:142], v[113:114], v[117:118]
	s_waitcnt vmcnt(3)
	v_fma_f64 v[113:114], v[139:140], v[115:116], v[113:114]
	s_waitcnt vmcnt(2) lgkmcnt(0)
	v_fma_f64 v[113:114], v[133:134], v[119:120], v[113:114]
	s_waitcnt vmcnt(0)
	v_add_f64 v[113:114], v[121:122], -v[113:114]
	buffer_store_dword v114, off, s[0:3], 0 offset:156
	buffer_store_dword v113, off, s[0:3], 0 offset:152
	s_and_saveexec_b64 s[4:5], vcc
	s_cbranch_execz .LBB118_301
; %bb.300:
	buffer_load_dword v113, off, s[0:3], 0 offset:144
	buffer_load_dword v114, off, s[0:3], 0 offset:148
	s_waitcnt vmcnt(0)
	ds_write_b64 v111, v[113:114]
	buffer_store_dword v112, off, s[0:3], 0 offset:144
	buffer_store_dword v112, off, s[0:3], 0 offset:148
.LBB118_301:
	s_or_b64 exec, exec, s[4:5]
	s_waitcnt lgkmcnt(0)
	; wave barrier
	buffer_load_dword v121, off, s[0:3], 0 offset:152
	buffer_load_dword v122, off, s[0:3], 0 offset:156
	;; [unrolled: 1-line block ×21, first 2 shown]
	ds_read2_b64 v[113:116], v112 offset0:75 offset1:76
	ds_read2_b64 v[117:120], v112 offset0:77 offset1:78
	buffer_load_dword v138, off, s[0:3], 0 offset:236
	v_cmp_lt_u32_e32 vcc, 17, v0
	s_waitcnt vmcnt(20) lgkmcnt(1)
	v_fma_f64 v[113:114], v[121:122], v[113:114], 0
	s_waitcnt vmcnt(18)
	v_fma_f64 v[113:114], v[123:124], v[115:116], v[113:114]
	buffer_load_dword v122, off, s[0:3], 0 offset:244
	buffer_load_dword v123, off, s[0:3], 0 offset:264
	;; [unrolled: 1-line block ×7, first 2 shown]
	s_waitcnt vmcnt(23) lgkmcnt(0)
	v_fma_f64 v[113:114], v[125:126], v[117:118], v[113:114]
	s_waitcnt vmcnt(21)
	v_fma_f64 v[124:125], v[127:128], v[119:120], v[113:114]
	ds_read2_b64 v[113:116], v112 offset0:79 offset1:80
	ds_read2_b64 v[117:120], v112 offset0:81 offset1:82
	s_waitcnt vmcnt(19) lgkmcnt(1)
	v_fma_f64 v[113:114], v[129:130], v[113:114], v[124:125]
	buffer_load_dword v124, off, s[0:3], 0 offset:268
	s_waitcnt vmcnt(18)
	v_fma_f64 v[113:114], v[131:132], v[115:116], v[113:114]
	buffer_load_dword v126, off, s[0:3], 0 offset:276
	buffer_load_dword v127, off, s[0:3], 0 offset:296
	;; [unrolled: 1-line block ×8, first 2 shown]
	s_waitcnt vmcnt(24) lgkmcnt(0)
	v_fma_f64 v[113:114], v[133:134], v[117:118], v[113:114]
	s_waitcnt vmcnt(19)
	v_fma_f64 v[133:134], v[135:136], v[119:120], v[113:114]
	ds_read2_b64 v[113:116], v112 offset0:83 offset1:84
	ds_read2_b64 v[117:120], v112 offset0:85 offset1:86
	s_waitcnt vmcnt(18) lgkmcnt(1)
	v_fma_f64 v[113:114], v[141:142], v[113:114], v[133:134]
	s_waitcnt vmcnt(17)
	v_fma_f64 v[113:114], v[139:140], v[115:116], v[113:114]
	buffer_load_dword v134, off, s[0:3], 0 offset:308
	buffer_load_dword v135, off, s[0:3], 0 offset:328
	;; [unrolled: 1-line block ×7, first 2 shown]
	s_waitcnt vmcnt(23) lgkmcnt(0)
	v_fma_f64 v[113:114], v[137:138], v[117:118], v[113:114]
	s_waitcnt vmcnt(18)
	v_fma_f64 v[121:122], v[121:122], v[119:120], v[113:114]
	ds_read2_b64 v[113:116], v112 offset0:87 offset1:88
	ds_read2_b64 v[117:120], v112 offset0:89 offset1:90
	buffer_load_dword v136, off, s[0:3], 0 offset:332
	s_waitcnt vmcnt(18) lgkmcnt(1)
	v_fma_f64 v[113:114], v[145:146], v[113:114], v[121:122]
	s_waitcnt vmcnt(17)
	v_fma_f64 v[113:114], v[143:144], v[115:116], v[113:114]
	buffer_load_dword v122, off, s[0:3], 0 offset:340
	buffer_load_dword v137, off, s[0:3], 0 offset:360
	buffer_load_dword v143, off, s[0:3], 0 offset:352
	buffer_load_dword v145, off, s[0:3], 0 offset:344
	buffer_load_dword v121, off, s[0:3], 0 offset:336
	buffer_load_dword v146, off, s[0:3], 0 offset:348
	buffer_load_dword v144, off, s[0:3], 0 offset:356
	buffer_load_dword v138, off, s[0:3], 0 offset:364
	s_waitcnt vmcnt(24) lgkmcnt(0)
	v_fma_f64 v[113:114], v[123:124], v[117:118], v[113:114]
	s_waitcnt vmcnt(19)
	v_fma_f64 v[123:124], v[125:126], v[119:120], v[113:114]
	ds_read2_b64 v[113:116], v112 offset0:91 offset1:92
	ds_read2_b64 v[117:120], v112 offset0:93 offset1:94
	s_waitcnt vmcnt(18) lgkmcnt(1)
	v_fma_f64 v[113:114], v[131:132], v[113:114], v[123:124]
	s_waitcnt vmcnt(17)
	v_fma_f64 v[113:114], v[129:130], v[115:116], v[113:114]
	buffer_load_dword v124, off, s[0:3], 0 offset:372
	buffer_load_dword v125, off, s[0:3], 0 offset:392
	;; [unrolled: 1-line block ×7, first 2 shown]
	s_waitcnt vmcnt(23) lgkmcnt(0)
	v_fma_f64 v[113:114], v[127:128], v[117:118], v[113:114]
	s_waitcnt vmcnt(18)
	v_fma_f64 v[126:127], v[133:134], v[119:120], v[113:114]
	ds_read2_b64 v[113:116], v112 offset0:95 offset1:96
	ds_read2_b64 v[117:120], v112 offset0:97 offset1:98
	s_waitcnt vmcnt(17) lgkmcnt(1)
	v_fma_f64 v[113:114], v[141:142], v[113:114], v[126:127]
	buffer_load_dword v126, off, s[0:3], 0 offset:396
	s_waitcnt vmcnt(17)
	v_fma_f64 v[113:114], v[139:140], v[115:116], v[113:114]
	buffer_load_dword v128, off, s[0:3], 0 offset:404
	buffer_load_dword v133, off, s[0:3], 0 offset:424
	;; [unrolled: 1-line block ×8, first 2 shown]
	s_waitcnt vmcnt(24) lgkmcnt(0)
	v_fma_f64 v[113:114], v[135:136], v[117:118], v[113:114]
	s_waitcnt vmcnt(19)
	v_fma_f64 v[121:122], v[121:122], v[119:120], v[113:114]
	ds_read2_b64 v[113:116], v112 offset0:99 offset1:100
	ds_read2_b64 v[117:120], v112 offset0:101 offset1:102
	s_waitcnt vmcnt(18) lgkmcnt(1)
	v_fma_f64 v[113:114], v[145:146], v[113:114], v[121:122]
	buffer_load_dword v122, off, s[0:3], 0 offset:436
	buffer_load_dword v121, off, s[0:3], 0 offset:432
	;; [unrolled: 1-line block ×4, first 2 shown]
	s_waitcnt vmcnt(21)
	v_fma_f64 v[113:114], v[143:144], v[115:116], v[113:114]
	s_waitcnt vmcnt(20) lgkmcnt(0)
	v_fma_f64 v[113:114], v[137:138], v[117:118], v[113:114]
	s_waitcnt vmcnt(15)
	v_fma_f64 v[123:124], v[123:124], v[119:120], v[113:114]
	ds_read2_b64 v[113:116], v112 offset0:103 offset1:104
	ds_read2_b64 v[117:120], v112 offset0:105 offset1:106
	s_waitcnt vmcnt(14) lgkmcnt(1)
	v_fma_f64 v[113:114], v[131:132], v[113:114], v[123:124]
	s_waitcnt vmcnt(13)
	v_fma_f64 v[113:114], v[129:130], v[115:116], v[113:114]
	s_waitcnt vmcnt(12) lgkmcnt(0)
	v_fma_f64 v[113:114], v[125:126], v[117:118], v[113:114]
	s_waitcnt vmcnt(7)
	v_fma_f64 v[123:124], v[127:128], v[119:120], v[113:114]
	ds_read2_b64 v[113:116], v112 offset0:107 offset1:108
	ds_read2_b64 v[117:120], v112 offset0:109 offset1:110
	s_waitcnt vmcnt(6) lgkmcnt(1)
	v_fma_f64 v[112:113], v[141:142], v[113:114], v[123:124]
	s_waitcnt vmcnt(5)
	v_fma_f64 v[112:113], v[139:140], v[115:116], v[112:113]
	s_waitcnt vmcnt(4) lgkmcnt(0)
	v_fma_f64 v[112:113], v[133:134], v[117:118], v[112:113]
	s_waitcnt vmcnt(2)
	v_fma_f64 v[112:113], v[121:122], v[119:120], v[112:113]
	s_waitcnt vmcnt(0)
	v_add_f64 v[112:113], v[135:136], -v[112:113]
	buffer_store_dword v113, off, s[0:3], 0 offset:148
	buffer_store_dword v112, off, s[0:3], 0 offset:144
	s_and_saveexec_b64 s[4:5], vcc
	s_cbranch_execz .LBB118_303
; %bb.302:
	buffer_load_dword v112, off, s[0:3], 0 offset:136
	buffer_load_dword v113, off, s[0:3], 0 offset:140
	v_mov_b32_e32 v114, 0
	buffer_store_dword v114, off, s[0:3], 0 offset:136
	buffer_store_dword v114, off, s[0:3], 0 offset:140
	s_waitcnt vmcnt(2)
	ds_write_b64 v111, v[112:113]
.LBB118_303:
	s_or_b64 exec, exec, s[4:5]
	s_waitcnt lgkmcnt(0)
	; wave barrier
	buffer_load_dword v121, off, s[0:3], 0 offset:144
	buffer_load_dword v122, off, s[0:3], 0 offset:148
	buffer_load_dword v123, off, s[0:3], 0 offset:152
	buffer_load_dword v124, off, s[0:3], 0 offset:156
	buffer_load_dword v125, off, s[0:3], 0 offset:160
	buffer_load_dword v126, off, s[0:3], 0 offset:164
	buffer_load_dword v127, off, s[0:3], 0 offset:168
	buffer_load_dword v128, off, s[0:3], 0 offset:172
	buffer_load_dword v129, off, s[0:3], 0 offset:176
	buffer_load_dword v130, off, s[0:3], 0 offset:180
	buffer_load_dword v131, off, s[0:3], 0 offset:184
	buffer_load_dword v132, off, s[0:3], 0 offset:188
	buffer_load_dword v133, off, s[0:3], 0 offset:192
	buffer_load_dword v134, off, s[0:3], 0 offset:196
	buffer_load_dword v136, off, s[0:3], 0 offset:204
	buffer_load_dword v137, off, s[0:3], 0 offset:224
	buffer_load_dword v139, off, s[0:3], 0 offset:216
	buffer_load_dword v141, off, s[0:3], 0 offset:208
	buffer_load_dword v135, off, s[0:3], 0 offset:200
	buffer_load_dword v142, off, s[0:3], 0 offset:212
	buffer_load_dword v140, off, s[0:3], 0 offset:220
	v_mov_b32_e32 v112, 0
	ds_read_b128 v[113:116], v112 offset:592
	ds_read_b128 v[117:120], v112 offset:608
	buffer_load_dword v138, off, s[0:3], 0 offset:228
	v_cmp_lt_u32_e32 vcc, 16, v0
	s_waitcnt vmcnt(20) lgkmcnt(1)
	v_fma_f64 v[113:114], v[121:122], v[113:114], 0
	s_waitcnt vmcnt(18)
	v_fma_f64 v[113:114], v[123:124], v[115:116], v[113:114]
	buffer_load_dword v122, off, s[0:3], 0 offset:236
	buffer_load_dword v123, off, s[0:3], 0 offset:256
	;; [unrolled: 1-line block ×7, first 2 shown]
	s_waitcnt vmcnt(23) lgkmcnt(0)
	v_fma_f64 v[113:114], v[125:126], v[117:118], v[113:114]
	s_waitcnt vmcnt(21)
	v_fma_f64 v[124:125], v[127:128], v[119:120], v[113:114]
	ds_read_b128 v[113:116], v112 offset:624
	ds_read_b128 v[117:120], v112 offset:640
	s_waitcnt vmcnt(19) lgkmcnt(1)
	v_fma_f64 v[113:114], v[129:130], v[113:114], v[124:125]
	buffer_load_dword v124, off, s[0:3], 0 offset:260
	s_waitcnt vmcnt(18)
	v_fma_f64 v[113:114], v[131:132], v[115:116], v[113:114]
	buffer_load_dword v126, off, s[0:3], 0 offset:268
	buffer_load_dword v127, off, s[0:3], 0 offset:288
	buffer_load_dword v129, off, s[0:3], 0 offset:280
	buffer_load_dword v131, off, s[0:3], 0 offset:272
	buffer_load_dword v125, off, s[0:3], 0 offset:264
	buffer_load_dword v132, off, s[0:3], 0 offset:276
	buffer_load_dword v130, off, s[0:3], 0 offset:284
	buffer_load_dword v128, off, s[0:3], 0 offset:292
	s_waitcnt vmcnt(24) lgkmcnt(0)
	v_fma_f64 v[113:114], v[133:134], v[117:118], v[113:114]
	s_waitcnt vmcnt(19)
	v_fma_f64 v[133:134], v[135:136], v[119:120], v[113:114]
	ds_read_b128 v[113:116], v112 offset:656
	ds_read_b128 v[117:120], v112 offset:672
	s_waitcnt vmcnt(18) lgkmcnt(1)
	v_fma_f64 v[113:114], v[141:142], v[113:114], v[133:134]
	s_waitcnt vmcnt(17)
	v_fma_f64 v[113:114], v[139:140], v[115:116], v[113:114]
	buffer_load_dword v134, off, s[0:3], 0 offset:300
	buffer_load_dword v135, off, s[0:3], 0 offset:320
	;; [unrolled: 1-line block ×7, first 2 shown]
	s_waitcnt vmcnt(23) lgkmcnt(0)
	v_fma_f64 v[113:114], v[137:138], v[117:118], v[113:114]
	s_waitcnt vmcnt(18)
	v_fma_f64 v[121:122], v[121:122], v[119:120], v[113:114]
	ds_read_b128 v[113:116], v112 offset:688
	ds_read_b128 v[117:120], v112 offset:704
	buffer_load_dword v136, off, s[0:3], 0 offset:324
	s_waitcnt vmcnt(18) lgkmcnt(1)
	v_fma_f64 v[113:114], v[145:146], v[113:114], v[121:122]
	s_waitcnt vmcnt(17)
	v_fma_f64 v[113:114], v[143:144], v[115:116], v[113:114]
	buffer_load_dword v122, off, s[0:3], 0 offset:332
	buffer_load_dword v137, off, s[0:3], 0 offset:352
	;; [unrolled: 1-line block ×7, first 2 shown]
	s_waitcnt vmcnt(23) lgkmcnt(0)
	v_fma_f64 v[113:114], v[123:124], v[117:118], v[113:114]
	s_waitcnt vmcnt(18)
	v_fma_f64 v[123:124], v[125:126], v[119:120], v[113:114]
	ds_read_b128 v[113:116], v112 offset:720
	ds_read_b128 v[117:120], v112 offset:736
	buffer_load_dword v138, off, s[0:3], 0 offset:356
	s_waitcnt vmcnt(18) lgkmcnt(1)
	v_fma_f64 v[113:114], v[131:132], v[113:114], v[123:124]
	s_waitcnt vmcnt(17)
	v_fma_f64 v[113:114], v[129:130], v[115:116], v[113:114]
	buffer_load_dword v124, off, s[0:3], 0 offset:364
	buffer_load_dword v125, off, s[0:3], 0 offset:384
	;; [unrolled: 1-line block ×7, first 2 shown]
	s_waitcnt vmcnt(23) lgkmcnt(0)
	v_fma_f64 v[113:114], v[127:128], v[117:118], v[113:114]
	s_waitcnt vmcnt(18)
	v_fma_f64 v[126:127], v[133:134], v[119:120], v[113:114]
	ds_read_b128 v[113:116], v112 offset:752
	ds_read_b128 v[117:120], v112 offset:768
	s_waitcnt vmcnt(17) lgkmcnt(1)
	v_fma_f64 v[113:114], v[141:142], v[113:114], v[126:127]
	buffer_load_dword v126, off, s[0:3], 0 offset:388
	s_waitcnt vmcnt(17)
	v_fma_f64 v[113:114], v[139:140], v[115:116], v[113:114]
	buffer_load_dword v128, off, s[0:3], 0 offset:396
	buffer_load_dword v133, off, s[0:3], 0 offset:416
	;; [unrolled: 1-line block ×7, first 2 shown]
	s_waitcnt vmcnt(23) lgkmcnt(0)
	v_fma_f64 v[113:114], v[135:136], v[117:118], v[113:114]
	s_waitcnt vmcnt(18)
	v_fma_f64 v[121:122], v[121:122], v[119:120], v[113:114]
	ds_read_b128 v[113:116], v112 offset:784
	ds_read_b128 v[117:120], v112 offset:800
	buffer_load_dword v134, off, s[0:3], 0 offset:420
	s_waitcnt vmcnt(18) lgkmcnt(1)
	v_fma_f64 v[113:114], v[145:146], v[113:114], v[121:122]
	buffer_load_dword v122, off, s[0:3], 0 offset:428
	buffer_load_dword v135, off, s[0:3], 0 offset:432
	;; [unrolled: 1-line block ×4, first 2 shown]
	s_waitcnt vmcnt(21)
	v_fma_f64 v[113:114], v[143:144], v[115:116], v[113:114]
	s_waitcnt vmcnt(20) lgkmcnt(0)
	v_fma_f64 v[113:114], v[137:138], v[117:118], v[113:114]
	buffer_load_dword v137, off, s[0:3], 0 offset:136
	buffer_load_dword v138, off, s[0:3], 0 offset:140
	s_waitcnt vmcnt(17)
	v_fma_f64 v[123:124], v[123:124], v[119:120], v[113:114]
	ds_read_b128 v[113:116], v112 offset:816
	ds_read_b128 v[117:120], v112 offset:832
	s_waitcnt vmcnt(16) lgkmcnt(1)
	v_fma_f64 v[113:114], v[131:132], v[113:114], v[123:124]
	s_waitcnt vmcnt(15)
	v_fma_f64 v[113:114], v[129:130], v[115:116], v[113:114]
	s_waitcnt vmcnt(14) lgkmcnt(0)
	v_fma_f64 v[113:114], v[125:126], v[117:118], v[113:114]
	s_waitcnt vmcnt(9)
	v_fma_f64 v[123:124], v[127:128], v[119:120], v[113:114]
	ds_read_b128 v[113:116], v112 offset:848
	ds_read_b128 v[117:120], v112 offset:864
	s_waitcnt vmcnt(8) lgkmcnt(1)
	v_fma_f64 v[113:114], v[141:142], v[113:114], v[123:124]
	s_waitcnt vmcnt(7)
	v_fma_f64 v[113:114], v[139:140], v[115:116], v[113:114]
	ds_read_b64 v[115:116], v112 offset:880
	s_waitcnt vmcnt(6) lgkmcnt(1)
	v_fma_f64 v[113:114], v[133:134], v[117:118], v[113:114]
	s_waitcnt vmcnt(3)
	v_fma_f64 v[113:114], v[121:122], v[119:120], v[113:114]
	s_waitcnt vmcnt(2) lgkmcnt(0)
	v_fma_f64 v[113:114], v[135:136], v[115:116], v[113:114]
	s_waitcnt vmcnt(0)
	v_add_f64 v[113:114], v[137:138], -v[113:114]
	buffer_store_dword v114, off, s[0:3], 0 offset:140
	buffer_store_dword v113, off, s[0:3], 0 offset:136
	s_and_saveexec_b64 s[4:5], vcc
	s_cbranch_execz .LBB118_305
; %bb.304:
	buffer_load_dword v113, off, s[0:3], 0 offset:128
	buffer_load_dword v114, off, s[0:3], 0 offset:132
	s_waitcnt vmcnt(0)
	ds_write_b64 v111, v[113:114]
	buffer_store_dword v112, off, s[0:3], 0 offset:128
	buffer_store_dword v112, off, s[0:3], 0 offset:132
.LBB118_305:
	s_or_b64 exec, exec, s[4:5]
	s_waitcnt lgkmcnt(0)
	; wave barrier
	buffer_load_dword v121, off, s[0:3], 0 offset:136
	buffer_load_dword v122, off, s[0:3], 0 offset:140
	;; [unrolled: 1-line block ×22, first 2 shown]
	ds_read2_b64 v[113:116], v112 offset0:73 offset1:74
	ds_read2_b64 v[117:120], v112 offset0:75 offset1:76
	v_cmp_lt_u32_e32 vcc, 15, v0
	s_waitcnt vmcnt(20) lgkmcnt(1)
	v_fma_f64 v[113:114], v[121:122], v[113:114], 0
	s_waitcnt vmcnt(18)
	v_fma_f64 v[113:114], v[123:124], v[115:116], v[113:114]
	buffer_load_dword v122, off, s[0:3], 0 offset:228
	buffer_load_dword v123, off, s[0:3], 0 offset:248
	buffer_load_dword v143, off, s[0:3], 0 offset:240
	buffer_load_dword v145, off, s[0:3], 0 offset:232
	buffer_load_dword v121, off, s[0:3], 0 offset:224
	buffer_load_dword v146, off, s[0:3], 0 offset:236
	buffer_load_dword v144, off, s[0:3], 0 offset:244
	s_waitcnt vmcnt(23) lgkmcnt(0)
	v_fma_f64 v[113:114], v[125:126], v[117:118], v[113:114]
	s_waitcnt vmcnt(21)
	v_fma_f64 v[124:125], v[127:128], v[119:120], v[113:114]
	ds_read2_b64 v[113:116], v112 offset0:77 offset1:78
	ds_read2_b64 v[117:120], v112 offset0:79 offset1:80
	s_waitcnt vmcnt(19) lgkmcnt(1)
	v_fma_f64 v[113:114], v[129:130], v[113:114], v[124:125]
	buffer_load_dword v124, off, s[0:3], 0 offset:252
	s_waitcnt vmcnt(18)
	v_fma_f64 v[113:114], v[131:132], v[115:116], v[113:114]
	buffer_load_dword v126, off, s[0:3], 0 offset:260
	buffer_load_dword v127, off, s[0:3], 0 offset:280
	;; [unrolled: 1-line block ×8, first 2 shown]
	s_waitcnt vmcnt(24) lgkmcnt(0)
	v_fma_f64 v[113:114], v[133:134], v[117:118], v[113:114]
	s_waitcnt vmcnt(19)
	v_fma_f64 v[133:134], v[135:136], v[119:120], v[113:114]
	ds_read2_b64 v[113:116], v112 offset0:81 offset1:82
	ds_read2_b64 v[117:120], v112 offset0:83 offset1:84
	s_waitcnt vmcnt(18) lgkmcnt(1)
	v_fma_f64 v[113:114], v[141:142], v[113:114], v[133:134]
	s_waitcnt vmcnt(17)
	v_fma_f64 v[113:114], v[139:140], v[115:116], v[113:114]
	buffer_load_dword v134, off, s[0:3], 0 offset:292
	buffer_load_dword v135, off, s[0:3], 0 offset:312
	;; [unrolled: 1-line block ×8, first 2 shown]
	s_waitcnt vmcnt(24) lgkmcnt(0)
	v_fma_f64 v[113:114], v[137:138], v[117:118], v[113:114]
	s_waitcnt vmcnt(19)
	v_fma_f64 v[121:122], v[121:122], v[119:120], v[113:114]
	ds_read2_b64 v[113:116], v112 offset0:85 offset1:86
	ds_read2_b64 v[117:120], v112 offset0:87 offset1:88
	s_waitcnt vmcnt(18) lgkmcnt(1)
	v_fma_f64 v[113:114], v[145:146], v[113:114], v[121:122]
	s_waitcnt vmcnt(17)
	v_fma_f64 v[113:114], v[143:144], v[115:116], v[113:114]
	buffer_load_dword v122, off, s[0:3], 0 offset:324
	buffer_load_dword v137, off, s[0:3], 0 offset:344
	;; [unrolled: 1-line block ×7, first 2 shown]
	s_waitcnt vmcnt(23) lgkmcnt(0)
	v_fma_f64 v[113:114], v[123:124], v[117:118], v[113:114]
	s_waitcnt vmcnt(18)
	v_fma_f64 v[123:124], v[125:126], v[119:120], v[113:114]
	ds_read2_b64 v[113:116], v112 offset0:89 offset1:90
	ds_read2_b64 v[117:120], v112 offset0:91 offset1:92
	buffer_load_dword v138, off, s[0:3], 0 offset:348
	s_waitcnt vmcnt(18) lgkmcnt(1)
	v_fma_f64 v[113:114], v[131:132], v[113:114], v[123:124]
	s_waitcnt vmcnt(17)
	v_fma_f64 v[113:114], v[129:130], v[115:116], v[113:114]
	buffer_load_dword v124, off, s[0:3], 0 offset:356
	buffer_load_dword v125, off, s[0:3], 0 offset:376
	;; [unrolled: 1-line block ×7, first 2 shown]
	s_waitcnt vmcnt(23) lgkmcnt(0)
	v_fma_f64 v[113:114], v[127:128], v[117:118], v[113:114]
	s_waitcnt vmcnt(18)
	v_fma_f64 v[126:127], v[133:134], v[119:120], v[113:114]
	ds_read2_b64 v[113:116], v112 offset0:93 offset1:94
	ds_read2_b64 v[117:120], v112 offset0:95 offset1:96
	s_waitcnt vmcnt(17) lgkmcnt(1)
	v_fma_f64 v[113:114], v[141:142], v[113:114], v[126:127]
	buffer_load_dword v126, off, s[0:3], 0 offset:380
	s_waitcnt vmcnt(17)
	v_fma_f64 v[113:114], v[139:140], v[115:116], v[113:114]
	buffer_load_dword v128, off, s[0:3], 0 offset:388
	buffer_load_dword v133, off, s[0:3], 0 offset:408
	;; [unrolled: 1-line block ×8, first 2 shown]
	s_waitcnt vmcnt(24) lgkmcnt(0)
	v_fma_f64 v[113:114], v[135:136], v[117:118], v[113:114]
	s_waitcnt vmcnt(19)
	v_fma_f64 v[121:122], v[121:122], v[119:120], v[113:114]
	ds_read2_b64 v[113:116], v112 offset0:97 offset1:98
	ds_read2_b64 v[117:120], v112 offset0:99 offset1:100
	s_waitcnt vmcnt(18) lgkmcnt(1)
	v_fma_f64 v[113:114], v[145:146], v[113:114], v[121:122]
	s_waitcnt vmcnt(17)
	v_fma_f64 v[113:114], v[143:144], v[115:116], v[113:114]
	buffer_load_dword v122, off, s[0:3], 0 offset:420
	buffer_load_dword v135, off, s[0:3], 0 offset:432
	buffer_load_dword v143, off, s[0:3], 0 offset:424
	buffer_load_dword v121, off, s[0:3], 0 offset:416
	buffer_load_dword v144, off, s[0:3], 0 offset:428
	buffer_load_dword v136, off, s[0:3], 0 offset:436
	s_waitcnt vmcnt(22) lgkmcnt(0)
	v_fma_f64 v[113:114], v[137:138], v[117:118], v[113:114]
	s_waitcnt vmcnt(17)
	v_fma_f64 v[123:124], v[123:124], v[119:120], v[113:114]
	ds_read2_b64 v[113:116], v112 offset0:101 offset1:102
	buffer_load_dword v137, off, s[0:3], 0 offset:128
	buffer_load_dword v138, off, s[0:3], 0 offset:132
	ds_read2_b64 v[117:120], v112 offset0:103 offset1:104
	s_waitcnt vmcnt(18) lgkmcnt(1)
	v_fma_f64 v[113:114], v[131:132], v[113:114], v[123:124]
	s_waitcnt vmcnt(17)
	v_fma_f64 v[113:114], v[129:130], v[115:116], v[113:114]
	s_waitcnt vmcnt(16) lgkmcnt(0)
	v_fma_f64 v[113:114], v[125:126], v[117:118], v[113:114]
	s_waitcnt vmcnt(11)
	v_fma_f64 v[123:124], v[127:128], v[119:120], v[113:114]
	ds_read2_b64 v[113:116], v112 offset0:105 offset1:106
	ds_read2_b64 v[117:120], v112 offset0:107 offset1:108
	s_waitcnt vmcnt(10) lgkmcnt(1)
	v_fma_f64 v[113:114], v[141:142], v[113:114], v[123:124]
	s_waitcnt vmcnt(9)
	v_fma_f64 v[113:114], v[139:140], v[115:116], v[113:114]
	s_waitcnt vmcnt(8) lgkmcnt(0)
	v_fma_f64 v[113:114], v[133:134], v[117:118], v[113:114]
	s_waitcnt vmcnt(4)
	v_fma_f64 v[116:117], v[121:122], v[119:120], v[113:114]
	ds_read2_b64 v[112:115], v112 offset0:109 offset1:110
	s_waitcnt vmcnt(3) lgkmcnt(0)
	v_fma_f64 v[112:113], v[143:144], v[112:113], v[116:117]
	s_waitcnt vmcnt(2)
	v_fma_f64 v[112:113], v[135:136], v[114:115], v[112:113]
	s_waitcnt vmcnt(0)
	v_add_f64 v[112:113], v[137:138], -v[112:113]
	buffer_store_dword v113, off, s[0:3], 0 offset:132
	buffer_store_dword v112, off, s[0:3], 0 offset:128
	s_and_saveexec_b64 s[4:5], vcc
	s_cbranch_execz .LBB118_307
; %bb.306:
	buffer_load_dword v112, off, s[0:3], 0 offset:120
	buffer_load_dword v113, off, s[0:3], 0 offset:124
	v_mov_b32_e32 v114, 0
	buffer_store_dword v114, off, s[0:3], 0 offset:120
	buffer_store_dword v114, off, s[0:3], 0 offset:124
	s_waitcnt vmcnt(2)
	ds_write_b64 v111, v[112:113]
.LBB118_307:
	s_or_b64 exec, exec, s[4:5]
	s_waitcnt lgkmcnt(0)
	; wave barrier
	buffer_load_dword v121, off, s[0:3], 0 offset:128
	buffer_load_dword v122, off, s[0:3], 0 offset:132
	buffer_load_dword v123, off, s[0:3], 0 offset:136
	buffer_load_dword v124, off, s[0:3], 0 offset:140
	buffer_load_dword v125, off, s[0:3], 0 offset:144
	buffer_load_dword v126, off, s[0:3], 0 offset:148
	buffer_load_dword v127, off, s[0:3], 0 offset:152
	buffer_load_dword v128, off, s[0:3], 0 offset:156
	buffer_load_dword v129, off, s[0:3], 0 offset:160
	buffer_load_dword v130, off, s[0:3], 0 offset:164
	buffer_load_dword v131, off, s[0:3], 0 offset:168
	buffer_load_dword v132, off, s[0:3], 0 offset:172
	buffer_load_dword v133, off, s[0:3], 0 offset:176
	buffer_load_dword v134, off, s[0:3], 0 offset:180
	buffer_load_dword v136, off, s[0:3], 0 offset:188
	buffer_load_dword v137, off, s[0:3], 0 offset:208
	buffer_load_dword v139, off, s[0:3], 0 offset:200
	buffer_load_dword v141, off, s[0:3], 0 offset:192
	buffer_load_dword v135, off, s[0:3], 0 offset:184
	buffer_load_dword v142, off, s[0:3], 0 offset:196
	buffer_load_dword v140, off, s[0:3], 0 offset:204
	buffer_load_dword v138, off, s[0:3], 0 offset:212
	v_mov_b32_e32 v112, 0
	ds_read_b128 v[113:116], v112 offset:576
	ds_read_b128 v[117:120], v112 offset:592
	v_cmp_lt_u32_e32 vcc, 14, v0
	s_waitcnt vmcnt(20) lgkmcnt(1)
	v_fma_f64 v[113:114], v[121:122], v[113:114], 0
	s_waitcnt vmcnt(18)
	v_fma_f64 v[113:114], v[123:124], v[115:116], v[113:114]
	buffer_load_dword v122, off, s[0:3], 0 offset:220
	buffer_load_dword v123, off, s[0:3], 0 offset:240
	buffer_load_dword v143, off, s[0:3], 0 offset:232
	buffer_load_dword v145, off, s[0:3], 0 offset:224
	buffer_load_dword v121, off, s[0:3], 0 offset:216
	buffer_load_dword v146, off, s[0:3], 0 offset:228
	buffer_load_dword v144, off, s[0:3], 0 offset:236
	s_waitcnt vmcnt(23) lgkmcnt(0)
	v_fma_f64 v[113:114], v[125:126], v[117:118], v[113:114]
	s_waitcnt vmcnt(21)
	v_fma_f64 v[124:125], v[127:128], v[119:120], v[113:114]
	ds_read_b128 v[113:116], v112 offset:608
	ds_read_b128 v[117:120], v112 offset:624
	s_waitcnt vmcnt(19) lgkmcnt(1)
	v_fma_f64 v[113:114], v[129:130], v[113:114], v[124:125]
	buffer_load_dword v124, off, s[0:3], 0 offset:244
	s_waitcnt vmcnt(18)
	v_fma_f64 v[113:114], v[131:132], v[115:116], v[113:114]
	buffer_load_dword v126, off, s[0:3], 0 offset:252
	buffer_load_dword v127, off, s[0:3], 0 offset:272
	;; [unrolled: 1-line block ×8, first 2 shown]
	s_waitcnt vmcnt(24) lgkmcnt(0)
	v_fma_f64 v[113:114], v[133:134], v[117:118], v[113:114]
	s_waitcnt vmcnt(19)
	v_fma_f64 v[133:134], v[135:136], v[119:120], v[113:114]
	ds_read_b128 v[113:116], v112 offset:640
	ds_read_b128 v[117:120], v112 offset:656
	s_waitcnt vmcnt(18) lgkmcnt(1)
	v_fma_f64 v[113:114], v[141:142], v[113:114], v[133:134]
	s_waitcnt vmcnt(17)
	v_fma_f64 v[113:114], v[139:140], v[115:116], v[113:114]
	buffer_load_dword v134, off, s[0:3], 0 offset:284
	buffer_load_dword v135, off, s[0:3], 0 offset:304
	;; [unrolled: 1-line block ×8, first 2 shown]
	s_waitcnt vmcnt(24) lgkmcnt(0)
	v_fma_f64 v[113:114], v[137:138], v[117:118], v[113:114]
	s_waitcnt vmcnt(19)
	v_fma_f64 v[121:122], v[121:122], v[119:120], v[113:114]
	ds_read_b128 v[113:116], v112 offset:672
	ds_read_b128 v[117:120], v112 offset:688
	s_waitcnt vmcnt(18) lgkmcnt(1)
	v_fma_f64 v[113:114], v[145:146], v[113:114], v[121:122]
	s_waitcnt vmcnt(17)
	v_fma_f64 v[113:114], v[143:144], v[115:116], v[113:114]
	buffer_load_dword v122, off, s[0:3], 0 offset:316
	buffer_load_dword v137, off, s[0:3], 0 offset:336
	;; [unrolled: 1-line block ×7, first 2 shown]
	s_waitcnt vmcnt(23) lgkmcnt(0)
	v_fma_f64 v[113:114], v[123:124], v[117:118], v[113:114]
	s_waitcnt vmcnt(18)
	v_fma_f64 v[123:124], v[125:126], v[119:120], v[113:114]
	ds_read_b128 v[113:116], v112 offset:704
	ds_read_b128 v[117:120], v112 offset:720
	buffer_load_dword v138, off, s[0:3], 0 offset:340
	s_waitcnt vmcnt(18) lgkmcnt(1)
	v_fma_f64 v[113:114], v[131:132], v[113:114], v[123:124]
	s_waitcnt vmcnt(17)
	v_fma_f64 v[113:114], v[129:130], v[115:116], v[113:114]
	buffer_load_dword v124, off, s[0:3], 0 offset:348
	buffer_load_dword v125, off, s[0:3], 0 offset:368
	;; [unrolled: 1-line block ×7, first 2 shown]
	s_waitcnt vmcnt(23) lgkmcnt(0)
	v_fma_f64 v[113:114], v[127:128], v[117:118], v[113:114]
	s_waitcnt vmcnt(18)
	v_fma_f64 v[126:127], v[133:134], v[119:120], v[113:114]
	ds_read_b128 v[113:116], v112 offset:736
	ds_read_b128 v[117:120], v112 offset:752
	s_waitcnt vmcnt(17) lgkmcnt(1)
	v_fma_f64 v[113:114], v[141:142], v[113:114], v[126:127]
	buffer_load_dword v126, off, s[0:3], 0 offset:372
	s_waitcnt vmcnt(17)
	v_fma_f64 v[113:114], v[139:140], v[115:116], v[113:114]
	buffer_load_dword v128, off, s[0:3], 0 offset:380
	buffer_load_dword v133, off, s[0:3], 0 offset:400
	;; [unrolled: 1-line block ×8, first 2 shown]
	s_waitcnt vmcnt(24) lgkmcnt(0)
	v_fma_f64 v[113:114], v[135:136], v[117:118], v[113:114]
	s_waitcnt vmcnt(19)
	v_fma_f64 v[121:122], v[121:122], v[119:120], v[113:114]
	ds_read_b128 v[113:116], v112 offset:768
	ds_read_b128 v[117:120], v112 offset:784
	s_waitcnt vmcnt(18) lgkmcnt(1)
	v_fma_f64 v[113:114], v[145:146], v[113:114], v[121:122]
	s_waitcnt vmcnt(17)
	v_fma_f64 v[113:114], v[143:144], v[115:116], v[113:114]
	buffer_load_dword v122, off, s[0:3], 0 offset:412
	buffer_load_dword v135, off, s[0:3], 0 offset:432
	;; [unrolled: 1-line block ×8, first 2 shown]
	s_waitcnt vmcnt(24) lgkmcnt(0)
	v_fma_f64 v[113:114], v[137:138], v[117:118], v[113:114]
	s_waitcnt vmcnt(19)
	v_fma_f64 v[123:124], v[123:124], v[119:120], v[113:114]
	ds_read_b128 v[113:116], v112 offset:800
	ds_read_b128 v[117:120], v112 offset:816
	s_waitcnt vmcnt(18) lgkmcnt(1)
	v_fma_f64 v[113:114], v[131:132], v[113:114], v[123:124]
	buffer_load_dword v123, off, s[0:3], 0 offset:120
	buffer_load_dword v124, off, s[0:3], 0 offset:124
	s_waitcnt vmcnt(19)
	v_fma_f64 v[113:114], v[129:130], v[115:116], v[113:114]
	s_waitcnt vmcnt(18) lgkmcnt(0)
	v_fma_f64 v[113:114], v[125:126], v[117:118], v[113:114]
	s_waitcnt vmcnt(13)
	v_fma_f64 v[125:126], v[127:128], v[119:120], v[113:114]
	ds_read_b128 v[113:116], v112 offset:832
	ds_read_b128 v[117:120], v112 offset:848
	s_waitcnt vmcnt(12) lgkmcnt(1)
	v_fma_f64 v[113:114], v[141:142], v[113:114], v[125:126]
	s_waitcnt vmcnt(11)
	v_fma_f64 v[113:114], v[139:140], v[115:116], v[113:114]
	s_waitcnt vmcnt(10) lgkmcnt(0)
	v_fma_f64 v[113:114], v[133:134], v[117:118], v[113:114]
	s_waitcnt vmcnt(5)
	v_fma_f64 v[117:118], v[121:122], v[119:120], v[113:114]
	ds_read_b128 v[113:116], v112 offset:864
	ds_read_b64 v[119:120], v112 offset:880
	s_waitcnt vmcnt(4) lgkmcnt(1)
	v_fma_f64 v[113:114], v[145:146], v[113:114], v[117:118]
	s_waitcnt vmcnt(3)
	v_fma_f64 v[113:114], v[143:144], v[115:116], v[113:114]
	s_waitcnt vmcnt(2) lgkmcnt(0)
	v_fma_f64 v[113:114], v[135:136], v[119:120], v[113:114]
	s_waitcnt vmcnt(0)
	v_add_f64 v[113:114], v[123:124], -v[113:114]
	buffer_store_dword v114, off, s[0:3], 0 offset:124
	buffer_store_dword v113, off, s[0:3], 0 offset:120
	s_and_saveexec_b64 s[4:5], vcc
	s_cbranch_execz .LBB118_309
; %bb.308:
	buffer_load_dword v113, off, s[0:3], 0 offset:112
	buffer_load_dword v114, off, s[0:3], 0 offset:116
	s_waitcnt vmcnt(0)
	ds_write_b64 v111, v[113:114]
	buffer_store_dword v112, off, s[0:3], 0 offset:112
	buffer_store_dword v112, off, s[0:3], 0 offset:116
.LBB118_309:
	s_or_b64 exec, exec, s[4:5]
	s_waitcnt lgkmcnt(0)
	; wave barrier
	buffer_load_dword v121, off, s[0:3], 0 offset:120
	buffer_load_dword v122, off, s[0:3], 0 offset:124
	;; [unrolled: 1-line block ×22, first 2 shown]
	ds_read2_b64 v[113:116], v112 offset0:71 offset1:72
	ds_read2_b64 v[117:120], v112 offset0:73 offset1:74
	v_cmp_lt_u32_e32 vcc, 13, v0
	s_waitcnt vmcnt(20) lgkmcnt(1)
	v_fma_f64 v[113:114], v[121:122], v[113:114], 0
	s_waitcnt vmcnt(18)
	v_fma_f64 v[113:114], v[123:124], v[115:116], v[113:114]
	buffer_load_dword v122, off, s[0:3], 0 offset:212
	buffer_load_dword v123, off, s[0:3], 0 offset:232
	;; [unrolled: 1-line block ×7, first 2 shown]
	s_waitcnt vmcnt(23) lgkmcnt(0)
	v_fma_f64 v[113:114], v[125:126], v[117:118], v[113:114]
	s_waitcnt vmcnt(21)
	v_fma_f64 v[124:125], v[127:128], v[119:120], v[113:114]
	ds_read2_b64 v[113:116], v112 offset0:75 offset1:76
	ds_read2_b64 v[117:120], v112 offset0:77 offset1:78
	s_waitcnt vmcnt(19) lgkmcnt(1)
	v_fma_f64 v[113:114], v[129:130], v[113:114], v[124:125]
	buffer_load_dword v124, off, s[0:3], 0 offset:236
	s_waitcnt vmcnt(18)
	v_fma_f64 v[113:114], v[131:132], v[115:116], v[113:114]
	buffer_load_dword v126, off, s[0:3], 0 offset:244
	buffer_load_dword v127, off, s[0:3], 0 offset:264
	buffer_load_dword v129, off, s[0:3], 0 offset:256
	buffer_load_dword v131, off, s[0:3], 0 offset:248
	buffer_load_dword v125, off, s[0:3], 0 offset:240
	buffer_load_dword v132, off, s[0:3], 0 offset:252
	buffer_load_dword v130, off, s[0:3], 0 offset:260
	buffer_load_dword v128, off, s[0:3], 0 offset:268
	s_waitcnt vmcnt(24) lgkmcnt(0)
	v_fma_f64 v[113:114], v[133:134], v[117:118], v[113:114]
	s_waitcnt vmcnt(19)
	v_fma_f64 v[133:134], v[135:136], v[119:120], v[113:114]
	ds_read2_b64 v[113:116], v112 offset0:79 offset1:80
	ds_read2_b64 v[117:120], v112 offset0:81 offset1:82
	s_waitcnt vmcnt(18) lgkmcnt(1)
	v_fma_f64 v[113:114], v[141:142], v[113:114], v[133:134]
	s_waitcnt vmcnt(17)
	v_fma_f64 v[113:114], v[139:140], v[115:116], v[113:114]
	buffer_load_dword v134, off, s[0:3], 0 offset:276
	buffer_load_dword v135, off, s[0:3], 0 offset:296
	;; [unrolled: 1-line block ×8, first 2 shown]
	s_waitcnt vmcnt(24) lgkmcnt(0)
	v_fma_f64 v[113:114], v[137:138], v[117:118], v[113:114]
	s_waitcnt vmcnt(19)
	v_fma_f64 v[121:122], v[121:122], v[119:120], v[113:114]
	ds_read2_b64 v[113:116], v112 offset0:83 offset1:84
	ds_read2_b64 v[117:120], v112 offset0:85 offset1:86
	s_waitcnt vmcnt(18) lgkmcnt(1)
	v_fma_f64 v[113:114], v[145:146], v[113:114], v[121:122]
	s_waitcnt vmcnt(17)
	v_fma_f64 v[113:114], v[143:144], v[115:116], v[113:114]
	buffer_load_dword v122, off, s[0:3], 0 offset:308
	buffer_load_dword v137, off, s[0:3], 0 offset:328
	;; [unrolled: 1-line block ×7, first 2 shown]
	s_waitcnt vmcnt(23) lgkmcnt(0)
	v_fma_f64 v[113:114], v[123:124], v[117:118], v[113:114]
	s_waitcnt vmcnt(18)
	v_fma_f64 v[123:124], v[125:126], v[119:120], v[113:114]
	ds_read2_b64 v[113:116], v112 offset0:87 offset1:88
	ds_read2_b64 v[117:120], v112 offset0:89 offset1:90
	buffer_load_dword v138, off, s[0:3], 0 offset:332
	s_waitcnt vmcnt(18) lgkmcnt(1)
	v_fma_f64 v[113:114], v[131:132], v[113:114], v[123:124]
	s_waitcnt vmcnt(17)
	v_fma_f64 v[113:114], v[129:130], v[115:116], v[113:114]
	buffer_load_dword v124, off, s[0:3], 0 offset:340
	buffer_load_dword v125, off, s[0:3], 0 offset:360
	;; [unrolled: 1-line block ×7, first 2 shown]
	s_waitcnt vmcnt(23) lgkmcnt(0)
	v_fma_f64 v[113:114], v[127:128], v[117:118], v[113:114]
	s_waitcnt vmcnt(18)
	v_fma_f64 v[126:127], v[133:134], v[119:120], v[113:114]
	ds_read2_b64 v[113:116], v112 offset0:91 offset1:92
	ds_read2_b64 v[117:120], v112 offset0:93 offset1:94
	s_waitcnt vmcnt(17) lgkmcnt(1)
	v_fma_f64 v[113:114], v[141:142], v[113:114], v[126:127]
	buffer_load_dword v126, off, s[0:3], 0 offset:364
	s_waitcnt vmcnt(17)
	v_fma_f64 v[113:114], v[139:140], v[115:116], v[113:114]
	buffer_load_dword v128, off, s[0:3], 0 offset:372
	buffer_load_dword v133, off, s[0:3], 0 offset:392
	;; [unrolled: 1-line block ×8, first 2 shown]
	s_waitcnt vmcnt(24) lgkmcnt(0)
	v_fma_f64 v[113:114], v[135:136], v[117:118], v[113:114]
	s_waitcnt vmcnt(19)
	v_fma_f64 v[121:122], v[121:122], v[119:120], v[113:114]
	ds_read2_b64 v[113:116], v112 offset0:95 offset1:96
	ds_read2_b64 v[117:120], v112 offset0:97 offset1:98
	s_waitcnt vmcnt(18) lgkmcnt(1)
	v_fma_f64 v[113:114], v[145:146], v[113:114], v[121:122]
	s_waitcnt vmcnt(17)
	v_fma_f64 v[113:114], v[143:144], v[115:116], v[113:114]
	buffer_load_dword v122, off, s[0:3], 0 offset:404
	buffer_load_dword v135, off, s[0:3], 0 offset:424
	;; [unrolled: 1-line block ×8, first 2 shown]
	s_waitcnt vmcnt(24) lgkmcnt(0)
	v_fma_f64 v[113:114], v[137:138], v[117:118], v[113:114]
	s_waitcnt vmcnt(19)
	v_fma_f64 v[123:124], v[123:124], v[119:120], v[113:114]
	ds_read2_b64 v[113:116], v112 offset0:99 offset1:100
	ds_read2_b64 v[117:120], v112 offset0:101 offset1:102
	s_waitcnt vmcnt(18) lgkmcnt(1)
	v_fma_f64 v[113:114], v[131:132], v[113:114], v[123:124]
	buffer_load_dword v124, off, s[0:3], 0 offset:436
	buffer_load_dword v123, off, s[0:3], 0 offset:432
	s_waitcnt vmcnt(19)
	v_fma_f64 v[113:114], v[129:130], v[115:116], v[113:114]
	buffer_load_dword v129, off, s[0:3], 0 offset:112
	buffer_load_dword v130, off, s[0:3], 0 offset:116
	s_waitcnt vmcnt(20) lgkmcnt(0)
	v_fma_f64 v[113:114], v[125:126], v[117:118], v[113:114]
	s_waitcnt vmcnt(15)
	v_fma_f64 v[125:126], v[127:128], v[119:120], v[113:114]
	ds_read2_b64 v[113:116], v112 offset0:103 offset1:104
	ds_read2_b64 v[117:120], v112 offset0:105 offset1:106
	s_waitcnt vmcnt(14) lgkmcnt(1)
	v_fma_f64 v[113:114], v[141:142], v[113:114], v[125:126]
	s_waitcnt vmcnt(13)
	v_fma_f64 v[113:114], v[139:140], v[115:116], v[113:114]
	s_waitcnt vmcnt(12) lgkmcnt(0)
	v_fma_f64 v[113:114], v[133:134], v[117:118], v[113:114]
	s_waitcnt vmcnt(7)
	v_fma_f64 v[121:122], v[121:122], v[119:120], v[113:114]
	ds_read2_b64 v[113:116], v112 offset0:107 offset1:108
	ds_read2_b64 v[117:120], v112 offset0:109 offset1:110
	s_waitcnt vmcnt(6) lgkmcnt(1)
	v_fma_f64 v[112:113], v[145:146], v[113:114], v[121:122]
	s_waitcnt vmcnt(5)
	v_fma_f64 v[112:113], v[143:144], v[115:116], v[112:113]
	s_waitcnt vmcnt(4) lgkmcnt(0)
	v_fma_f64 v[112:113], v[135:136], v[117:118], v[112:113]
	s_waitcnt vmcnt(2)
	v_fma_f64 v[112:113], v[123:124], v[119:120], v[112:113]
	s_waitcnt vmcnt(0)
	v_add_f64 v[112:113], v[129:130], -v[112:113]
	buffer_store_dword v113, off, s[0:3], 0 offset:116
	buffer_store_dword v112, off, s[0:3], 0 offset:112
	s_and_saveexec_b64 s[4:5], vcc
	s_cbranch_execz .LBB118_311
; %bb.310:
	buffer_load_dword v112, off, s[0:3], 0 offset:104
	buffer_load_dword v113, off, s[0:3], 0 offset:108
	v_mov_b32_e32 v114, 0
	buffer_store_dword v114, off, s[0:3], 0 offset:104
	buffer_store_dword v114, off, s[0:3], 0 offset:108
	s_waitcnt vmcnt(2)
	ds_write_b64 v111, v[112:113]
.LBB118_311:
	s_or_b64 exec, exec, s[4:5]
	s_waitcnt lgkmcnt(0)
	; wave barrier
	buffer_load_dword v121, off, s[0:3], 0 offset:112
	buffer_load_dword v122, off, s[0:3], 0 offset:116
	;; [unrolled: 1-line block ×22, first 2 shown]
	v_mov_b32_e32 v112, 0
	ds_read_b128 v[113:116], v112 offset:560
	ds_read_b128 v[117:120], v112 offset:576
	v_cmp_lt_u32_e32 vcc, 12, v0
	s_waitcnt vmcnt(20) lgkmcnt(1)
	v_fma_f64 v[113:114], v[121:122], v[113:114], 0
	s_waitcnt vmcnt(18)
	v_fma_f64 v[113:114], v[123:124], v[115:116], v[113:114]
	buffer_load_dword v122, off, s[0:3], 0 offset:204
	buffer_load_dword v123, off, s[0:3], 0 offset:224
	;; [unrolled: 1-line block ×7, first 2 shown]
	s_waitcnt vmcnt(23) lgkmcnt(0)
	v_fma_f64 v[113:114], v[125:126], v[117:118], v[113:114]
	s_waitcnt vmcnt(21)
	v_fma_f64 v[124:125], v[127:128], v[119:120], v[113:114]
	ds_read_b128 v[113:116], v112 offset:592
	ds_read_b128 v[117:120], v112 offset:608
	s_waitcnt vmcnt(19) lgkmcnt(1)
	v_fma_f64 v[113:114], v[129:130], v[113:114], v[124:125]
	buffer_load_dword v124, off, s[0:3], 0 offset:228
	s_waitcnt vmcnt(18)
	v_fma_f64 v[113:114], v[131:132], v[115:116], v[113:114]
	buffer_load_dword v126, off, s[0:3], 0 offset:236
	buffer_load_dword v127, off, s[0:3], 0 offset:256
	buffer_load_dword v129, off, s[0:3], 0 offset:248
	buffer_load_dword v131, off, s[0:3], 0 offset:240
	buffer_load_dword v125, off, s[0:3], 0 offset:232
	buffer_load_dword v132, off, s[0:3], 0 offset:244
	buffer_load_dword v130, off, s[0:3], 0 offset:252
	s_waitcnt vmcnt(23) lgkmcnt(0)
	v_fma_f64 v[113:114], v[133:134], v[117:118], v[113:114]
	s_waitcnt vmcnt(18)
	v_fma_f64 v[133:134], v[135:136], v[119:120], v[113:114]
	ds_read_b128 v[113:116], v112 offset:624
	ds_read_b128 v[117:120], v112 offset:640
	buffer_load_dword v128, off, s[0:3], 0 offset:260
	s_waitcnt vmcnt(18) lgkmcnt(1)
	v_fma_f64 v[113:114], v[141:142], v[113:114], v[133:134]
	s_waitcnt vmcnt(17)
	v_fma_f64 v[113:114], v[139:140], v[115:116], v[113:114]
	buffer_load_dword v134, off, s[0:3], 0 offset:268
	buffer_load_dword v135, off, s[0:3], 0 offset:288
	;; [unrolled: 1-line block ×8, first 2 shown]
	s_waitcnt vmcnt(24) lgkmcnt(0)
	v_fma_f64 v[113:114], v[137:138], v[117:118], v[113:114]
	s_waitcnt vmcnt(19)
	v_fma_f64 v[121:122], v[121:122], v[119:120], v[113:114]
	ds_read_b128 v[113:116], v112 offset:656
	ds_read_b128 v[117:120], v112 offset:672
	s_waitcnt vmcnt(18) lgkmcnt(1)
	v_fma_f64 v[113:114], v[145:146], v[113:114], v[121:122]
	s_waitcnt vmcnt(17)
	v_fma_f64 v[113:114], v[143:144], v[115:116], v[113:114]
	buffer_load_dword v122, off, s[0:3], 0 offset:300
	buffer_load_dword v137, off, s[0:3], 0 offset:320
	buffer_load_dword v143, off, s[0:3], 0 offset:312
	buffer_load_dword v145, off, s[0:3], 0 offset:304
	buffer_load_dword v121, off, s[0:3], 0 offset:296
	buffer_load_dword v146, off, s[0:3], 0 offset:308
	buffer_load_dword v144, off, s[0:3], 0 offset:316
	s_waitcnt vmcnt(23) lgkmcnt(0)
	v_fma_f64 v[113:114], v[123:124], v[117:118], v[113:114]
	s_waitcnt vmcnt(18)
	v_fma_f64 v[123:124], v[125:126], v[119:120], v[113:114]
	ds_read_b128 v[113:116], v112 offset:688
	ds_read_b128 v[117:120], v112 offset:704
	buffer_load_dword v138, off, s[0:3], 0 offset:324
	s_waitcnt vmcnt(18) lgkmcnt(1)
	v_fma_f64 v[113:114], v[131:132], v[113:114], v[123:124]
	s_waitcnt vmcnt(17)
	v_fma_f64 v[113:114], v[129:130], v[115:116], v[113:114]
	buffer_load_dword v124, off, s[0:3], 0 offset:332
	buffer_load_dword v125, off, s[0:3], 0 offset:352
	;; [unrolled: 1-line block ×7, first 2 shown]
	s_waitcnt vmcnt(23) lgkmcnt(0)
	v_fma_f64 v[113:114], v[127:128], v[117:118], v[113:114]
	s_waitcnt vmcnt(18)
	v_fma_f64 v[126:127], v[133:134], v[119:120], v[113:114]
	ds_read_b128 v[113:116], v112 offset:720
	ds_read_b128 v[117:120], v112 offset:736
	s_waitcnt vmcnt(17) lgkmcnt(1)
	v_fma_f64 v[113:114], v[141:142], v[113:114], v[126:127]
	buffer_load_dword v126, off, s[0:3], 0 offset:356
	s_waitcnt vmcnt(17)
	v_fma_f64 v[113:114], v[139:140], v[115:116], v[113:114]
	buffer_load_dword v128, off, s[0:3], 0 offset:364
	buffer_load_dword v133, off, s[0:3], 0 offset:384
	;; [unrolled: 1-line block ×8, first 2 shown]
	s_waitcnt vmcnt(24) lgkmcnt(0)
	v_fma_f64 v[113:114], v[135:136], v[117:118], v[113:114]
	s_waitcnt vmcnt(19)
	v_fma_f64 v[121:122], v[121:122], v[119:120], v[113:114]
	ds_read_b128 v[113:116], v112 offset:752
	ds_read_b128 v[117:120], v112 offset:768
	s_waitcnt vmcnt(18) lgkmcnt(1)
	v_fma_f64 v[113:114], v[145:146], v[113:114], v[121:122]
	s_waitcnt vmcnt(17)
	v_fma_f64 v[113:114], v[143:144], v[115:116], v[113:114]
	buffer_load_dword v122, off, s[0:3], 0 offset:396
	buffer_load_dword v135, off, s[0:3], 0 offset:416
	;; [unrolled: 1-line block ×7, first 2 shown]
	s_waitcnt vmcnt(23) lgkmcnt(0)
	v_fma_f64 v[113:114], v[137:138], v[117:118], v[113:114]
	s_waitcnt vmcnt(18)
	v_fma_f64 v[123:124], v[123:124], v[119:120], v[113:114]
	ds_read_b128 v[113:116], v112 offset:784
	ds_read_b128 v[117:120], v112 offset:800
	buffer_load_dword v136, off, s[0:3], 0 offset:420
	s_waitcnt vmcnt(18) lgkmcnt(1)
	v_fma_f64 v[113:114], v[131:132], v[113:114], v[123:124]
	s_waitcnt vmcnt(17)
	v_fma_f64 v[113:114], v[129:130], v[115:116], v[113:114]
	buffer_load_dword v124, off, s[0:3], 0 offset:428
	buffer_load_dword v129, off, s[0:3], 0 offset:432
	;; [unrolled: 1-line block ×4, first 2 shown]
	s_waitcnt vmcnt(20) lgkmcnt(0)
	v_fma_f64 v[113:114], v[125:126], v[117:118], v[113:114]
	buffer_load_dword v125, off, s[0:3], 0 offset:104
	buffer_load_dword v126, off, s[0:3], 0 offset:108
	s_waitcnt vmcnt(17)
	v_fma_f64 v[127:128], v[127:128], v[119:120], v[113:114]
	ds_read_b128 v[113:116], v112 offset:816
	ds_read_b128 v[117:120], v112 offset:832
	s_waitcnt vmcnt(16) lgkmcnt(1)
	v_fma_f64 v[113:114], v[141:142], v[113:114], v[127:128]
	s_waitcnt vmcnt(15)
	v_fma_f64 v[113:114], v[139:140], v[115:116], v[113:114]
	s_waitcnt vmcnt(14) lgkmcnt(0)
	v_fma_f64 v[113:114], v[133:134], v[117:118], v[113:114]
	s_waitcnt vmcnt(9)
	v_fma_f64 v[121:122], v[121:122], v[119:120], v[113:114]
	ds_read_b128 v[113:116], v112 offset:848
	ds_read_b128 v[117:120], v112 offset:864
	s_waitcnt vmcnt(8) lgkmcnt(1)
	v_fma_f64 v[113:114], v[145:146], v[113:114], v[121:122]
	s_waitcnt vmcnt(7)
	v_fma_f64 v[113:114], v[143:144], v[115:116], v[113:114]
	ds_read_b64 v[115:116], v112 offset:880
	s_waitcnt vmcnt(6) lgkmcnt(1)
	v_fma_f64 v[113:114], v[135:136], v[117:118], v[113:114]
	s_waitcnt vmcnt(3)
	v_fma_f64 v[113:114], v[123:124], v[119:120], v[113:114]
	s_waitcnt vmcnt(2) lgkmcnt(0)
	v_fma_f64 v[113:114], v[129:130], v[115:116], v[113:114]
	s_waitcnt vmcnt(0)
	v_add_f64 v[113:114], v[125:126], -v[113:114]
	buffer_store_dword v114, off, s[0:3], 0 offset:108
	buffer_store_dword v113, off, s[0:3], 0 offset:104
	s_and_saveexec_b64 s[4:5], vcc
	s_cbranch_execz .LBB118_313
; %bb.312:
	buffer_load_dword v113, off, s[0:3], 0 offset:96
	buffer_load_dword v114, off, s[0:3], 0 offset:100
	s_waitcnt vmcnt(0)
	ds_write_b64 v111, v[113:114]
	buffer_store_dword v112, off, s[0:3], 0 offset:96
	buffer_store_dword v112, off, s[0:3], 0 offset:100
.LBB118_313:
	s_or_b64 exec, exec, s[4:5]
	s_waitcnt lgkmcnt(0)
	; wave barrier
	buffer_load_dword v121, off, s[0:3], 0 offset:104
	buffer_load_dword v122, off, s[0:3], 0 offset:108
	;; [unrolled: 1-line block ×22, first 2 shown]
	ds_read2_b64 v[113:116], v112 offset0:69 offset1:70
	ds_read2_b64 v[117:120], v112 offset0:71 offset1:72
	v_cmp_lt_u32_e32 vcc, 11, v0
	s_waitcnt vmcnt(20) lgkmcnt(1)
	v_fma_f64 v[113:114], v[121:122], v[113:114], 0
	s_waitcnt vmcnt(18)
	v_fma_f64 v[113:114], v[123:124], v[115:116], v[113:114]
	buffer_load_dword v122, off, s[0:3], 0 offset:196
	buffer_load_dword v123, off, s[0:3], 0 offset:216
	;; [unrolled: 1-line block ×7, first 2 shown]
	s_waitcnt vmcnt(23) lgkmcnt(0)
	v_fma_f64 v[113:114], v[125:126], v[117:118], v[113:114]
	s_waitcnt vmcnt(21)
	v_fma_f64 v[124:125], v[127:128], v[119:120], v[113:114]
	ds_read2_b64 v[113:116], v112 offset0:73 offset1:74
	ds_read2_b64 v[117:120], v112 offset0:75 offset1:76
	s_waitcnt vmcnt(19) lgkmcnt(1)
	v_fma_f64 v[113:114], v[129:130], v[113:114], v[124:125]
	buffer_load_dword v124, off, s[0:3], 0 offset:220
	s_waitcnt vmcnt(18)
	v_fma_f64 v[113:114], v[131:132], v[115:116], v[113:114]
	buffer_load_dword v126, off, s[0:3], 0 offset:228
	buffer_load_dword v127, off, s[0:3], 0 offset:248
	buffer_load_dword v129, off, s[0:3], 0 offset:240
	buffer_load_dword v131, off, s[0:3], 0 offset:232
	buffer_load_dword v125, off, s[0:3], 0 offset:224
	buffer_load_dword v132, off, s[0:3], 0 offset:236
	buffer_load_dword v130, off, s[0:3], 0 offset:244
	s_waitcnt vmcnt(23) lgkmcnt(0)
	v_fma_f64 v[113:114], v[133:134], v[117:118], v[113:114]
	s_waitcnt vmcnt(18)
	v_fma_f64 v[133:134], v[135:136], v[119:120], v[113:114]
	ds_read2_b64 v[113:116], v112 offset0:77 offset1:78
	ds_read2_b64 v[117:120], v112 offset0:79 offset1:80
	buffer_load_dword v128, off, s[0:3], 0 offset:252
	s_waitcnt vmcnt(18) lgkmcnt(1)
	v_fma_f64 v[113:114], v[141:142], v[113:114], v[133:134]
	s_waitcnt vmcnt(17)
	v_fma_f64 v[113:114], v[139:140], v[115:116], v[113:114]
	buffer_load_dword v134, off, s[0:3], 0 offset:260
	buffer_load_dword v135, off, s[0:3], 0 offset:280
	;; [unrolled: 1-line block ×8, first 2 shown]
	s_waitcnt vmcnt(24) lgkmcnt(0)
	v_fma_f64 v[113:114], v[137:138], v[117:118], v[113:114]
	s_waitcnt vmcnt(19)
	v_fma_f64 v[121:122], v[121:122], v[119:120], v[113:114]
	ds_read2_b64 v[113:116], v112 offset0:81 offset1:82
	ds_read2_b64 v[117:120], v112 offset0:83 offset1:84
	s_waitcnt vmcnt(18) lgkmcnt(1)
	v_fma_f64 v[113:114], v[145:146], v[113:114], v[121:122]
	s_waitcnt vmcnt(17)
	v_fma_f64 v[113:114], v[143:144], v[115:116], v[113:114]
	buffer_load_dword v122, off, s[0:3], 0 offset:292
	buffer_load_dword v137, off, s[0:3], 0 offset:312
	;; [unrolled: 1-line block ×8, first 2 shown]
	s_waitcnt vmcnt(24) lgkmcnt(0)
	v_fma_f64 v[113:114], v[123:124], v[117:118], v[113:114]
	s_waitcnt vmcnt(19)
	v_fma_f64 v[123:124], v[125:126], v[119:120], v[113:114]
	ds_read2_b64 v[113:116], v112 offset0:85 offset1:86
	ds_read2_b64 v[117:120], v112 offset0:87 offset1:88
	s_waitcnt vmcnt(18) lgkmcnt(1)
	v_fma_f64 v[113:114], v[131:132], v[113:114], v[123:124]
	s_waitcnt vmcnt(17)
	v_fma_f64 v[113:114], v[129:130], v[115:116], v[113:114]
	buffer_load_dword v124, off, s[0:3], 0 offset:324
	buffer_load_dword v125, off, s[0:3], 0 offset:344
	;; [unrolled: 1-line block ×7, first 2 shown]
	s_waitcnt vmcnt(23) lgkmcnt(0)
	v_fma_f64 v[113:114], v[127:128], v[117:118], v[113:114]
	s_waitcnt vmcnt(18)
	v_fma_f64 v[126:127], v[133:134], v[119:120], v[113:114]
	ds_read2_b64 v[113:116], v112 offset0:89 offset1:90
	ds_read2_b64 v[117:120], v112 offset0:91 offset1:92
	s_waitcnt vmcnt(17) lgkmcnt(1)
	v_fma_f64 v[113:114], v[141:142], v[113:114], v[126:127]
	buffer_load_dword v126, off, s[0:3], 0 offset:348
	s_waitcnt vmcnt(17)
	v_fma_f64 v[113:114], v[139:140], v[115:116], v[113:114]
	buffer_load_dword v128, off, s[0:3], 0 offset:356
	buffer_load_dword v133, off, s[0:3], 0 offset:376
	;; [unrolled: 1-line block ×8, first 2 shown]
	s_waitcnt vmcnt(24) lgkmcnt(0)
	v_fma_f64 v[113:114], v[135:136], v[117:118], v[113:114]
	s_waitcnt vmcnt(19)
	v_fma_f64 v[121:122], v[121:122], v[119:120], v[113:114]
	ds_read2_b64 v[113:116], v112 offset0:93 offset1:94
	ds_read2_b64 v[117:120], v112 offset0:95 offset1:96
	s_waitcnt vmcnt(18) lgkmcnt(1)
	v_fma_f64 v[113:114], v[145:146], v[113:114], v[121:122]
	s_waitcnt vmcnt(17)
	v_fma_f64 v[113:114], v[143:144], v[115:116], v[113:114]
	buffer_load_dword v122, off, s[0:3], 0 offset:388
	buffer_load_dword v135, off, s[0:3], 0 offset:408
	;; [unrolled: 1-line block ×8, first 2 shown]
	s_waitcnt vmcnt(24) lgkmcnt(0)
	v_fma_f64 v[113:114], v[137:138], v[117:118], v[113:114]
	s_waitcnt vmcnt(19)
	v_fma_f64 v[123:124], v[123:124], v[119:120], v[113:114]
	ds_read2_b64 v[113:116], v112 offset0:97 offset1:98
	ds_read2_b64 v[117:120], v112 offset0:99 offset1:100
	s_waitcnt vmcnt(18) lgkmcnt(1)
	v_fma_f64 v[113:114], v[131:132], v[113:114], v[123:124]
	s_waitcnt vmcnt(17)
	v_fma_f64 v[113:114], v[129:130], v[115:116], v[113:114]
	buffer_load_dword v124, off, s[0:3], 0 offset:420
	buffer_load_dword v129, off, s[0:3], 0 offset:432
	;; [unrolled: 1-line block ×6, first 2 shown]
	s_waitcnt vmcnt(22) lgkmcnt(0)
	v_fma_f64 v[113:114], v[125:126], v[117:118], v[113:114]
	s_waitcnt vmcnt(17)
	v_fma_f64 v[125:126], v[127:128], v[119:120], v[113:114]
	ds_read2_b64 v[113:116], v112 offset0:101 offset1:102
	buffer_load_dword v127, off, s[0:3], 0 offset:96
	buffer_load_dword v128, off, s[0:3], 0 offset:100
	ds_read2_b64 v[117:120], v112 offset0:103 offset1:104
	s_waitcnt vmcnt(18) lgkmcnt(1)
	v_fma_f64 v[113:114], v[141:142], v[113:114], v[125:126]
	s_waitcnt vmcnt(17)
	v_fma_f64 v[113:114], v[139:140], v[115:116], v[113:114]
	s_waitcnt vmcnt(16) lgkmcnt(0)
	v_fma_f64 v[113:114], v[133:134], v[117:118], v[113:114]
	s_waitcnt vmcnt(11)
	v_fma_f64 v[121:122], v[121:122], v[119:120], v[113:114]
	ds_read2_b64 v[113:116], v112 offset0:105 offset1:106
	ds_read2_b64 v[117:120], v112 offset0:107 offset1:108
	s_waitcnt vmcnt(10) lgkmcnt(1)
	v_fma_f64 v[113:114], v[145:146], v[113:114], v[121:122]
	s_waitcnt vmcnt(9)
	v_fma_f64 v[113:114], v[143:144], v[115:116], v[113:114]
	s_waitcnt vmcnt(8) lgkmcnt(0)
	v_fma_f64 v[113:114], v[135:136], v[117:118], v[113:114]
	s_waitcnt vmcnt(4)
	v_fma_f64 v[116:117], v[123:124], v[119:120], v[113:114]
	ds_read2_b64 v[112:115], v112 offset0:109 offset1:110
	s_waitcnt vmcnt(3) lgkmcnt(0)
	v_fma_f64 v[112:113], v[131:132], v[112:113], v[116:117]
	s_waitcnt vmcnt(2)
	v_fma_f64 v[112:113], v[129:130], v[114:115], v[112:113]
	s_waitcnt vmcnt(0)
	v_add_f64 v[112:113], v[127:128], -v[112:113]
	buffer_store_dword v113, off, s[0:3], 0 offset:100
	buffer_store_dword v112, off, s[0:3], 0 offset:96
	s_and_saveexec_b64 s[4:5], vcc
	s_cbranch_execz .LBB118_315
; %bb.314:
	buffer_load_dword v112, off, s[0:3], 0 offset:88
	buffer_load_dword v113, off, s[0:3], 0 offset:92
	v_mov_b32_e32 v114, 0
	buffer_store_dword v114, off, s[0:3], 0 offset:88
	buffer_store_dword v114, off, s[0:3], 0 offset:92
	s_waitcnt vmcnt(2)
	ds_write_b64 v111, v[112:113]
.LBB118_315:
	s_or_b64 exec, exec, s[4:5]
	s_waitcnt lgkmcnt(0)
	; wave barrier
	buffer_load_dword v121, off, s[0:3], 0 offset:96
	buffer_load_dword v122, off, s[0:3], 0 offset:100
	;; [unrolled: 1-line block ×22, first 2 shown]
	v_mov_b32_e32 v112, 0
	ds_read_b128 v[113:116], v112 offset:544
	ds_read_b128 v[117:120], v112 offset:560
	v_cmp_lt_u32_e32 vcc, 10, v0
	s_waitcnt vmcnt(20) lgkmcnt(1)
	v_fma_f64 v[113:114], v[121:122], v[113:114], 0
	s_waitcnt vmcnt(18)
	v_fma_f64 v[113:114], v[123:124], v[115:116], v[113:114]
	buffer_load_dword v122, off, s[0:3], 0 offset:188
	buffer_load_dword v123, off, s[0:3], 0 offset:208
	;; [unrolled: 1-line block ×7, first 2 shown]
	s_waitcnt vmcnt(23) lgkmcnt(0)
	v_fma_f64 v[113:114], v[125:126], v[117:118], v[113:114]
	s_waitcnt vmcnt(21)
	v_fma_f64 v[124:125], v[127:128], v[119:120], v[113:114]
	ds_read_b128 v[113:116], v112 offset:576
	ds_read_b128 v[117:120], v112 offset:592
	s_waitcnt vmcnt(19) lgkmcnt(1)
	v_fma_f64 v[113:114], v[129:130], v[113:114], v[124:125]
	buffer_load_dword v124, off, s[0:3], 0 offset:212
	s_waitcnt vmcnt(18)
	v_fma_f64 v[113:114], v[131:132], v[115:116], v[113:114]
	buffer_load_dword v126, off, s[0:3], 0 offset:220
	buffer_load_dword v127, off, s[0:3], 0 offset:240
	;; [unrolled: 1-line block ×7, first 2 shown]
	s_waitcnt vmcnt(23) lgkmcnt(0)
	v_fma_f64 v[113:114], v[133:134], v[117:118], v[113:114]
	s_waitcnt vmcnt(18)
	v_fma_f64 v[133:134], v[135:136], v[119:120], v[113:114]
	ds_read_b128 v[113:116], v112 offset:608
	ds_read_b128 v[117:120], v112 offset:624
	buffer_load_dword v128, off, s[0:3], 0 offset:244
	s_waitcnt vmcnt(18) lgkmcnt(1)
	v_fma_f64 v[113:114], v[141:142], v[113:114], v[133:134]
	s_waitcnt vmcnt(17)
	v_fma_f64 v[113:114], v[139:140], v[115:116], v[113:114]
	buffer_load_dword v134, off, s[0:3], 0 offset:252
	buffer_load_dword v135, off, s[0:3], 0 offset:272
	;; [unrolled: 1-line block ×8, first 2 shown]
	s_waitcnt vmcnt(24) lgkmcnt(0)
	v_fma_f64 v[113:114], v[137:138], v[117:118], v[113:114]
	s_waitcnt vmcnt(19)
	v_fma_f64 v[121:122], v[121:122], v[119:120], v[113:114]
	ds_read_b128 v[113:116], v112 offset:640
	ds_read_b128 v[117:120], v112 offset:656
	s_waitcnt vmcnt(18) lgkmcnt(1)
	v_fma_f64 v[113:114], v[145:146], v[113:114], v[121:122]
	s_waitcnt vmcnt(17)
	v_fma_f64 v[113:114], v[143:144], v[115:116], v[113:114]
	buffer_load_dword v122, off, s[0:3], 0 offset:284
	buffer_load_dword v137, off, s[0:3], 0 offset:304
	;; [unrolled: 1-line block ×8, first 2 shown]
	s_waitcnt vmcnt(24) lgkmcnt(0)
	v_fma_f64 v[113:114], v[123:124], v[117:118], v[113:114]
	s_waitcnt vmcnt(19)
	v_fma_f64 v[123:124], v[125:126], v[119:120], v[113:114]
	ds_read_b128 v[113:116], v112 offset:672
	ds_read_b128 v[117:120], v112 offset:688
	s_waitcnt vmcnt(18) lgkmcnt(1)
	v_fma_f64 v[113:114], v[131:132], v[113:114], v[123:124]
	s_waitcnt vmcnt(17)
	v_fma_f64 v[113:114], v[129:130], v[115:116], v[113:114]
	buffer_load_dword v124, off, s[0:3], 0 offset:316
	buffer_load_dword v125, off, s[0:3], 0 offset:336
	;; [unrolled: 1-line block ×7, first 2 shown]
	s_waitcnt vmcnt(23) lgkmcnt(0)
	v_fma_f64 v[113:114], v[127:128], v[117:118], v[113:114]
	s_waitcnt vmcnt(18)
	v_fma_f64 v[126:127], v[133:134], v[119:120], v[113:114]
	ds_read_b128 v[113:116], v112 offset:704
	ds_read_b128 v[117:120], v112 offset:720
	s_waitcnt vmcnt(17) lgkmcnt(1)
	v_fma_f64 v[113:114], v[141:142], v[113:114], v[126:127]
	buffer_load_dword v126, off, s[0:3], 0 offset:340
	s_waitcnt vmcnt(17)
	v_fma_f64 v[113:114], v[139:140], v[115:116], v[113:114]
	buffer_load_dword v128, off, s[0:3], 0 offset:348
	buffer_load_dword v133, off, s[0:3], 0 offset:368
	buffer_load_dword v139, off, s[0:3], 0 offset:360
	buffer_load_dword v141, off, s[0:3], 0 offset:352
	buffer_load_dword v127, off, s[0:3], 0 offset:344
	buffer_load_dword v142, off, s[0:3], 0 offset:356
	buffer_load_dword v140, off, s[0:3], 0 offset:364
	buffer_load_dword v134, off, s[0:3], 0 offset:372
	s_waitcnt vmcnt(24) lgkmcnt(0)
	v_fma_f64 v[113:114], v[135:136], v[117:118], v[113:114]
	s_waitcnt vmcnt(19)
	v_fma_f64 v[121:122], v[121:122], v[119:120], v[113:114]
	ds_read_b128 v[113:116], v112 offset:736
	ds_read_b128 v[117:120], v112 offset:752
	s_waitcnt vmcnt(18) lgkmcnt(1)
	v_fma_f64 v[113:114], v[145:146], v[113:114], v[121:122]
	s_waitcnt vmcnt(17)
	v_fma_f64 v[113:114], v[143:144], v[115:116], v[113:114]
	buffer_load_dword v122, off, s[0:3], 0 offset:380
	buffer_load_dword v135, off, s[0:3], 0 offset:400
	buffer_load_dword v143, off, s[0:3], 0 offset:392
	buffer_load_dword v145, off, s[0:3], 0 offset:384
	buffer_load_dword v121, off, s[0:3], 0 offset:376
	buffer_load_dword v146, off, s[0:3], 0 offset:388
	buffer_load_dword v144, off, s[0:3], 0 offset:396
	buffer_load_dword v136, off, s[0:3], 0 offset:404
	s_waitcnt vmcnt(24) lgkmcnt(0)
	v_fma_f64 v[113:114], v[137:138], v[117:118], v[113:114]
	s_waitcnt vmcnt(19)
	v_fma_f64 v[123:124], v[123:124], v[119:120], v[113:114]
	ds_read_b128 v[113:116], v112 offset:768
	ds_read_b128 v[117:120], v112 offset:784
	s_waitcnt vmcnt(18) lgkmcnt(1)
	v_fma_f64 v[113:114], v[131:132], v[113:114], v[123:124]
	;; [unrolled: 18-line block ×3, first 2 shown]
	buffer_load_dword v125, off, s[0:3], 0 offset:88
	buffer_load_dword v126, off, s[0:3], 0 offset:92
	s_waitcnt vmcnt(19)
	v_fma_f64 v[113:114], v[139:140], v[115:116], v[113:114]
	s_waitcnt vmcnt(18) lgkmcnt(0)
	v_fma_f64 v[113:114], v[133:134], v[117:118], v[113:114]
	s_waitcnt vmcnt(13)
	v_fma_f64 v[121:122], v[121:122], v[119:120], v[113:114]
	ds_read_b128 v[113:116], v112 offset:832
	ds_read_b128 v[117:120], v112 offset:848
	s_waitcnt vmcnt(12) lgkmcnt(1)
	v_fma_f64 v[113:114], v[145:146], v[113:114], v[121:122]
	s_waitcnt vmcnt(11)
	v_fma_f64 v[113:114], v[143:144], v[115:116], v[113:114]
	s_waitcnt vmcnt(10) lgkmcnt(0)
	v_fma_f64 v[113:114], v[135:136], v[117:118], v[113:114]
	s_waitcnt vmcnt(5)
	v_fma_f64 v[117:118], v[123:124], v[119:120], v[113:114]
	ds_read_b128 v[113:116], v112 offset:864
	ds_read_b64 v[119:120], v112 offset:880
	s_waitcnt vmcnt(4) lgkmcnt(1)
	v_fma_f64 v[113:114], v[137:138], v[113:114], v[117:118]
	s_waitcnt vmcnt(3)
	v_fma_f64 v[113:114], v[131:132], v[115:116], v[113:114]
	s_waitcnt vmcnt(2) lgkmcnt(0)
	v_fma_f64 v[113:114], v[129:130], v[119:120], v[113:114]
	s_waitcnt vmcnt(0)
	v_add_f64 v[113:114], v[125:126], -v[113:114]
	buffer_store_dword v114, off, s[0:3], 0 offset:92
	buffer_store_dword v113, off, s[0:3], 0 offset:88
	s_and_saveexec_b64 s[4:5], vcc
	s_cbranch_execz .LBB118_317
; %bb.316:
	buffer_load_dword v113, off, s[0:3], 0 offset:80
	buffer_load_dword v114, off, s[0:3], 0 offset:84
	s_waitcnt vmcnt(0)
	ds_write_b64 v111, v[113:114]
	buffer_store_dword v112, off, s[0:3], 0 offset:80
	buffer_store_dword v112, off, s[0:3], 0 offset:84
.LBB118_317:
	s_or_b64 exec, exec, s[4:5]
	s_waitcnt lgkmcnt(0)
	; wave barrier
	buffer_load_dword v121, off, s[0:3], 0 offset:88
	buffer_load_dword v122, off, s[0:3], 0 offset:92
	;; [unrolled: 1-line block ×22, first 2 shown]
	ds_read2_b64 v[113:116], v112 offset0:67 offset1:68
	ds_read2_b64 v[117:120], v112 offset0:69 offset1:70
	v_cmp_lt_u32_e32 vcc, 9, v0
	s_waitcnt vmcnt(20) lgkmcnt(1)
	v_fma_f64 v[113:114], v[121:122], v[113:114], 0
	s_waitcnt vmcnt(18)
	v_fma_f64 v[113:114], v[123:124], v[115:116], v[113:114]
	buffer_load_dword v122, off, s[0:3], 0 offset:180
	buffer_load_dword v123, off, s[0:3], 0 offset:200
	;; [unrolled: 1-line block ×7, first 2 shown]
	s_waitcnt vmcnt(23) lgkmcnt(0)
	v_fma_f64 v[113:114], v[125:126], v[117:118], v[113:114]
	s_waitcnt vmcnt(21)
	v_fma_f64 v[124:125], v[127:128], v[119:120], v[113:114]
	ds_read2_b64 v[113:116], v112 offset0:71 offset1:72
	ds_read2_b64 v[117:120], v112 offset0:73 offset1:74
	s_waitcnt vmcnt(19) lgkmcnt(1)
	v_fma_f64 v[113:114], v[129:130], v[113:114], v[124:125]
	buffer_load_dword v124, off, s[0:3], 0 offset:204
	s_waitcnt vmcnt(18)
	v_fma_f64 v[113:114], v[131:132], v[115:116], v[113:114]
	buffer_load_dword v126, off, s[0:3], 0 offset:212
	buffer_load_dword v127, off, s[0:3], 0 offset:232
	;; [unrolled: 1-line block ×7, first 2 shown]
	s_waitcnt vmcnt(23) lgkmcnt(0)
	v_fma_f64 v[113:114], v[133:134], v[117:118], v[113:114]
	s_waitcnt vmcnt(18)
	v_fma_f64 v[133:134], v[135:136], v[119:120], v[113:114]
	ds_read2_b64 v[113:116], v112 offset0:75 offset1:76
	ds_read2_b64 v[117:120], v112 offset0:77 offset1:78
	buffer_load_dword v128, off, s[0:3], 0 offset:236
	s_waitcnt vmcnt(18) lgkmcnt(1)
	v_fma_f64 v[113:114], v[141:142], v[113:114], v[133:134]
	s_waitcnt vmcnt(17)
	v_fma_f64 v[113:114], v[139:140], v[115:116], v[113:114]
	buffer_load_dword v134, off, s[0:3], 0 offset:244
	buffer_load_dword v135, off, s[0:3], 0 offset:264
	;; [unrolled: 1-line block ×8, first 2 shown]
	s_waitcnt vmcnt(24) lgkmcnt(0)
	v_fma_f64 v[113:114], v[137:138], v[117:118], v[113:114]
	s_waitcnt vmcnt(19)
	v_fma_f64 v[121:122], v[121:122], v[119:120], v[113:114]
	ds_read2_b64 v[113:116], v112 offset0:79 offset1:80
	ds_read2_b64 v[117:120], v112 offset0:81 offset1:82
	s_waitcnt vmcnt(18) lgkmcnt(1)
	v_fma_f64 v[113:114], v[145:146], v[113:114], v[121:122]
	s_waitcnt vmcnt(17)
	v_fma_f64 v[113:114], v[143:144], v[115:116], v[113:114]
	buffer_load_dword v122, off, s[0:3], 0 offset:276
	buffer_load_dword v137, off, s[0:3], 0 offset:296
	;; [unrolled: 1-line block ×8, first 2 shown]
	s_waitcnt vmcnt(24) lgkmcnt(0)
	v_fma_f64 v[113:114], v[123:124], v[117:118], v[113:114]
	s_waitcnt vmcnt(19)
	v_fma_f64 v[123:124], v[125:126], v[119:120], v[113:114]
	ds_read2_b64 v[113:116], v112 offset0:83 offset1:84
	ds_read2_b64 v[117:120], v112 offset0:85 offset1:86
	s_waitcnt vmcnt(18) lgkmcnt(1)
	v_fma_f64 v[113:114], v[131:132], v[113:114], v[123:124]
	s_waitcnt vmcnt(17)
	v_fma_f64 v[113:114], v[129:130], v[115:116], v[113:114]
	buffer_load_dword v124, off, s[0:3], 0 offset:308
	buffer_load_dword v125, off, s[0:3], 0 offset:328
	;; [unrolled: 1-line block ×7, first 2 shown]
	s_waitcnt vmcnt(23) lgkmcnt(0)
	v_fma_f64 v[113:114], v[127:128], v[117:118], v[113:114]
	s_waitcnt vmcnt(18)
	v_fma_f64 v[126:127], v[133:134], v[119:120], v[113:114]
	ds_read2_b64 v[113:116], v112 offset0:87 offset1:88
	ds_read2_b64 v[117:120], v112 offset0:89 offset1:90
	s_waitcnt vmcnt(17) lgkmcnt(1)
	v_fma_f64 v[113:114], v[141:142], v[113:114], v[126:127]
	buffer_load_dword v126, off, s[0:3], 0 offset:332
	s_waitcnt vmcnt(17)
	v_fma_f64 v[113:114], v[139:140], v[115:116], v[113:114]
	buffer_load_dword v128, off, s[0:3], 0 offset:340
	buffer_load_dword v133, off, s[0:3], 0 offset:360
	buffer_load_dword v139, off, s[0:3], 0 offset:352
	buffer_load_dword v141, off, s[0:3], 0 offset:344
	buffer_load_dword v127, off, s[0:3], 0 offset:336
	buffer_load_dword v142, off, s[0:3], 0 offset:348
	buffer_load_dword v140, off, s[0:3], 0 offset:356
	buffer_load_dword v134, off, s[0:3], 0 offset:364
	s_waitcnt vmcnt(24) lgkmcnt(0)
	v_fma_f64 v[113:114], v[135:136], v[117:118], v[113:114]
	s_waitcnt vmcnt(19)
	v_fma_f64 v[121:122], v[121:122], v[119:120], v[113:114]
	ds_read2_b64 v[113:116], v112 offset0:91 offset1:92
	ds_read2_b64 v[117:120], v112 offset0:93 offset1:94
	s_waitcnt vmcnt(18) lgkmcnt(1)
	v_fma_f64 v[113:114], v[145:146], v[113:114], v[121:122]
	s_waitcnt vmcnt(17)
	v_fma_f64 v[113:114], v[143:144], v[115:116], v[113:114]
	buffer_load_dword v122, off, s[0:3], 0 offset:372
	buffer_load_dword v135, off, s[0:3], 0 offset:392
	buffer_load_dword v143, off, s[0:3], 0 offset:384
	buffer_load_dword v145, off, s[0:3], 0 offset:376
	buffer_load_dword v121, off, s[0:3], 0 offset:368
	buffer_load_dword v146, off, s[0:3], 0 offset:380
	buffer_load_dword v144, off, s[0:3], 0 offset:388
	buffer_load_dword v136, off, s[0:3], 0 offset:396
	s_waitcnt vmcnt(24) lgkmcnt(0)
	v_fma_f64 v[113:114], v[137:138], v[117:118], v[113:114]
	s_waitcnt vmcnt(19)
	v_fma_f64 v[123:124], v[123:124], v[119:120], v[113:114]
	ds_read2_b64 v[113:116], v112 offset0:95 offset1:96
	ds_read2_b64 v[117:120], v112 offset0:97 offset1:98
	s_waitcnt vmcnt(18) lgkmcnt(1)
	v_fma_f64 v[113:114], v[131:132], v[113:114], v[123:124]
	s_waitcnt vmcnt(17)
	v_fma_f64 v[113:114], v[129:130], v[115:116], v[113:114]
	buffer_load_dword v124, off, s[0:3], 0 offset:404
	buffer_load_dword v129, off, s[0:3], 0 offset:424
	buffer_load_dword v131, off, s[0:3], 0 offset:416
	buffer_load_dword v137, off, s[0:3], 0 offset:408
	buffer_load_dword v123, off, s[0:3], 0 offset:400
	buffer_load_dword v138, off, s[0:3], 0 offset:412
	buffer_load_dword v132, off, s[0:3], 0 offset:420
	buffer_load_dword v130, off, s[0:3], 0 offset:428
	s_waitcnt vmcnt(24) lgkmcnt(0)
	v_fma_f64 v[113:114], v[125:126], v[117:118], v[113:114]
	s_waitcnt vmcnt(19)
	v_fma_f64 v[125:126], v[127:128], v[119:120], v[113:114]
	ds_read2_b64 v[113:116], v112 offset0:99 offset1:100
	ds_read2_b64 v[117:120], v112 offset0:101 offset1:102
	s_waitcnt vmcnt(18) lgkmcnt(1)
	v_fma_f64 v[113:114], v[141:142], v[113:114], v[125:126]
	buffer_load_dword v126, off, s[0:3], 0 offset:436
	buffer_load_dword v125, off, s[0:3], 0 offset:432
	;; [unrolled: 1-line block ×4, first 2 shown]
	s_waitcnt vmcnt(21)
	v_fma_f64 v[113:114], v[139:140], v[115:116], v[113:114]
	s_waitcnt vmcnt(20) lgkmcnt(0)
	v_fma_f64 v[113:114], v[133:134], v[117:118], v[113:114]
	s_waitcnt vmcnt(15)
	v_fma_f64 v[121:122], v[121:122], v[119:120], v[113:114]
	ds_read2_b64 v[113:116], v112 offset0:103 offset1:104
	ds_read2_b64 v[117:120], v112 offset0:105 offset1:106
	s_waitcnt vmcnt(14) lgkmcnt(1)
	v_fma_f64 v[113:114], v[145:146], v[113:114], v[121:122]
	s_waitcnt vmcnt(13)
	v_fma_f64 v[113:114], v[143:144], v[115:116], v[113:114]
	s_waitcnt vmcnt(12) lgkmcnt(0)
	v_fma_f64 v[113:114], v[135:136], v[117:118], v[113:114]
	s_waitcnt vmcnt(7)
	v_fma_f64 v[121:122], v[123:124], v[119:120], v[113:114]
	ds_read2_b64 v[113:116], v112 offset0:107 offset1:108
	ds_read2_b64 v[117:120], v112 offset0:109 offset1:110
	s_waitcnt vmcnt(6) lgkmcnt(1)
	v_fma_f64 v[112:113], v[137:138], v[113:114], v[121:122]
	s_waitcnt vmcnt(5)
	v_fma_f64 v[112:113], v[131:132], v[115:116], v[112:113]
	s_waitcnt vmcnt(4) lgkmcnt(0)
	v_fma_f64 v[112:113], v[129:130], v[117:118], v[112:113]
	s_waitcnt vmcnt(2)
	v_fma_f64 v[112:113], v[125:126], v[119:120], v[112:113]
	s_waitcnt vmcnt(0)
	v_add_f64 v[112:113], v[127:128], -v[112:113]
	buffer_store_dword v113, off, s[0:3], 0 offset:84
	buffer_store_dword v112, off, s[0:3], 0 offset:80
	s_and_saveexec_b64 s[4:5], vcc
	s_cbranch_execz .LBB118_319
; %bb.318:
	buffer_load_dword v112, off, s[0:3], 0 offset:72
	buffer_load_dword v113, off, s[0:3], 0 offset:76
	v_mov_b32_e32 v114, 0
	buffer_store_dword v114, off, s[0:3], 0 offset:72
	buffer_store_dword v114, off, s[0:3], 0 offset:76
	s_waitcnt vmcnt(2)
	ds_write_b64 v111, v[112:113]
.LBB118_319:
	s_or_b64 exec, exec, s[4:5]
	s_waitcnt lgkmcnt(0)
	; wave barrier
	buffer_load_dword v121, off, s[0:3], 0 offset:80
	buffer_load_dword v122, off, s[0:3], 0 offset:84
	;; [unrolled: 1-line block ×21, first 2 shown]
	v_mov_b32_e32 v112, 0
	ds_read_b128 v[113:116], v112 offset:528
	ds_read_b128 v[117:120], v112 offset:544
	buffer_load_dword v138, off, s[0:3], 0 offset:164
	v_cmp_lt_u32_e32 vcc, 8, v0
	s_waitcnt vmcnt(20) lgkmcnt(1)
	v_fma_f64 v[113:114], v[121:122], v[113:114], 0
	s_waitcnt vmcnt(18)
	v_fma_f64 v[113:114], v[123:124], v[115:116], v[113:114]
	buffer_load_dword v122, off, s[0:3], 0 offset:172
	buffer_load_dword v123, off, s[0:3], 0 offset:192
	;; [unrolled: 1-line block ×7, first 2 shown]
	s_waitcnt vmcnt(23) lgkmcnt(0)
	v_fma_f64 v[113:114], v[125:126], v[117:118], v[113:114]
	s_waitcnt vmcnt(21)
	v_fma_f64 v[124:125], v[127:128], v[119:120], v[113:114]
	ds_read_b128 v[113:116], v112 offset:560
	ds_read_b128 v[117:120], v112 offset:576
	s_waitcnt vmcnt(19) lgkmcnt(1)
	v_fma_f64 v[113:114], v[129:130], v[113:114], v[124:125]
	buffer_load_dword v124, off, s[0:3], 0 offset:196
	s_waitcnt vmcnt(18)
	v_fma_f64 v[113:114], v[131:132], v[115:116], v[113:114]
	buffer_load_dword v126, off, s[0:3], 0 offset:204
	buffer_load_dword v127, off, s[0:3], 0 offset:224
	;; [unrolled: 1-line block ×7, first 2 shown]
	s_waitcnt vmcnt(23) lgkmcnt(0)
	v_fma_f64 v[113:114], v[133:134], v[117:118], v[113:114]
	s_waitcnt vmcnt(18)
	v_fma_f64 v[133:134], v[135:136], v[119:120], v[113:114]
	ds_read_b128 v[113:116], v112 offset:592
	ds_read_b128 v[117:120], v112 offset:608
	buffer_load_dword v128, off, s[0:3], 0 offset:228
	s_waitcnt vmcnt(18) lgkmcnt(1)
	v_fma_f64 v[113:114], v[141:142], v[113:114], v[133:134]
	s_waitcnt vmcnt(17)
	v_fma_f64 v[113:114], v[139:140], v[115:116], v[113:114]
	buffer_load_dword v134, off, s[0:3], 0 offset:236
	buffer_load_dword v135, off, s[0:3], 0 offset:256
	;; [unrolled: 1-line block ×7, first 2 shown]
	s_waitcnt vmcnt(23) lgkmcnt(0)
	v_fma_f64 v[113:114], v[137:138], v[117:118], v[113:114]
	s_waitcnt vmcnt(18)
	v_fma_f64 v[121:122], v[121:122], v[119:120], v[113:114]
	ds_read_b128 v[113:116], v112 offset:624
	ds_read_b128 v[117:120], v112 offset:640
	buffer_load_dword v136, off, s[0:3], 0 offset:260
	s_waitcnt vmcnt(18) lgkmcnt(1)
	v_fma_f64 v[113:114], v[145:146], v[113:114], v[121:122]
	s_waitcnt vmcnt(17)
	v_fma_f64 v[113:114], v[143:144], v[115:116], v[113:114]
	buffer_load_dword v122, off, s[0:3], 0 offset:268
	buffer_load_dword v137, off, s[0:3], 0 offset:288
	;; [unrolled: 1-line block ×8, first 2 shown]
	s_waitcnt vmcnt(24) lgkmcnt(0)
	v_fma_f64 v[113:114], v[123:124], v[117:118], v[113:114]
	s_waitcnt vmcnt(19)
	v_fma_f64 v[123:124], v[125:126], v[119:120], v[113:114]
	ds_read_b128 v[113:116], v112 offset:656
	ds_read_b128 v[117:120], v112 offset:672
	s_waitcnt vmcnt(18) lgkmcnt(1)
	v_fma_f64 v[113:114], v[131:132], v[113:114], v[123:124]
	s_waitcnt vmcnt(17)
	v_fma_f64 v[113:114], v[129:130], v[115:116], v[113:114]
	buffer_load_dword v124, off, s[0:3], 0 offset:300
	buffer_load_dword v125, off, s[0:3], 0 offset:320
	;; [unrolled: 1-line block ×7, first 2 shown]
	s_waitcnt vmcnt(23) lgkmcnt(0)
	v_fma_f64 v[113:114], v[127:128], v[117:118], v[113:114]
	s_waitcnt vmcnt(18)
	v_fma_f64 v[126:127], v[133:134], v[119:120], v[113:114]
	ds_read_b128 v[113:116], v112 offset:688
	ds_read_b128 v[117:120], v112 offset:704
	s_waitcnt vmcnt(17) lgkmcnt(1)
	v_fma_f64 v[113:114], v[141:142], v[113:114], v[126:127]
	buffer_load_dword v126, off, s[0:3], 0 offset:324
	s_waitcnt vmcnt(17)
	v_fma_f64 v[113:114], v[139:140], v[115:116], v[113:114]
	buffer_load_dword v128, off, s[0:3], 0 offset:332
	buffer_load_dword v133, off, s[0:3], 0 offset:352
	;; [unrolled: 1-line block ×7, first 2 shown]
	s_waitcnt vmcnt(23) lgkmcnt(0)
	v_fma_f64 v[113:114], v[135:136], v[117:118], v[113:114]
	s_waitcnt vmcnt(18)
	v_fma_f64 v[121:122], v[121:122], v[119:120], v[113:114]
	ds_read_b128 v[113:116], v112 offset:720
	ds_read_b128 v[117:120], v112 offset:736
	buffer_load_dword v134, off, s[0:3], 0 offset:356
	s_waitcnt vmcnt(18) lgkmcnt(1)
	v_fma_f64 v[113:114], v[145:146], v[113:114], v[121:122]
	s_waitcnt vmcnt(17)
	v_fma_f64 v[113:114], v[143:144], v[115:116], v[113:114]
	buffer_load_dword v122, off, s[0:3], 0 offset:364
	buffer_load_dword v135, off, s[0:3], 0 offset:384
	;; [unrolled: 1-line block ×8, first 2 shown]
	s_waitcnt vmcnt(24) lgkmcnt(0)
	v_fma_f64 v[113:114], v[137:138], v[117:118], v[113:114]
	s_waitcnt vmcnt(19)
	v_fma_f64 v[123:124], v[123:124], v[119:120], v[113:114]
	ds_read_b128 v[113:116], v112 offset:752
	ds_read_b128 v[117:120], v112 offset:768
	s_waitcnt vmcnt(18) lgkmcnt(1)
	v_fma_f64 v[113:114], v[131:132], v[113:114], v[123:124]
	s_waitcnt vmcnt(17)
	v_fma_f64 v[113:114], v[129:130], v[115:116], v[113:114]
	buffer_load_dword v124, off, s[0:3], 0 offset:396
	buffer_load_dword v129, off, s[0:3], 0 offset:416
	;; [unrolled: 1-line block ×7, first 2 shown]
	s_waitcnt vmcnt(23) lgkmcnt(0)
	v_fma_f64 v[113:114], v[125:126], v[117:118], v[113:114]
	s_waitcnt vmcnt(18)
	v_fma_f64 v[125:126], v[127:128], v[119:120], v[113:114]
	ds_read_b128 v[113:116], v112 offset:784
	ds_read_b128 v[117:120], v112 offset:800
	buffer_load_dword v130, off, s[0:3], 0 offset:420
	s_waitcnt vmcnt(18) lgkmcnt(1)
	v_fma_f64 v[113:114], v[141:142], v[113:114], v[125:126]
	buffer_load_dword v126, off, s[0:3], 0 offset:428
	buffer_load_dword v127, off, s[0:3], 0 offset:432
	;; [unrolled: 1-line block ×4, first 2 shown]
	s_waitcnt vmcnt(21)
	v_fma_f64 v[113:114], v[139:140], v[115:116], v[113:114]
	s_waitcnt vmcnt(20) lgkmcnt(0)
	v_fma_f64 v[113:114], v[133:134], v[117:118], v[113:114]
	buffer_load_dword v133, off, s[0:3], 0 offset:72
	buffer_load_dword v134, off, s[0:3], 0 offset:76
	s_waitcnt vmcnt(17)
	v_fma_f64 v[121:122], v[121:122], v[119:120], v[113:114]
	ds_read_b128 v[113:116], v112 offset:816
	ds_read_b128 v[117:120], v112 offset:832
	s_waitcnt vmcnt(16) lgkmcnt(1)
	v_fma_f64 v[113:114], v[145:146], v[113:114], v[121:122]
	s_waitcnt vmcnt(15)
	v_fma_f64 v[113:114], v[143:144], v[115:116], v[113:114]
	s_waitcnt vmcnt(14) lgkmcnt(0)
	v_fma_f64 v[113:114], v[135:136], v[117:118], v[113:114]
	s_waitcnt vmcnt(9)
	v_fma_f64 v[121:122], v[123:124], v[119:120], v[113:114]
	ds_read_b128 v[113:116], v112 offset:848
	ds_read_b128 v[117:120], v112 offset:864
	s_waitcnt vmcnt(8) lgkmcnt(1)
	v_fma_f64 v[113:114], v[137:138], v[113:114], v[121:122]
	s_waitcnt vmcnt(7)
	v_fma_f64 v[113:114], v[131:132], v[115:116], v[113:114]
	ds_read_b64 v[115:116], v112 offset:880
	s_waitcnt vmcnt(6) lgkmcnt(1)
	v_fma_f64 v[113:114], v[129:130], v[117:118], v[113:114]
	s_waitcnt vmcnt(3)
	v_fma_f64 v[113:114], v[125:126], v[119:120], v[113:114]
	s_waitcnt vmcnt(2) lgkmcnt(0)
	v_fma_f64 v[113:114], v[127:128], v[115:116], v[113:114]
	s_waitcnt vmcnt(0)
	v_add_f64 v[113:114], v[133:134], -v[113:114]
	buffer_store_dword v114, off, s[0:3], 0 offset:76
	buffer_store_dword v113, off, s[0:3], 0 offset:72
	s_and_saveexec_b64 s[4:5], vcc
	s_cbranch_execz .LBB118_321
; %bb.320:
	buffer_load_dword v113, off, s[0:3], 0 offset:64
	buffer_load_dword v114, off, s[0:3], 0 offset:68
	s_waitcnt vmcnt(0)
	ds_write_b64 v111, v[113:114]
	buffer_store_dword v112, off, s[0:3], 0 offset:64
	buffer_store_dword v112, off, s[0:3], 0 offset:68
.LBB118_321:
	s_or_b64 exec, exec, s[4:5]
	s_waitcnt lgkmcnt(0)
	; wave barrier
	buffer_load_dword v121, off, s[0:3], 0 offset:72
	buffer_load_dword v122, off, s[0:3], 0 offset:76
	buffer_load_dword v123, off, s[0:3], 0 offset:80
	buffer_load_dword v124, off, s[0:3], 0 offset:84
	buffer_load_dword v125, off, s[0:3], 0 offset:88
	buffer_load_dword v126, off, s[0:3], 0 offset:92
	buffer_load_dword v127, off, s[0:3], 0 offset:96
	buffer_load_dword v128, off, s[0:3], 0 offset:100
	buffer_load_dword v129, off, s[0:3], 0 offset:104
	buffer_load_dword v130, off, s[0:3], 0 offset:108
	buffer_load_dword v131, off, s[0:3], 0 offset:112
	buffer_load_dword v132, off, s[0:3], 0 offset:116
	buffer_load_dword v133, off, s[0:3], 0 offset:120
	buffer_load_dword v134, off, s[0:3], 0 offset:124
	buffer_load_dword v136, off, s[0:3], 0 offset:132
	buffer_load_dword v137, off, s[0:3], 0 offset:152
	buffer_load_dword v139, off, s[0:3], 0 offset:144
	buffer_load_dword v141, off, s[0:3], 0 offset:136
	buffer_load_dword v135, off, s[0:3], 0 offset:128
	buffer_load_dword v142, off, s[0:3], 0 offset:140
	buffer_load_dword v140, off, s[0:3], 0 offset:148
	ds_read2_b64 v[113:116], v112 offset0:65 offset1:66
	ds_read2_b64 v[117:120], v112 offset0:67 offset1:68
	buffer_load_dword v138, off, s[0:3], 0 offset:156
	v_cmp_lt_u32_e32 vcc, 7, v0
	s_waitcnt vmcnt(20) lgkmcnt(1)
	v_fma_f64 v[113:114], v[121:122], v[113:114], 0
	s_waitcnt vmcnt(18)
	v_fma_f64 v[113:114], v[123:124], v[115:116], v[113:114]
	buffer_load_dword v122, off, s[0:3], 0 offset:164
	buffer_load_dword v123, off, s[0:3], 0 offset:184
	;; [unrolled: 1-line block ×7, first 2 shown]
	s_waitcnt vmcnt(23) lgkmcnt(0)
	v_fma_f64 v[113:114], v[125:126], v[117:118], v[113:114]
	s_waitcnt vmcnt(21)
	v_fma_f64 v[124:125], v[127:128], v[119:120], v[113:114]
	ds_read2_b64 v[113:116], v112 offset0:69 offset1:70
	ds_read2_b64 v[117:120], v112 offset0:71 offset1:72
	s_waitcnt vmcnt(19) lgkmcnt(1)
	v_fma_f64 v[113:114], v[129:130], v[113:114], v[124:125]
	buffer_load_dword v124, off, s[0:3], 0 offset:188
	s_waitcnt vmcnt(18)
	v_fma_f64 v[113:114], v[131:132], v[115:116], v[113:114]
	buffer_load_dword v126, off, s[0:3], 0 offset:196
	buffer_load_dword v127, off, s[0:3], 0 offset:216
	buffer_load_dword v129, off, s[0:3], 0 offset:208
	buffer_load_dword v131, off, s[0:3], 0 offset:200
	buffer_load_dword v125, off, s[0:3], 0 offset:192
	buffer_load_dword v132, off, s[0:3], 0 offset:204
	buffer_load_dword v130, off, s[0:3], 0 offset:212
	buffer_load_dword v128, off, s[0:3], 0 offset:220
	s_waitcnt vmcnt(24) lgkmcnt(0)
	v_fma_f64 v[113:114], v[133:134], v[117:118], v[113:114]
	s_waitcnt vmcnt(19)
	v_fma_f64 v[133:134], v[135:136], v[119:120], v[113:114]
	ds_read2_b64 v[113:116], v112 offset0:73 offset1:74
	ds_read2_b64 v[117:120], v112 offset0:75 offset1:76
	s_waitcnt vmcnt(18) lgkmcnt(1)
	v_fma_f64 v[113:114], v[141:142], v[113:114], v[133:134]
	s_waitcnt vmcnt(17)
	v_fma_f64 v[113:114], v[139:140], v[115:116], v[113:114]
	buffer_load_dword v134, off, s[0:3], 0 offset:228
	buffer_load_dword v135, off, s[0:3], 0 offset:248
	;; [unrolled: 1-line block ×7, first 2 shown]
	s_waitcnt vmcnt(23) lgkmcnt(0)
	v_fma_f64 v[113:114], v[137:138], v[117:118], v[113:114]
	s_waitcnt vmcnt(18)
	v_fma_f64 v[121:122], v[121:122], v[119:120], v[113:114]
	ds_read2_b64 v[113:116], v112 offset0:77 offset1:78
	ds_read2_b64 v[117:120], v112 offset0:79 offset1:80
	buffer_load_dword v136, off, s[0:3], 0 offset:252
	s_waitcnt vmcnt(18) lgkmcnt(1)
	v_fma_f64 v[113:114], v[145:146], v[113:114], v[121:122]
	s_waitcnt vmcnt(17)
	v_fma_f64 v[113:114], v[143:144], v[115:116], v[113:114]
	buffer_load_dword v122, off, s[0:3], 0 offset:260
	buffer_load_dword v137, off, s[0:3], 0 offset:280
	;; [unrolled: 1-line block ×8, first 2 shown]
	s_waitcnt vmcnt(24) lgkmcnt(0)
	v_fma_f64 v[113:114], v[123:124], v[117:118], v[113:114]
	s_waitcnt vmcnt(19)
	v_fma_f64 v[123:124], v[125:126], v[119:120], v[113:114]
	ds_read2_b64 v[113:116], v112 offset0:81 offset1:82
	ds_read2_b64 v[117:120], v112 offset0:83 offset1:84
	s_waitcnt vmcnt(18) lgkmcnt(1)
	v_fma_f64 v[113:114], v[131:132], v[113:114], v[123:124]
	s_waitcnt vmcnt(17)
	v_fma_f64 v[113:114], v[129:130], v[115:116], v[113:114]
	buffer_load_dword v124, off, s[0:3], 0 offset:292
	buffer_load_dword v125, off, s[0:3], 0 offset:312
	buffer_load_dword v129, off, s[0:3], 0 offset:304
	buffer_load_dword v131, off, s[0:3], 0 offset:296
	buffer_load_dword v123, off, s[0:3], 0 offset:288
	buffer_load_dword v132, off, s[0:3], 0 offset:300
	buffer_load_dword v130, off, s[0:3], 0 offset:308
	s_waitcnt vmcnt(23) lgkmcnt(0)
	v_fma_f64 v[113:114], v[127:128], v[117:118], v[113:114]
	s_waitcnt vmcnt(18)
	v_fma_f64 v[126:127], v[133:134], v[119:120], v[113:114]
	ds_read2_b64 v[113:116], v112 offset0:85 offset1:86
	ds_read2_b64 v[117:120], v112 offset0:87 offset1:88
	s_waitcnt vmcnt(17) lgkmcnt(1)
	v_fma_f64 v[113:114], v[141:142], v[113:114], v[126:127]
	buffer_load_dword v126, off, s[0:3], 0 offset:316
	s_waitcnt vmcnt(17)
	v_fma_f64 v[113:114], v[139:140], v[115:116], v[113:114]
	buffer_load_dword v128, off, s[0:3], 0 offset:324
	buffer_load_dword v133, off, s[0:3], 0 offset:344
	;; [unrolled: 1-line block ×7, first 2 shown]
	s_waitcnt vmcnt(23) lgkmcnt(0)
	v_fma_f64 v[113:114], v[135:136], v[117:118], v[113:114]
	s_waitcnt vmcnt(18)
	v_fma_f64 v[121:122], v[121:122], v[119:120], v[113:114]
	ds_read2_b64 v[113:116], v112 offset0:89 offset1:90
	ds_read2_b64 v[117:120], v112 offset0:91 offset1:92
	buffer_load_dword v134, off, s[0:3], 0 offset:348
	s_waitcnt vmcnt(18) lgkmcnt(1)
	v_fma_f64 v[113:114], v[145:146], v[113:114], v[121:122]
	s_waitcnt vmcnt(17)
	v_fma_f64 v[113:114], v[143:144], v[115:116], v[113:114]
	buffer_load_dword v122, off, s[0:3], 0 offset:356
	buffer_load_dword v135, off, s[0:3], 0 offset:376
	;; [unrolled: 1-line block ×8, first 2 shown]
	s_waitcnt vmcnt(24) lgkmcnt(0)
	v_fma_f64 v[113:114], v[137:138], v[117:118], v[113:114]
	s_waitcnt vmcnt(19)
	v_fma_f64 v[123:124], v[123:124], v[119:120], v[113:114]
	ds_read2_b64 v[113:116], v112 offset0:93 offset1:94
	ds_read2_b64 v[117:120], v112 offset0:95 offset1:96
	s_waitcnt vmcnt(18) lgkmcnt(1)
	v_fma_f64 v[113:114], v[131:132], v[113:114], v[123:124]
	s_waitcnt vmcnt(17)
	v_fma_f64 v[113:114], v[129:130], v[115:116], v[113:114]
	buffer_load_dword v124, off, s[0:3], 0 offset:388
	buffer_load_dword v129, off, s[0:3], 0 offset:408
	;; [unrolled: 1-line block ×8, first 2 shown]
	s_waitcnt vmcnt(24) lgkmcnt(0)
	v_fma_f64 v[113:114], v[125:126], v[117:118], v[113:114]
	s_waitcnt vmcnt(19)
	v_fma_f64 v[125:126], v[127:128], v[119:120], v[113:114]
	ds_read2_b64 v[113:116], v112 offset0:97 offset1:98
	ds_read2_b64 v[117:120], v112 offset0:99 offset1:100
	s_waitcnt vmcnt(18) lgkmcnt(1)
	v_fma_f64 v[113:114], v[141:142], v[113:114], v[125:126]
	s_waitcnt vmcnt(17)
	v_fma_f64 v[113:114], v[139:140], v[115:116], v[113:114]
	buffer_load_dword v126, off, s[0:3], 0 offset:420
	buffer_load_dword v127, off, s[0:3], 0 offset:432
	;; [unrolled: 1-line block ×6, first 2 shown]
	s_waitcnt vmcnt(22) lgkmcnt(0)
	v_fma_f64 v[113:114], v[133:134], v[117:118], v[113:114]
	s_waitcnt vmcnt(17)
	v_fma_f64 v[121:122], v[121:122], v[119:120], v[113:114]
	ds_read2_b64 v[113:116], v112 offset0:101 offset1:102
	buffer_load_dword v133, off, s[0:3], 0 offset:64
	buffer_load_dword v134, off, s[0:3], 0 offset:68
	ds_read2_b64 v[117:120], v112 offset0:103 offset1:104
	s_waitcnt vmcnt(18) lgkmcnt(1)
	v_fma_f64 v[113:114], v[145:146], v[113:114], v[121:122]
	s_waitcnt vmcnt(17)
	v_fma_f64 v[113:114], v[143:144], v[115:116], v[113:114]
	s_waitcnt vmcnt(16) lgkmcnt(0)
	v_fma_f64 v[113:114], v[135:136], v[117:118], v[113:114]
	s_waitcnt vmcnt(11)
	v_fma_f64 v[121:122], v[123:124], v[119:120], v[113:114]
	ds_read2_b64 v[113:116], v112 offset0:105 offset1:106
	ds_read2_b64 v[117:120], v112 offset0:107 offset1:108
	s_waitcnt vmcnt(10) lgkmcnt(1)
	v_fma_f64 v[113:114], v[137:138], v[113:114], v[121:122]
	s_waitcnt vmcnt(9)
	v_fma_f64 v[113:114], v[131:132], v[115:116], v[113:114]
	s_waitcnt vmcnt(8) lgkmcnt(0)
	v_fma_f64 v[113:114], v[129:130], v[117:118], v[113:114]
	s_waitcnt vmcnt(4)
	v_fma_f64 v[116:117], v[125:126], v[119:120], v[113:114]
	ds_read2_b64 v[112:115], v112 offset0:109 offset1:110
	s_waitcnt vmcnt(3) lgkmcnt(0)
	v_fma_f64 v[112:113], v[139:140], v[112:113], v[116:117]
	s_waitcnt vmcnt(2)
	v_fma_f64 v[112:113], v[127:128], v[114:115], v[112:113]
	s_waitcnt vmcnt(0)
	v_add_f64 v[112:113], v[133:134], -v[112:113]
	buffer_store_dword v113, off, s[0:3], 0 offset:68
	buffer_store_dword v112, off, s[0:3], 0 offset:64
	s_and_saveexec_b64 s[4:5], vcc
	s_cbranch_execz .LBB118_323
; %bb.322:
	buffer_load_dword v112, off, s[0:3], 0 offset:56
	buffer_load_dword v113, off, s[0:3], 0 offset:60
	v_mov_b32_e32 v114, 0
	buffer_store_dword v114, off, s[0:3], 0 offset:56
	buffer_store_dword v114, off, s[0:3], 0 offset:60
	s_waitcnt vmcnt(2)
	ds_write_b64 v111, v[112:113]
.LBB118_323:
	s_or_b64 exec, exec, s[4:5]
	s_waitcnt lgkmcnt(0)
	; wave barrier
	buffer_load_dword v121, off, s[0:3], 0 offset:64
	buffer_load_dword v122, off, s[0:3], 0 offset:68
	;; [unrolled: 1-line block ×21, first 2 shown]
	v_mov_b32_e32 v112, 0
	ds_read_b128 v[113:116], v112 offset:512
	ds_read_b128 v[117:120], v112 offset:528
	buffer_load_dword v138, off, s[0:3], 0 offset:148
	v_cmp_lt_u32_e32 vcc, 6, v0
	s_waitcnt vmcnt(20) lgkmcnt(1)
	v_fma_f64 v[113:114], v[121:122], v[113:114], 0
	s_waitcnt vmcnt(18)
	v_fma_f64 v[113:114], v[123:124], v[115:116], v[113:114]
	buffer_load_dword v122, off, s[0:3], 0 offset:156
	buffer_load_dword v123, off, s[0:3], 0 offset:176
	;; [unrolled: 1-line block ×7, first 2 shown]
	s_waitcnt vmcnt(23) lgkmcnt(0)
	v_fma_f64 v[113:114], v[125:126], v[117:118], v[113:114]
	s_waitcnt vmcnt(21)
	v_fma_f64 v[124:125], v[127:128], v[119:120], v[113:114]
	ds_read_b128 v[113:116], v112 offset:544
	ds_read_b128 v[117:120], v112 offset:560
	s_waitcnt vmcnt(19) lgkmcnt(1)
	v_fma_f64 v[113:114], v[129:130], v[113:114], v[124:125]
	buffer_load_dword v124, off, s[0:3], 0 offset:180
	s_waitcnt vmcnt(18)
	v_fma_f64 v[113:114], v[131:132], v[115:116], v[113:114]
	buffer_load_dword v126, off, s[0:3], 0 offset:188
	buffer_load_dword v127, off, s[0:3], 0 offset:208
	;; [unrolled: 1-line block ×8, first 2 shown]
	s_waitcnt vmcnt(24) lgkmcnt(0)
	v_fma_f64 v[113:114], v[133:134], v[117:118], v[113:114]
	s_waitcnt vmcnt(19)
	v_fma_f64 v[133:134], v[135:136], v[119:120], v[113:114]
	ds_read_b128 v[113:116], v112 offset:576
	ds_read_b128 v[117:120], v112 offset:592
	s_waitcnt vmcnt(18) lgkmcnt(1)
	v_fma_f64 v[113:114], v[141:142], v[113:114], v[133:134]
	s_waitcnt vmcnt(17)
	v_fma_f64 v[113:114], v[139:140], v[115:116], v[113:114]
	buffer_load_dword v134, off, s[0:3], 0 offset:220
	buffer_load_dword v135, off, s[0:3], 0 offset:240
	;; [unrolled: 1-line block ×7, first 2 shown]
	s_waitcnt vmcnt(23) lgkmcnt(0)
	v_fma_f64 v[113:114], v[137:138], v[117:118], v[113:114]
	s_waitcnt vmcnt(18)
	v_fma_f64 v[121:122], v[121:122], v[119:120], v[113:114]
	ds_read_b128 v[113:116], v112 offset:608
	ds_read_b128 v[117:120], v112 offset:624
	buffer_load_dword v136, off, s[0:3], 0 offset:244
	s_waitcnt vmcnt(18) lgkmcnt(1)
	v_fma_f64 v[113:114], v[145:146], v[113:114], v[121:122]
	s_waitcnt vmcnt(17)
	v_fma_f64 v[113:114], v[143:144], v[115:116], v[113:114]
	buffer_load_dword v122, off, s[0:3], 0 offset:252
	buffer_load_dword v137, off, s[0:3], 0 offset:272
	;; [unrolled: 1-line block ×8, first 2 shown]
	s_waitcnt vmcnt(24) lgkmcnt(0)
	v_fma_f64 v[113:114], v[123:124], v[117:118], v[113:114]
	s_waitcnt vmcnt(19)
	v_fma_f64 v[123:124], v[125:126], v[119:120], v[113:114]
	ds_read_b128 v[113:116], v112 offset:640
	ds_read_b128 v[117:120], v112 offset:656
	s_waitcnt vmcnt(18) lgkmcnt(1)
	v_fma_f64 v[113:114], v[131:132], v[113:114], v[123:124]
	s_waitcnt vmcnt(17)
	v_fma_f64 v[113:114], v[129:130], v[115:116], v[113:114]
	buffer_load_dword v124, off, s[0:3], 0 offset:284
	buffer_load_dword v125, off, s[0:3], 0 offset:304
	;; [unrolled: 1-line block ×7, first 2 shown]
	s_waitcnt vmcnt(23) lgkmcnt(0)
	v_fma_f64 v[113:114], v[127:128], v[117:118], v[113:114]
	s_waitcnt vmcnt(18)
	v_fma_f64 v[126:127], v[133:134], v[119:120], v[113:114]
	ds_read_b128 v[113:116], v112 offset:672
	ds_read_b128 v[117:120], v112 offset:688
	s_waitcnt vmcnt(17) lgkmcnt(1)
	v_fma_f64 v[113:114], v[141:142], v[113:114], v[126:127]
	buffer_load_dword v126, off, s[0:3], 0 offset:308
	s_waitcnt vmcnt(17)
	v_fma_f64 v[113:114], v[139:140], v[115:116], v[113:114]
	buffer_load_dword v128, off, s[0:3], 0 offset:316
	buffer_load_dword v133, off, s[0:3], 0 offset:336
	;; [unrolled: 1-line block ×7, first 2 shown]
	s_waitcnt vmcnt(23) lgkmcnt(0)
	v_fma_f64 v[113:114], v[135:136], v[117:118], v[113:114]
	s_waitcnt vmcnt(18)
	v_fma_f64 v[121:122], v[121:122], v[119:120], v[113:114]
	ds_read_b128 v[113:116], v112 offset:704
	ds_read_b128 v[117:120], v112 offset:720
	buffer_load_dword v134, off, s[0:3], 0 offset:340
	s_waitcnt vmcnt(18) lgkmcnt(1)
	v_fma_f64 v[113:114], v[145:146], v[113:114], v[121:122]
	s_waitcnt vmcnt(17)
	v_fma_f64 v[113:114], v[143:144], v[115:116], v[113:114]
	buffer_load_dword v122, off, s[0:3], 0 offset:348
	buffer_load_dword v135, off, s[0:3], 0 offset:368
	buffer_load_dword v143, off, s[0:3], 0 offset:360
	buffer_load_dword v145, off, s[0:3], 0 offset:352
	buffer_load_dword v121, off, s[0:3], 0 offset:344
	buffer_load_dword v146, off, s[0:3], 0 offset:356
	buffer_load_dword v144, off, s[0:3], 0 offset:364
	buffer_load_dword v136, off, s[0:3], 0 offset:372
	s_waitcnt vmcnt(24) lgkmcnt(0)
	v_fma_f64 v[113:114], v[137:138], v[117:118], v[113:114]
	s_waitcnt vmcnt(19)
	v_fma_f64 v[123:124], v[123:124], v[119:120], v[113:114]
	ds_read_b128 v[113:116], v112 offset:736
	ds_read_b128 v[117:120], v112 offset:752
	s_waitcnt vmcnt(18) lgkmcnt(1)
	v_fma_f64 v[113:114], v[131:132], v[113:114], v[123:124]
	s_waitcnt vmcnt(17)
	v_fma_f64 v[113:114], v[129:130], v[115:116], v[113:114]
	buffer_load_dword v124, off, s[0:3], 0 offset:380
	buffer_load_dword v129, off, s[0:3], 0 offset:400
	buffer_load_dword v131, off, s[0:3], 0 offset:392
	buffer_load_dword v137, off, s[0:3], 0 offset:384
	buffer_load_dword v123, off, s[0:3], 0 offset:376
	buffer_load_dword v138, off, s[0:3], 0 offset:388
	buffer_load_dword v132, off, s[0:3], 0 offset:396
	buffer_load_dword v130, off, s[0:3], 0 offset:404
	s_waitcnt vmcnt(24) lgkmcnt(0)
	v_fma_f64 v[113:114], v[125:126], v[117:118], v[113:114]
	s_waitcnt vmcnt(19)
	v_fma_f64 v[125:126], v[127:128], v[119:120], v[113:114]
	ds_read_b128 v[113:116], v112 offset:768
	ds_read_b128 v[117:120], v112 offset:784
	;; [unrolled: 18-line block ×3, first 2 shown]
	s_waitcnt vmcnt(18) lgkmcnt(1)
	v_fma_f64 v[113:114], v[145:146], v[113:114], v[121:122]
	buffer_load_dword v121, off, s[0:3], 0 offset:56
	buffer_load_dword v122, off, s[0:3], 0 offset:60
	s_waitcnt vmcnt(19)
	v_fma_f64 v[113:114], v[143:144], v[115:116], v[113:114]
	s_waitcnt vmcnt(18) lgkmcnt(0)
	v_fma_f64 v[113:114], v[135:136], v[117:118], v[113:114]
	s_waitcnt vmcnt(13)
	v_fma_f64 v[123:124], v[123:124], v[119:120], v[113:114]
	ds_read_b128 v[113:116], v112 offset:832
	ds_read_b128 v[117:120], v112 offset:848
	s_waitcnt vmcnt(12) lgkmcnt(1)
	v_fma_f64 v[113:114], v[137:138], v[113:114], v[123:124]
	s_waitcnt vmcnt(11)
	v_fma_f64 v[113:114], v[131:132], v[115:116], v[113:114]
	s_waitcnt vmcnt(10) lgkmcnt(0)
	v_fma_f64 v[113:114], v[129:130], v[117:118], v[113:114]
	s_waitcnt vmcnt(5)
	v_fma_f64 v[117:118], v[125:126], v[119:120], v[113:114]
	ds_read_b128 v[113:116], v112 offset:864
	ds_read_b64 v[119:120], v112 offset:880
	s_waitcnt vmcnt(4) lgkmcnt(1)
	v_fma_f64 v[113:114], v[141:142], v[113:114], v[117:118]
	s_waitcnt vmcnt(3)
	v_fma_f64 v[113:114], v[139:140], v[115:116], v[113:114]
	s_waitcnt vmcnt(2) lgkmcnt(0)
	v_fma_f64 v[113:114], v[127:128], v[119:120], v[113:114]
	s_waitcnt vmcnt(0)
	v_add_f64 v[113:114], v[121:122], -v[113:114]
	buffer_store_dword v114, off, s[0:3], 0 offset:60
	buffer_store_dword v113, off, s[0:3], 0 offset:56
	s_and_saveexec_b64 s[4:5], vcc
	s_cbranch_execz .LBB118_325
; %bb.324:
	buffer_load_dword v113, off, s[0:3], 0 offset:48
	buffer_load_dword v114, off, s[0:3], 0 offset:52
	s_waitcnt vmcnt(0)
	ds_write_b64 v111, v[113:114]
	buffer_store_dword v112, off, s[0:3], 0 offset:48
	buffer_store_dword v112, off, s[0:3], 0 offset:52
.LBB118_325:
	s_or_b64 exec, exec, s[4:5]
	s_waitcnt lgkmcnt(0)
	; wave barrier
	buffer_load_dword v121, off, s[0:3], 0 offset:56
	buffer_load_dword v122, off, s[0:3], 0 offset:60
	;; [unrolled: 1-line block ×21, first 2 shown]
	ds_read2_b64 v[113:116], v112 offset0:63 offset1:64
	ds_read2_b64 v[117:120], v112 offset0:65 offset1:66
	buffer_load_dword v138, off, s[0:3], 0 offset:140
	v_cmp_lt_u32_e32 vcc, 5, v0
	s_waitcnt vmcnt(20) lgkmcnt(1)
	v_fma_f64 v[113:114], v[121:122], v[113:114], 0
	s_waitcnt vmcnt(18)
	v_fma_f64 v[113:114], v[123:124], v[115:116], v[113:114]
	buffer_load_dword v122, off, s[0:3], 0 offset:148
	buffer_load_dword v123, off, s[0:3], 0 offset:168
	;; [unrolled: 1-line block ×7, first 2 shown]
	s_waitcnt vmcnt(23) lgkmcnt(0)
	v_fma_f64 v[113:114], v[125:126], v[117:118], v[113:114]
	s_waitcnt vmcnt(21)
	v_fma_f64 v[124:125], v[127:128], v[119:120], v[113:114]
	ds_read2_b64 v[113:116], v112 offset0:67 offset1:68
	ds_read2_b64 v[117:120], v112 offset0:69 offset1:70
	s_waitcnt vmcnt(19) lgkmcnt(1)
	v_fma_f64 v[113:114], v[129:130], v[113:114], v[124:125]
	buffer_load_dword v124, off, s[0:3], 0 offset:172
	s_waitcnt vmcnt(18)
	v_fma_f64 v[113:114], v[131:132], v[115:116], v[113:114]
	buffer_load_dword v126, off, s[0:3], 0 offset:180
	buffer_load_dword v127, off, s[0:3], 0 offset:200
	;; [unrolled: 1-line block ×8, first 2 shown]
	s_waitcnt vmcnt(24) lgkmcnt(0)
	v_fma_f64 v[113:114], v[133:134], v[117:118], v[113:114]
	s_waitcnt vmcnt(19)
	v_fma_f64 v[133:134], v[135:136], v[119:120], v[113:114]
	ds_read2_b64 v[113:116], v112 offset0:71 offset1:72
	ds_read2_b64 v[117:120], v112 offset0:73 offset1:74
	s_waitcnt vmcnt(18) lgkmcnt(1)
	v_fma_f64 v[113:114], v[141:142], v[113:114], v[133:134]
	s_waitcnt vmcnt(17)
	v_fma_f64 v[113:114], v[139:140], v[115:116], v[113:114]
	buffer_load_dword v134, off, s[0:3], 0 offset:212
	buffer_load_dword v135, off, s[0:3], 0 offset:232
	;; [unrolled: 1-line block ×7, first 2 shown]
	s_waitcnt vmcnt(23) lgkmcnt(0)
	v_fma_f64 v[113:114], v[137:138], v[117:118], v[113:114]
	s_waitcnt vmcnt(18)
	v_fma_f64 v[121:122], v[121:122], v[119:120], v[113:114]
	ds_read2_b64 v[113:116], v112 offset0:75 offset1:76
	ds_read2_b64 v[117:120], v112 offset0:77 offset1:78
	buffer_load_dword v136, off, s[0:3], 0 offset:236
	s_waitcnt vmcnt(18) lgkmcnt(1)
	v_fma_f64 v[113:114], v[145:146], v[113:114], v[121:122]
	s_waitcnt vmcnt(17)
	v_fma_f64 v[113:114], v[143:144], v[115:116], v[113:114]
	buffer_load_dword v122, off, s[0:3], 0 offset:244
	buffer_load_dword v137, off, s[0:3], 0 offset:264
	;; [unrolled: 1-line block ×8, first 2 shown]
	s_waitcnt vmcnt(24) lgkmcnt(0)
	v_fma_f64 v[113:114], v[123:124], v[117:118], v[113:114]
	s_waitcnt vmcnt(19)
	v_fma_f64 v[123:124], v[125:126], v[119:120], v[113:114]
	ds_read2_b64 v[113:116], v112 offset0:79 offset1:80
	ds_read2_b64 v[117:120], v112 offset0:81 offset1:82
	s_waitcnt vmcnt(18) lgkmcnt(1)
	v_fma_f64 v[113:114], v[131:132], v[113:114], v[123:124]
	s_waitcnt vmcnt(17)
	v_fma_f64 v[113:114], v[129:130], v[115:116], v[113:114]
	buffer_load_dword v124, off, s[0:3], 0 offset:276
	buffer_load_dword v125, off, s[0:3], 0 offset:296
	;; [unrolled: 1-line block ×7, first 2 shown]
	s_waitcnt vmcnt(23) lgkmcnt(0)
	v_fma_f64 v[113:114], v[127:128], v[117:118], v[113:114]
	s_waitcnt vmcnt(18)
	v_fma_f64 v[126:127], v[133:134], v[119:120], v[113:114]
	ds_read2_b64 v[113:116], v112 offset0:83 offset1:84
	ds_read2_b64 v[117:120], v112 offset0:85 offset1:86
	s_waitcnt vmcnt(17) lgkmcnt(1)
	v_fma_f64 v[113:114], v[141:142], v[113:114], v[126:127]
	buffer_load_dword v126, off, s[0:3], 0 offset:300
	s_waitcnt vmcnt(17)
	v_fma_f64 v[113:114], v[139:140], v[115:116], v[113:114]
	buffer_load_dword v128, off, s[0:3], 0 offset:308
	buffer_load_dword v133, off, s[0:3], 0 offset:328
	;; [unrolled: 1-line block ×7, first 2 shown]
	s_waitcnt vmcnt(23) lgkmcnt(0)
	v_fma_f64 v[113:114], v[135:136], v[117:118], v[113:114]
	s_waitcnt vmcnt(18)
	v_fma_f64 v[121:122], v[121:122], v[119:120], v[113:114]
	ds_read2_b64 v[113:116], v112 offset0:87 offset1:88
	ds_read2_b64 v[117:120], v112 offset0:89 offset1:90
	buffer_load_dword v134, off, s[0:3], 0 offset:332
	s_waitcnt vmcnt(18) lgkmcnt(1)
	v_fma_f64 v[113:114], v[145:146], v[113:114], v[121:122]
	s_waitcnt vmcnt(17)
	v_fma_f64 v[113:114], v[143:144], v[115:116], v[113:114]
	buffer_load_dword v122, off, s[0:3], 0 offset:340
	buffer_load_dword v135, off, s[0:3], 0 offset:360
	buffer_load_dword v143, off, s[0:3], 0 offset:352
	buffer_load_dword v145, off, s[0:3], 0 offset:344
	buffer_load_dword v121, off, s[0:3], 0 offset:336
	buffer_load_dword v146, off, s[0:3], 0 offset:348
	buffer_load_dword v144, off, s[0:3], 0 offset:356
	buffer_load_dword v136, off, s[0:3], 0 offset:364
	s_waitcnt vmcnt(24) lgkmcnt(0)
	v_fma_f64 v[113:114], v[137:138], v[117:118], v[113:114]
	s_waitcnt vmcnt(19)
	v_fma_f64 v[123:124], v[123:124], v[119:120], v[113:114]
	ds_read2_b64 v[113:116], v112 offset0:91 offset1:92
	ds_read2_b64 v[117:120], v112 offset0:93 offset1:94
	s_waitcnt vmcnt(18) lgkmcnt(1)
	v_fma_f64 v[113:114], v[131:132], v[113:114], v[123:124]
	s_waitcnt vmcnt(17)
	v_fma_f64 v[113:114], v[129:130], v[115:116], v[113:114]
	buffer_load_dword v124, off, s[0:3], 0 offset:372
	buffer_load_dword v129, off, s[0:3], 0 offset:392
	buffer_load_dword v131, off, s[0:3], 0 offset:384
	buffer_load_dword v137, off, s[0:3], 0 offset:376
	buffer_load_dword v123, off, s[0:3], 0 offset:368
	buffer_load_dword v138, off, s[0:3], 0 offset:380
	buffer_load_dword v132, off, s[0:3], 0 offset:388
	buffer_load_dword v130, off, s[0:3], 0 offset:396
	s_waitcnt vmcnt(24) lgkmcnt(0)
	v_fma_f64 v[113:114], v[125:126], v[117:118], v[113:114]
	s_waitcnt vmcnt(19)
	v_fma_f64 v[125:126], v[127:128], v[119:120], v[113:114]
	ds_read2_b64 v[113:116], v112 offset0:95 offset1:96
	ds_read2_b64 v[117:120], v112 offset0:97 offset1:98
	s_waitcnt vmcnt(18) lgkmcnt(1)
	v_fma_f64 v[113:114], v[141:142], v[113:114], v[125:126]
	s_waitcnt vmcnt(17)
	v_fma_f64 v[113:114], v[139:140], v[115:116], v[113:114]
	buffer_load_dword v126, off, s[0:3], 0 offset:404
	buffer_load_dword v127, off, s[0:3], 0 offset:424
	buffer_load_dword v139, off, s[0:3], 0 offset:416
	buffer_load_dword v141, off, s[0:3], 0 offset:408
	buffer_load_dword v125, off, s[0:3], 0 offset:400
	buffer_load_dword v142, off, s[0:3], 0 offset:412
	buffer_load_dword v140, off, s[0:3], 0 offset:420
	buffer_load_dword v128, off, s[0:3], 0 offset:428
	s_waitcnt vmcnt(24) lgkmcnt(0)
	v_fma_f64 v[113:114], v[133:134], v[117:118], v[113:114]
	s_waitcnt vmcnt(19)
	v_fma_f64 v[121:122], v[121:122], v[119:120], v[113:114]
	ds_read2_b64 v[113:116], v112 offset0:99 offset1:100
	ds_read2_b64 v[117:120], v112 offset0:101 offset1:102
	s_waitcnt vmcnt(18) lgkmcnt(1)
	v_fma_f64 v[113:114], v[145:146], v[113:114], v[121:122]
	buffer_load_dword v122, off, s[0:3], 0 offset:436
	buffer_load_dword v121, off, s[0:3], 0 offset:432
	;; [unrolled: 1-line block ×4, first 2 shown]
	s_waitcnt vmcnt(21)
	v_fma_f64 v[113:114], v[143:144], v[115:116], v[113:114]
	s_waitcnt vmcnt(20) lgkmcnt(0)
	v_fma_f64 v[113:114], v[135:136], v[117:118], v[113:114]
	s_waitcnt vmcnt(15)
	v_fma_f64 v[123:124], v[123:124], v[119:120], v[113:114]
	ds_read2_b64 v[113:116], v112 offset0:103 offset1:104
	ds_read2_b64 v[117:120], v112 offset0:105 offset1:106
	s_waitcnt vmcnt(14) lgkmcnt(1)
	v_fma_f64 v[113:114], v[137:138], v[113:114], v[123:124]
	s_waitcnt vmcnt(13)
	v_fma_f64 v[113:114], v[131:132], v[115:116], v[113:114]
	s_waitcnt vmcnt(12) lgkmcnt(0)
	v_fma_f64 v[113:114], v[129:130], v[117:118], v[113:114]
	s_waitcnt vmcnt(7)
	v_fma_f64 v[123:124], v[125:126], v[119:120], v[113:114]
	ds_read2_b64 v[113:116], v112 offset0:107 offset1:108
	ds_read2_b64 v[117:120], v112 offset0:109 offset1:110
	s_waitcnt vmcnt(6) lgkmcnt(1)
	v_fma_f64 v[112:113], v[141:142], v[113:114], v[123:124]
	s_waitcnt vmcnt(5)
	v_fma_f64 v[112:113], v[139:140], v[115:116], v[112:113]
	s_waitcnt vmcnt(4) lgkmcnt(0)
	v_fma_f64 v[112:113], v[127:128], v[117:118], v[112:113]
	s_waitcnt vmcnt(2)
	v_fma_f64 v[112:113], v[121:122], v[119:120], v[112:113]
	s_waitcnt vmcnt(0)
	v_add_f64 v[112:113], v[133:134], -v[112:113]
	buffer_store_dword v113, off, s[0:3], 0 offset:52
	buffer_store_dword v112, off, s[0:3], 0 offset:48
	s_and_saveexec_b64 s[4:5], vcc
	s_cbranch_execz .LBB118_327
; %bb.326:
	buffer_load_dword v112, off, s[0:3], 0 offset:40
	buffer_load_dword v113, off, s[0:3], 0 offset:44
	v_mov_b32_e32 v114, 0
	buffer_store_dword v114, off, s[0:3], 0 offset:40
	buffer_store_dword v114, off, s[0:3], 0 offset:44
	s_waitcnt vmcnt(2)
	ds_write_b64 v111, v[112:113]
.LBB118_327:
	s_or_b64 exec, exec, s[4:5]
	s_waitcnt lgkmcnt(0)
	; wave barrier
	buffer_load_dword v121, off, s[0:3], 0 offset:48
	buffer_load_dword v122, off, s[0:3], 0 offset:52
	;; [unrolled: 1-line block ×21, first 2 shown]
	v_mov_b32_e32 v112, 0
	ds_read_b128 v[113:116], v112 offset:496
	ds_read_b128 v[117:120], v112 offset:512
	buffer_load_dword v138, off, s[0:3], 0 offset:132
	v_cmp_lt_u32_e32 vcc, 4, v0
	s_waitcnt vmcnt(20) lgkmcnt(1)
	v_fma_f64 v[113:114], v[121:122], v[113:114], 0
	s_waitcnt vmcnt(18)
	v_fma_f64 v[113:114], v[123:124], v[115:116], v[113:114]
	buffer_load_dword v122, off, s[0:3], 0 offset:140
	buffer_load_dword v123, off, s[0:3], 0 offset:160
	;; [unrolled: 1-line block ×7, first 2 shown]
	s_waitcnt vmcnt(23) lgkmcnt(0)
	v_fma_f64 v[113:114], v[125:126], v[117:118], v[113:114]
	s_waitcnt vmcnt(21)
	v_fma_f64 v[124:125], v[127:128], v[119:120], v[113:114]
	ds_read_b128 v[113:116], v112 offset:528
	ds_read_b128 v[117:120], v112 offset:544
	s_waitcnt vmcnt(19) lgkmcnt(1)
	v_fma_f64 v[113:114], v[129:130], v[113:114], v[124:125]
	buffer_load_dword v124, off, s[0:3], 0 offset:164
	s_waitcnt vmcnt(18)
	v_fma_f64 v[113:114], v[131:132], v[115:116], v[113:114]
	buffer_load_dword v126, off, s[0:3], 0 offset:172
	buffer_load_dword v127, off, s[0:3], 0 offset:192
	;; [unrolled: 1-line block ×8, first 2 shown]
	s_waitcnt vmcnt(24) lgkmcnt(0)
	v_fma_f64 v[113:114], v[133:134], v[117:118], v[113:114]
	s_waitcnt vmcnt(19)
	v_fma_f64 v[133:134], v[135:136], v[119:120], v[113:114]
	ds_read_b128 v[113:116], v112 offset:560
	ds_read_b128 v[117:120], v112 offset:576
	s_waitcnt vmcnt(18) lgkmcnt(1)
	v_fma_f64 v[113:114], v[141:142], v[113:114], v[133:134]
	s_waitcnt vmcnt(17)
	v_fma_f64 v[113:114], v[139:140], v[115:116], v[113:114]
	buffer_load_dword v134, off, s[0:3], 0 offset:204
	buffer_load_dword v135, off, s[0:3], 0 offset:224
	;; [unrolled: 1-line block ×7, first 2 shown]
	s_waitcnt vmcnt(23) lgkmcnt(0)
	v_fma_f64 v[113:114], v[137:138], v[117:118], v[113:114]
	s_waitcnt vmcnt(18)
	v_fma_f64 v[121:122], v[121:122], v[119:120], v[113:114]
	ds_read_b128 v[113:116], v112 offset:592
	ds_read_b128 v[117:120], v112 offset:608
	buffer_load_dword v136, off, s[0:3], 0 offset:228
	s_waitcnt vmcnt(18) lgkmcnt(1)
	v_fma_f64 v[113:114], v[145:146], v[113:114], v[121:122]
	s_waitcnt vmcnt(17)
	v_fma_f64 v[113:114], v[143:144], v[115:116], v[113:114]
	buffer_load_dword v122, off, s[0:3], 0 offset:236
	buffer_load_dword v137, off, s[0:3], 0 offset:256
	;; [unrolled: 1-line block ×7, first 2 shown]
	s_waitcnt vmcnt(23) lgkmcnt(0)
	v_fma_f64 v[113:114], v[123:124], v[117:118], v[113:114]
	s_waitcnt vmcnt(18)
	v_fma_f64 v[123:124], v[125:126], v[119:120], v[113:114]
	ds_read_b128 v[113:116], v112 offset:624
	ds_read_b128 v[117:120], v112 offset:640
	buffer_load_dword v138, off, s[0:3], 0 offset:260
	s_waitcnt vmcnt(18) lgkmcnt(1)
	v_fma_f64 v[113:114], v[131:132], v[113:114], v[123:124]
	s_waitcnt vmcnt(17)
	v_fma_f64 v[113:114], v[129:130], v[115:116], v[113:114]
	buffer_load_dword v124, off, s[0:3], 0 offset:268
	buffer_load_dword v125, off, s[0:3], 0 offset:288
	;; [unrolled: 1-line block ×7, first 2 shown]
	s_waitcnt vmcnt(23) lgkmcnt(0)
	v_fma_f64 v[113:114], v[127:128], v[117:118], v[113:114]
	s_waitcnt vmcnt(18)
	v_fma_f64 v[126:127], v[133:134], v[119:120], v[113:114]
	ds_read_b128 v[113:116], v112 offset:656
	ds_read_b128 v[117:120], v112 offset:672
	s_waitcnt vmcnt(17) lgkmcnt(1)
	v_fma_f64 v[113:114], v[141:142], v[113:114], v[126:127]
	buffer_load_dword v126, off, s[0:3], 0 offset:292
	s_waitcnt vmcnt(17)
	v_fma_f64 v[113:114], v[139:140], v[115:116], v[113:114]
	buffer_load_dword v128, off, s[0:3], 0 offset:300
	buffer_load_dword v133, off, s[0:3], 0 offset:320
	;; [unrolled: 1-line block ×7, first 2 shown]
	s_waitcnt vmcnt(23) lgkmcnt(0)
	v_fma_f64 v[113:114], v[135:136], v[117:118], v[113:114]
	s_waitcnt vmcnt(18)
	v_fma_f64 v[121:122], v[121:122], v[119:120], v[113:114]
	ds_read_b128 v[113:116], v112 offset:688
	ds_read_b128 v[117:120], v112 offset:704
	buffer_load_dword v134, off, s[0:3], 0 offset:324
	s_waitcnt vmcnt(18) lgkmcnt(1)
	v_fma_f64 v[113:114], v[145:146], v[113:114], v[121:122]
	s_waitcnt vmcnt(17)
	v_fma_f64 v[113:114], v[143:144], v[115:116], v[113:114]
	buffer_load_dword v122, off, s[0:3], 0 offset:332
	buffer_load_dword v135, off, s[0:3], 0 offset:352
	;; [unrolled: 1-line block ×7, first 2 shown]
	s_waitcnt vmcnt(23) lgkmcnt(0)
	v_fma_f64 v[113:114], v[137:138], v[117:118], v[113:114]
	s_waitcnt vmcnt(18)
	v_fma_f64 v[123:124], v[123:124], v[119:120], v[113:114]
	ds_read_b128 v[113:116], v112 offset:720
	ds_read_b128 v[117:120], v112 offset:736
	buffer_load_dword v136, off, s[0:3], 0 offset:356
	s_waitcnt vmcnt(18) lgkmcnt(1)
	v_fma_f64 v[113:114], v[131:132], v[113:114], v[123:124]
	s_waitcnt vmcnt(17)
	v_fma_f64 v[113:114], v[129:130], v[115:116], v[113:114]
	buffer_load_dword v124, off, s[0:3], 0 offset:364
	buffer_load_dword v129, off, s[0:3], 0 offset:384
	;; [unrolled: 1-line block ×8, first 2 shown]
	s_waitcnt vmcnt(24) lgkmcnt(0)
	v_fma_f64 v[113:114], v[125:126], v[117:118], v[113:114]
	s_waitcnt vmcnt(19)
	v_fma_f64 v[125:126], v[127:128], v[119:120], v[113:114]
	ds_read_b128 v[113:116], v112 offset:752
	ds_read_b128 v[117:120], v112 offset:768
	s_waitcnt vmcnt(18) lgkmcnt(1)
	v_fma_f64 v[113:114], v[141:142], v[113:114], v[125:126]
	s_waitcnt vmcnt(17)
	v_fma_f64 v[113:114], v[139:140], v[115:116], v[113:114]
	buffer_load_dword v126, off, s[0:3], 0 offset:396
	buffer_load_dword v127, off, s[0:3], 0 offset:416
	;; [unrolled: 1-line block ×7, first 2 shown]
	s_waitcnt vmcnt(23) lgkmcnt(0)
	v_fma_f64 v[113:114], v[133:134], v[117:118], v[113:114]
	s_waitcnt vmcnt(18)
	v_fma_f64 v[121:122], v[121:122], v[119:120], v[113:114]
	ds_read_b128 v[113:116], v112 offset:784
	ds_read_b128 v[117:120], v112 offset:800
	buffer_load_dword v128, off, s[0:3], 0 offset:420
	s_waitcnt vmcnt(18) lgkmcnt(1)
	v_fma_f64 v[113:114], v[145:146], v[113:114], v[121:122]
	buffer_load_dword v122, off, s[0:3], 0 offset:428
	buffer_load_dword v133, off, s[0:3], 0 offset:432
	;; [unrolled: 1-line block ×4, first 2 shown]
	s_waitcnt vmcnt(21)
	v_fma_f64 v[113:114], v[143:144], v[115:116], v[113:114]
	s_waitcnt vmcnt(20) lgkmcnt(0)
	v_fma_f64 v[113:114], v[135:136], v[117:118], v[113:114]
	buffer_load_dword v135, off, s[0:3], 0 offset:40
	buffer_load_dword v136, off, s[0:3], 0 offset:44
	s_waitcnt vmcnt(17)
	v_fma_f64 v[123:124], v[123:124], v[119:120], v[113:114]
	ds_read_b128 v[113:116], v112 offset:816
	ds_read_b128 v[117:120], v112 offset:832
	s_waitcnt vmcnt(16) lgkmcnt(1)
	v_fma_f64 v[113:114], v[137:138], v[113:114], v[123:124]
	s_waitcnt vmcnt(15)
	v_fma_f64 v[113:114], v[131:132], v[115:116], v[113:114]
	s_waitcnt vmcnt(14) lgkmcnt(0)
	v_fma_f64 v[113:114], v[129:130], v[117:118], v[113:114]
	s_waitcnt vmcnt(9)
	v_fma_f64 v[123:124], v[125:126], v[119:120], v[113:114]
	ds_read_b128 v[113:116], v112 offset:848
	ds_read_b128 v[117:120], v112 offset:864
	s_waitcnt vmcnt(8) lgkmcnt(1)
	v_fma_f64 v[113:114], v[141:142], v[113:114], v[123:124]
	s_waitcnt vmcnt(7)
	v_fma_f64 v[113:114], v[139:140], v[115:116], v[113:114]
	ds_read_b64 v[115:116], v112 offset:880
	s_waitcnt vmcnt(6) lgkmcnt(1)
	v_fma_f64 v[113:114], v[127:128], v[117:118], v[113:114]
	s_waitcnt vmcnt(3)
	v_fma_f64 v[113:114], v[121:122], v[119:120], v[113:114]
	s_waitcnt vmcnt(2) lgkmcnt(0)
	v_fma_f64 v[113:114], v[133:134], v[115:116], v[113:114]
	s_waitcnt vmcnt(0)
	v_add_f64 v[113:114], v[135:136], -v[113:114]
	buffer_store_dword v114, off, s[0:3], 0 offset:44
	buffer_store_dword v113, off, s[0:3], 0 offset:40
	s_and_saveexec_b64 s[4:5], vcc
	s_cbranch_execz .LBB118_329
; %bb.328:
	buffer_load_dword v113, off, s[0:3], 0 offset:32
	buffer_load_dword v114, off, s[0:3], 0 offset:36
	s_waitcnt vmcnt(0)
	ds_write_b64 v111, v[113:114]
	buffer_store_dword v112, off, s[0:3], 0 offset:32
	buffer_store_dword v112, off, s[0:3], 0 offset:36
.LBB118_329:
	s_or_b64 exec, exec, s[4:5]
	s_waitcnt lgkmcnt(0)
	; wave barrier
	buffer_load_dword v121, off, s[0:3], 0 offset:40
	buffer_load_dword v122, off, s[0:3], 0 offset:44
	;; [unrolled: 1-line block ×22, first 2 shown]
	ds_read2_b64 v[113:116], v112 offset0:61 offset1:62
	ds_read2_b64 v[117:120], v112 offset0:63 offset1:64
	v_cmp_lt_u32_e32 vcc, 3, v0
	s_waitcnt vmcnt(20) lgkmcnt(1)
	v_fma_f64 v[113:114], v[121:122], v[113:114], 0
	s_waitcnt vmcnt(18)
	v_fma_f64 v[113:114], v[123:124], v[115:116], v[113:114]
	buffer_load_dword v122, off, s[0:3], 0 offset:132
	buffer_load_dword v123, off, s[0:3], 0 offset:152
	;; [unrolled: 1-line block ×7, first 2 shown]
	s_waitcnt vmcnt(23) lgkmcnt(0)
	v_fma_f64 v[113:114], v[125:126], v[117:118], v[113:114]
	s_waitcnt vmcnt(21)
	v_fma_f64 v[124:125], v[127:128], v[119:120], v[113:114]
	ds_read2_b64 v[113:116], v112 offset0:65 offset1:66
	ds_read2_b64 v[117:120], v112 offset0:67 offset1:68
	s_waitcnt vmcnt(19) lgkmcnt(1)
	v_fma_f64 v[113:114], v[129:130], v[113:114], v[124:125]
	buffer_load_dword v124, off, s[0:3], 0 offset:156
	s_waitcnt vmcnt(18)
	v_fma_f64 v[113:114], v[131:132], v[115:116], v[113:114]
	buffer_load_dword v126, off, s[0:3], 0 offset:164
	buffer_load_dword v127, off, s[0:3], 0 offset:184
	;; [unrolled: 1-line block ×8, first 2 shown]
	s_waitcnt vmcnt(24) lgkmcnt(0)
	v_fma_f64 v[113:114], v[133:134], v[117:118], v[113:114]
	s_waitcnt vmcnt(19)
	v_fma_f64 v[133:134], v[135:136], v[119:120], v[113:114]
	ds_read2_b64 v[113:116], v112 offset0:69 offset1:70
	ds_read2_b64 v[117:120], v112 offset0:71 offset1:72
	s_waitcnt vmcnt(18) lgkmcnt(1)
	v_fma_f64 v[113:114], v[141:142], v[113:114], v[133:134]
	s_waitcnt vmcnt(17)
	v_fma_f64 v[113:114], v[139:140], v[115:116], v[113:114]
	buffer_load_dword v134, off, s[0:3], 0 offset:196
	buffer_load_dword v135, off, s[0:3], 0 offset:216
	;; [unrolled: 1-line block ×8, first 2 shown]
	s_waitcnt vmcnt(24) lgkmcnt(0)
	v_fma_f64 v[113:114], v[137:138], v[117:118], v[113:114]
	s_waitcnt vmcnt(19)
	v_fma_f64 v[121:122], v[121:122], v[119:120], v[113:114]
	ds_read2_b64 v[113:116], v112 offset0:73 offset1:74
	ds_read2_b64 v[117:120], v112 offset0:75 offset1:76
	s_waitcnt vmcnt(18) lgkmcnt(1)
	v_fma_f64 v[113:114], v[145:146], v[113:114], v[121:122]
	s_waitcnt vmcnt(17)
	v_fma_f64 v[113:114], v[143:144], v[115:116], v[113:114]
	buffer_load_dword v122, off, s[0:3], 0 offset:228
	buffer_load_dword v137, off, s[0:3], 0 offset:248
	buffer_load_dword v143, off, s[0:3], 0 offset:240
	buffer_load_dword v145, off, s[0:3], 0 offset:232
	buffer_load_dword v121, off, s[0:3], 0 offset:224
	buffer_load_dword v146, off, s[0:3], 0 offset:236
	buffer_load_dword v144, off, s[0:3], 0 offset:244
	s_waitcnt vmcnt(23) lgkmcnt(0)
	v_fma_f64 v[113:114], v[123:124], v[117:118], v[113:114]
	s_waitcnt vmcnt(18)
	v_fma_f64 v[123:124], v[125:126], v[119:120], v[113:114]
	ds_read2_b64 v[113:116], v112 offset0:77 offset1:78
	ds_read2_b64 v[117:120], v112 offset0:79 offset1:80
	buffer_load_dword v138, off, s[0:3], 0 offset:252
	s_waitcnt vmcnt(18) lgkmcnt(1)
	v_fma_f64 v[113:114], v[131:132], v[113:114], v[123:124]
	s_waitcnt vmcnt(17)
	v_fma_f64 v[113:114], v[129:130], v[115:116], v[113:114]
	buffer_load_dword v124, off, s[0:3], 0 offset:260
	buffer_load_dword v125, off, s[0:3], 0 offset:280
	;; [unrolled: 1-line block ×7, first 2 shown]
	s_waitcnt vmcnt(23) lgkmcnt(0)
	v_fma_f64 v[113:114], v[127:128], v[117:118], v[113:114]
	s_waitcnt vmcnt(18)
	v_fma_f64 v[126:127], v[133:134], v[119:120], v[113:114]
	ds_read2_b64 v[113:116], v112 offset0:81 offset1:82
	ds_read2_b64 v[117:120], v112 offset0:83 offset1:84
	s_waitcnt vmcnt(17) lgkmcnt(1)
	v_fma_f64 v[113:114], v[141:142], v[113:114], v[126:127]
	buffer_load_dword v126, off, s[0:3], 0 offset:284
	s_waitcnt vmcnt(17)
	v_fma_f64 v[113:114], v[139:140], v[115:116], v[113:114]
	buffer_load_dword v128, off, s[0:3], 0 offset:292
	buffer_load_dword v133, off, s[0:3], 0 offset:312
	;; [unrolled: 1-line block ×8, first 2 shown]
	s_waitcnt vmcnt(24) lgkmcnt(0)
	v_fma_f64 v[113:114], v[135:136], v[117:118], v[113:114]
	s_waitcnt vmcnt(19)
	v_fma_f64 v[121:122], v[121:122], v[119:120], v[113:114]
	ds_read2_b64 v[113:116], v112 offset0:85 offset1:86
	ds_read2_b64 v[117:120], v112 offset0:87 offset1:88
	s_waitcnt vmcnt(18) lgkmcnt(1)
	v_fma_f64 v[113:114], v[145:146], v[113:114], v[121:122]
	s_waitcnt vmcnt(17)
	v_fma_f64 v[113:114], v[143:144], v[115:116], v[113:114]
	buffer_load_dword v122, off, s[0:3], 0 offset:324
	buffer_load_dword v135, off, s[0:3], 0 offset:344
	;; [unrolled: 1-line block ×7, first 2 shown]
	s_waitcnt vmcnt(23) lgkmcnt(0)
	v_fma_f64 v[113:114], v[137:138], v[117:118], v[113:114]
	s_waitcnt vmcnt(18)
	v_fma_f64 v[123:124], v[123:124], v[119:120], v[113:114]
	ds_read2_b64 v[113:116], v112 offset0:89 offset1:90
	ds_read2_b64 v[117:120], v112 offset0:91 offset1:92
	buffer_load_dword v136, off, s[0:3], 0 offset:348
	s_waitcnt vmcnt(18) lgkmcnt(1)
	v_fma_f64 v[113:114], v[131:132], v[113:114], v[123:124]
	s_waitcnt vmcnt(17)
	v_fma_f64 v[113:114], v[129:130], v[115:116], v[113:114]
	buffer_load_dword v124, off, s[0:3], 0 offset:356
	buffer_load_dword v129, off, s[0:3], 0 offset:376
	;; [unrolled: 1-line block ×8, first 2 shown]
	s_waitcnt vmcnt(24) lgkmcnt(0)
	v_fma_f64 v[113:114], v[125:126], v[117:118], v[113:114]
	s_waitcnt vmcnt(19)
	v_fma_f64 v[125:126], v[127:128], v[119:120], v[113:114]
	ds_read2_b64 v[113:116], v112 offset0:93 offset1:94
	ds_read2_b64 v[117:120], v112 offset0:95 offset1:96
	s_waitcnt vmcnt(18) lgkmcnt(1)
	v_fma_f64 v[113:114], v[141:142], v[113:114], v[125:126]
	s_waitcnt vmcnt(17)
	v_fma_f64 v[113:114], v[139:140], v[115:116], v[113:114]
	buffer_load_dword v126, off, s[0:3], 0 offset:388
	buffer_load_dword v127, off, s[0:3], 0 offset:408
	buffer_load_dword v139, off, s[0:3], 0 offset:400
	buffer_load_dword v141, off, s[0:3], 0 offset:392
	buffer_load_dword v125, off, s[0:3], 0 offset:384
	buffer_load_dword v142, off, s[0:3], 0 offset:396
	buffer_load_dword v140, off, s[0:3], 0 offset:404
	buffer_load_dword v128, off, s[0:3], 0 offset:412
	s_waitcnt vmcnt(24) lgkmcnt(0)
	v_fma_f64 v[113:114], v[133:134], v[117:118], v[113:114]
	s_waitcnt vmcnt(19)
	v_fma_f64 v[121:122], v[121:122], v[119:120], v[113:114]
	ds_read2_b64 v[113:116], v112 offset0:97 offset1:98
	ds_read2_b64 v[117:120], v112 offset0:99 offset1:100
	s_waitcnt vmcnt(18) lgkmcnt(1)
	v_fma_f64 v[113:114], v[145:146], v[113:114], v[121:122]
	s_waitcnt vmcnt(17)
	v_fma_f64 v[113:114], v[143:144], v[115:116], v[113:114]
	buffer_load_dword v122, off, s[0:3], 0 offset:420
	buffer_load_dword v133, off, s[0:3], 0 offset:432
	;; [unrolled: 1-line block ×6, first 2 shown]
	s_waitcnt vmcnt(22) lgkmcnt(0)
	v_fma_f64 v[113:114], v[135:136], v[117:118], v[113:114]
	s_waitcnt vmcnt(17)
	v_fma_f64 v[123:124], v[123:124], v[119:120], v[113:114]
	ds_read2_b64 v[113:116], v112 offset0:101 offset1:102
	buffer_load_dword v135, off, s[0:3], 0 offset:32
	buffer_load_dword v136, off, s[0:3], 0 offset:36
	ds_read2_b64 v[117:120], v112 offset0:103 offset1:104
	s_waitcnt vmcnt(18) lgkmcnt(1)
	v_fma_f64 v[113:114], v[137:138], v[113:114], v[123:124]
	s_waitcnt vmcnt(17)
	v_fma_f64 v[113:114], v[131:132], v[115:116], v[113:114]
	s_waitcnt vmcnt(16) lgkmcnt(0)
	v_fma_f64 v[113:114], v[129:130], v[117:118], v[113:114]
	s_waitcnt vmcnt(11)
	v_fma_f64 v[123:124], v[125:126], v[119:120], v[113:114]
	ds_read2_b64 v[113:116], v112 offset0:105 offset1:106
	ds_read2_b64 v[117:120], v112 offset0:107 offset1:108
	s_waitcnt vmcnt(10) lgkmcnt(1)
	v_fma_f64 v[113:114], v[141:142], v[113:114], v[123:124]
	s_waitcnt vmcnt(9)
	v_fma_f64 v[113:114], v[139:140], v[115:116], v[113:114]
	s_waitcnt vmcnt(8) lgkmcnt(0)
	v_fma_f64 v[113:114], v[127:128], v[117:118], v[113:114]
	s_waitcnt vmcnt(4)
	v_fma_f64 v[116:117], v[121:122], v[119:120], v[113:114]
	ds_read2_b64 v[112:115], v112 offset0:109 offset1:110
	s_waitcnt vmcnt(3) lgkmcnt(0)
	v_fma_f64 v[112:113], v[143:144], v[112:113], v[116:117]
	s_waitcnt vmcnt(2)
	v_fma_f64 v[112:113], v[133:134], v[114:115], v[112:113]
	s_waitcnt vmcnt(0)
	v_add_f64 v[112:113], v[135:136], -v[112:113]
	buffer_store_dword v113, off, s[0:3], 0 offset:36
	buffer_store_dword v112, off, s[0:3], 0 offset:32
	s_and_saveexec_b64 s[4:5], vcc
	s_cbranch_execz .LBB118_331
; %bb.330:
	buffer_load_dword v112, off, s[0:3], 0 offset:24
	buffer_load_dword v113, off, s[0:3], 0 offset:28
	v_mov_b32_e32 v114, 0
	buffer_store_dword v114, off, s[0:3], 0 offset:24
	buffer_store_dword v114, off, s[0:3], 0 offset:28
	s_waitcnt vmcnt(2)
	ds_write_b64 v111, v[112:113]
.LBB118_331:
	s_or_b64 exec, exec, s[4:5]
	s_waitcnt lgkmcnt(0)
	; wave barrier
	buffer_load_dword v121, off, s[0:3], 0 offset:32
	buffer_load_dword v122, off, s[0:3], 0 offset:36
	;; [unrolled: 1-line block ×22, first 2 shown]
	v_mov_b32_e32 v112, 0
	ds_read_b128 v[113:116], v112 offset:480
	ds_read_b128 v[117:120], v112 offset:496
	v_cmp_lt_u32_e32 vcc, 2, v0
	s_waitcnt vmcnt(20) lgkmcnt(1)
	v_fma_f64 v[113:114], v[121:122], v[113:114], 0
	s_waitcnt vmcnt(18)
	v_fma_f64 v[113:114], v[123:124], v[115:116], v[113:114]
	buffer_load_dword v122, off, s[0:3], 0 offset:124
	buffer_load_dword v123, off, s[0:3], 0 offset:144
	;; [unrolled: 1-line block ×7, first 2 shown]
	s_waitcnt vmcnt(23) lgkmcnt(0)
	v_fma_f64 v[113:114], v[125:126], v[117:118], v[113:114]
	s_waitcnt vmcnt(21)
	v_fma_f64 v[124:125], v[127:128], v[119:120], v[113:114]
	ds_read_b128 v[113:116], v112 offset:512
	ds_read_b128 v[117:120], v112 offset:528
	s_waitcnt vmcnt(19) lgkmcnt(1)
	v_fma_f64 v[113:114], v[129:130], v[113:114], v[124:125]
	buffer_load_dword v124, off, s[0:3], 0 offset:148
	s_waitcnt vmcnt(18)
	v_fma_f64 v[113:114], v[131:132], v[115:116], v[113:114]
	buffer_load_dword v126, off, s[0:3], 0 offset:156
	buffer_load_dword v127, off, s[0:3], 0 offset:176
	;; [unrolled: 1-line block ×8, first 2 shown]
	s_waitcnt vmcnt(24) lgkmcnt(0)
	v_fma_f64 v[113:114], v[133:134], v[117:118], v[113:114]
	s_waitcnt vmcnt(19)
	v_fma_f64 v[133:134], v[135:136], v[119:120], v[113:114]
	ds_read_b128 v[113:116], v112 offset:544
	ds_read_b128 v[117:120], v112 offset:560
	s_waitcnt vmcnt(18) lgkmcnt(1)
	v_fma_f64 v[113:114], v[141:142], v[113:114], v[133:134]
	s_waitcnt vmcnt(17)
	v_fma_f64 v[113:114], v[139:140], v[115:116], v[113:114]
	buffer_load_dword v134, off, s[0:3], 0 offset:188
	buffer_load_dword v135, off, s[0:3], 0 offset:208
	;; [unrolled: 1-line block ×8, first 2 shown]
	s_waitcnt vmcnt(24) lgkmcnt(0)
	v_fma_f64 v[113:114], v[137:138], v[117:118], v[113:114]
	s_waitcnt vmcnt(19)
	v_fma_f64 v[121:122], v[121:122], v[119:120], v[113:114]
	ds_read_b128 v[113:116], v112 offset:576
	ds_read_b128 v[117:120], v112 offset:592
	s_waitcnt vmcnt(18) lgkmcnt(1)
	v_fma_f64 v[113:114], v[145:146], v[113:114], v[121:122]
	s_waitcnt vmcnt(17)
	v_fma_f64 v[113:114], v[143:144], v[115:116], v[113:114]
	buffer_load_dword v122, off, s[0:3], 0 offset:220
	buffer_load_dword v137, off, s[0:3], 0 offset:240
	;; [unrolled: 1-line block ×7, first 2 shown]
	s_waitcnt vmcnt(23) lgkmcnt(0)
	v_fma_f64 v[113:114], v[123:124], v[117:118], v[113:114]
	s_waitcnt vmcnt(18)
	v_fma_f64 v[123:124], v[125:126], v[119:120], v[113:114]
	ds_read_b128 v[113:116], v112 offset:608
	ds_read_b128 v[117:120], v112 offset:624
	buffer_load_dword v138, off, s[0:3], 0 offset:244
	s_waitcnt vmcnt(18) lgkmcnt(1)
	v_fma_f64 v[113:114], v[131:132], v[113:114], v[123:124]
	s_waitcnt vmcnt(17)
	v_fma_f64 v[113:114], v[129:130], v[115:116], v[113:114]
	buffer_load_dword v124, off, s[0:3], 0 offset:252
	buffer_load_dword v125, off, s[0:3], 0 offset:272
	;; [unrolled: 1-line block ×7, first 2 shown]
	s_waitcnt vmcnt(23) lgkmcnt(0)
	v_fma_f64 v[113:114], v[127:128], v[117:118], v[113:114]
	s_waitcnt vmcnt(18)
	v_fma_f64 v[126:127], v[133:134], v[119:120], v[113:114]
	ds_read_b128 v[113:116], v112 offset:640
	ds_read_b128 v[117:120], v112 offset:656
	s_waitcnt vmcnt(17) lgkmcnt(1)
	v_fma_f64 v[113:114], v[141:142], v[113:114], v[126:127]
	buffer_load_dword v126, off, s[0:3], 0 offset:276
	s_waitcnt vmcnt(17)
	v_fma_f64 v[113:114], v[139:140], v[115:116], v[113:114]
	buffer_load_dword v128, off, s[0:3], 0 offset:284
	buffer_load_dword v133, off, s[0:3], 0 offset:304
	;; [unrolled: 1-line block ×8, first 2 shown]
	s_waitcnt vmcnt(24) lgkmcnt(0)
	v_fma_f64 v[113:114], v[135:136], v[117:118], v[113:114]
	s_waitcnt vmcnt(19)
	v_fma_f64 v[121:122], v[121:122], v[119:120], v[113:114]
	ds_read_b128 v[113:116], v112 offset:672
	ds_read_b128 v[117:120], v112 offset:688
	s_waitcnt vmcnt(18) lgkmcnt(1)
	v_fma_f64 v[113:114], v[145:146], v[113:114], v[121:122]
	s_waitcnt vmcnt(17)
	v_fma_f64 v[113:114], v[143:144], v[115:116], v[113:114]
	buffer_load_dword v122, off, s[0:3], 0 offset:316
	buffer_load_dword v135, off, s[0:3], 0 offset:336
	;; [unrolled: 1-line block ×7, first 2 shown]
	s_waitcnt vmcnt(23) lgkmcnt(0)
	v_fma_f64 v[113:114], v[137:138], v[117:118], v[113:114]
	s_waitcnt vmcnt(18)
	v_fma_f64 v[123:124], v[123:124], v[119:120], v[113:114]
	ds_read_b128 v[113:116], v112 offset:704
	ds_read_b128 v[117:120], v112 offset:720
	buffer_load_dword v136, off, s[0:3], 0 offset:340
	s_waitcnt vmcnt(18) lgkmcnt(1)
	v_fma_f64 v[113:114], v[131:132], v[113:114], v[123:124]
	s_waitcnt vmcnt(17)
	v_fma_f64 v[113:114], v[129:130], v[115:116], v[113:114]
	buffer_load_dword v124, off, s[0:3], 0 offset:348
	buffer_load_dword v129, off, s[0:3], 0 offset:368
	buffer_load_dword v131, off, s[0:3], 0 offset:360
	buffer_load_dword v137, off, s[0:3], 0 offset:352
	buffer_load_dword v123, off, s[0:3], 0 offset:344
	buffer_load_dword v138, off, s[0:3], 0 offset:356
	buffer_load_dword v132, off, s[0:3], 0 offset:364
	buffer_load_dword v130, off, s[0:3], 0 offset:372
	s_waitcnt vmcnt(24) lgkmcnt(0)
	v_fma_f64 v[113:114], v[125:126], v[117:118], v[113:114]
	s_waitcnt vmcnt(19)
	v_fma_f64 v[125:126], v[127:128], v[119:120], v[113:114]
	ds_read_b128 v[113:116], v112 offset:736
	ds_read_b128 v[117:120], v112 offset:752
	s_waitcnt vmcnt(18) lgkmcnt(1)
	v_fma_f64 v[113:114], v[141:142], v[113:114], v[125:126]
	s_waitcnt vmcnt(17)
	v_fma_f64 v[113:114], v[139:140], v[115:116], v[113:114]
	buffer_load_dword v126, off, s[0:3], 0 offset:380
	buffer_load_dword v127, off, s[0:3], 0 offset:400
	buffer_load_dword v139, off, s[0:3], 0 offset:392
	buffer_load_dword v141, off, s[0:3], 0 offset:384
	buffer_load_dword v125, off, s[0:3], 0 offset:376
	buffer_load_dword v142, off, s[0:3], 0 offset:388
	buffer_load_dword v140, off, s[0:3], 0 offset:396
	buffer_load_dword v128, off, s[0:3], 0 offset:404
	s_waitcnt vmcnt(24) lgkmcnt(0)
	v_fma_f64 v[113:114], v[133:134], v[117:118], v[113:114]
	s_waitcnt vmcnt(19)
	v_fma_f64 v[121:122], v[121:122], v[119:120], v[113:114]
	ds_read_b128 v[113:116], v112 offset:768
	ds_read_b128 v[117:120], v112 offset:784
	;; [unrolled: 18-line block ×3, first 2 shown]
	s_waitcnt vmcnt(18) lgkmcnt(1)
	v_fma_f64 v[113:114], v[137:138], v[113:114], v[123:124]
	buffer_load_dword v123, off, s[0:3], 0 offset:24
	buffer_load_dword v124, off, s[0:3], 0 offset:28
	s_waitcnt vmcnt(19)
	v_fma_f64 v[113:114], v[131:132], v[115:116], v[113:114]
	s_waitcnt vmcnt(18) lgkmcnt(0)
	v_fma_f64 v[113:114], v[129:130], v[117:118], v[113:114]
	s_waitcnt vmcnt(13)
	v_fma_f64 v[125:126], v[125:126], v[119:120], v[113:114]
	ds_read_b128 v[113:116], v112 offset:832
	ds_read_b128 v[117:120], v112 offset:848
	s_waitcnt vmcnt(12) lgkmcnt(1)
	v_fma_f64 v[113:114], v[141:142], v[113:114], v[125:126]
	s_waitcnt vmcnt(11)
	v_fma_f64 v[113:114], v[139:140], v[115:116], v[113:114]
	s_waitcnt vmcnt(10) lgkmcnt(0)
	v_fma_f64 v[113:114], v[127:128], v[117:118], v[113:114]
	s_waitcnt vmcnt(5)
	v_fma_f64 v[117:118], v[121:122], v[119:120], v[113:114]
	ds_read_b128 v[113:116], v112 offset:864
	ds_read_b64 v[119:120], v112 offset:880
	s_waitcnt vmcnt(4) lgkmcnt(1)
	v_fma_f64 v[113:114], v[145:146], v[113:114], v[117:118]
	s_waitcnt vmcnt(3)
	v_fma_f64 v[113:114], v[143:144], v[115:116], v[113:114]
	s_waitcnt vmcnt(2) lgkmcnt(0)
	v_fma_f64 v[113:114], v[133:134], v[119:120], v[113:114]
	s_waitcnt vmcnt(0)
	v_add_f64 v[113:114], v[123:124], -v[113:114]
	buffer_store_dword v114, off, s[0:3], 0 offset:28
	buffer_store_dword v113, off, s[0:3], 0 offset:24
	s_and_saveexec_b64 s[4:5], vcc
	s_cbranch_execz .LBB118_333
; %bb.332:
	buffer_load_dword v113, off, s[0:3], 0 offset:16
	buffer_load_dword v114, off, s[0:3], 0 offset:20
	s_waitcnt vmcnt(0)
	ds_write_b64 v111, v[113:114]
	buffer_store_dword v112, off, s[0:3], 0 offset:16
	buffer_store_dword v112, off, s[0:3], 0 offset:20
.LBB118_333:
	s_or_b64 exec, exec, s[4:5]
	s_waitcnt lgkmcnt(0)
	; wave barrier
	buffer_load_dword v121, off, s[0:3], 0 offset:24
	buffer_load_dword v122, off, s[0:3], 0 offset:28
	;; [unrolled: 1-line block ×22, first 2 shown]
	ds_read2_b64 v[113:116], v112 offset0:59 offset1:60
	ds_read2_b64 v[117:120], v112 offset0:61 offset1:62
	v_cmp_lt_u32_e32 vcc, 1, v0
	s_waitcnt vmcnt(20) lgkmcnt(1)
	v_fma_f64 v[113:114], v[121:122], v[113:114], 0
	s_waitcnt vmcnt(18)
	v_fma_f64 v[113:114], v[123:124], v[115:116], v[113:114]
	buffer_load_dword v122, off, s[0:3], 0 offset:116
	buffer_load_dword v123, off, s[0:3], 0 offset:136
	;; [unrolled: 1-line block ×7, first 2 shown]
	s_waitcnt vmcnt(23) lgkmcnt(0)
	v_fma_f64 v[113:114], v[125:126], v[117:118], v[113:114]
	s_waitcnt vmcnt(21)
	v_fma_f64 v[124:125], v[127:128], v[119:120], v[113:114]
	ds_read2_b64 v[113:116], v112 offset0:63 offset1:64
	ds_read2_b64 v[117:120], v112 offset0:65 offset1:66
	s_waitcnt vmcnt(19) lgkmcnt(1)
	v_fma_f64 v[113:114], v[129:130], v[113:114], v[124:125]
	buffer_load_dword v124, off, s[0:3], 0 offset:140
	s_waitcnt vmcnt(18)
	v_fma_f64 v[113:114], v[131:132], v[115:116], v[113:114]
	buffer_load_dword v126, off, s[0:3], 0 offset:148
	buffer_load_dword v127, off, s[0:3], 0 offset:168
	;; [unrolled: 1-line block ×8, first 2 shown]
	s_waitcnt vmcnt(24) lgkmcnt(0)
	v_fma_f64 v[113:114], v[133:134], v[117:118], v[113:114]
	s_waitcnt vmcnt(19)
	v_fma_f64 v[133:134], v[135:136], v[119:120], v[113:114]
	ds_read2_b64 v[113:116], v112 offset0:67 offset1:68
	ds_read2_b64 v[117:120], v112 offset0:69 offset1:70
	s_waitcnt vmcnt(18) lgkmcnt(1)
	v_fma_f64 v[113:114], v[141:142], v[113:114], v[133:134]
	s_waitcnt vmcnt(17)
	v_fma_f64 v[113:114], v[139:140], v[115:116], v[113:114]
	buffer_load_dword v134, off, s[0:3], 0 offset:180
	buffer_load_dword v135, off, s[0:3], 0 offset:200
	;; [unrolled: 1-line block ×8, first 2 shown]
	s_waitcnt vmcnt(24) lgkmcnt(0)
	v_fma_f64 v[113:114], v[137:138], v[117:118], v[113:114]
	s_waitcnt vmcnt(19)
	v_fma_f64 v[121:122], v[121:122], v[119:120], v[113:114]
	ds_read2_b64 v[113:116], v112 offset0:71 offset1:72
	ds_read2_b64 v[117:120], v112 offset0:73 offset1:74
	s_waitcnt vmcnt(18) lgkmcnt(1)
	v_fma_f64 v[113:114], v[145:146], v[113:114], v[121:122]
	s_waitcnt vmcnt(17)
	v_fma_f64 v[113:114], v[143:144], v[115:116], v[113:114]
	buffer_load_dword v122, off, s[0:3], 0 offset:212
	buffer_load_dword v137, off, s[0:3], 0 offset:232
	;; [unrolled: 1-line block ×7, first 2 shown]
	s_waitcnt vmcnt(23) lgkmcnt(0)
	v_fma_f64 v[113:114], v[123:124], v[117:118], v[113:114]
	s_waitcnt vmcnt(18)
	v_fma_f64 v[123:124], v[125:126], v[119:120], v[113:114]
	ds_read2_b64 v[113:116], v112 offset0:75 offset1:76
	ds_read2_b64 v[117:120], v112 offset0:77 offset1:78
	buffer_load_dword v138, off, s[0:3], 0 offset:236
	s_waitcnt vmcnt(18) lgkmcnt(1)
	v_fma_f64 v[113:114], v[131:132], v[113:114], v[123:124]
	s_waitcnt vmcnt(17)
	v_fma_f64 v[113:114], v[129:130], v[115:116], v[113:114]
	buffer_load_dword v124, off, s[0:3], 0 offset:244
	buffer_load_dword v125, off, s[0:3], 0 offset:264
	buffer_load_dword v129, off, s[0:3], 0 offset:256
	buffer_load_dword v131, off, s[0:3], 0 offset:248
	buffer_load_dword v123, off, s[0:3], 0 offset:240
	buffer_load_dword v132, off, s[0:3], 0 offset:252
	buffer_load_dword v130, off, s[0:3], 0 offset:260
	s_waitcnt vmcnt(23) lgkmcnt(0)
	v_fma_f64 v[113:114], v[127:128], v[117:118], v[113:114]
	s_waitcnt vmcnt(18)
	v_fma_f64 v[126:127], v[133:134], v[119:120], v[113:114]
	ds_read2_b64 v[113:116], v112 offset0:79 offset1:80
	ds_read2_b64 v[117:120], v112 offset0:81 offset1:82
	s_waitcnt vmcnt(17) lgkmcnt(1)
	v_fma_f64 v[113:114], v[141:142], v[113:114], v[126:127]
	buffer_load_dword v126, off, s[0:3], 0 offset:268
	s_waitcnt vmcnt(17)
	v_fma_f64 v[113:114], v[139:140], v[115:116], v[113:114]
	buffer_load_dword v128, off, s[0:3], 0 offset:276
	buffer_load_dword v133, off, s[0:3], 0 offset:296
	;; [unrolled: 1-line block ×8, first 2 shown]
	s_waitcnt vmcnt(24) lgkmcnt(0)
	v_fma_f64 v[113:114], v[135:136], v[117:118], v[113:114]
	s_waitcnt vmcnt(19)
	v_fma_f64 v[121:122], v[121:122], v[119:120], v[113:114]
	ds_read2_b64 v[113:116], v112 offset0:83 offset1:84
	ds_read2_b64 v[117:120], v112 offset0:85 offset1:86
	s_waitcnt vmcnt(18) lgkmcnt(1)
	v_fma_f64 v[113:114], v[145:146], v[113:114], v[121:122]
	s_waitcnt vmcnt(17)
	v_fma_f64 v[113:114], v[143:144], v[115:116], v[113:114]
	buffer_load_dword v122, off, s[0:3], 0 offset:308
	buffer_load_dword v135, off, s[0:3], 0 offset:328
	;; [unrolled: 1-line block ×7, first 2 shown]
	s_waitcnt vmcnt(23) lgkmcnt(0)
	v_fma_f64 v[113:114], v[137:138], v[117:118], v[113:114]
	s_waitcnt vmcnt(18)
	v_fma_f64 v[123:124], v[123:124], v[119:120], v[113:114]
	ds_read2_b64 v[113:116], v112 offset0:87 offset1:88
	ds_read2_b64 v[117:120], v112 offset0:89 offset1:90
	buffer_load_dword v136, off, s[0:3], 0 offset:332
	s_waitcnt vmcnt(18) lgkmcnt(1)
	v_fma_f64 v[113:114], v[131:132], v[113:114], v[123:124]
	s_waitcnt vmcnt(17)
	v_fma_f64 v[113:114], v[129:130], v[115:116], v[113:114]
	buffer_load_dword v124, off, s[0:3], 0 offset:340
	buffer_load_dword v129, off, s[0:3], 0 offset:360
	buffer_load_dword v131, off, s[0:3], 0 offset:352
	buffer_load_dword v137, off, s[0:3], 0 offset:344
	buffer_load_dword v123, off, s[0:3], 0 offset:336
	buffer_load_dword v138, off, s[0:3], 0 offset:348
	buffer_load_dword v132, off, s[0:3], 0 offset:356
	buffer_load_dword v130, off, s[0:3], 0 offset:364
	s_waitcnt vmcnt(24) lgkmcnt(0)
	v_fma_f64 v[113:114], v[125:126], v[117:118], v[113:114]
	s_waitcnt vmcnt(19)
	v_fma_f64 v[125:126], v[127:128], v[119:120], v[113:114]
	ds_read2_b64 v[113:116], v112 offset0:91 offset1:92
	ds_read2_b64 v[117:120], v112 offset0:93 offset1:94
	s_waitcnt vmcnt(18) lgkmcnt(1)
	v_fma_f64 v[113:114], v[141:142], v[113:114], v[125:126]
	s_waitcnt vmcnt(17)
	v_fma_f64 v[113:114], v[139:140], v[115:116], v[113:114]
	buffer_load_dword v126, off, s[0:3], 0 offset:372
	buffer_load_dword v127, off, s[0:3], 0 offset:392
	buffer_load_dword v139, off, s[0:3], 0 offset:384
	buffer_load_dword v141, off, s[0:3], 0 offset:376
	buffer_load_dword v125, off, s[0:3], 0 offset:368
	buffer_load_dword v142, off, s[0:3], 0 offset:380
	buffer_load_dword v140, off, s[0:3], 0 offset:388
	buffer_load_dword v128, off, s[0:3], 0 offset:396
	s_waitcnt vmcnt(24) lgkmcnt(0)
	v_fma_f64 v[113:114], v[133:134], v[117:118], v[113:114]
	s_waitcnt vmcnt(19)
	v_fma_f64 v[121:122], v[121:122], v[119:120], v[113:114]
	ds_read2_b64 v[113:116], v112 offset0:95 offset1:96
	ds_read2_b64 v[117:120], v112 offset0:97 offset1:98
	;; [unrolled: 18-line block ×3, first 2 shown]
	s_waitcnt vmcnt(18) lgkmcnt(1)
	v_fma_f64 v[113:114], v[137:138], v[113:114], v[123:124]
	buffer_load_dword v124, off, s[0:3], 0 offset:436
	buffer_load_dword v123, off, s[0:3], 0 offset:432
	s_waitcnt vmcnt(19)
	v_fma_f64 v[113:114], v[131:132], v[115:116], v[113:114]
	buffer_load_dword v131, off, s[0:3], 0 offset:16
	buffer_load_dword v132, off, s[0:3], 0 offset:20
	s_waitcnt vmcnt(20) lgkmcnt(0)
	v_fma_f64 v[113:114], v[129:130], v[117:118], v[113:114]
	s_waitcnt vmcnt(15)
	v_fma_f64 v[125:126], v[125:126], v[119:120], v[113:114]
	ds_read2_b64 v[113:116], v112 offset0:103 offset1:104
	ds_read2_b64 v[117:120], v112 offset0:105 offset1:106
	s_waitcnt vmcnt(14) lgkmcnt(1)
	v_fma_f64 v[113:114], v[141:142], v[113:114], v[125:126]
	s_waitcnt vmcnt(13)
	v_fma_f64 v[113:114], v[139:140], v[115:116], v[113:114]
	s_waitcnt vmcnt(12) lgkmcnt(0)
	v_fma_f64 v[113:114], v[127:128], v[117:118], v[113:114]
	s_waitcnt vmcnt(7)
	v_fma_f64 v[121:122], v[121:122], v[119:120], v[113:114]
	ds_read2_b64 v[113:116], v112 offset0:107 offset1:108
	ds_read2_b64 v[117:120], v112 offset0:109 offset1:110
	s_waitcnt vmcnt(6) lgkmcnt(1)
	v_fma_f64 v[112:113], v[145:146], v[113:114], v[121:122]
	s_waitcnt vmcnt(5)
	v_fma_f64 v[112:113], v[143:144], v[115:116], v[112:113]
	s_waitcnt vmcnt(4) lgkmcnt(0)
	v_fma_f64 v[112:113], v[133:134], v[117:118], v[112:113]
	s_waitcnt vmcnt(2)
	v_fma_f64 v[112:113], v[123:124], v[119:120], v[112:113]
	s_waitcnt vmcnt(0)
	v_add_f64 v[112:113], v[131:132], -v[112:113]
	buffer_store_dword v113, off, s[0:3], 0 offset:20
	buffer_store_dword v112, off, s[0:3], 0 offset:16
	s_and_saveexec_b64 s[4:5], vcc
	s_cbranch_execz .LBB118_335
; %bb.334:
	buffer_load_dword v112, off, s[0:3], 0 offset:8
	buffer_load_dword v113, off, s[0:3], 0 offset:12
	v_mov_b32_e32 v114, 0
	buffer_store_dword v114, off, s[0:3], 0 offset:8
	buffer_store_dword v114, off, s[0:3], 0 offset:12
	s_waitcnt vmcnt(2)
	ds_write_b64 v111, v[112:113]
.LBB118_335:
	s_or_b64 exec, exec, s[4:5]
	s_waitcnt lgkmcnt(0)
	; wave barrier
	buffer_load_dword v122, off, s[0:3], 0 offset:16
	buffer_load_dword v123, off, s[0:3], 0 offset:20
	;; [unrolled: 1-line block ×22, first 2 shown]
	v_mov_b32_e32 v113, 0
	ds_read_b128 v[114:117], v113 offset:464
	ds_read_b128 v[118:121], v113 offset:480
	v_cmp_ne_u32_e32 vcc, 0, v0
	s_waitcnt vmcnt(20) lgkmcnt(1)
	v_fma_f64 v[114:115], v[122:123], v[114:115], 0
	s_waitcnt vmcnt(18)
	v_fma_f64 v[114:115], v[124:125], v[116:117], v[114:115]
	buffer_load_dword v123, off, s[0:3], 0 offset:108
	buffer_load_dword v124, off, s[0:3], 0 offset:128
	;; [unrolled: 1-line block ×7, first 2 shown]
	s_waitcnt vmcnt(23) lgkmcnt(0)
	v_fma_f64 v[114:115], v[126:127], v[118:119], v[114:115]
	s_waitcnt vmcnt(21)
	v_fma_f64 v[125:126], v[128:129], v[120:121], v[114:115]
	ds_read_b128 v[114:117], v113 offset:496
	ds_read_b128 v[118:121], v113 offset:512
	s_waitcnt vmcnt(19) lgkmcnt(1)
	v_fma_f64 v[114:115], v[130:131], v[114:115], v[125:126]
	buffer_load_dword v125, off, s[0:3], 0 offset:132
	s_waitcnt vmcnt(18)
	v_fma_f64 v[114:115], v[132:133], v[116:117], v[114:115]
	buffer_load_dword v127, off, s[0:3], 0 offset:140
	buffer_load_dword v128, off, s[0:3], 0 offset:160
	;; [unrolled: 1-line block ×7, first 2 shown]
	s_waitcnt vmcnt(23) lgkmcnt(0)
	v_fma_f64 v[114:115], v[134:135], v[118:119], v[114:115]
	s_waitcnt vmcnt(18)
	v_fma_f64 v[134:135], v[136:137], v[120:121], v[114:115]
	ds_read_b128 v[114:117], v113 offset:528
	ds_read_b128 v[118:121], v113 offset:544
	buffer_load_dword v129, off, s[0:3], 0 offset:164
	s_waitcnt vmcnt(18) lgkmcnt(1)
	v_fma_f64 v[114:115], v[142:143], v[114:115], v[134:135]
	s_waitcnt vmcnt(17)
	v_fma_f64 v[114:115], v[140:141], v[116:117], v[114:115]
	buffer_load_dword v135, off, s[0:3], 0 offset:172
	buffer_load_dword v136, off, s[0:3], 0 offset:192
	;; [unrolled: 1-line block ×8, first 2 shown]
	s_waitcnt vmcnt(24) lgkmcnt(0)
	v_fma_f64 v[114:115], v[138:139], v[118:119], v[114:115]
	s_waitcnt vmcnt(19)
	v_fma_f64 v[122:123], v[122:123], v[120:121], v[114:115]
	ds_read_b128 v[114:117], v113 offset:560
	ds_read_b128 v[118:121], v113 offset:576
	s_waitcnt vmcnt(18) lgkmcnt(1)
	v_fma_f64 v[114:115], v[146:147], v[114:115], v[122:123]
	s_waitcnt vmcnt(17)
	v_fma_f64 v[114:115], v[144:145], v[116:117], v[114:115]
	buffer_load_dword v123, off, s[0:3], 0 offset:204
	buffer_load_dword v138, off, s[0:3], 0 offset:224
	;; [unrolled: 1-line block ×7, first 2 shown]
	s_waitcnt vmcnt(23) lgkmcnt(0)
	v_fma_f64 v[114:115], v[124:125], v[118:119], v[114:115]
	s_waitcnt vmcnt(18)
	v_fma_f64 v[124:125], v[126:127], v[120:121], v[114:115]
	ds_read_b128 v[114:117], v113 offset:592
	ds_read_b128 v[118:121], v113 offset:608
	buffer_load_dword v139, off, s[0:3], 0 offset:228
	s_waitcnt vmcnt(18) lgkmcnt(1)
	v_fma_f64 v[114:115], v[132:133], v[114:115], v[124:125]
	s_waitcnt vmcnt(17)
	v_fma_f64 v[114:115], v[130:131], v[116:117], v[114:115]
	buffer_load_dword v125, off, s[0:3], 0 offset:236
	buffer_load_dword v126, off, s[0:3], 0 offset:256
	buffer_load_dword v130, off, s[0:3], 0 offset:248
	buffer_load_dword v132, off, s[0:3], 0 offset:240
	buffer_load_dword v124, off, s[0:3], 0 offset:232
	buffer_load_dword v133, off, s[0:3], 0 offset:244
	buffer_load_dword v131, off, s[0:3], 0 offset:252
	s_waitcnt vmcnt(23) lgkmcnt(0)
	v_fma_f64 v[114:115], v[128:129], v[118:119], v[114:115]
	s_waitcnt vmcnt(18)
	v_fma_f64 v[127:128], v[134:135], v[120:121], v[114:115]
	ds_read_b128 v[114:117], v113 offset:624
	ds_read_b128 v[118:121], v113 offset:640
	s_waitcnt vmcnt(17) lgkmcnt(1)
	v_fma_f64 v[114:115], v[142:143], v[114:115], v[127:128]
	buffer_load_dword v127, off, s[0:3], 0 offset:260
	s_waitcnt vmcnt(17)
	v_fma_f64 v[114:115], v[140:141], v[116:117], v[114:115]
	buffer_load_dword v129, off, s[0:3], 0 offset:268
	buffer_load_dword v134, off, s[0:3], 0 offset:288
	;; [unrolled: 1-line block ×8, first 2 shown]
	s_waitcnt vmcnt(24) lgkmcnt(0)
	v_fma_f64 v[114:115], v[136:137], v[118:119], v[114:115]
	s_waitcnt vmcnt(19)
	v_fma_f64 v[122:123], v[122:123], v[120:121], v[114:115]
	ds_read_b128 v[114:117], v113 offset:656
	ds_read_b128 v[118:121], v113 offset:672
	s_waitcnt vmcnt(18) lgkmcnt(1)
	v_fma_f64 v[114:115], v[146:147], v[114:115], v[122:123]
	s_waitcnt vmcnt(17)
	v_fma_f64 v[114:115], v[144:145], v[116:117], v[114:115]
	buffer_load_dword v123, off, s[0:3], 0 offset:300
	buffer_load_dword v136, off, s[0:3], 0 offset:320
	;; [unrolled: 1-line block ×7, first 2 shown]
	s_waitcnt vmcnt(23) lgkmcnt(0)
	v_fma_f64 v[114:115], v[138:139], v[118:119], v[114:115]
	s_waitcnt vmcnt(18)
	v_fma_f64 v[124:125], v[124:125], v[120:121], v[114:115]
	ds_read_b128 v[114:117], v113 offset:688
	ds_read_b128 v[118:121], v113 offset:704
	buffer_load_dword v137, off, s[0:3], 0 offset:324
	s_waitcnt vmcnt(18) lgkmcnt(1)
	v_fma_f64 v[114:115], v[132:133], v[114:115], v[124:125]
	s_waitcnt vmcnt(17)
	v_fma_f64 v[114:115], v[130:131], v[116:117], v[114:115]
	buffer_load_dword v125, off, s[0:3], 0 offset:332
	buffer_load_dword v130, off, s[0:3], 0 offset:352
	;; [unrolled: 1-line block ×7, first 2 shown]
	s_waitcnt vmcnt(23) lgkmcnt(0)
	v_fma_f64 v[114:115], v[126:127], v[118:119], v[114:115]
	s_waitcnt vmcnt(18)
	v_fma_f64 v[126:127], v[128:129], v[120:121], v[114:115]
	ds_read_b128 v[114:117], v113 offset:720
	ds_read_b128 v[118:121], v113 offset:736
	buffer_load_dword v131, off, s[0:3], 0 offset:356
	s_waitcnt vmcnt(18) lgkmcnt(1)
	v_fma_f64 v[114:115], v[142:143], v[114:115], v[126:127]
	s_waitcnt vmcnt(17)
	v_fma_f64 v[114:115], v[140:141], v[116:117], v[114:115]
	buffer_load_dword v127, off, s[0:3], 0 offset:364
	buffer_load_dword v128, off, s[0:3], 0 offset:384
	;; [unrolled: 1-line block ×8, first 2 shown]
	s_waitcnt vmcnt(24) lgkmcnt(0)
	v_fma_f64 v[114:115], v[134:135], v[118:119], v[114:115]
	s_waitcnt vmcnt(19)
	v_fma_f64 v[122:123], v[122:123], v[120:121], v[114:115]
	ds_read_b128 v[114:117], v113 offset:752
	ds_read_b128 v[118:121], v113 offset:768
	s_waitcnt vmcnt(18) lgkmcnt(1)
	v_fma_f64 v[114:115], v[146:147], v[114:115], v[122:123]
	s_waitcnt vmcnt(17)
	v_fma_f64 v[114:115], v[144:145], v[116:117], v[114:115]
	buffer_load_dword v123, off, s[0:3], 0 offset:396
	buffer_load_dword v134, off, s[0:3], 0 offset:416
	buffer_load_dword v144, off, s[0:3], 0 offset:408
	buffer_load_dword v146, off, s[0:3], 0 offset:400
	buffer_load_dword v122, off, s[0:3], 0 offset:392
	buffer_load_dword v147, off, s[0:3], 0 offset:404
	buffer_load_dword v145, off, s[0:3], 0 offset:412
	s_waitcnt vmcnt(23) lgkmcnt(0)
	v_fma_f64 v[114:115], v[136:137], v[118:119], v[114:115]
	s_waitcnt vmcnt(18)
	v_fma_f64 v[124:125], v[124:125], v[120:121], v[114:115]
	ds_read_b128 v[114:117], v113 offset:784
	ds_read_b128 v[118:121], v113 offset:800
	buffer_load_dword v135, off, s[0:3], 0 offset:420
	s_waitcnt vmcnt(18) lgkmcnt(1)
	v_fma_f64 v[114:115], v[138:139], v[114:115], v[124:125]
	s_waitcnt vmcnt(17)
	v_fma_f64 v[114:115], v[132:133], v[116:117], v[114:115]
	buffer_load_dword v125, off, s[0:3], 0 offset:428
	buffer_load_dword v132, off, s[0:3], 0 offset:432
	;; [unrolled: 1-line block ×4, first 2 shown]
	s_waitcnt vmcnt(20) lgkmcnt(0)
	v_fma_f64 v[114:115], v[130:131], v[118:119], v[114:115]
	buffer_load_dword v130, off, s[0:3], 0 offset:8
	buffer_load_dword v131, off, s[0:3], 0 offset:12
	s_waitcnt vmcnt(17)
	v_fma_f64 v[126:127], v[126:127], v[120:121], v[114:115]
	ds_read_b128 v[114:117], v113 offset:816
	ds_read_b128 v[118:121], v113 offset:832
	s_waitcnt vmcnt(16) lgkmcnt(1)
	v_fma_f64 v[114:115], v[142:143], v[114:115], v[126:127]
	s_waitcnt vmcnt(15)
	v_fma_f64 v[114:115], v[140:141], v[116:117], v[114:115]
	s_waitcnt vmcnt(14) lgkmcnt(0)
	v_fma_f64 v[114:115], v[128:129], v[118:119], v[114:115]
	s_waitcnt vmcnt(9)
	v_fma_f64 v[122:123], v[122:123], v[120:121], v[114:115]
	ds_read_b128 v[114:117], v113 offset:848
	ds_read_b128 v[118:121], v113 offset:864
	s_waitcnt vmcnt(8) lgkmcnt(1)
	v_fma_f64 v[114:115], v[146:147], v[114:115], v[122:123]
	s_waitcnt vmcnt(7)
	v_fma_f64 v[114:115], v[144:145], v[116:117], v[114:115]
	ds_read_b64 v[116:117], v113 offset:880
	s_waitcnt vmcnt(6) lgkmcnt(1)
	v_fma_f64 v[114:115], v[134:135], v[118:119], v[114:115]
	s_waitcnt vmcnt(3)
	v_fma_f64 v[114:115], v[124:125], v[120:121], v[114:115]
	s_waitcnt vmcnt(2) lgkmcnt(0)
	v_fma_f64 v[114:115], v[132:133], v[116:117], v[114:115]
	s_waitcnt vmcnt(0)
	v_add_f64 v[114:115], v[130:131], -v[114:115]
	buffer_store_dword v115, off, s[0:3], 0 offset:12
	buffer_store_dword v114, off, s[0:3], 0 offset:8
	s_and_saveexec_b64 s[4:5], vcc
	s_cbranch_execz .LBB118_337
; %bb.336:
	buffer_load_dword v114, off, s[0:3], 0
	buffer_load_dword v115, off, s[0:3], 0 offset:4
	s_waitcnt vmcnt(0)
	ds_write_b64 v111, v[114:115]
	buffer_store_dword v113, off, s[0:3], 0
	buffer_store_dword v113, off, s[0:3], 0 offset:4
.LBB118_337:
	s_or_b64 exec, exec, s[4:5]
	s_waitcnt lgkmcnt(0)
	; wave barrier
	buffer_load_dword v111, off, s[0:3], 0 offset:8
	buffer_load_dword v112, off, s[0:3], 0 offset:12
	;; [unrolled: 1-line block ×22, first 2 shown]
	ds_read2_b64 v[114:117], v113 offset0:57 offset1:58
	ds_read2_b64 v[118:121], v113 offset0:59 offset1:60
	s_and_b64 vcc, exec, s[14:15]
	s_waitcnt vmcnt(20) lgkmcnt(1)
	v_fma_f64 v[111:112], v[111:112], v[114:115], 0
	s_waitcnt vmcnt(18)
	v_fma_f64 v[111:112], v[122:123], v[116:117], v[111:112]
	buffer_load_dword v123, off, s[0:3], 0 offset:100
	buffer_load_dword v142, off, s[0:3], 0 offset:120
	buffer_load_dword v144, off, s[0:3], 0 offset:112
	buffer_load_dword v146, off, s[0:3], 0 offset:104
	buffer_load_dword v122, off, s[0:3], 0 offset:96
	buffer_load_dword v147, off, s[0:3], 0 offset:108
	buffer_load_dword v145, off, s[0:3], 0 offset:116
	buffer_load_dword v143, off, s[0:3], 0 offset:124
	ds_read2_b64 v[114:117], v113 offset0:61 offset1:62
	s_waitcnt vmcnt(24) lgkmcnt(1)
	v_fma_f64 v[111:112], v[124:125], v[118:119], v[111:112]
	s_waitcnt vmcnt(22)
	v_fma_f64 v[111:112], v[126:127], v[120:121], v[111:112]
	ds_read2_b64 v[118:121], v113 offset0:63 offset1:64
	s_waitcnt vmcnt(20) lgkmcnt(1)
	v_fma_f64 v[111:112], v[128:129], v[114:115], v[111:112]
	s_waitcnt vmcnt(18)
	v_fma_f64 v[111:112], v[130:131], v[116:117], v[111:112]
	buffer_load_dword v125, off, s[0:3], 0 offset:132
	buffer_load_dword v126, off, s[0:3], 0 offset:152
	buffer_load_dword v128, off, s[0:3], 0 offset:144
	buffer_load_dword v130, off, s[0:3], 0 offset:136
	buffer_load_dword v124, off, s[0:3], 0 offset:128
	buffer_load_dword v131, off, s[0:3], 0 offset:140
	buffer_load_dword v129, off, s[0:3], 0 offset:148
	s_waitcnt vmcnt(23) lgkmcnt(0)
	v_fma_f64 v[111:112], v[132:133], v[118:119], v[111:112]
	s_waitcnt vmcnt(18)
	v_fma_f64 v[111:112], v[134:135], v[120:121], v[111:112]
	ds_read2_b64 v[114:117], v113 offset0:65 offset1:66
	ds_read2_b64 v[118:121], v113 offset0:67 offset1:68
	buffer_load_dword v127, off, s[0:3], 0 offset:156
	s_waitcnt vmcnt(18) lgkmcnt(1)
	v_fma_f64 v[111:112], v[140:141], v[114:115], v[111:112]
	s_waitcnt vmcnt(17)
	v_fma_f64 v[111:112], v[138:139], v[116:117], v[111:112]
	buffer_load_dword v133, off, s[0:3], 0 offset:164
	buffer_load_dword v134, off, s[0:3], 0 offset:184
	buffer_load_dword v138, off, s[0:3], 0 offset:176
	buffer_load_dword v140, off, s[0:3], 0 offset:168
	buffer_load_dword v132, off, s[0:3], 0 offset:160
	buffer_load_dword v141, off, s[0:3], 0 offset:172
	buffer_load_dword v139, off, s[0:3], 0 offset:180
	buffer_load_dword v135, off, s[0:3], 0 offset:188
	ds_read2_b64 v[114:117], v113 offset0:69 offset1:70
	s_waitcnt vmcnt(24) lgkmcnt(1)
	v_fma_f64 v[111:112], v[136:137], v[118:119], v[111:112]
	s_waitcnt vmcnt(19)
	v_fma_f64 v[111:112], v[122:123], v[120:121], v[111:112]
	ds_read2_b64 v[118:121], v113 offset0:71 offset1:72
	s_waitcnt vmcnt(18) lgkmcnt(1)
	v_fma_f64 v[111:112], v[146:147], v[114:115], v[111:112]
	s_waitcnt vmcnt(17)
	v_fma_f64 v[111:112], v[144:145], v[116:117], v[111:112]
	buffer_load_dword v123, off, s[0:3], 0 offset:196
	buffer_load_dword v136, off, s[0:3], 0 offset:216
	buffer_load_dword v144, off, s[0:3], 0 offset:208
	buffer_load_dword v146, off, s[0:3], 0 offset:200
	buffer_load_dword v122, off, s[0:3], 0 offset:192
	buffer_load_dword v147, off, s[0:3], 0 offset:204
	buffer_load_dword v145, off, s[0:3], 0 offset:212
	buffer_load_dword v137, off, s[0:3], 0 offset:220
	ds_read2_b64 v[114:117], v113 offset0:73 offset1:74
	s_waitcnt vmcnt(24) lgkmcnt(1)
	v_fma_f64 v[111:112], v[142:143], v[118:119], v[111:112]
	s_waitcnt vmcnt(19)
	v_fma_f64 v[111:112], v[124:125], v[120:121], v[111:112]
	ds_read2_b64 v[118:121], v113 offset0:75 offset1:76
	s_waitcnt vmcnt(18) lgkmcnt(1)
	v_fma_f64 v[111:112], v[130:131], v[114:115], v[111:112]
	s_waitcnt vmcnt(17)
	v_fma_f64 v[111:112], v[128:129], v[116:117], v[111:112]
	buffer_load_dword v125, off, s[0:3], 0 offset:228
	buffer_load_dword v128, off, s[0:3], 0 offset:248
	buffer_load_dword v130, off, s[0:3], 0 offset:240
	buffer_load_dword v142, off, s[0:3], 0 offset:232
	buffer_load_dword v124, off, s[0:3], 0 offset:224
	buffer_load_dword v143, off, s[0:3], 0 offset:236
	buffer_load_dword v131, off, s[0:3], 0 offset:244
	s_waitcnt vmcnt(23) lgkmcnt(0)
	v_fma_f64 v[111:112], v[126:127], v[118:119], v[111:112]
	s_waitcnt vmcnt(18)
	v_fma_f64 v[111:112], v[132:133], v[120:121], v[111:112]
	ds_read2_b64 v[114:117], v113 offset0:77 offset1:78
	ds_read2_b64 v[118:121], v113 offset0:79 offset1:80
	buffer_load_dword v129, off, s[0:3], 0 offset:252
	s_waitcnt vmcnt(18) lgkmcnt(1)
	v_fma_f64 v[111:112], v[140:141], v[114:115], v[111:112]
	s_waitcnt vmcnt(17)
	v_fma_f64 v[111:112], v[138:139], v[116:117], v[111:112]
	buffer_load_dword v127, off, s[0:3], 0 offset:260
	buffer_load_dword v132, off, s[0:3], 0 offset:280
	buffer_load_dword v138, off, s[0:3], 0 offset:272
	buffer_load_dword v140, off, s[0:3], 0 offset:264
	buffer_load_dword v126, off, s[0:3], 0 offset:256
	buffer_load_dword v141, off, s[0:3], 0 offset:268
	buffer_load_dword v139, off, s[0:3], 0 offset:276
	buffer_load_dword v133, off, s[0:3], 0 offset:284
	ds_read2_b64 v[114:117], v113 offset0:81 offset1:82
	s_waitcnt vmcnt(24) lgkmcnt(1)
	v_fma_f64 v[111:112], v[134:135], v[118:119], v[111:112]
	s_waitcnt vmcnt(19)
	v_fma_f64 v[111:112], v[122:123], v[120:121], v[111:112]
	ds_read2_b64 v[118:121], v113 offset0:83 offset1:84
	;; [unrolled: 54-line block ×3, first 2 shown]
	s_waitcnt vmcnt(18) lgkmcnt(1)
	v_fma_f64 v[111:112], v[146:147], v[114:115], v[111:112]
	s_waitcnt vmcnt(17)
	v_fma_f64 v[111:112], v[144:145], v[116:117], v[111:112]
	buffer_load_dword v123, off, s[0:3], 0 offset:388
	buffer_load_dword v132, off, s[0:3], 0 offset:408
	;; [unrolled: 1-line block ×8, first 2 shown]
	ds_read2_b64 v[114:117], v113 offset0:97 offset1:98
	s_waitcnt vmcnt(24) lgkmcnt(1)
	v_fma_f64 v[111:112], v[134:135], v[118:119], v[111:112]
	s_waitcnt vmcnt(19)
	v_fma_f64 v[111:112], v[124:125], v[120:121], v[111:112]
	ds_read2_b64 v[118:121], v113 offset0:99 offset1:100
	s_waitcnt vmcnt(18) lgkmcnt(1)
	v_fma_f64 v[111:112], v[142:143], v[114:115], v[111:112]
	s_waitcnt vmcnt(17)
	v_fma_f64 v[114:115], v[136:137], v[116:117], v[111:112]
	buffer_load_dword v125, off, s[0:3], 0 offset:420
	buffer_load_dword v134, off, s[0:3], 0 offset:432
	buffer_load_dword v111, off, s[0:3], 0 offset:424
	buffer_load_dword v124, off, s[0:3], 0 offset:416
	buffer_load_dword v112, off, s[0:3], 0 offset:428
	buffer_load_dword v135, off, s[0:3], 0 offset:436
	s_waitcnt vmcnt(22) lgkmcnt(0)
	v_fma_f64 v[114:115], v[130:131], v[118:119], v[114:115]
	s_waitcnt vmcnt(17)
	v_fma_f64 v[126:127], v[126:127], v[120:121], v[114:115]
	ds_read2_b64 v[114:117], v113 offset0:101 offset1:102
	buffer_load_dword v130, off, s[0:3], 0
	buffer_load_dword v131, off, s[0:3], 0 offset:4
	ds_read2_b64 v[118:121], v113 offset0:103 offset1:104
	s_waitcnt vmcnt(18) lgkmcnt(1)
	v_fma_f64 v[114:115], v[140:141], v[114:115], v[126:127]
	s_waitcnt vmcnt(17)
	v_fma_f64 v[114:115], v[138:139], v[116:117], v[114:115]
	s_waitcnt vmcnt(16) lgkmcnt(0)
	v_fma_f64 v[114:115], v[128:129], v[118:119], v[114:115]
	s_waitcnt vmcnt(11)
	v_fma_f64 v[122:123], v[122:123], v[120:121], v[114:115]
	ds_read2_b64 v[114:117], v113 offset0:105 offset1:106
	ds_read2_b64 v[118:121], v113 offset0:107 offset1:108
	s_waitcnt vmcnt(10) lgkmcnt(1)
	v_fma_f64 v[114:115], v[146:147], v[114:115], v[122:123]
	s_waitcnt vmcnt(9)
	v_fma_f64 v[114:115], v[144:145], v[116:117], v[114:115]
	s_waitcnt vmcnt(8) lgkmcnt(0)
	v_fma_f64 v[114:115], v[132:133], v[118:119], v[114:115]
	s_waitcnt vmcnt(4)
	v_fma_f64 v[117:118], v[124:125], v[120:121], v[114:115]
	ds_read2_b64 v[113:116], v113 offset0:109 offset1:110
	s_waitcnt vmcnt(3) lgkmcnt(0)
	v_fma_f64 v[113:114], v[111:112], v[113:114], v[117:118]
	s_waitcnt vmcnt(2)
	v_fma_f64 v[113:114], v[134:135], v[115:116], v[113:114]
	s_waitcnt vmcnt(0)
	v_add_f64 v[113:114], v[130:131], -v[113:114]
	buffer_store_dword v114, off, s[0:3], 0 offset:4
	buffer_store_dword v113, off, s[0:3], 0
	s_cbranch_vccz .LBB118_446
; %bb.338:
	v_mov_b32_e32 v0, 0
	global_load_dword v113, v0, s[12:13] offset:212
	s_waitcnt vmcnt(0)
	v_add_u32_e32 v113, -1, v113
	v_cmp_ne_u32_e32 vcc, 53, v113
	s_cbranch_vccz .LBB118_340
; %bb.339:
	v_lshlrev_b32_e32 v113, 3, v113
	buffer_load_dword v114, v113, s[0:3], 0 offen
	buffer_load_dword v115, v113, s[0:3], 0 offen offset:4
	s_waitcnt vmcnt(1)
	buffer_store_dword v114, off, s[0:3], 0 offset:424
	s_waitcnt vmcnt(1)
	buffer_store_dword v115, off, s[0:3], 0 offset:428
	buffer_store_dword v111, v113, s[0:3], 0 offen
	buffer_store_dword v112, v113, s[0:3], 0 offen offset:4
.LBB118_340:
	global_load_dword v0, v0, s[12:13] offset:208
	s_waitcnt vmcnt(0)
	v_add_u32_e32 v0, -1, v0
	v_cmp_eq_u32_e32 vcc, 52, v0
	s_cbranch_vccnz .LBB118_342
; %bb.341:
	v_lshlrev_b32_e32 v0, 3, v0
	buffer_load_dword v111, v0, s[0:3], 0 offen
	buffer_load_dword v112, v0, s[0:3], 0 offen offset:4
	buffer_load_dword v113, off, s[0:3], 0 offset:420
	buffer_load_dword v114, off, s[0:3], 0 offset:416
	s_waitcnt vmcnt(3)
	buffer_store_dword v111, off, s[0:3], 0 offset:416
	s_waitcnt vmcnt(3)
	buffer_store_dword v112, off, s[0:3], 0 offset:420
	s_waitcnt vmcnt(3)
	buffer_store_dword v113, v0, s[0:3], 0 offen offset:4
	s_waitcnt vmcnt(3)
	buffer_store_dword v114, v0, s[0:3], 0 offen
.LBB118_342:
	v_mov_b32_e32 v0, 0
	global_load_dword v111, v0, s[12:13] offset:204
	s_waitcnt vmcnt(0)
	v_add_u32_e32 v111, -1, v111
	v_cmp_eq_u32_e32 vcc, 51, v111
	s_cbranch_vccnz .LBB118_344
; %bb.343:
	v_lshlrev_b32_e32 v111, 3, v111
	buffer_load_dword v112, v111, s[0:3], 0 offen
	buffer_load_dword v113, v111, s[0:3], 0 offen offset:4
	buffer_load_dword v114, off, s[0:3], 0 offset:408
	buffer_load_dword v115, off, s[0:3], 0 offset:412
	s_waitcnt vmcnt(3)
	buffer_store_dword v112, off, s[0:3], 0 offset:408
	s_waitcnt vmcnt(3)
	buffer_store_dword v113, off, s[0:3], 0 offset:412
	s_waitcnt vmcnt(3)
	buffer_store_dword v114, v111, s[0:3], 0 offen
	s_waitcnt vmcnt(3)
	buffer_store_dword v115, v111, s[0:3], 0 offen offset:4
.LBB118_344:
	global_load_dword v0, v0, s[12:13] offset:200
	s_waitcnt vmcnt(0)
	v_add_u32_e32 v0, -1, v0
	v_cmp_eq_u32_e32 vcc, 50, v0
	s_cbranch_vccnz .LBB118_346
; %bb.345:
	v_lshlrev_b32_e32 v0, 3, v0
	buffer_load_dword v111, v0, s[0:3], 0 offen
	buffer_load_dword v112, v0, s[0:3], 0 offen offset:4
	buffer_load_dword v113, off, s[0:3], 0 offset:404
	buffer_load_dword v114, off, s[0:3], 0 offset:400
	s_waitcnt vmcnt(3)
	buffer_store_dword v111, off, s[0:3], 0 offset:400
	s_waitcnt vmcnt(3)
	buffer_store_dword v112, off, s[0:3], 0 offset:404
	s_waitcnt vmcnt(3)
	buffer_store_dword v113, v0, s[0:3], 0 offen offset:4
	s_waitcnt vmcnt(3)
	buffer_store_dword v114, v0, s[0:3], 0 offen
.LBB118_346:
	v_mov_b32_e32 v0, 0
	global_load_dword v111, v0, s[12:13] offset:196
	s_waitcnt vmcnt(0)
	v_add_u32_e32 v111, -1, v111
	v_cmp_eq_u32_e32 vcc, 49, v111
	s_cbranch_vccnz .LBB118_348
; %bb.347:
	v_lshlrev_b32_e32 v111, 3, v111
	buffer_load_dword v112, v111, s[0:3], 0 offen
	buffer_load_dword v113, v111, s[0:3], 0 offen offset:4
	buffer_load_dword v114, off, s[0:3], 0 offset:392
	buffer_load_dword v115, off, s[0:3], 0 offset:396
	s_waitcnt vmcnt(3)
	buffer_store_dword v112, off, s[0:3], 0 offset:392
	s_waitcnt vmcnt(3)
	buffer_store_dword v113, off, s[0:3], 0 offset:396
	s_waitcnt vmcnt(3)
	buffer_store_dword v114, v111, s[0:3], 0 offen
	s_waitcnt vmcnt(3)
	buffer_store_dword v115, v111, s[0:3], 0 offen offset:4
.LBB118_348:
	;; [unrolled: 41-line block ×26, first 2 shown]
	global_load_dword v0, v0, s[12:13]
	s_nop 0
	buffer_load_dword v113, off, s[0:3], 0
	buffer_load_dword v114, off, s[0:3], 0 offset:4
	s_waitcnt vmcnt(2)
	v_add_u32_e32 v0, -1, v0
	v_cmp_eq_u32_e32 vcc, 0, v0
	s_cbranch_vccnz .LBB118_446
; %bb.445:
	v_lshlrev_b32_e32 v0, 3, v0
	buffer_load_dword v111, v0, s[0:3], 0 offen offset:4
	buffer_load_dword v112, v0, s[0:3], 0 offen
	s_waitcnt vmcnt(1)
	buffer_store_dword v111, off, s[0:3], 0 offset:4
	s_waitcnt vmcnt(1)
	buffer_store_dword v112, off, s[0:3], 0
	buffer_store_dword v114, v0, s[0:3], 0 offen offset:4
	buffer_store_dword v113, v0, s[0:3], 0 offen
	buffer_load_dword v113, off, s[0:3], 0
	s_nop 0
	buffer_load_dword v114, off, s[0:3], 0 offset:4
.LBB118_446:
	s_waitcnt vmcnt(0)
	flat_store_dwordx2 v[1:2], v[113:114]
	buffer_load_dword v0, off, s[0:3], 0 offset:8
	s_nop 0
	buffer_load_dword v1, off, s[0:3], 0 offset:12
	s_waitcnt vmcnt(0)
	flat_store_dwordx2 v[3:4], v[0:1]
	buffer_load_dword v0, off, s[0:3], 0 offset:16
	s_nop 0
	buffer_load_dword v1, off, s[0:3], 0 offset:20
	;; [unrolled: 5-line block ×54, first 2 shown]
	s_waitcnt vmcnt(0)
	flat_store_dwordx2 v[109:110], v[0:1]
	s_endpgm
	.section	.rodata,"a",@progbits
	.p2align	6, 0x0
	.amdhsa_kernel _ZN9rocsolver6v33100L18getri_kernel_smallILi55EdPKPdEEvT1_iilPiilS6_bb
		.amdhsa_group_segment_fixed_size 888
		.amdhsa_private_segment_fixed_size 448
		.amdhsa_kernarg_size 60
		.amdhsa_user_sgpr_count 6
		.amdhsa_user_sgpr_private_segment_buffer 1
		.amdhsa_user_sgpr_dispatch_ptr 0
		.amdhsa_user_sgpr_queue_ptr 0
		.amdhsa_user_sgpr_kernarg_segment_ptr 1
		.amdhsa_user_sgpr_dispatch_id 0
		.amdhsa_user_sgpr_flat_scratch_init 0
		.amdhsa_user_sgpr_private_segment_size 0
		.amdhsa_uses_dynamic_stack 0
		.amdhsa_system_sgpr_private_segment_wavefront_offset 1
		.amdhsa_system_sgpr_workgroup_id_x 1
		.amdhsa_system_sgpr_workgroup_id_y 0
		.amdhsa_system_sgpr_workgroup_id_z 0
		.amdhsa_system_sgpr_workgroup_info 0
		.amdhsa_system_vgpr_workitem_id 0
		.amdhsa_next_free_vgpr 148
		.amdhsa_next_free_sgpr 21
		.amdhsa_reserve_vcc 1
		.amdhsa_reserve_flat_scratch 0
		.amdhsa_float_round_mode_32 0
		.amdhsa_float_round_mode_16_64 0
		.amdhsa_float_denorm_mode_32 3
		.amdhsa_float_denorm_mode_16_64 3
		.amdhsa_dx10_clamp 1
		.amdhsa_ieee_mode 1
		.amdhsa_fp16_overflow 0
		.amdhsa_exception_fp_ieee_invalid_op 0
		.amdhsa_exception_fp_denorm_src 0
		.amdhsa_exception_fp_ieee_div_zero 0
		.amdhsa_exception_fp_ieee_overflow 0
		.amdhsa_exception_fp_ieee_underflow 0
		.amdhsa_exception_fp_ieee_inexact 0
		.amdhsa_exception_int_div_zero 0
	.end_amdhsa_kernel
	.section	.text._ZN9rocsolver6v33100L18getri_kernel_smallILi55EdPKPdEEvT1_iilPiilS6_bb,"axG",@progbits,_ZN9rocsolver6v33100L18getri_kernel_smallILi55EdPKPdEEvT1_iilPiilS6_bb,comdat
.Lfunc_end118:
	.size	_ZN9rocsolver6v33100L18getri_kernel_smallILi55EdPKPdEEvT1_iilPiilS6_bb, .Lfunc_end118-_ZN9rocsolver6v33100L18getri_kernel_smallILi55EdPKPdEEvT1_iilPiilS6_bb
                                        ; -- End function
	.set _ZN9rocsolver6v33100L18getri_kernel_smallILi55EdPKPdEEvT1_iilPiilS6_bb.num_vgpr, 148
	.set _ZN9rocsolver6v33100L18getri_kernel_smallILi55EdPKPdEEvT1_iilPiilS6_bb.num_agpr, 0
	.set _ZN9rocsolver6v33100L18getri_kernel_smallILi55EdPKPdEEvT1_iilPiilS6_bb.numbered_sgpr, 21
	.set _ZN9rocsolver6v33100L18getri_kernel_smallILi55EdPKPdEEvT1_iilPiilS6_bb.num_named_barrier, 0
	.set _ZN9rocsolver6v33100L18getri_kernel_smallILi55EdPKPdEEvT1_iilPiilS6_bb.private_seg_size, 448
	.set _ZN9rocsolver6v33100L18getri_kernel_smallILi55EdPKPdEEvT1_iilPiilS6_bb.uses_vcc, 1
	.set _ZN9rocsolver6v33100L18getri_kernel_smallILi55EdPKPdEEvT1_iilPiilS6_bb.uses_flat_scratch, 0
	.set _ZN9rocsolver6v33100L18getri_kernel_smallILi55EdPKPdEEvT1_iilPiilS6_bb.has_dyn_sized_stack, 0
	.set _ZN9rocsolver6v33100L18getri_kernel_smallILi55EdPKPdEEvT1_iilPiilS6_bb.has_recursion, 0
	.set _ZN9rocsolver6v33100L18getri_kernel_smallILi55EdPKPdEEvT1_iilPiilS6_bb.has_indirect_call, 0
	.section	.AMDGPU.csdata,"",@progbits
; Kernel info:
; codeLenInByte = 74948
; TotalNumSgprs: 25
; NumVgprs: 148
; ScratchSize: 448
; MemoryBound: 1
; FloatMode: 240
; IeeeMode: 1
; LDSByteSize: 888 bytes/workgroup (compile time only)
; SGPRBlocks: 3
; VGPRBlocks: 36
; NumSGPRsForWavesPerEU: 25
; NumVGPRsForWavesPerEU: 148
; Occupancy: 1
; WaveLimiterHint : 1
; COMPUTE_PGM_RSRC2:SCRATCH_EN: 1
; COMPUTE_PGM_RSRC2:USER_SGPR: 6
; COMPUTE_PGM_RSRC2:TRAP_HANDLER: 0
; COMPUTE_PGM_RSRC2:TGID_X_EN: 1
; COMPUTE_PGM_RSRC2:TGID_Y_EN: 0
; COMPUTE_PGM_RSRC2:TGID_Z_EN: 0
; COMPUTE_PGM_RSRC2:TIDIG_COMP_CNT: 0
	.section	.text._ZN9rocsolver6v33100L18getri_kernel_smallILi56EdPKPdEEvT1_iilPiilS6_bb,"axG",@progbits,_ZN9rocsolver6v33100L18getri_kernel_smallILi56EdPKPdEEvT1_iilPiilS6_bb,comdat
	.globl	_ZN9rocsolver6v33100L18getri_kernel_smallILi56EdPKPdEEvT1_iilPiilS6_bb ; -- Begin function _ZN9rocsolver6v33100L18getri_kernel_smallILi56EdPKPdEEvT1_iilPiilS6_bb
	.p2align	8
	.type	_ZN9rocsolver6v33100L18getri_kernel_smallILi56EdPKPdEEvT1_iilPiilS6_bb,@function
_ZN9rocsolver6v33100L18getri_kernel_smallILi56EdPKPdEEvT1_iilPiilS6_bb: ; @_ZN9rocsolver6v33100L18getri_kernel_smallILi56EdPKPdEEvT1_iilPiilS6_bb
; %bb.0:
	s_add_u32 s0, s0, s7
	s_addc_u32 s1, s1, 0
	v_cmp_gt_u32_e32 vcc, 56, v0
	s_and_saveexec_b64 s[8:9], vcc
	s_cbranch_execz .LBB119_232
; %bb.1:
	s_load_dword s18, s[4:5], 0x38
	s_load_dwordx2 s[12:13], s[4:5], 0x0
	s_load_dwordx4 s[8:11], s[4:5], 0x28
	s_waitcnt lgkmcnt(0)
	s_bitcmp1_b32 s18, 8
	s_cselect_b64 s[14:15], -1, 0
	s_ashr_i32 s7, s6, 31
	s_lshl_b64 s[16:17], s[6:7], 3
	s_add_u32 s12, s12, s16
	s_addc_u32 s13, s13, s17
	s_load_dwordx2 s[16:17], s[12:13], 0x0
	s_bfe_u32 s12, s18, 0x10008
	s_cmp_eq_u32 s12, 0
                                        ; implicit-def: $sgpr12_sgpr13
	s_cbranch_scc1 .LBB119_3
; %bb.2:
	s_load_dword s12, s[4:5], 0x20
	s_load_dwordx2 s[18:19], s[4:5], 0x18
	s_mul_i32 s13, s8, s7
	s_mul_hi_u32 s20, s8, s6
	s_add_i32 s20, s20, s13
	s_mul_i32 s9, s9, s6
	s_add_i32 s9, s20, s9
	s_mul_i32 s8, s8, s6
	s_waitcnt lgkmcnt(0)
	s_ashr_i32 s13, s12, 31
	s_lshl_b64 s[8:9], s[8:9], 2
	s_add_u32 s18, s18, s8
	s_addc_u32 s19, s19, s9
	s_lshl_b64 s[8:9], s[12:13], 2
	s_add_u32 s12, s18, s8
	s_addc_u32 s13, s19, s9
.LBB119_3:
	s_load_dwordx2 s[8:9], s[4:5], 0x8
	s_load_dword s18, s[4:5], 0x38
	v_lshlrev_b32_e32 v115, 3, v0
	s_waitcnt lgkmcnt(0)
	s_ashr_i32 s5, s8, 31
	s_mov_b32 s4, s8
	s_lshl_b64 s[4:5], s[4:5], 3
	s_add_u32 s4, s16, s4
	s_addc_u32 s5, s17, s5
	v_mov_b32_e32 v2, s5
	v_add_co_u32_e32 v1, vcc, s4, v115
	v_addc_co_u32_e32 v2, vcc, 0, v2, vcc
	flat_load_dwordx2 v[5:6], v[1:2]
	s_mov_b32 s16, s9
	s_ashr_i32 s17, s9, 31
	s_lshl_b64 s[16:17], s[16:17], 3
	v_mov_b32_e32 v4, s17
	v_add_co_u32_e32 v3, vcc, s16, v1
	v_addc_co_u32_e32 v4, vcc, v2, v4, vcc
	s_add_i32 s8, s9, s9
	v_add_u32_e32 v9, s8, v0
	v_ashrrev_i32_e32 v10, 31, v9
	v_mov_b32_e32 v11, s5
	v_add_u32_e32 v12, s9, v9
	v_ashrrev_i32_e32 v13, 31, v12
	v_mov_b32_e32 v14, s5
	v_mov_b32_e32 v15, s5
	v_mov_b32_e32 v17, s5
	v_mov_b32_e32 v20, s5
	v_mov_b32_e32 v21, s5
	v_mov_b32_e32 v23, s5
	v_mov_b32_e32 v26, s5
	v_mov_b32_e32 v27, s5
	v_mov_b32_e32 v29, s5
	v_mov_b32_e32 v32, s5
	v_mov_b32_e32 v33, s5
	v_mov_b32_e32 v35, s5
	v_mov_b32_e32 v38, s5
	v_mov_b32_e32 v39, s5
	v_mov_b32_e32 v41, s5
	v_mov_b32_e32 v44, s5
	v_mov_b32_e32 v45, s5
	v_mov_b32_e32 v47, s5
	v_mov_b32_e32 v50, s5
	v_mov_b32_e32 v51, s5
	v_mov_b32_e32 v53, s5
	v_mov_b32_e32 v56, s5
	v_mov_b32_e32 v57, s5
	v_mov_b32_e32 v59, s5
	v_mov_b32_e32 v62, s5
	v_mov_b32_e32 v63, s5
	v_mov_b32_e32 v65, s5
	v_mov_b32_e32 v68, s5
	v_mov_b32_e32 v69, s5
	v_mov_b32_e32 v71, s5
	v_mov_b32_e32 v74, s5
	v_mov_b32_e32 v75, s5
	v_mov_b32_e32 v77, s5
	v_mov_b32_e32 v80, s5
	v_mov_b32_e32 v81, s5
	v_mov_b32_e32 v83, s5
	v_mov_b32_e32 v86, s5
	v_mov_b32_e32 v87, s5
	v_mov_b32_e32 v89, s5
	v_mov_b32_e32 v92, s5
	v_mov_b32_e32 v93, s5
	v_mov_b32_e32 v95, s5
	v_mov_b32_e32 v98, s5
	v_mov_b32_e32 v99, s5
	v_mov_b32_e32 v101, s5
	v_mov_b32_e32 v104, s5
	v_mov_b32_e32 v105, s5
	v_mov_b32_e32 v107, s5
	v_mov_b32_e32 v110, s5
	v_mov_b32_e32 v111, s5
	v_mov_b32_e32 v113, s5
	v_mov_b32_e32 v114, s5
	s_bitcmp0_b32 s18, 0
	s_waitcnt vmcnt(0) lgkmcnt(0)
	buffer_store_dword v6, off, s[0:3], 0 offset:4
	buffer_store_dword v5, off, s[0:3], 0
	flat_load_dwordx2 v[7:8], v[3:4]
	v_lshlrev_b64 v[5:6], 3, v[9:10]
	s_waitcnt vmcnt(0) lgkmcnt(0)
	buffer_store_dword v8, off, s[0:3], 0 offset:12
	buffer_store_dword v7, off, s[0:3], 0 offset:8
	v_add_co_u32_e32 v5, vcc, s4, v5
	v_addc_co_u32_e32 v6, vcc, v11, v6, vcc
	flat_load_dwordx2 v[10:11], v[5:6]
	v_lshlrev_b64 v[7:8], 3, v[12:13]
	s_waitcnt vmcnt(0) lgkmcnt(0)
	buffer_store_dword v11, off, s[0:3], 0 offset:20
	buffer_store_dword v10, off, s[0:3], 0 offset:16
	v_add_co_u32_e32 v7, vcc, s4, v7
	v_addc_co_u32_e32 v8, vcc, v14, v8, vcc
	flat_load_dwordx2 v[13:14], v[7:8]
	v_add_u32_e32 v11, s9, v12
	v_ashrrev_i32_e32 v12, 31, v11
	v_lshlrev_b64 v[9:10], 3, v[11:12]
	s_waitcnt vmcnt(0) lgkmcnt(0)
	buffer_store_dword v14, off, s[0:3], 0 offset:28
	buffer_store_dword v13, off, s[0:3], 0 offset:24
	v_add_co_u32_e32 v9, vcc, s4, v9
	v_addc_co_u32_e32 v10, vcc, v15, v10, vcc
	flat_load_dwordx2 v[13:14], v[9:10]
	v_add_u32_e32 v15, s9, v11
	v_ashrrev_i32_e32 v16, 31, v15
	v_lshlrev_b64 v[11:12], 3, v[15:16]
	v_add_u32_e32 v18, s9, v15
	v_add_co_u32_e32 v11, vcc, s4, v11
	v_addc_co_u32_e32 v12, vcc, v17, v12, vcc
	v_ashrrev_i32_e32 v19, 31, v18
	s_waitcnt vmcnt(0) lgkmcnt(0)
	buffer_store_dword v14, off, s[0:3], 0 offset:36
	buffer_store_dword v13, off, s[0:3], 0 offset:32
	flat_load_dwordx2 v[16:17], v[11:12]
	v_lshlrev_b64 v[13:14], 3, v[18:19]
	s_waitcnt vmcnt(0) lgkmcnt(0)
	buffer_store_dword v17, off, s[0:3], 0 offset:44
	buffer_store_dword v16, off, s[0:3], 0 offset:40
	v_add_co_u32_e32 v13, vcc, s4, v13
	v_addc_co_u32_e32 v14, vcc, v20, v14, vcc
	flat_load_dwordx2 v[19:20], v[13:14]
	v_add_u32_e32 v17, s9, v18
	v_ashrrev_i32_e32 v18, 31, v17
	v_lshlrev_b64 v[15:16], 3, v[17:18]
	s_waitcnt vmcnt(0) lgkmcnt(0)
	buffer_store_dword v20, off, s[0:3], 0 offset:52
	buffer_store_dword v19, off, s[0:3], 0 offset:48
	v_add_co_u32_e32 v15, vcc, s4, v15
	v_addc_co_u32_e32 v16, vcc, v21, v16, vcc
	flat_load_dwordx2 v[19:20], v[15:16]
	v_add_u32_e32 v21, s9, v17
	v_ashrrev_i32_e32 v22, 31, v21
	v_lshlrev_b64 v[17:18], 3, v[21:22]
	v_add_u32_e32 v24, s9, v21
	v_add_co_u32_e32 v17, vcc, s4, v17
	v_addc_co_u32_e32 v18, vcc, v23, v18, vcc
	v_ashrrev_i32_e32 v25, 31, v24
	s_waitcnt vmcnt(0) lgkmcnt(0)
	buffer_store_dword v20, off, s[0:3], 0 offset:60
	buffer_store_dword v19, off, s[0:3], 0 offset:56
	;; [unrolled: 27-line block ×7, first 2 shown]
	flat_load_dwordx2 v[52:53], v[47:48]
	v_lshlrev_b64 v[49:50], 3, v[54:55]
	s_waitcnt vmcnt(0) lgkmcnt(0)
	buffer_store_dword v53, off, s[0:3], 0 offset:188
	buffer_store_dword v52, off, s[0:3], 0 offset:184
	v_add_co_u32_e32 v49, vcc, s4, v49
	v_addc_co_u32_e32 v50, vcc, v56, v50, vcc
	flat_load_dwordx2 v[55:56], v[49:50]
	v_add_u32_e32 v53, s9, v54
	v_ashrrev_i32_e32 v54, 31, v53
	v_lshlrev_b64 v[51:52], 3, v[53:54]
	s_waitcnt vmcnt(0) lgkmcnt(0)
	buffer_store_dword v56, off, s[0:3], 0 offset:196
	buffer_store_dword v55, off, s[0:3], 0 offset:192
	v_add_co_u32_e32 v51, vcc, s4, v51
	v_addc_co_u32_e32 v52, vcc, v57, v52, vcc
	flat_load_dwordx2 v[55:56], v[51:52]
	v_add_u32_e32 v57, s9, v53
	v_ashrrev_i32_e32 v58, 31, v57
	v_lshlrev_b64 v[53:54], 3, v[57:58]
	v_add_u32_e32 v60, s9, v57
	v_add_co_u32_e32 v53, vcc, s4, v53
	v_addc_co_u32_e32 v54, vcc, v59, v54, vcc
	s_waitcnt vmcnt(0) lgkmcnt(0)
	buffer_store_dword v56, off, s[0:3], 0 offset:204
	buffer_store_dword v55, off, s[0:3], 0 offset:200
	flat_load_dwordx2 v[58:59], v[53:54]
	v_ashrrev_i32_e32 v61, 31, v60
	v_lshlrev_b64 v[55:56], 3, v[60:61]
	s_waitcnt vmcnt(0) lgkmcnt(0)
	buffer_store_dword v59, off, s[0:3], 0 offset:212
	buffer_store_dword v58, off, s[0:3], 0 offset:208
	v_add_co_u32_e32 v55, vcc, s4, v55
	v_addc_co_u32_e32 v56, vcc, v62, v56, vcc
	flat_load_dwordx2 v[61:62], v[55:56]
	v_add_u32_e32 v59, s9, v60
	v_ashrrev_i32_e32 v60, 31, v59
	v_lshlrev_b64 v[57:58], 3, v[59:60]
	s_waitcnt vmcnt(0) lgkmcnt(0)
	buffer_store_dword v62, off, s[0:3], 0 offset:220
	buffer_store_dword v61, off, s[0:3], 0 offset:216
	v_add_co_u32_e32 v57, vcc, s4, v57
	v_addc_co_u32_e32 v58, vcc, v63, v58, vcc
	flat_load_dwordx2 v[61:62], v[57:58]
	v_add_u32_e32 v63, s9, v59
	v_ashrrev_i32_e32 v64, 31, v63
	v_lshlrev_b64 v[59:60], 3, v[63:64]
	s_waitcnt vmcnt(0) lgkmcnt(0)
	buffer_store_dword v62, off, s[0:3], 0 offset:228
	buffer_store_dword v61, off, s[0:3], 0 offset:224
	v_add_co_u32_e32 v59, vcc, s4, v59
	v_addc_co_u32_e32 v60, vcc, v65, v60, vcc
	flat_load_dwordx2 v[64:65], v[59:60]
	v_add_u32_e32 v66, s9, v63
	v_ashrrev_i32_e32 v67, 31, v66
	v_lshlrev_b64 v[61:62], 3, v[66:67]
	s_waitcnt vmcnt(0) lgkmcnt(0)
	buffer_store_dword v65, off, s[0:3], 0 offset:236
	buffer_store_dword v64, off, s[0:3], 0 offset:232
	v_add_co_u32_e32 v61, vcc, s4, v61
	v_addc_co_u32_e32 v62, vcc, v68, v62, vcc
	flat_load_dwordx2 v[67:68], v[61:62]
	v_add_u32_e32 v65, s9, v66
	v_ashrrev_i32_e32 v66, 31, v65
	v_lshlrev_b64 v[63:64], 3, v[65:66]
	s_waitcnt vmcnt(0) lgkmcnt(0)
	buffer_store_dword v68, off, s[0:3], 0 offset:244
	buffer_store_dword v67, off, s[0:3], 0 offset:240
	v_add_co_u32_e32 v63, vcc, s4, v63
	v_addc_co_u32_e32 v64, vcc, v69, v64, vcc
	flat_load_dwordx2 v[67:68], v[63:64]
	v_add_u32_e32 v69, s9, v65
	v_ashrrev_i32_e32 v70, 31, v69
	v_lshlrev_b64 v[65:66], 3, v[69:70]
	s_waitcnt vmcnt(0) lgkmcnt(0)
	buffer_store_dword v68, off, s[0:3], 0 offset:252
	buffer_store_dword v67, off, s[0:3], 0 offset:248
	v_add_co_u32_e32 v65, vcc, s4, v65
	v_addc_co_u32_e32 v66, vcc, v71, v66, vcc
	flat_load_dwordx2 v[70:71], v[65:66]
	v_add_u32_e32 v72, s9, v69
	v_ashrrev_i32_e32 v73, 31, v72
	v_lshlrev_b64 v[67:68], 3, v[72:73]
	s_waitcnt vmcnt(0) lgkmcnt(0)
	buffer_store_dword v71, off, s[0:3], 0 offset:260
	buffer_store_dword v70, off, s[0:3], 0 offset:256
	v_add_co_u32_e32 v67, vcc, s4, v67
	v_addc_co_u32_e32 v68, vcc, v74, v68, vcc
	flat_load_dwordx2 v[73:74], v[67:68]
	v_add_u32_e32 v71, s9, v72
	v_ashrrev_i32_e32 v72, 31, v71
	v_lshlrev_b64 v[69:70], 3, v[71:72]
	s_waitcnt vmcnt(0) lgkmcnt(0)
	buffer_store_dword v74, off, s[0:3], 0 offset:268
	buffer_store_dword v73, off, s[0:3], 0 offset:264
	v_add_co_u32_e32 v69, vcc, s4, v69
	v_addc_co_u32_e32 v70, vcc, v75, v70, vcc
	flat_load_dwordx2 v[73:74], v[69:70]
	v_add_u32_e32 v75, s9, v71
	v_ashrrev_i32_e32 v76, 31, v75
	v_lshlrev_b64 v[71:72], 3, v[75:76]
	s_waitcnt vmcnt(0) lgkmcnt(0)
	buffer_store_dword v74, off, s[0:3], 0 offset:276
	buffer_store_dword v73, off, s[0:3], 0 offset:272
	v_add_co_u32_e32 v71, vcc, s4, v71
	v_addc_co_u32_e32 v72, vcc, v77, v72, vcc
	flat_load_dwordx2 v[76:77], v[71:72]
	v_add_u32_e32 v78, s9, v75
	v_ashrrev_i32_e32 v79, 31, v78
	v_lshlrev_b64 v[73:74], 3, v[78:79]
	s_waitcnt vmcnt(0) lgkmcnt(0)
	buffer_store_dword v77, off, s[0:3], 0 offset:284
	buffer_store_dword v76, off, s[0:3], 0 offset:280
	v_add_co_u32_e32 v73, vcc, s4, v73
	v_addc_co_u32_e32 v74, vcc, v80, v74, vcc
	flat_load_dwordx2 v[79:80], v[73:74]
	v_add_u32_e32 v77, s9, v78
	v_ashrrev_i32_e32 v78, 31, v77
	v_lshlrev_b64 v[75:76], 3, v[77:78]
	s_waitcnt vmcnt(0) lgkmcnt(0)
	buffer_store_dword v80, off, s[0:3], 0 offset:292
	buffer_store_dword v79, off, s[0:3], 0 offset:288
	v_add_co_u32_e32 v75, vcc, s4, v75
	v_addc_co_u32_e32 v76, vcc, v81, v76, vcc
	flat_load_dwordx2 v[79:80], v[75:76]
	v_add_u32_e32 v81, s9, v77
	v_ashrrev_i32_e32 v82, 31, v81
	v_lshlrev_b64 v[77:78], 3, v[81:82]
	s_waitcnt vmcnt(0) lgkmcnt(0)
	buffer_store_dword v80, off, s[0:3], 0 offset:300
	buffer_store_dword v79, off, s[0:3], 0 offset:296
	v_add_co_u32_e32 v77, vcc, s4, v77
	v_addc_co_u32_e32 v78, vcc, v83, v78, vcc
	flat_load_dwordx2 v[82:83], v[77:78]
	v_add_u32_e32 v84, s9, v81
	v_ashrrev_i32_e32 v85, 31, v84
	v_lshlrev_b64 v[79:80], 3, v[84:85]
	s_waitcnt vmcnt(0) lgkmcnt(0)
	buffer_store_dword v83, off, s[0:3], 0 offset:308
	buffer_store_dword v82, off, s[0:3], 0 offset:304
	v_add_co_u32_e32 v79, vcc, s4, v79
	v_addc_co_u32_e32 v80, vcc, v86, v80, vcc
	flat_load_dwordx2 v[85:86], v[79:80]
	v_add_u32_e32 v83, s9, v84
	v_ashrrev_i32_e32 v84, 31, v83
	v_lshlrev_b64 v[81:82], 3, v[83:84]
	s_waitcnt vmcnt(0) lgkmcnt(0)
	buffer_store_dword v86, off, s[0:3], 0 offset:316
	buffer_store_dword v85, off, s[0:3], 0 offset:312
	v_add_co_u32_e32 v81, vcc, s4, v81
	v_addc_co_u32_e32 v82, vcc, v87, v82, vcc
	flat_load_dwordx2 v[85:86], v[81:82]
	v_add_u32_e32 v87, s9, v83
	v_ashrrev_i32_e32 v88, 31, v87
	v_lshlrev_b64 v[83:84], 3, v[87:88]
	s_waitcnt vmcnt(0) lgkmcnt(0)
	buffer_store_dword v86, off, s[0:3], 0 offset:324
	buffer_store_dword v85, off, s[0:3], 0 offset:320
	v_add_co_u32_e32 v83, vcc, s4, v83
	v_addc_co_u32_e32 v84, vcc, v89, v84, vcc
	flat_load_dwordx2 v[88:89], v[83:84]
	v_add_u32_e32 v90, s9, v87
	v_ashrrev_i32_e32 v91, 31, v90
	v_lshlrev_b64 v[85:86], 3, v[90:91]
	s_waitcnt vmcnt(0) lgkmcnt(0)
	buffer_store_dword v89, off, s[0:3], 0 offset:332
	buffer_store_dword v88, off, s[0:3], 0 offset:328
	v_add_co_u32_e32 v85, vcc, s4, v85
	v_addc_co_u32_e32 v86, vcc, v92, v86, vcc
	flat_load_dwordx2 v[91:92], v[85:86]
	v_add_u32_e32 v89, s9, v90
	v_ashrrev_i32_e32 v90, 31, v89
	v_lshlrev_b64 v[87:88], 3, v[89:90]
	s_waitcnt vmcnt(0) lgkmcnt(0)
	buffer_store_dword v92, off, s[0:3], 0 offset:340
	buffer_store_dword v91, off, s[0:3], 0 offset:336
	v_add_co_u32_e32 v87, vcc, s4, v87
	v_addc_co_u32_e32 v88, vcc, v93, v88, vcc
	flat_load_dwordx2 v[91:92], v[87:88]
	v_add_u32_e32 v93, s9, v89
	v_ashrrev_i32_e32 v94, 31, v93
	v_lshlrev_b64 v[89:90], 3, v[93:94]
	s_waitcnt vmcnt(0) lgkmcnt(0)
	buffer_store_dword v92, off, s[0:3], 0 offset:348
	buffer_store_dword v91, off, s[0:3], 0 offset:344
	v_add_co_u32_e32 v89, vcc, s4, v89
	v_addc_co_u32_e32 v90, vcc, v95, v90, vcc
	flat_load_dwordx2 v[94:95], v[89:90]
	v_add_u32_e32 v96, s9, v93
	v_ashrrev_i32_e32 v97, 31, v96
	v_lshlrev_b64 v[91:92], 3, v[96:97]
	s_waitcnt vmcnt(0) lgkmcnt(0)
	buffer_store_dword v95, off, s[0:3], 0 offset:356
	buffer_store_dword v94, off, s[0:3], 0 offset:352
	v_add_co_u32_e32 v91, vcc, s4, v91
	v_addc_co_u32_e32 v92, vcc, v98, v92, vcc
	flat_load_dwordx2 v[97:98], v[91:92]
	v_add_u32_e32 v95, s9, v96
	v_ashrrev_i32_e32 v96, 31, v95
	v_lshlrev_b64 v[93:94], 3, v[95:96]
	s_waitcnt vmcnt(0) lgkmcnt(0)
	buffer_store_dword v98, off, s[0:3], 0 offset:364
	buffer_store_dword v97, off, s[0:3], 0 offset:360
	v_add_co_u32_e32 v93, vcc, s4, v93
	v_addc_co_u32_e32 v94, vcc, v99, v94, vcc
	flat_load_dwordx2 v[97:98], v[93:94]
	v_add_u32_e32 v99, s9, v95
	v_ashrrev_i32_e32 v100, 31, v99
	v_lshlrev_b64 v[95:96], 3, v[99:100]
	s_waitcnt vmcnt(0) lgkmcnt(0)
	buffer_store_dword v98, off, s[0:3], 0 offset:372
	buffer_store_dword v97, off, s[0:3], 0 offset:368
	v_add_co_u32_e32 v95, vcc, s4, v95
	v_addc_co_u32_e32 v96, vcc, v101, v96, vcc
	flat_load_dwordx2 v[100:101], v[95:96]
	v_add_u32_e32 v102, s9, v99
	v_ashrrev_i32_e32 v103, 31, v102
	v_lshlrev_b64 v[97:98], 3, v[102:103]
	s_waitcnt vmcnt(0) lgkmcnt(0)
	buffer_store_dword v101, off, s[0:3], 0 offset:380
	buffer_store_dword v100, off, s[0:3], 0 offset:376
	v_add_co_u32_e32 v97, vcc, s4, v97
	v_addc_co_u32_e32 v98, vcc, v104, v98, vcc
	flat_load_dwordx2 v[103:104], v[97:98]
	v_add_u32_e32 v101, s9, v102
	v_ashrrev_i32_e32 v102, 31, v101
	v_lshlrev_b64 v[99:100], 3, v[101:102]
	s_waitcnt vmcnt(0) lgkmcnt(0)
	buffer_store_dword v104, off, s[0:3], 0 offset:388
	buffer_store_dword v103, off, s[0:3], 0 offset:384
	v_add_co_u32_e32 v99, vcc, s4, v99
	v_addc_co_u32_e32 v100, vcc, v105, v100, vcc
	flat_load_dwordx2 v[103:104], v[99:100]
	v_add_u32_e32 v105, s9, v101
	v_ashrrev_i32_e32 v106, 31, v105
	v_lshlrev_b64 v[101:102], 3, v[105:106]
	s_waitcnt vmcnt(0) lgkmcnt(0)
	buffer_store_dword v104, off, s[0:3], 0 offset:396
	buffer_store_dword v103, off, s[0:3], 0 offset:392
	v_add_co_u32_e32 v101, vcc, s4, v101
	v_addc_co_u32_e32 v102, vcc, v107, v102, vcc
	flat_load_dwordx2 v[106:107], v[101:102]
	v_add_u32_e32 v108, s9, v105
	v_ashrrev_i32_e32 v109, 31, v108
	v_lshlrev_b64 v[103:104], 3, v[108:109]
	s_waitcnt vmcnt(0) lgkmcnt(0)
	buffer_store_dword v107, off, s[0:3], 0 offset:404
	buffer_store_dword v106, off, s[0:3], 0 offset:400
	v_add_co_u32_e32 v103, vcc, s4, v103
	v_addc_co_u32_e32 v104, vcc, v110, v104, vcc
	flat_load_dwordx2 v[109:110], v[103:104]
	v_add_u32_e32 v107, s9, v108
	v_ashrrev_i32_e32 v108, 31, v107
	v_lshlrev_b64 v[105:106], 3, v[107:108]
	s_waitcnt vmcnt(0) lgkmcnt(0)
	buffer_store_dword v110, off, s[0:3], 0 offset:412
	buffer_store_dword v109, off, s[0:3], 0 offset:408
	v_add_co_u32_e32 v105, vcc, s4, v105
	v_addc_co_u32_e32 v106, vcc, v111, v106, vcc
	flat_load_dwordx2 v[109:110], v[105:106]
	v_add_u32_e32 v111, s9, v107
	v_ashrrev_i32_e32 v112, 31, v111
	v_lshlrev_b64 v[107:108], 3, v[111:112]
	s_waitcnt vmcnt(0) lgkmcnt(0)
	buffer_store_dword v110, off, s[0:3], 0 offset:420
	buffer_store_dword v109, off, s[0:3], 0 offset:416
	v_add_co_u32_e32 v107, vcc, s4, v107
	v_addc_co_u32_e32 v108, vcc, v113, v108, vcc
	flat_load_dwordx2 v[112:113], v[107:108]
	v_add_u32_e32 v116, s9, v111
	v_ashrrev_i32_e32 v117, 31, v116
	v_lshlrev_b64 v[109:110], 3, v[116:117]
	s_waitcnt vmcnt(0) lgkmcnt(0)
	buffer_store_dword v113, off, s[0:3], 0 offset:428
	buffer_store_dword v112, off, s[0:3], 0 offset:424
	v_add_co_u32_e32 v109, vcc, s4, v109
	v_addc_co_u32_e32 v110, vcc, v114, v110, vcc
	flat_load_dwordx2 v[113:114], v[109:110]
	v_add_u32_e32 v111, s9, v116
	v_ashrrev_i32_e32 v112, 31, v111
	v_lshlrev_b64 v[111:112], 3, v[111:112]
	v_mov_b32_e32 v117, s5
	v_add_co_u32_e32 v111, vcc, s4, v111
	v_addc_co_u32_e32 v112, vcc, v117, v112, vcc
	s_waitcnt vmcnt(0) lgkmcnt(0)
	buffer_store_dword v114, off, s[0:3], 0 offset:436
	buffer_store_dword v113, off, s[0:3], 0 offset:432
	flat_load_dwordx2 v[113:114], v[111:112]
	s_mov_b64 s[8:9], -1
	s_waitcnt vmcnt(0) lgkmcnt(0)
	buffer_store_dword v114, off, s[0:3], 0 offset:444
	buffer_store_dword v113, off, s[0:3], 0 offset:440
	s_cbranch_scc1 .LBB119_230
; %bb.4:
	v_cmp_eq_u32_e64 s[4:5], 0, v0
	s_and_saveexec_b64 s[8:9], s[4:5]
; %bb.5:
	v_mov_b32_e32 v113, 0
	ds_write_b32 v113, v113 offset:896
; %bb.6:
	s_or_b64 exec, exec, s[8:9]
	v_mov_b32_e32 v113, 0
	v_lshl_add_u32 v113, v0, 3, v113
	s_waitcnt lgkmcnt(0)
	; wave barrier
	buffer_load_dword v116, v113, s[0:3], 0 offen
	buffer_load_dword v117, v113, s[0:3], 0 offen offset:4
	s_waitcnt vmcnt(0)
	v_cmp_eq_f64_e32 vcc, 0, v[116:117]
	s_and_saveexec_b64 s[16:17], vcc
	s_cbranch_execz .LBB119_10
; %bb.7:
	v_mov_b32_e32 v114, 0
	ds_read_b32 v117, v114 offset:896
	v_add_u32_e32 v116, 1, v0
	s_waitcnt lgkmcnt(0)
	v_readfirstlane_b32 s8, v117
	s_cmp_eq_u32 s8, 0
	s_cselect_b64 s[18:19], -1, 0
	v_cmp_gt_i32_e32 vcc, s8, v116
	s_or_b64 s[18:19], s[18:19], vcc
	s_and_b64 exec, exec, s[18:19]
	s_cbranch_execz .LBB119_10
; %bb.8:
	s_mov_b64 s[18:19], 0
	v_mov_b32_e32 v117, s8
.LBB119_9:                              ; =>This Inner Loop Header: Depth=1
	ds_cmpst_rtn_b32 v117, v114, v117, v116 offset:896
	s_waitcnt lgkmcnt(0)
	v_cmp_ne_u32_e32 vcc, 0, v117
	v_cmp_le_i32_e64 s[8:9], v117, v116
	s_and_b64 s[8:9], vcc, s[8:9]
	s_and_b64 s[8:9], exec, s[8:9]
	s_or_b64 s[18:19], s[8:9], s[18:19]
	s_andn2_b64 exec, exec, s[18:19]
	s_cbranch_execnz .LBB119_9
.LBB119_10:
	s_or_b64 exec, exec, s[16:17]
	v_mov_b32_e32 v116, 0
	; wave barrier
	ds_read_b32 v114, v116 offset:896
	s_and_saveexec_b64 s[8:9], s[4:5]
	s_cbranch_execz .LBB119_12
; %bb.11:
	s_lshl_b64 s[16:17], s[6:7], 2
	s_add_u32 s16, s10, s16
	s_addc_u32 s17, s11, s17
	s_waitcnt lgkmcnt(0)
	global_store_dword v116, v114, s[16:17]
.LBB119_12:
	s_or_b64 exec, exec, s[8:9]
	s_waitcnt lgkmcnt(0)
	v_cmp_ne_u32_e32 vcc, 0, v114
	s_mov_b64 s[8:9], 0
	s_cbranch_vccnz .LBB119_230
; %bb.13:
	buffer_load_dword v116, v113, s[0:3], 0 offen
	buffer_load_dword v117, v113, s[0:3], 0 offen offset:4
	s_waitcnt vmcnt(0)
	v_div_scale_f64 v[118:119], s[8:9], v[116:117], v[116:117], 1.0
	v_rcp_f64_e32 v[120:121], v[118:119]
	v_fma_f64 v[122:123], -v[118:119], v[120:121], 1.0
	v_fma_f64 v[120:121], v[120:121], v[122:123], v[120:121]
	v_div_scale_f64 v[122:123], vcc, 1.0, v[116:117], 1.0
	v_fma_f64 v[124:125], -v[118:119], v[120:121], 1.0
	v_fma_f64 v[120:121], v[120:121], v[124:125], v[120:121]
	v_mul_f64 v[124:125], v[122:123], v[120:121]
	v_fma_f64 v[118:119], -v[118:119], v[124:125], v[122:123]
	v_div_fmas_f64 v[118:119], v[118:119], v[120:121], v[124:125]
	v_div_fixup_f64 v[117:118], v[118:119], v[116:117], 1.0
	v_add_u32_e32 v116, 0x1c0, v115
	buffer_store_dword v118, v113, s[0:3], 0 offen offset:4
	buffer_store_dword v117, v113, s[0:3], 0 offen
	buffer_load_dword v120, off, s[0:3], 0 offset:12
	buffer_load_dword v119, off, s[0:3], 0 offset:8
	v_xor_b32_e32 v118, 0x80000000, v118
	s_waitcnt vmcnt(0)
	ds_write2_b64 v115, v[117:118], v[119:120] offset1:56
	s_waitcnt lgkmcnt(0)
	; wave barrier
	s_and_saveexec_b64 s[8:9], s[4:5]
	s_cbranch_execz .LBB119_15
; %bb.14:
	buffer_load_dword v117, v113, s[0:3], 0 offen
	buffer_load_dword v118, v113, s[0:3], 0 offen offset:4
	ds_read_b64 v[119:120], v116
	v_mov_b32_e32 v114, 0
	ds_read_b64 v[121:122], v114 offset:8
	s_waitcnt vmcnt(0) lgkmcnt(1)
	v_fma_f64 v[117:118], v[117:118], v[119:120], 0
	s_waitcnt lgkmcnt(0)
	v_mul_f64 v[117:118], v[117:118], v[121:122]
	buffer_store_dword v117, off, s[0:3], 0 offset:8
	buffer_store_dword v118, off, s[0:3], 0 offset:12
.LBB119_15:
	s_or_b64 exec, exec, s[8:9]
	; wave barrier
	buffer_load_dword v117, off, s[0:3], 0 offset:16
	buffer_load_dword v118, off, s[0:3], 0 offset:20
	v_cmp_gt_u32_e32 vcc, 2, v0
	s_waitcnt vmcnt(0)
	ds_write_b64 v116, v[117:118]
	s_waitcnt lgkmcnt(0)
	; wave barrier
	s_and_saveexec_b64 s[8:9], vcc
	s_cbranch_execz .LBB119_17
; %bb.16:
	buffer_load_dword v117, v113, s[0:3], 0 offen
	buffer_load_dword v118, v113, s[0:3], 0 offen offset:4
                                        ; kill: killed $vgpr113
	s_nop 0
	buffer_load_dword v113, off, s[0:3], 0 offset:8
	buffer_load_dword v114, off, s[0:3], 0 offset:12
	ds_read_b64 v[119:120], v116
	s_waitcnt vmcnt(2) lgkmcnt(0)
	v_fma_f64 v[121:122], v[117:118], v[119:120], 0
	v_mov_b32_e32 v117, 0
	ds_read2_b64 v[117:120], v117 offset0:2 offset1:57
	s_waitcnt vmcnt(0) lgkmcnt(0)
	v_fma_f64 v[113:114], v[113:114], v[119:120], v[121:122]
	v_cndmask_b32_e64 v114, v122, v114, s[4:5]
	v_cndmask_b32_e64 v113, v121, v113, s[4:5]
	v_mul_f64 v[113:114], v[113:114], v[117:118]
	buffer_store_dword v114, off, s[0:3], 0 offset:20
	buffer_store_dword v113, off, s[0:3], 0 offset:16
.LBB119_17:
	s_or_b64 exec, exec, s[8:9]
	; wave barrier
	buffer_load_dword v113, off, s[0:3], 0 offset:24
	buffer_load_dword v114, off, s[0:3], 0 offset:28
	v_cmp_gt_u32_e32 vcc, 3, v0
	v_add_u32_e32 v117, -1, v0
	s_waitcnt vmcnt(0)
	ds_write_b64 v116, v[113:114]
	s_waitcnt lgkmcnt(0)
	; wave barrier
	s_and_saveexec_b64 s[4:5], vcc
	s_cbranch_execz .LBB119_21
; %bb.18:
	v_mov_b32_e32 v113, 0
	v_add_u32_e32 v118, -1, v0
	v_add_u32_e32 v119, 0x1c0, v115
	v_mov_b32_e32 v120, v115
	v_mov_b32_e32 v114, 0
	s_mov_b64 s[8:9], 0
.LBB119_19:                             ; =>This Inner Loop Header: Depth=1
	buffer_load_dword v121, v120, s[0:3], 0 offen
	buffer_load_dword v122, v120, s[0:3], 0 offen offset:4
	ds_read_b64 v[123:124], v119
	v_add_u32_e32 v118, 1, v118
	v_cmp_lt_u32_e32 vcc, 1, v118
	v_add_u32_e32 v119, 8, v119
	s_or_b64 s[8:9], vcc, s[8:9]
	v_add_u32_e32 v120, 8, v120
	s_waitcnt vmcnt(0) lgkmcnt(0)
	v_fma_f64 v[113:114], v[121:122], v[123:124], v[113:114]
	s_andn2_b64 exec, exec, s[8:9]
	s_cbranch_execnz .LBB119_19
; %bb.20:
	s_or_b64 exec, exec, s[8:9]
	v_mov_b32_e32 v118, 0
	ds_read_b64 v[118:119], v118 offset:24
	s_waitcnt lgkmcnt(0)
	v_mul_f64 v[113:114], v[113:114], v[118:119]
	buffer_store_dword v114, off, s[0:3], 0 offset:28
	buffer_store_dword v113, off, s[0:3], 0 offset:24
.LBB119_21:
	s_or_b64 exec, exec, s[4:5]
	; wave barrier
	buffer_load_dword v113, off, s[0:3], 0 offset:32
	buffer_load_dword v114, off, s[0:3], 0 offset:36
	v_cmp_gt_u32_e32 vcc, 4, v0
	s_waitcnt vmcnt(0)
	ds_write_b64 v116, v[113:114]
	s_waitcnt lgkmcnt(0)
	; wave barrier
	s_and_saveexec_b64 s[4:5], vcc
	s_cbranch_execz .LBB119_25
; %bb.22:
	v_mov_b32_e32 v113, 0
	v_add_u32_e32 v118, -1, v0
	v_add_u32_e32 v119, 0x1c0, v115
	v_mov_b32_e32 v120, v115
	v_mov_b32_e32 v114, 0
	s_mov_b64 s[8:9], 0
.LBB119_23:                             ; =>This Inner Loop Header: Depth=1
	buffer_load_dword v121, v120, s[0:3], 0 offen
	buffer_load_dword v122, v120, s[0:3], 0 offen offset:4
	ds_read_b64 v[123:124], v119
	v_add_u32_e32 v118, 1, v118
	v_cmp_lt_u32_e32 vcc, 2, v118
	v_add_u32_e32 v119, 8, v119
	s_or_b64 s[8:9], vcc, s[8:9]
	v_add_u32_e32 v120, 8, v120
	s_waitcnt vmcnt(0) lgkmcnt(0)
	v_fma_f64 v[113:114], v[121:122], v[123:124], v[113:114]
	s_andn2_b64 exec, exec, s[8:9]
	s_cbranch_execnz .LBB119_23
; %bb.24:
	s_or_b64 exec, exec, s[8:9]
	v_mov_b32_e32 v118, 0
	ds_read_b64 v[118:119], v118 offset:32
	s_waitcnt lgkmcnt(0)
	v_mul_f64 v[113:114], v[113:114], v[118:119]
	buffer_store_dword v114, off, s[0:3], 0 offset:36
	buffer_store_dword v113, off, s[0:3], 0 offset:32
.LBB119_25:
	s_or_b64 exec, exec, s[4:5]
	; wave barrier
	buffer_load_dword v113, off, s[0:3], 0 offset:40
	buffer_load_dword v114, off, s[0:3], 0 offset:44
	v_cmp_gt_u32_e32 vcc, 5, v0
	;; [unrolled: 40-line block ×21, first 2 shown]
	s_waitcnt vmcnt(0)
	ds_write_b64 v116, v[113:114]
	s_waitcnt lgkmcnt(0)
	; wave barrier
	s_and_saveexec_b64 s[4:5], vcc
	s_cbranch_execz .LBB119_105
; %bb.102:
	v_mov_b32_e32 v113, 0
	v_add_u32_e32 v118, -1, v0
	v_add_u32_e32 v119, 0x1c0, v115
	v_mov_b32_e32 v120, v115
	v_mov_b32_e32 v114, 0
	s_mov_b64 s[8:9], 0
.LBB119_103:                            ; =>This Inner Loop Header: Depth=1
	buffer_load_dword v121, v120, s[0:3], 0 offen
	buffer_load_dword v122, v120, s[0:3], 0 offen offset:4
	ds_read_b64 v[123:124], v119
	v_add_u32_e32 v118, 1, v118
	v_cmp_lt_u32_e32 vcc, 22, v118
	v_add_u32_e32 v119, 8, v119
	s_or_b64 s[8:9], vcc, s[8:9]
	v_add_u32_e32 v120, 8, v120
	s_waitcnt vmcnt(0) lgkmcnt(0)
	v_fma_f64 v[113:114], v[121:122], v[123:124], v[113:114]
	s_andn2_b64 exec, exec, s[8:9]
	s_cbranch_execnz .LBB119_103
; %bb.104:
	s_or_b64 exec, exec, s[8:9]
	v_mov_b32_e32 v118, 0
	ds_read_b64 v[118:119], v118 offset:192
	s_waitcnt lgkmcnt(0)
	v_mul_f64 v[113:114], v[113:114], v[118:119]
	buffer_store_dword v114, off, s[0:3], 0 offset:196
	buffer_store_dword v113, off, s[0:3], 0 offset:192
.LBB119_105:
	s_or_b64 exec, exec, s[4:5]
	; wave barrier
	buffer_load_dword v113, off, s[0:3], 0 offset:200
	buffer_load_dword v114, off, s[0:3], 0 offset:204
	v_cmp_gt_u32_e32 vcc, 25, v0
	s_waitcnt vmcnt(0)
	ds_write_b64 v116, v[113:114]
	s_waitcnt lgkmcnt(0)
	; wave barrier
	s_and_saveexec_b64 s[4:5], vcc
	s_cbranch_execz .LBB119_109
; %bb.106:
	v_mov_b32_e32 v113, 0
	v_add_u32_e32 v118, -1, v0
	v_add_u32_e32 v119, 0x1c0, v115
	v_mov_b32_e32 v120, v115
	v_mov_b32_e32 v114, 0
	s_mov_b64 s[8:9], 0
.LBB119_107:                            ; =>This Inner Loop Header: Depth=1
	buffer_load_dword v121, v120, s[0:3], 0 offen
	buffer_load_dword v122, v120, s[0:3], 0 offen offset:4
	ds_read_b64 v[123:124], v119
	v_add_u32_e32 v118, 1, v118
	v_cmp_lt_u32_e32 vcc, 23, v118
	v_add_u32_e32 v119, 8, v119
	s_or_b64 s[8:9], vcc, s[8:9]
	v_add_u32_e32 v120, 8, v120
	s_waitcnt vmcnt(0) lgkmcnt(0)
	v_fma_f64 v[113:114], v[121:122], v[123:124], v[113:114]
	s_andn2_b64 exec, exec, s[8:9]
	s_cbranch_execnz .LBB119_107
; %bb.108:
	s_or_b64 exec, exec, s[8:9]
	v_mov_b32_e32 v118, 0
	ds_read_b64 v[118:119], v118 offset:200
	s_waitcnt lgkmcnt(0)
	v_mul_f64 v[113:114], v[113:114], v[118:119]
	buffer_store_dword v114, off, s[0:3], 0 offset:204
	buffer_store_dword v113, off, s[0:3], 0 offset:200
.LBB119_109:
	s_or_b64 exec, exec, s[4:5]
	; wave barrier
	buffer_load_dword v113, off, s[0:3], 0 offset:208
	buffer_load_dword v114, off, s[0:3], 0 offset:212
	v_cmp_gt_u32_e32 vcc, 26, v0
	;; [unrolled: 40-line block ×30, first 2 shown]
	s_waitcnt vmcnt(0)
	ds_write_b64 v116, v[113:114]
	s_waitcnt lgkmcnt(0)
	; wave barrier
	s_and_saveexec_b64 s[4:5], vcc
	s_cbranch_execz .LBB119_225
; %bb.222:
	v_mov_b32_e32 v113, 0
	v_add_u32_e32 v118, -1, v0
	v_add_u32_e32 v119, 0x1c0, v115
	v_mov_b32_e32 v120, v115
	v_mov_b32_e32 v114, 0
	s_mov_b64 s[8:9], 0
.LBB119_223:                            ; =>This Inner Loop Header: Depth=1
	buffer_load_dword v121, v120, s[0:3], 0 offen
	buffer_load_dword v122, v120, s[0:3], 0 offen offset:4
	ds_read_b64 v[123:124], v119
	v_add_u32_e32 v118, 1, v118
	v_cmp_lt_u32_e32 vcc, 52, v118
	v_add_u32_e32 v119, 8, v119
	s_or_b64 s[8:9], vcc, s[8:9]
	v_add_u32_e32 v120, 8, v120
	s_waitcnt vmcnt(0) lgkmcnt(0)
	v_fma_f64 v[113:114], v[121:122], v[123:124], v[113:114]
	s_andn2_b64 exec, exec, s[8:9]
	s_cbranch_execnz .LBB119_223
; %bb.224:
	s_or_b64 exec, exec, s[8:9]
	v_mov_b32_e32 v118, 0
	ds_read_b64 v[118:119], v118 offset:432
	s_waitcnt lgkmcnt(0)
	v_mul_f64 v[113:114], v[113:114], v[118:119]
	buffer_store_dword v114, off, s[0:3], 0 offset:436
	buffer_store_dword v113, off, s[0:3], 0 offset:432
.LBB119_225:
	s_or_b64 exec, exec, s[4:5]
	; wave barrier
	buffer_load_dword v113, off, s[0:3], 0 offset:440
	buffer_load_dword v114, off, s[0:3], 0 offset:444
	v_cmp_ne_u32_e32 vcc, 55, v0
	s_waitcnt vmcnt(0)
	ds_write_b64 v116, v[113:114]
	s_waitcnt lgkmcnt(0)
	; wave barrier
	s_and_saveexec_b64 s[4:5], vcc
	s_cbranch_execz .LBB119_229
; %bb.226:
	v_mov_b32_e32 v113, 0
	v_add_u32_e32 v116, 0x1c0, v115
	v_mov_b32_e32 v114, 0
	s_mov_b64 s[8:9], 0
.LBB119_227:                            ; =>This Inner Loop Header: Depth=1
	buffer_load_dword v118, v115, s[0:3], 0 offen
	buffer_load_dword v119, v115, s[0:3], 0 offen offset:4
	ds_read_b64 v[120:121], v116
	v_add_u32_e32 v117, 1, v117
	v_cmp_lt_u32_e32 vcc, 53, v117
	v_add_u32_e32 v116, 8, v116
	s_or_b64 s[8:9], vcc, s[8:9]
	v_add_u32_e32 v115, 8, v115
	s_waitcnt vmcnt(0) lgkmcnt(0)
	v_fma_f64 v[113:114], v[118:119], v[120:121], v[113:114]
	s_andn2_b64 exec, exec, s[8:9]
	s_cbranch_execnz .LBB119_227
; %bb.228:
	s_or_b64 exec, exec, s[8:9]
	v_mov_b32_e32 v115, 0
	ds_read_b64 v[115:116], v115 offset:440
	s_waitcnt lgkmcnt(0)
	v_mul_f64 v[113:114], v[113:114], v[115:116]
	buffer_store_dword v114, off, s[0:3], 0 offset:444
	buffer_store_dword v113, off, s[0:3], 0 offset:440
.LBB119_229:
	s_or_b64 exec, exec, s[4:5]
	s_mov_b64 s[8:9], -1
	; wave barrier
.LBB119_230:
	s_and_b64 vcc, exec, s[8:9]
	s_cbranch_vccz .LBB119_232
; %bb.231:
	s_lshl_b64 s[4:5], s[6:7], 2
	s_add_u32 s4, s10, s4
	s_addc_u32 s5, s11, s5
	v_mov_b32_e32 v113, 0
	global_load_dword v113, v113, s[4:5]
	s_waitcnt vmcnt(0)
	v_cmp_ne_u32_e32 vcc, 0, v113
	s_cbranch_vccz .LBB119_233
.LBB119_232:
	s_endpgm
.LBB119_233:
	v_mov_b32_e32 v113, 0x1c0
	v_lshl_add_u32 v113, v0, 3, v113
	v_cmp_eq_u32_e32 vcc, 55, v0
	s_and_saveexec_b64 s[4:5], vcc
	s_cbranch_execz .LBB119_235
; %bb.234:
	buffer_load_dword v114, off, s[0:3], 0 offset:432
	buffer_load_dword v115, off, s[0:3], 0 offset:436
	v_mov_b32_e32 v116, 0
	buffer_store_dword v116, off, s[0:3], 0 offset:432
	buffer_store_dword v116, off, s[0:3], 0 offset:436
	s_waitcnt vmcnt(2)
	ds_write_b64 v113, v[114:115]
.LBB119_235:
	s_or_b64 exec, exec, s[4:5]
	s_waitcnt lgkmcnt(0)
	; wave barrier
	buffer_load_dword v115, off, s[0:3], 0 offset:440
	buffer_load_dword v116, off, s[0:3], 0 offset:444
	;; [unrolled: 1-line block ×4, first 2 shown]
	v_mov_b32_e32 v114, 0
	ds_read_b64 v[119:120], v114 offset:888
	v_cmp_lt_u32_e32 vcc, 53, v0
	s_waitcnt vmcnt(2) lgkmcnt(0)
	v_fma_f64 v[115:116], v[115:116], v[119:120], 0
	s_waitcnt vmcnt(0)
	v_add_f64 v[115:116], v[117:118], -v[115:116]
	buffer_store_dword v115, off, s[0:3], 0 offset:432
	buffer_store_dword v116, off, s[0:3], 0 offset:436
	s_and_saveexec_b64 s[4:5], vcc
	s_cbranch_execz .LBB119_237
; %bb.236:
	buffer_load_dword v115, off, s[0:3], 0 offset:424
	buffer_load_dword v116, off, s[0:3], 0 offset:428
	s_waitcnt vmcnt(0)
	ds_write_b64 v113, v[115:116]
	buffer_store_dword v114, off, s[0:3], 0 offset:424
	buffer_store_dword v114, off, s[0:3], 0 offset:428
.LBB119_237:
	s_or_b64 exec, exec, s[4:5]
	s_waitcnt lgkmcnt(0)
	; wave barrier
	buffer_load_dword v118, off, s[0:3], 0 offset:432
	buffer_load_dword v119, off, s[0:3], 0 offset:436
	;; [unrolled: 1-line block ×6, first 2 shown]
	ds_read_b128 v[114:117], v114 offset:880
	v_cmp_lt_u32_e32 vcc, 52, v0
	s_waitcnt vmcnt(4) lgkmcnt(0)
	v_fma_f64 v[114:115], v[118:119], v[114:115], 0
	s_waitcnt vmcnt(2)
	v_fma_f64 v[114:115], v[120:121], v[116:117], v[114:115]
	s_waitcnt vmcnt(0)
	v_add_f64 v[114:115], v[122:123], -v[114:115]
	buffer_store_dword v114, off, s[0:3], 0 offset:424
	buffer_store_dword v115, off, s[0:3], 0 offset:428
	s_and_saveexec_b64 s[4:5], vcc
	s_cbranch_execz .LBB119_239
; %bb.238:
	buffer_load_dword v114, off, s[0:3], 0 offset:416
	buffer_load_dword v115, off, s[0:3], 0 offset:420
	v_mov_b32_e32 v116, 0
	buffer_store_dword v116, off, s[0:3], 0 offset:416
	buffer_store_dword v116, off, s[0:3], 0 offset:420
	s_waitcnt vmcnt(2)
	ds_write_b64 v113, v[114:115]
.LBB119_239:
	s_or_b64 exec, exec, s[4:5]
	s_waitcnt lgkmcnt(0)
	; wave barrier
	buffer_load_dword v119, off, s[0:3], 0 offset:424
	buffer_load_dword v120, off, s[0:3], 0 offset:428
	;; [unrolled: 1-line block ×8, first 2 shown]
	v_mov_b32_e32 v114, 0
	ds_read2_b64 v[115:118], v114 offset0:109 offset1:110
	v_cmp_lt_u32_e32 vcc, 51, v0
	s_waitcnt vmcnt(6) lgkmcnt(0)
	v_fma_f64 v[115:116], v[119:120], v[115:116], 0
	s_waitcnt vmcnt(4)
	v_fma_f64 v[115:116], v[121:122], v[117:118], v[115:116]
	ds_read_b64 v[117:118], v114 offset:888
	s_waitcnt vmcnt(2) lgkmcnt(0)
	v_fma_f64 v[115:116], v[123:124], v[117:118], v[115:116]
	s_waitcnt vmcnt(0)
	v_add_f64 v[115:116], v[125:126], -v[115:116]
	buffer_store_dword v115, off, s[0:3], 0 offset:416
	buffer_store_dword v116, off, s[0:3], 0 offset:420
	s_and_saveexec_b64 s[4:5], vcc
	s_cbranch_execz .LBB119_241
; %bb.240:
	buffer_load_dword v115, off, s[0:3], 0 offset:408
	buffer_load_dword v116, off, s[0:3], 0 offset:412
	s_waitcnt vmcnt(0)
	ds_write_b64 v113, v[115:116]
	buffer_store_dword v114, off, s[0:3], 0 offset:408
	buffer_store_dword v114, off, s[0:3], 0 offset:412
.LBB119_241:
	s_or_b64 exec, exec, s[4:5]
	s_waitcnt lgkmcnt(0)
	; wave barrier
	buffer_load_dword v123, off, s[0:3], 0 offset:416
	buffer_load_dword v124, off, s[0:3], 0 offset:420
	;; [unrolled: 1-line block ×10, first 2 shown]
	ds_read_b128 v[115:118], v114 offset:864
	ds_read_b128 v[119:122], v114 offset:880
	v_cmp_lt_u32_e32 vcc, 50, v0
	s_waitcnt vmcnt(8) lgkmcnt(1)
	v_fma_f64 v[114:115], v[123:124], v[115:116], 0
	s_waitcnt vmcnt(6)
	v_fma_f64 v[114:115], v[125:126], v[117:118], v[114:115]
	s_waitcnt vmcnt(4) lgkmcnt(0)
	v_fma_f64 v[114:115], v[127:128], v[119:120], v[114:115]
	s_waitcnt vmcnt(2)
	v_fma_f64 v[114:115], v[129:130], v[121:122], v[114:115]
	s_waitcnt vmcnt(0)
	v_add_f64 v[114:115], v[131:132], -v[114:115]
	buffer_store_dword v114, off, s[0:3], 0 offset:408
	buffer_store_dword v115, off, s[0:3], 0 offset:412
	s_and_saveexec_b64 s[4:5], vcc
	s_cbranch_execz .LBB119_243
; %bb.242:
	buffer_load_dword v114, off, s[0:3], 0 offset:400
	buffer_load_dword v115, off, s[0:3], 0 offset:404
	v_mov_b32_e32 v116, 0
	buffer_store_dword v116, off, s[0:3], 0 offset:400
	buffer_store_dword v116, off, s[0:3], 0 offset:404
	s_waitcnt vmcnt(2)
	ds_write_b64 v113, v[114:115]
.LBB119_243:
	s_or_b64 exec, exec, s[4:5]
	s_waitcnt lgkmcnt(0)
	; wave barrier
	buffer_load_dword v123, off, s[0:3], 0 offset:408
	buffer_load_dword v124, off, s[0:3], 0 offset:412
	;; [unrolled: 1-line block ×12, first 2 shown]
	v_mov_b32_e32 v114, 0
	ds_read2_b64 v[115:118], v114 offset0:107 offset1:108
	ds_read2_b64 v[119:122], v114 offset0:109 offset1:110
	v_cmp_lt_u32_e32 vcc, 49, v0
	s_waitcnt vmcnt(10) lgkmcnt(1)
	v_fma_f64 v[115:116], v[123:124], v[115:116], 0
	s_waitcnt vmcnt(8)
	v_fma_f64 v[115:116], v[125:126], v[117:118], v[115:116]
	ds_read_b64 v[117:118], v114 offset:888
	s_waitcnt vmcnt(6) lgkmcnt(1)
	v_fma_f64 v[115:116], v[127:128], v[119:120], v[115:116]
	s_waitcnt vmcnt(4)
	v_fma_f64 v[115:116], v[129:130], v[121:122], v[115:116]
	s_waitcnt vmcnt(2) lgkmcnt(0)
	v_fma_f64 v[115:116], v[131:132], v[117:118], v[115:116]
	s_waitcnt vmcnt(0)
	v_add_f64 v[115:116], v[133:134], -v[115:116]
	buffer_store_dword v115, off, s[0:3], 0 offset:400
	buffer_store_dword v116, off, s[0:3], 0 offset:404
	s_and_saveexec_b64 s[4:5], vcc
	s_cbranch_execz .LBB119_245
; %bb.244:
	buffer_load_dword v115, off, s[0:3], 0 offset:392
	buffer_load_dword v116, off, s[0:3], 0 offset:396
	s_waitcnt vmcnt(0)
	ds_write_b64 v113, v[115:116]
	buffer_store_dword v114, off, s[0:3], 0 offset:392
	buffer_store_dword v114, off, s[0:3], 0 offset:396
.LBB119_245:
	s_or_b64 exec, exec, s[4:5]
	s_waitcnt lgkmcnt(0)
	; wave barrier
	buffer_load_dword v123, off, s[0:3], 0 offset:400
	buffer_load_dword v124, off, s[0:3], 0 offset:404
	buffer_load_dword v125, off, s[0:3], 0 offset:408
	buffer_load_dword v126, off, s[0:3], 0 offset:412
	buffer_load_dword v127, off, s[0:3], 0 offset:416
	buffer_load_dword v128, off, s[0:3], 0 offset:420
	buffer_load_dword v129, off, s[0:3], 0 offset:424
	buffer_load_dword v130, off, s[0:3], 0 offset:428
	buffer_load_dword v131, off, s[0:3], 0 offset:432
	buffer_load_dword v132, off, s[0:3], 0 offset:436
	buffer_load_dword v133, off, s[0:3], 0 offset:440
	buffer_load_dword v134, off, s[0:3], 0 offset:444
	buffer_load_dword v135, off, s[0:3], 0 offset:392
	buffer_load_dword v136, off, s[0:3], 0 offset:396
	ds_read_b128 v[115:118], v114 offset:848
	ds_read_b128 v[119:122], v114 offset:864
	v_cmp_lt_u32_e32 vcc, 48, v0
	s_waitcnt vmcnt(12) lgkmcnt(1)
	v_fma_f64 v[115:116], v[123:124], v[115:116], 0
	s_waitcnt vmcnt(10)
	v_fma_f64 v[115:116], v[125:126], v[117:118], v[115:116]
	s_waitcnt vmcnt(8) lgkmcnt(0)
	v_fma_f64 v[115:116], v[127:128], v[119:120], v[115:116]
	s_waitcnt vmcnt(6)
	v_fma_f64 v[118:119], v[129:130], v[121:122], v[115:116]
	ds_read_b128 v[114:117], v114 offset:880
	s_waitcnt vmcnt(4) lgkmcnt(0)
	v_fma_f64 v[114:115], v[131:132], v[114:115], v[118:119]
	s_waitcnt vmcnt(2)
	v_fma_f64 v[114:115], v[133:134], v[116:117], v[114:115]
	s_waitcnt vmcnt(0)
	v_add_f64 v[114:115], v[135:136], -v[114:115]
	buffer_store_dword v114, off, s[0:3], 0 offset:392
	buffer_store_dword v115, off, s[0:3], 0 offset:396
	s_and_saveexec_b64 s[4:5], vcc
	s_cbranch_execz .LBB119_247
; %bb.246:
	buffer_load_dword v114, off, s[0:3], 0 offset:384
	buffer_load_dword v115, off, s[0:3], 0 offset:388
	v_mov_b32_e32 v116, 0
	buffer_store_dword v116, off, s[0:3], 0 offset:384
	buffer_store_dword v116, off, s[0:3], 0 offset:388
	s_waitcnt vmcnt(2)
	ds_write_b64 v113, v[114:115]
.LBB119_247:
	s_or_b64 exec, exec, s[4:5]
	s_waitcnt lgkmcnt(0)
	; wave barrier
	buffer_load_dword v123, off, s[0:3], 0 offset:392
	buffer_load_dword v124, off, s[0:3], 0 offset:396
	;; [unrolled: 1-line block ×16, first 2 shown]
	v_mov_b32_e32 v114, 0
	ds_read2_b64 v[115:118], v114 offset0:105 offset1:106
	ds_read2_b64 v[119:122], v114 offset0:107 offset1:108
	v_cmp_lt_u32_e32 vcc, 47, v0
	s_waitcnt vmcnt(14) lgkmcnt(1)
	v_fma_f64 v[115:116], v[123:124], v[115:116], 0
	s_waitcnt vmcnt(12)
	v_fma_f64 v[115:116], v[125:126], v[117:118], v[115:116]
	s_waitcnt vmcnt(10) lgkmcnt(0)
	v_fma_f64 v[115:116], v[127:128], v[119:120], v[115:116]
	s_waitcnt vmcnt(8)
	v_fma_f64 v[119:120], v[129:130], v[121:122], v[115:116]
	ds_read2_b64 v[115:118], v114 offset0:109 offset1:110
	ds_read_b64 v[121:122], v114 offset:888
	s_waitcnt vmcnt(6) lgkmcnt(1)
	v_fma_f64 v[115:116], v[131:132], v[115:116], v[119:120]
	s_waitcnt vmcnt(4)
	v_fma_f64 v[115:116], v[133:134], v[117:118], v[115:116]
	s_waitcnt vmcnt(2) lgkmcnt(0)
	v_fma_f64 v[115:116], v[135:136], v[121:122], v[115:116]
	s_waitcnt vmcnt(0)
	v_add_f64 v[115:116], v[137:138], -v[115:116]
	buffer_store_dword v115, off, s[0:3], 0 offset:384
	buffer_store_dword v116, off, s[0:3], 0 offset:388
	s_and_saveexec_b64 s[4:5], vcc
	s_cbranch_execz .LBB119_249
; %bb.248:
	buffer_load_dword v115, off, s[0:3], 0 offset:376
	buffer_load_dword v116, off, s[0:3], 0 offset:380
	s_waitcnt vmcnt(0)
	ds_write_b64 v113, v[115:116]
	buffer_store_dword v114, off, s[0:3], 0 offset:376
	buffer_store_dword v114, off, s[0:3], 0 offset:380
.LBB119_249:
	s_or_b64 exec, exec, s[4:5]
	s_waitcnt lgkmcnt(0)
	; wave barrier
	buffer_load_dword v123, off, s[0:3], 0 offset:384
	buffer_load_dword v124, off, s[0:3], 0 offset:388
	;; [unrolled: 1-line block ×18, first 2 shown]
	ds_read_b128 v[115:118], v114 offset:832
	ds_read_b128 v[119:122], v114 offset:848
	v_cmp_lt_u32_e32 vcc, 46, v0
	s_waitcnt vmcnt(16) lgkmcnt(1)
	v_fma_f64 v[115:116], v[123:124], v[115:116], 0
	s_waitcnt vmcnt(14)
	v_fma_f64 v[115:116], v[125:126], v[117:118], v[115:116]
	s_waitcnt vmcnt(12) lgkmcnt(0)
	v_fma_f64 v[115:116], v[127:128], v[119:120], v[115:116]
	s_waitcnt vmcnt(10)
	v_fma_f64 v[123:124], v[129:130], v[121:122], v[115:116]
	ds_read_b128 v[115:118], v114 offset:864
	ds_read_b128 v[119:122], v114 offset:880
	s_waitcnt vmcnt(8) lgkmcnt(1)
	v_fma_f64 v[114:115], v[131:132], v[115:116], v[123:124]
	s_waitcnt vmcnt(6)
	v_fma_f64 v[114:115], v[133:134], v[117:118], v[114:115]
	s_waitcnt vmcnt(4) lgkmcnt(0)
	v_fma_f64 v[114:115], v[135:136], v[119:120], v[114:115]
	s_waitcnt vmcnt(2)
	v_fma_f64 v[114:115], v[137:138], v[121:122], v[114:115]
	s_waitcnt vmcnt(0)
	v_add_f64 v[114:115], v[139:140], -v[114:115]
	buffer_store_dword v114, off, s[0:3], 0 offset:376
	buffer_store_dword v115, off, s[0:3], 0 offset:380
	s_and_saveexec_b64 s[4:5], vcc
	s_cbranch_execz .LBB119_251
; %bb.250:
	buffer_load_dword v114, off, s[0:3], 0 offset:368
	buffer_load_dword v115, off, s[0:3], 0 offset:372
	v_mov_b32_e32 v116, 0
	buffer_store_dword v116, off, s[0:3], 0 offset:368
	buffer_store_dword v116, off, s[0:3], 0 offset:372
	s_waitcnt vmcnt(2)
	ds_write_b64 v113, v[114:115]
.LBB119_251:
	s_or_b64 exec, exec, s[4:5]
	s_waitcnt lgkmcnt(0)
	; wave barrier
	buffer_load_dword v123, off, s[0:3], 0 offset:376
	buffer_load_dword v124, off, s[0:3], 0 offset:380
	;; [unrolled: 1-line block ×20, first 2 shown]
	v_mov_b32_e32 v114, 0
	ds_read2_b64 v[115:118], v114 offset0:103 offset1:104
	ds_read2_b64 v[119:122], v114 offset0:105 offset1:106
	v_cmp_lt_u32_e32 vcc, 45, v0
	s_waitcnt vmcnt(18) lgkmcnt(1)
	v_fma_f64 v[115:116], v[123:124], v[115:116], 0
	s_waitcnt vmcnt(16)
	v_fma_f64 v[115:116], v[125:126], v[117:118], v[115:116]
	s_waitcnt vmcnt(14) lgkmcnt(0)
	v_fma_f64 v[115:116], v[127:128], v[119:120], v[115:116]
	s_waitcnt vmcnt(12)
	v_fma_f64 v[123:124], v[129:130], v[121:122], v[115:116]
	ds_read2_b64 v[115:118], v114 offset0:107 offset1:108
	ds_read2_b64 v[119:122], v114 offset0:109 offset1:110
	s_waitcnt vmcnt(10) lgkmcnt(1)
	v_fma_f64 v[115:116], v[131:132], v[115:116], v[123:124]
	s_waitcnt vmcnt(8)
	v_fma_f64 v[115:116], v[133:134], v[117:118], v[115:116]
	ds_read_b64 v[117:118], v114 offset:888
	s_waitcnt vmcnt(6) lgkmcnt(1)
	v_fma_f64 v[115:116], v[135:136], v[119:120], v[115:116]
	s_waitcnt vmcnt(3)
	v_fma_f64 v[115:116], v[137:138], v[121:122], v[115:116]
	s_waitcnt vmcnt(2) lgkmcnt(0)
	v_fma_f64 v[115:116], v[139:140], v[117:118], v[115:116]
	s_waitcnt vmcnt(0)
	v_add_f64 v[115:116], v[141:142], -v[115:116]
	buffer_store_dword v115, off, s[0:3], 0 offset:368
	buffer_store_dword v116, off, s[0:3], 0 offset:372
	s_and_saveexec_b64 s[4:5], vcc
	s_cbranch_execz .LBB119_253
; %bb.252:
	buffer_load_dword v115, off, s[0:3], 0 offset:360
	buffer_load_dword v116, off, s[0:3], 0 offset:364
	s_waitcnt vmcnt(0)
	ds_write_b64 v113, v[115:116]
	buffer_store_dword v114, off, s[0:3], 0 offset:360
	buffer_store_dword v114, off, s[0:3], 0 offset:364
.LBB119_253:
	s_or_b64 exec, exec, s[4:5]
	s_waitcnt lgkmcnt(0)
	; wave barrier
	buffer_load_dword v123, off, s[0:3], 0 offset:368
	buffer_load_dword v124, off, s[0:3], 0 offset:372
	;; [unrolled: 1-line block ×20, first 2 shown]
	ds_read_b128 v[115:118], v114 offset:816
	buffer_load_dword v143, off, s[0:3], 0 offset:360
	buffer_load_dword v144, off, s[0:3], 0 offset:364
	ds_read_b128 v[119:122], v114 offset:832
	v_cmp_lt_u32_e32 vcc, 44, v0
	s_waitcnt vmcnt(20) lgkmcnt(1)
	v_fma_f64 v[115:116], v[123:124], v[115:116], 0
	s_waitcnt vmcnt(18)
	v_fma_f64 v[115:116], v[125:126], v[117:118], v[115:116]
	s_waitcnt vmcnt(16) lgkmcnt(0)
	v_fma_f64 v[115:116], v[127:128], v[119:120], v[115:116]
	s_waitcnt vmcnt(14)
	v_fma_f64 v[123:124], v[129:130], v[121:122], v[115:116]
	ds_read_b128 v[115:118], v114 offset:848
	ds_read_b128 v[119:122], v114 offset:864
	s_waitcnt vmcnt(12) lgkmcnt(1)
	v_fma_f64 v[115:116], v[131:132], v[115:116], v[123:124]
	s_waitcnt vmcnt(10)
	v_fma_f64 v[115:116], v[133:134], v[117:118], v[115:116]
	s_waitcnt vmcnt(8) lgkmcnt(0)
	v_fma_f64 v[115:116], v[135:136], v[119:120], v[115:116]
	s_waitcnt vmcnt(4)
	v_fma_f64 v[118:119], v[137:138], v[121:122], v[115:116]
	ds_read_b128 v[114:117], v114 offset:880
	s_waitcnt vmcnt(3) lgkmcnt(0)
	v_fma_f64 v[114:115], v[141:142], v[114:115], v[118:119]
	s_waitcnt vmcnt(2)
	v_fma_f64 v[114:115], v[139:140], v[116:117], v[114:115]
	s_waitcnt vmcnt(0)
	v_add_f64 v[114:115], v[143:144], -v[114:115]
	buffer_store_dword v114, off, s[0:3], 0 offset:360
	buffer_store_dword v115, off, s[0:3], 0 offset:364
	s_and_saveexec_b64 s[4:5], vcc
	s_cbranch_execz .LBB119_255
; %bb.254:
	buffer_load_dword v114, off, s[0:3], 0 offset:352
	buffer_load_dword v115, off, s[0:3], 0 offset:356
	v_mov_b32_e32 v116, 0
	buffer_store_dword v116, off, s[0:3], 0 offset:352
	buffer_store_dword v116, off, s[0:3], 0 offset:356
	s_waitcnt vmcnt(2)
	ds_write_b64 v113, v[114:115]
.LBB119_255:
	s_or_b64 exec, exec, s[4:5]
	s_waitcnt lgkmcnt(0)
	; wave barrier
	buffer_load_dword v123, off, s[0:3], 0 offset:360
	buffer_load_dword v124, off, s[0:3], 0 offset:364
	;; [unrolled: 1-line block ×21, first 2 shown]
	v_mov_b32_e32 v114, 0
	ds_read2_b64 v[115:118], v114 offset0:101 offset1:102
	ds_read2_b64 v[119:122], v114 offset0:103 offset1:104
	buffer_load_dword v140, off, s[0:3], 0 offset:444
	v_cmp_lt_u32_e32 vcc, 43, v0
	s_waitcnt vmcnt(20) lgkmcnt(1)
	v_fma_f64 v[115:116], v[123:124], v[115:116], 0
	buffer_load_dword v123, off, s[0:3], 0 offset:352
	buffer_load_dword v124, off, s[0:3], 0 offset:356
	s_waitcnt vmcnt(20)
	v_fma_f64 v[115:116], v[125:126], v[117:118], v[115:116]
	s_waitcnt vmcnt(18) lgkmcnt(0)
	v_fma_f64 v[115:116], v[127:128], v[119:120], v[115:116]
	s_waitcnt vmcnt(16)
	v_fma_f64 v[125:126], v[129:130], v[121:122], v[115:116]
	ds_read2_b64 v[115:118], v114 offset0:105 offset1:106
	ds_read2_b64 v[119:122], v114 offset0:107 offset1:108
	s_waitcnt vmcnt(14) lgkmcnt(1)
	v_fma_f64 v[115:116], v[131:132], v[115:116], v[125:126]
	s_waitcnt vmcnt(12)
	v_fma_f64 v[115:116], v[133:134], v[117:118], v[115:116]
	s_waitcnt vmcnt(10) lgkmcnt(0)
	v_fma_f64 v[115:116], v[135:136], v[119:120], v[115:116]
	s_waitcnt vmcnt(5)
	v_fma_f64 v[119:120], v[137:138], v[121:122], v[115:116]
	ds_read2_b64 v[115:118], v114 offset0:109 offset1:110
	ds_read_b64 v[121:122], v114 offset:888
	s_waitcnt vmcnt(4) lgkmcnt(1)
	v_fma_f64 v[115:116], v[143:144], v[115:116], v[119:120]
	s_waitcnt vmcnt(3)
	v_fma_f64 v[115:116], v[141:142], v[117:118], v[115:116]
	s_waitcnt vmcnt(2) lgkmcnt(0)
	v_fma_f64 v[115:116], v[139:140], v[121:122], v[115:116]
	s_waitcnt vmcnt(0)
	v_add_f64 v[115:116], v[123:124], -v[115:116]
	buffer_store_dword v116, off, s[0:3], 0 offset:356
	buffer_store_dword v115, off, s[0:3], 0 offset:352
	s_and_saveexec_b64 s[4:5], vcc
	s_cbranch_execz .LBB119_257
; %bb.256:
	buffer_load_dword v115, off, s[0:3], 0 offset:344
	buffer_load_dword v116, off, s[0:3], 0 offset:348
	s_waitcnt vmcnt(0)
	ds_write_b64 v113, v[115:116]
	buffer_store_dword v114, off, s[0:3], 0 offset:344
	buffer_store_dword v114, off, s[0:3], 0 offset:348
.LBB119_257:
	s_or_b64 exec, exec, s[4:5]
	s_waitcnt lgkmcnt(0)
	; wave barrier
	buffer_load_dword v123, off, s[0:3], 0 offset:352
	buffer_load_dword v124, off, s[0:3], 0 offset:356
	buffer_load_dword v125, off, s[0:3], 0 offset:360
	buffer_load_dword v126, off, s[0:3], 0 offset:364
	buffer_load_dword v127, off, s[0:3], 0 offset:368
	buffer_load_dword v128, off, s[0:3], 0 offset:372
	buffer_load_dword v129, off, s[0:3], 0 offset:376
	buffer_load_dword v130, off, s[0:3], 0 offset:380
	buffer_load_dword v131, off, s[0:3], 0 offset:384
	buffer_load_dword v132, off, s[0:3], 0 offset:388
	buffer_load_dword v133, off, s[0:3], 0 offset:392
	buffer_load_dword v134, off, s[0:3], 0 offset:396
	buffer_load_dword v135, off, s[0:3], 0 offset:400
	buffer_load_dword v136, off, s[0:3], 0 offset:404
	buffer_load_dword v138, off, s[0:3], 0 offset:412
	buffer_load_dword v139, off, s[0:3], 0 offset:432
	buffer_load_dword v141, off, s[0:3], 0 offset:424
	buffer_load_dword v143, off, s[0:3], 0 offset:416
	buffer_load_dword v137, off, s[0:3], 0 offset:408
	buffer_load_dword v144, off, s[0:3], 0 offset:420
	buffer_load_dword v142, off, s[0:3], 0 offset:428
	ds_read_b128 v[115:118], v114 offset:800
	ds_read_b128 v[119:122], v114 offset:816
	buffer_load_dword v140, off, s[0:3], 0 offset:436
	v_cmp_lt_u32_e32 vcc, 42, v0
	s_waitcnt vmcnt(20) lgkmcnt(1)
	v_fma_f64 v[115:116], v[123:124], v[115:116], 0
	buffer_load_dword v124, off, s[0:3], 0 offset:444
	buffer_load_dword v123, off, s[0:3], 0 offset:440
	s_waitcnt vmcnt(20)
	v_fma_f64 v[115:116], v[125:126], v[117:118], v[115:116]
	buffer_load_dword v125, off, s[0:3], 0 offset:344
	buffer_load_dword v126, off, s[0:3], 0 offset:348
	s_waitcnt vmcnt(20) lgkmcnt(0)
	v_fma_f64 v[115:116], v[127:128], v[119:120], v[115:116]
	s_waitcnt vmcnt(18)
	v_fma_f64 v[127:128], v[129:130], v[121:122], v[115:116]
	ds_read_b128 v[115:118], v114 offset:832
	ds_read_b128 v[119:122], v114 offset:848
	s_waitcnt vmcnt(16) lgkmcnt(1)
	v_fma_f64 v[115:116], v[131:132], v[115:116], v[127:128]
	s_waitcnt vmcnt(14)
	v_fma_f64 v[115:116], v[133:134], v[117:118], v[115:116]
	s_waitcnt vmcnt(12) lgkmcnt(0)
	v_fma_f64 v[115:116], v[135:136], v[119:120], v[115:116]
	s_waitcnt vmcnt(7)
	v_fma_f64 v[127:128], v[137:138], v[121:122], v[115:116]
	ds_read_b128 v[115:118], v114 offset:864
	ds_read_b128 v[119:122], v114 offset:880
	s_waitcnt vmcnt(6) lgkmcnt(1)
	v_fma_f64 v[114:115], v[143:144], v[115:116], v[127:128]
	s_waitcnt vmcnt(5)
	v_fma_f64 v[114:115], v[141:142], v[117:118], v[114:115]
	s_waitcnt vmcnt(4) lgkmcnt(0)
	v_fma_f64 v[114:115], v[139:140], v[119:120], v[114:115]
	s_waitcnt vmcnt(2)
	v_fma_f64 v[114:115], v[123:124], v[121:122], v[114:115]
	s_waitcnt vmcnt(0)
	v_add_f64 v[114:115], v[125:126], -v[114:115]
	buffer_store_dword v115, off, s[0:3], 0 offset:348
	buffer_store_dword v114, off, s[0:3], 0 offset:344
	s_and_saveexec_b64 s[4:5], vcc
	s_cbranch_execz .LBB119_259
; %bb.258:
	buffer_load_dword v114, off, s[0:3], 0 offset:336
	buffer_load_dword v115, off, s[0:3], 0 offset:340
	v_mov_b32_e32 v116, 0
	buffer_store_dword v116, off, s[0:3], 0 offset:336
	buffer_store_dword v116, off, s[0:3], 0 offset:340
	s_waitcnt vmcnt(2)
	ds_write_b64 v113, v[114:115]
.LBB119_259:
	s_or_b64 exec, exec, s[4:5]
	s_waitcnt lgkmcnt(0)
	; wave barrier
	buffer_load_dword v123, off, s[0:3], 0 offset:344
	buffer_load_dword v124, off, s[0:3], 0 offset:348
	;; [unrolled: 1-line block ×21, first 2 shown]
	v_mov_b32_e32 v114, 0
	ds_read2_b64 v[115:118], v114 offset0:99 offset1:100
	ds_read2_b64 v[119:122], v114 offset0:101 offset1:102
	buffer_load_dword v140, off, s[0:3], 0 offset:428
	v_cmp_lt_u32_e32 vcc, 41, v0
	s_waitcnt vmcnt(20) lgkmcnt(1)
	v_fma_f64 v[115:116], v[123:124], v[115:116], 0
	s_waitcnt vmcnt(18)
	v_fma_f64 v[115:116], v[125:126], v[117:118], v[115:116]
	buffer_load_dword v124, off, s[0:3], 0 offset:436
	buffer_load_dword v125, off, s[0:3], 0 offset:440
	buffer_load_dword v123, off, s[0:3], 0 offset:432
	buffer_load_dword v126, off, s[0:3], 0 offset:444
	s_waitcnt vmcnt(20) lgkmcnt(0)
	v_fma_f64 v[115:116], v[127:128], v[119:120], v[115:116]
	buffer_load_dword v127, off, s[0:3], 0 offset:336
	buffer_load_dword v128, off, s[0:3], 0 offset:340
	s_waitcnt vmcnt(20)
	v_fma_f64 v[129:130], v[129:130], v[121:122], v[115:116]
	ds_read2_b64 v[115:118], v114 offset0:103 offset1:104
	ds_read2_b64 v[119:122], v114 offset0:105 offset1:106
	s_waitcnt vmcnt(18) lgkmcnt(1)
	v_fma_f64 v[115:116], v[131:132], v[115:116], v[129:130]
	s_waitcnt vmcnt(16)
	v_fma_f64 v[115:116], v[133:134], v[117:118], v[115:116]
	s_waitcnt vmcnt(14) lgkmcnt(0)
	v_fma_f64 v[115:116], v[135:136], v[119:120], v[115:116]
	s_waitcnt vmcnt(9)
	v_fma_f64 v[129:130], v[137:138], v[121:122], v[115:116]
	ds_read2_b64 v[115:118], v114 offset0:107 offset1:108
	ds_read2_b64 v[119:122], v114 offset0:109 offset1:110
	s_waitcnt vmcnt(8) lgkmcnt(1)
	v_fma_f64 v[115:116], v[143:144], v[115:116], v[129:130]
	s_waitcnt vmcnt(7)
	v_fma_f64 v[115:116], v[141:142], v[117:118], v[115:116]
	ds_read_b64 v[117:118], v114 offset:888
	s_waitcnt vmcnt(6) lgkmcnt(1)
	v_fma_f64 v[115:116], v[139:140], v[119:120], v[115:116]
	s_waitcnt vmcnt(3)
	v_fma_f64 v[115:116], v[123:124], v[121:122], v[115:116]
	s_waitcnt vmcnt(2) lgkmcnt(0)
	v_fma_f64 v[115:116], v[125:126], v[117:118], v[115:116]
	s_waitcnt vmcnt(0)
	v_add_f64 v[115:116], v[127:128], -v[115:116]
	buffer_store_dword v116, off, s[0:3], 0 offset:340
	buffer_store_dword v115, off, s[0:3], 0 offset:336
	s_and_saveexec_b64 s[4:5], vcc
	s_cbranch_execz .LBB119_261
; %bb.260:
	buffer_load_dword v115, off, s[0:3], 0 offset:328
	buffer_load_dword v116, off, s[0:3], 0 offset:332
	s_waitcnt vmcnt(0)
	ds_write_b64 v113, v[115:116]
	buffer_store_dword v114, off, s[0:3], 0 offset:328
	buffer_store_dword v114, off, s[0:3], 0 offset:332
.LBB119_261:
	s_or_b64 exec, exec, s[4:5]
	s_waitcnt lgkmcnt(0)
	; wave barrier
	buffer_load_dword v123, off, s[0:3], 0 offset:336
	buffer_load_dword v124, off, s[0:3], 0 offset:340
	;; [unrolled: 1-line block ×22, first 2 shown]
	ds_read_b128 v[115:118], v114 offset:784
	ds_read_b128 v[119:122], v114 offset:800
	v_cmp_lt_u32_e32 vcc, 40, v0
	s_waitcnt vmcnt(20) lgkmcnt(1)
	v_fma_f64 v[115:116], v[123:124], v[115:116], 0
	s_waitcnt vmcnt(18)
	v_fma_f64 v[115:116], v[125:126], v[117:118], v[115:116]
	buffer_load_dword v124, off, s[0:3], 0 offset:428
	buffer_load_dword v125, off, s[0:3], 0 offset:440
	;; [unrolled: 1-line block ×6, first 2 shown]
	s_waitcnt vmcnt(22) lgkmcnt(0)
	v_fma_f64 v[115:116], v[127:128], v[119:120], v[115:116]
	s_waitcnt vmcnt(20)
	v_fma_f64 v[127:128], v[129:130], v[121:122], v[115:116]
	ds_read_b128 v[115:118], v114 offset:816
	buffer_load_dword v129, off, s[0:3], 0 offset:328
	buffer_load_dword v130, off, s[0:3], 0 offset:332
	ds_read_b128 v[119:122], v114 offset:832
	s_waitcnt vmcnt(20) lgkmcnt(1)
	v_fma_f64 v[115:116], v[131:132], v[115:116], v[127:128]
	s_waitcnt vmcnt(18)
	v_fma_f64 v[115:116], v[133:134], v[117:118], v[115:116]
	s_waitcnt vmcnt(16) lgkmcnt(0)
	v_fma_f64 v[115:116], v[135:136], v[119:120], v[115:116]
	s_waitcnt vmcnt(11)
	v_fma_f64 v[127:128], v[137:138], v[121:122], v[115:116]
	ds_read_b128 v[115:118], v114 offset:848
	ds_read_b128 v[119:122], v114 offset:864
	s_waitcnt vmcnt(10) lgkmcnt(1)
	v_fma_f64 v[115:116], v[143:144], v[115:116], v[127:128]
	s_waitcnt vmcnt(9)
	v_fma_f64 v[115:116], v[141:142], v[117:118], v[115:116]
	s_waitcnt vmcnt(8) lgkmcnt(0)
	v_fma_f64 v[115:116], v[139:140], v[119:120], v[115:116]
	s_waitcnt vmcnt(4)
	v_fma_f64 v[118:119], v[123:124], v[121:122], v[115:116]
	ds_read_b128 v[114:117], v114 offset:880
	s_waitcnt vmcnt(3) lgkmcnt(0)
	v_fma_f64 v[114:115], v[145:146], v[114:115], v[118:119]
	s_waitcnt vmcnt(2)
	v_fma_f64 v[114:115], v[125:126], v[116:117], v[114:115]
	s_waitcnt vmcnt(0)
	v_add_f64 v[114:115], v[129:130], -v[114:115]
	buffer_store_dword v115, off, s[0:3], 0 offset:332
	buffer_store_dword v114, off, s[0:3], 0 offset:328
	s_and_saveexec_b64 s[4:5], vcc
	s_cbranch_execz .LBB119_263
; %bb.262:
	buffer_load_dword v114, off, s[0:3], 0 offset:320
	buffer_load_dword v115, off, s[0:3], 0 offset:324
	v_mov_b32_e32 v116, 0
	buffer_store_dword v116, off, s[0:3], 0 offset:320
	buffer_store_dword v116, off, s[0:3], 0 offset:324
	s_waitcnt vmcnt(2)
	ds_write_b64 v113, v[114:115]
.LBB119_263:
	s_or_b64 exec, exec, s[4:5]
	s_waitcnt lgkmcnt(0)
	; wave barrier
	buffer_load_dword v123, off, s[0:3], 0 offset:328
	buffer_load_dword v124, off, s[0:3], 0 offset:332
	;; [unrolled: 1-line block ×22, first 2 shown]
	v_mov_b32_e32 v114, 0
	ds_read2_b64 v[115:118], v114 offset0:97 offset1:98
	ds_read2_b64 v[119:122], v114 offset0:99 offset1:100
	v_cmp_lt_u32_e32 vcc, 39, v0
	s_waitcnt vmcnt(20) lgkmcnt(1)
	v_fma_f64 v[115:116], v[123:124], v[115:116], 0
	s_waitcnt vmcnt(18)
	v_fma_f64 v[115:116], v[125:126], v[117:118], v[115:116]
	buffer_load_dword v124, off, s[0:3], 0 offset:420
	buffer_load_dword v125, off, s[0:3], 0 offset:440
	;; [unrolled: 1-line block ×8, first 2 shown]
	s_waitcnt vmcnt(24) lgkmcnt(0)
	v_fma_f64 v[115:116], v[127:128], v[119:120], v[115:116]
	s_waitcnt vmcnt(22)
	v_fma_f64 v[127:128], v[129:130], v[121:122], v[115:116]
	ds_read2_b64 v[115:118], v114 offset0:101 offset1:102
	ds_read2_b64 v[119:122], v114 offset0:103 offset1:104
	s_waitcnt vmcnt(20) lgkmcnt(1)
	v_fma_f64 v[115:116], v[131:132], v[115:116], v[127:128]
	buffer_load_dword v127, off, s[0:3], 0 offset:320
	buffer_load_dword v128, off, s[0:3], 0 offset:324
	s_waitcnt vmcnt(20)
	v_fma_f64 v[115:116], v[133:134], v[117:118], v[115:116]
	s_waitcnt vmcnt(18) lgkmcnt(0)
	v_fma_f64 v[115:116], v[135:136], v[119:120], v[115:116]
	s_waitcnt vmcnt(13)
	v_fma_f64 v[129:130], v[137:138], v[121:122], v[115:116]
	ds_read2_b64 v[115:118], v114 offset0:105 offset1:106
	ds_read2_b64 v[119:122], v114 offset0:107 offset1:108
	s_waitcnt vmcnt(12) lgkmcnt(1)
	v_fma_f64 v[115:116], v[143:144], v[115:116], v[129:130]
	s_waitcnt vmcnt(11)
	v_fma_f64 v[115:116], v[141:142], v[117:118], v[115:116]
	s_waitcnt vmcnt(10) lgkmcnt(0)
	v_fma_f64 v[115:116], v[139:140], v[119:120], v[115:116]
	s_waitcnt vmcnt(5)
	v_fma_f64 v[119:120], v[123:124], v[121:122], v[115:116]
	ds_read2_b64 v[115:118], v114 offset0:109 offset1:110
	ds_read_b64 v[121:122], v114 offset:888
	s_waitcnt vmcnt(4) lgkmcnt(1)
	v_fma_f64 v[115:116], v[147:148], v[115:116], v[119:120]
	s_waitcnt vmcnt(3)
	v_fma_f64 v[115:116], v[145:146], v[117:118], v[115:116]
	s_waitcnt vmcnt(2) lgkmcnt(0)
	v_fma_f64 v[115:116], v[125:126], v[121:122], v[115:116]
	s_waitcnt vmcnt(0)
	v_add_f64 v[115:116], v[127:128], -v[115:116]
	buffer_store_dword v116, off, s[0:3], 0 offset:324
	buffer_store_dword v115, off, s[0:3], 0 offset:320
	s_and_saveexec_b64 s[4:5], vcc
	s_cbranch_execz .LBB119_265
; %bb.264:
	buffer_load_dword v115, off, s[0:3], 0 offset:312
	buffer_load_dword v116, off, s[0:3], 0 offset:316
	s_waitcnt vmcnt(0)
	ds_write_b64 v113, v[115:116]
	buffer_store_dword v114, off, s[0:3], 0 offset:312
	buffer_store_dword v114, off, s[0:3], 0 offset:316
.LBB119_265:
	s_or_b64 exec, exec, s[4:5]
	s_waitcnt lgkmcnt(0)
	; wave barrier
	buffer_load_dword v123, off, s[0:3], 0 offset:320
	buffer_load_dword v124, off, s[0:3], 0 offset:324
	;; [unrolled: 1-line block ×22, first 2 shown]
	ds_read_b128 v[115:118], v114 offset:768
	ds_read_b128 v[119:122], v114 offset:784
	v_cmp_lt_u32_e32 vcc, 38, v0
	s_waitcnt vmcnt(20) lgkmcnt(1)
	v_fma_f64 v[115:116], v[123:124], v[115:116], 0
	s_waitcnt vmcnt(18)
	v_fma_f64 v[115:116], v[125:126], v[117:118], v[115:116]
	buffer_load_dword v124, off, s[0:3], 0 offset:412
	buffer_load_dword v125, off, s[0:3], 0 offset:432
	;; [unrolled: 1-line block ×8, first 2 shown]
	s_waitcnt vmcnt(24) lgkmcnt(0)
	v_fma_f64 v[115:116], v[127:128], v[119:120], v[115:116]
	s_waitcnt vmcnt(22)
	v_fma_f64 v[127:128], v[129:130], v[121:122], v[115:116]
	ds_read_b128 v[115:118], v114 offset:800
	ds_read_b128 v[119:122], v114 offset:816
	s_waitcnt vmcnt(20) lgkmcnt(1)
	v_fma_f64 v[115:116], v[131:132], v[115:116], v[127:128]
	buffer_load_dword v128, off, s[0:3], 0 offset:444
	buffer_load_dword v127, off, s[0:3], 0 offset:440
	;; [unrolled: 1-line block ×4, first 2 shown]
	s_waitcnt vmcnt(22)
	v_fma_f64 v[115:116], v[133:134], v[117:118], v[115:116]
	s_waitcnt vmcnt(20) lgkmcnt(0)
	v_fma_f64 v[115:116], v[135:136], v[119:120], v[115:116]
	s_waitcnt vmcnt(15)
	v_fma_f64 v[131:132], v[137:138], v[121:122], v[115:116]
	ds_read_b128 v[115:118], v114 offset:832
	ds_read_b128 v[119:122], v114 offset:848
	s_waitcnt vmcnt(14) lgkmcnt(1)
	v_fma_f64 v[115:116], v[143:144], v[115:116], v[131:132]
	s_waitcnt vmcnt(13)
	v_fma_f64 v[115:116], v[141:142], v[117:118], v[115:116]
	s_waitcnt vmcnt(12) lgkmcnt(0)
	v_fma_f64 v[115:116], v[139:140], v[119:120], v[115:116]
	s_waitcnt vmcnt(7)
	v_fma_f64 v[123:124], v[123:124], v[121:122], v[115:116]
	ds_read_b128 v[115:118], v114 offset:864
	ds_read_b128 v[119:122], v114 offset:880
	s_waitcnt vmcnt(6) lgkmcnt(1)
	v_fma_f64 v[114:115], v[147:148], v[115:116], v[123:124]
	s_waitcnt vmcnt(5)
	v_fma_f64 v[114:115], v[145:146], v[117:118], v[114:115]
	s_waitcnt vmcnt(4) lgkmcnt(0)
	v_fma_f64 v[114:115], v[125:126], v[119:120], v[114:115]
	s_waitcnt vmcnt(2)
	v_fma_f64 v[114:115], v[127:128], v[121:122], v[114:115]
	s_waitcnt vmcnt(0)
	v_add_f64 v[114:115], v[129:130], -v[114:115]
	buffer_store_dword v115, off, s[0:3], 0 offset:316
	buffer_store_dword v114, off, s[0:3], 0 offset:312
	s_and_saveexec_b64 s[4:5], vcc
	s_cbranch_execz .LBB119_267
; %bb.266:
	buffer_load_dword v114, off, s[0:3], 0 offset:304
	buffer_load_dword v115, off, s[0:3], 0 offset:308
	v_mov_b32_e32 v116, 0
	buffer_store_dword v116, off, s[0:3], 0 offset:304
	buffer_store_dword v116, off, s[0:3], 0 offset:308
	s_waitcnt vmcnt(2)
	ds_write_b64 v113, v[114:115]
.LBB119_267:
	s_or_b64 exec, exec, s[4:5]
	s_waitcnt lgkmcnt(0)
	; wave barrier
	buffer_load_dword v123, off, s[0:3], 0 offset:312
	buffer_load_dword v124, off, s[0:3], 0 offset:316
	;; [unrolled: 1-line block ×22, first 2 shown]
	v_mov_b32_e32 v114, 0
	ds_read2_b64 v[115:118], v114 offset0:95 offset1:96
	ds_read2_b64 v[119:122], v114 offset0:97 offset1:98
	v_cmp_lt_u32_e32 vcc, 37, v0
	s_waitcnt vmcnt(20) lgkmcnt(1)
	v_fma_f64 v[115:116], v[123:124], v[115:116], 0
	s_waitcnt vmcnt(18)
	v_fma_f64 v[115:116], v[125:126], v[117:118], v[115:116]
	buffer_load_dword v124, off, s[0:3], 0 offset:404
	buffer_load_dword v125, off, s[0:3], 0 offset:424
	;; [unrolled: 1-line block ×7, first 2 shown]
	s_waitcnt vmcnt(23) lgkmcnt(0)
	v_fma_f64 v[115:116], v[127:128], v[119:120], v[115:116]
	s_waitcnt vmcnt(21)
	v_fma_f64 v[126:127], v[129:130], v[121:122], v[115:116]
	ds_read2_b64 v[115:118], v114 offset0:99 offset1:100
	ds_read2_b64 v[119:122], v114 offset0:101 offset1:102
	s_waitcnt vmcnt(19) lgkmcnt(1)
	v_fma_f64 v[115:116], v[131:132], v[115:116], v[126:127]
	buffer_load_dword v126, off, s[0:3], 0 offset:428
	buffer_load_dword v128, off, s[0:3], 0 offset:436
	;; [unrolled: 1-line block ×7, first 2 shown]
	s_waitcnt vmcnt(24)
	v_fma_f64 v[115:116], v[133:134], v[117:118], v[115:116]
	s_waitcnt vmcnt(22) lgkmcnt(0)
	v_fma_f64 v[115:116], v[135:136], v[119:120], v[115:116]
	s_waitcnt vmcnt(17)
	v_fma_f64 v[133:134], v[137:138], v[121:122], v[115:116]
	ds_read2_b64 v[115:118], v114 offset0:103 offset1:104
	ds_read2_b64 v[119:122], v114 offset0:105 offset1:106
	s_waitcnt vmcnt(16) lgkmcnt(1)
	v_fma_f64 v[115:116], v[143:144], v[115:116], v[133:134]
	s_waitcnt vmcnt(15)
	v_fma_f64 v[115:116], v[141:142], v[117:118], v[115:116]
	s_waitcnt vmcnt(14) lgkmcnt(0)
	v_fma_f64 v[115:116], v[139:140], v[119:120], v[115:116]
	s_waitcnt vmcnt(9)
	v_fma_f64 v[123:124], v[123:124], v[121:122], v[115:116]
	ds_read2_b64 v[115:118], v114 offset0:107 offset1:108
	ds_read2_b64 v[119:122], v114 offset0:109 offset1:110
	s_waitcnt vmcnt(8) lgkmcnt(1)
	v_fma_f64 v[115:116], v[147:148], v[115:116], v[123:124]
	s_waitcnt vmcnt(7)
	v_fma_f64 v[115:116], v[145:146], v[117:118], v[115:116]
	ds_read_b64 v[117:118], v114 offset:888
	s_waitcnt vmcnt(6) lgkmcnt(1)
	v_fma_f64 v[115:116], v[125:126], v[119:120], v[115:116]
	s_waitcnt vmcnt(3)
	v_fma_f64 v[115:116], v[127:128], v[121:122], v[115:116]
	s_waitcnt vmcnt(2) lgkmcnt(0)
	v_fma_f64 v[115:116], v[129:130], v[117:118], v[115:116]
	s_waitcnt vmcnt(0)
	v_add_f64 v[115:116], v[131:132], -v[115:116]
	buffer_store_dword v116, off, s[0:3], 0 offset:308
	buffer_store_dword v115, off, s[0:3], 0 offset:304
	s_and_saveexec_b64 s[4:5], vcc
	s_cbranch_execz .LBB119_269
; %bb.268:
	buffer_load_dword v115, off, s[0:3], 0 offset:296
	buffer_load_dword v116, off, s[0:3], 0 offset:300
	s_waitcnt vmcnt(0)
	ds_write_b64 v113, v[115:116]
	buffer_store_dword v114, off, s[0:3], 0 offset:296
	buffer_store_dword v114, off, s[0:3], 0 offset:300
.LBB119_269:
	s_or_b64 exec, exec, s[4:5]
	s_waitcnt lgkmcnt(0)
	; wave barrier
	buffer_load_dword v123, off, s[0:3], 0 offset:304
	buffer_load_dword v124, off, s[0:3], 0 offset:308
	;; [unrolled: 1-line block ×22, first 2 shown]
	ds_read_b128 v[115:118], v114 offset:752
	ds_read_b128 v[119:122], v114 offset:768
	v_cmp_lt_u32_e32 vcc, 36, v0
	s_waitcnt vmcnt(20) lgkmcnt(1)
	v_fma_f64 v[115:116], v[123:124], v[115:116], 0
	s_waitcnt vmcnt(18)
	v_fma_f64 v[115:116], v[125:126], v[117:118], v[115:116]
	buffer_load_dword v124, off, s[0:3], 0 offset:396
	buffer_load_dword v125, off, s[0:3], 0 offset:416
	buffer_load_dword v145, off, s[0:3], 0 offset:408
	buffer_load_dword v147, off, s[0:3], 0 offset:400
	buffer_load_dword v123, off, s[0:3], 0 offset:392
	buffer_load_dword v148, off, s[0:3], 0 offset:404
	buffer_load_dword v146, off, s[0:3], 0 offset:412
	s_waitcnt vmcnt(23) lgkmcnt(0)
	v_fma_f64 v[115:116], v[127:128], v[119:120], v[115:116]
	s_waitcnt vmcnt(21)
	v_fma_f64 v[126:127], v[129:130], v[121:122], v[115:116]
	ds_read_b128 v[115:118], v114 offset:784
	ds_read_b128 v[119:122], v114 offset:800
	s_waitcnt vmcnt(19) lgkmcnt(1)
	v_fma_f64 v[115:116], v[131:132], v[115:116], v[126:127]
	buffer_load_dword v126, off, s[0:3], 0 offset:420
	buffer_load_dword v128, off, s[0:3], 0 offset:428
	;; [unrolled: 1-line block ×7, first 2 shown]
	s_waitcnt vmcnt(24)
	v_fma_f64 v[115:116], v[133:134], v[117:118], v[115:116]
	s_waitcnt vmcnt(22) lgkmcnt(0)
	v_fma_f64 v[115:116], v[135:136], v[119:120], v[115:116]
	s_waitcnt vmcnt(17)
	v_fma_f64 v[133:134], v[137:138], v[121:122], v[115:116]
	ds_read_b128 v[115:118], v114 offset:816
	buffer_load_dword v135, off, s[0:3], 0 offset:296
	buffer_load_dword v136, off, s[0:3], 0 offset:300
	ds_read_b128 v[119:122], v114 offset:832
	s_waitcnt vmcnt(18) lgkmcnt(1)
	v_fma_f64 v[115:116], v[143:144], v[115:116], v[133:134]
	s_waitcnt vmcnt(17)
	v_fma_f64 v[115:116], v[141:142], v[117:118], v[115:116]
	s_waitcnt vmcnt(16) lgkmcnt(0)
	v_fma_f64 v[115:116], v[139:140], v[119:120], v[115:116]
	s_waitcnt vmcnt(11)
	v_fma_f64 v[123:124], v[123:124], v[121:122], v[115:116]
	ds_read_b128 v[115:118], v114 offset:848
	ds_read_b128 v[119:122], v114 offset:864
	s_waitcnt vmcnt(10) lgkmcnt(1)
	v_fma_f64 v[115:116], v[147:148], v[115:116], v[123:124]
	s_waitcnt vmcnt(9)
	v_fma_f64 v[115:116], v[145:146], v[117:118], v[115:116]
	s_waitcnt vmcnt(8) lgkmcnt(0)
	v_fma_f64 v[115:116], v[125:126], v[119:120], v[115:116]
	s_waitcnt vmcnt(4)
	v_fma_f64 v[118:119], v[127:128], v[121:122], v[115:116]
	ds_read_b128 v[114:117], v114 offset:880
	s_waitcnt vmcnt(3) lgkmcnt(0)
	v_fma_f64 v[114:115], v[131:132], v[114:115], v[118:119]
	s_waitcnt vmcnt(2)
	v_fma_f64 v[114:115], v[129:130], v[116:117], v[114:115]
	s_waitcnt vmcnt(0)
	v_add_f64 v[114:115], v[135:136], -v[114:115]
	buffer_store_dword v115, off, s[0:3], 0 offset:300
	buffer_store_dword v114, off, s[0:3], 0 offset:296
	s_and_saveexec_b64 s[4:5], vcc
	s_cbranch_execz .LBB119_271
; %bb.270:
	buffer_load_dword v114, off, s[0:3], 0 offset:288
	buffer_load_dword v115, off, s[0:3], 0 offset:292
	v_mov_b32_e32 v116, 0
	buffer_store_dword v116, off, s[0:3], 0 offset:288
	buffer_store_dword v116, off, s[0:3], 0 offset:292
	s_waitcnt vmcnt(2)
	ds_write_b64 v113, v[114:115]
.LBB119_271:
	s_or_b64 exec, exec, s[4:5]
	s_waitcnt lgkmcnt(0)
	; wave barrier
	buffer_load_dword v123, off, s[0:3], 0 offset:296
	buffer_load_dword v124, off, s[0:3], 0 offset:300
	;; [unrolled: 1-line block ×22, first 2 shown]
	v_mov_b32_e32 v114, 0
	ds_read2_b64 v[115:118], v114 offset0:93 offset1:94
	ds_read2_b64 v[119:122], v114 offset0:95 offset1:96
	v_cmp_lt_u32_e32 vcc, 35, v0
	s_waitcnt vmcnt(20) lgkmcnt(1)
	v_fma_f64 v[115:116], v[123:124], v[115:116], 0
	s_waitcnt vmcnt(18)
	v_fma_f64 v[115:116], v[125:126], v[117:118], v[115:116]
	buffer_load_dword v124, off, s[0:3], 0 offset:388
	buffer_load_dword v125, off, s[0:3], 0 offset:408
	;; [unrolled: 1-line block ×7, first 2 shown]
	s_waitcnt vmcnt(23) lgkmcnt(0)
	v_fma_f64 v[115:116], v[127:128], v[119:120], v[115:116]
	s_waitcnt vmcnt(21)
	v_fma_f64 v[126:127], v[129:130], v[121:122], v[115:116]
	ds_read2_b64 v[115:118], v114 offset0:97 offset1:98
	ds_read2_b64 v[119:122], v114 offset0:99 offset1:100
	s_waitcnt vmcnt(19) lgkmcnt(1)
	v_fma_f64 v[115:116], v[131:132], v[115:116], v[126:127]
	buffer_load_dword v126, off, s[0:3], 0 offset:412
	s_waitcnt vmcnt(18)
	v_fma_f64 v[115:116], v[133:134], v[117:118], v[115:116]
	buffer_load_dword v128, off, s[0:3], 0 offset:420
	buffer_load_dword v129, off, s[0:3], 0 offset:440
	buffer_load_dword v131, off, s[0:3], 0 offset:432
	buffer_load_dword v133, off, s[0:3], 0 offset:424
	buffer_load_dword v127, off, s[0:3], 0 offset:416
	buffer_load_dword v134, off, s[0:3], 0 offset:428
	buffer_load_dword v132, off, s[0:3], 0 offset:436
	buffer_load_dword v130, off, s[0:3], 0 offset:444
	s_waitcnt vmcnt(24) lgkmcnt(0)
	v_fma_f64 v[115:116], v[135:136], v[119:120], v[115:116]
	s_waitcnt vmcnt(19)
	v_fma_f64 v[135:136], v[137:138], v[121:122], v[115:116]
	ds_read2_b64 v[115:118], v114 offset0:101 offset1:102
	ds_read2_b64 v[119:122], v114 offset0:103 offset1:104
	s_waitcnt vmcnt(18) lgkmcnt(1)
	v_fma_f64 v[115:116], v[143:144], v[115:116], v[135:136]
	buffer_load_dword v135, off, s[0:3], 0 offset:288
	buffer_load_dword v136, off, s[0:3], 0 offset:292
	s_waitcnt vmcnt(19)
	v_fma_f64 v[115:116], v[141:142], v[117:118], v[115:116]
	s_waitcnt vmcnt(18) lgkmcnt(0)
	v_fma_f64 v[115:116], v[139:140], v[119:120], v[115:116]
	s_waitcnt vmcnt(13)
	v_fma_f64 v[123:124], v[123:124], v[121:122], v[115:116]
	ds_read2_b64 v[115:118], v114 offset0:105 offset1:106
	ds_read2_b64 v[119:122], v114 offset0:107 offset1:108
	s_waitcnt vmcnt(12) lgkmcnt(1)
	v_fma_f64 v[115:116], v[147:148], v[115:116], v[123:124]
	s_waitcnt vmcnt(11)
	v_fma_f64 v[115:116], v[145:146], v[117:118], v[115:116]
	s_waitcnt vmcnt(10) lgkmcnt(0)
	v_fma_f64 v[115:116], v[125:126], v[119:120], v[115:116]
	s_waitcnt vmcnt(5)
	v_fma_f64 v[119:120], v[127:128], v[121:122], v[115:116]
	ds_read2_b64 v[115:118], v114 offset0:109 offset1:110
	ds_read_b64 v[121:122], v114 offset:888
	s_waitcnt vmcnt(4) lgkmcnt(1)
	v_fma_f64 v[115:116], v[133:134], v[115:116], v[119:120]
	s_waitcnt vmcnt(3)
	v_fma_f64 v[115:116], v[131:132], v[117:118], v[115:116]
	s_waitcnt vmcnt(2) lgkmcnt(0)
	v_fma_f64 v[115:116], v[129:130], v[121:122], v[115:116]
	s_waitcnt vmcnt(0)
	v_add_f64 v[115:116], v[135:136], -v[115:116]
	buffer_store_dword v116, off, s[0:3], 0 offset:292
	buffer_store_dword v115, off, s[0:3], 0 offset:288
	s_and_saveexec_b64 s[4:5], vcc
	s_cbranch_execz .LBB119_273
; %bb.272:
	buffer_load_dword v115, off, s[0:3], 0 offset:280
	buffer_load_dword v116, off, s[0:3], 0 offset:284
	s_waitcnt vmcnt(0)
	ds_write_b64 v113, v[115:116]
	buffer_store_dword v114, off, s[0:3], 0 offset:280
	buffer_store_dword v114, off, s[0:3], 0 offset:284
.LBB119_273:
	s_or_b64 exec, exec, s[4:5]
	s_waitcnt lgkmcnt(0)
	; wave barrier
	buffer_load_dword v123, off, s[0:3], 0 offset:288
	buffer_load_dword v124, off, s[0:3], 0 offset:292
	;; [unrolled: 1-line block ×22, first 2 shown]
	ds_read_b128 v[115:118], v114 offset:736
	ds_read_b128 v[119:122], v114 offset:752
	v_cmp_lt_u32_e32 vcc, 34, v0
	s_waitcnt vmcnt(20) lgkmcnt(1)
	v_fma_f64 v[115:116], v[123:124], v[115:116], 0
	s_waitcnt vmcnt(18)
	v_fma_f64 v[115:116], v[125:126], v[117:118], v[115:116]
	buffer_load_dword v124, off, s[0:3], 0 offset:380
	buffer_load_dword v125, off, s[0:3], 0 offset:400
	;; [unrolled: 1-line block ×7, first 2 shown]
	s_waitcnt vmcnt(23) lgkmcnt(0)
	v_fma_f64 v[115:116], v[127:128], v[119:120], v[115:116]
	s_waitcnt vmcnt(21)
	v_fma_f64 v[126:127], v[129:130], v[121:122], v[115:116]
	ds_read_b128 v[115:118], v114 offset:768
	ds_read_b128 v[119:122], v114 offset:784
	s_waitcnt vmcnt(19) lgkmcnt(1)
	v_fma_f64 v[115:116], v[131:132], v[115:116], v[126:127]
	buffer_load_dword v126, off, s[0:3], 0 offset:404
	s_waitcnt vmcnt(18)
	v_fma_f64 v[115:116], v[133:134], v[117:118], v[115:116]
	buffer_load_dword v128, off, s[0:3], 0 offset:412
	buffer_load_dword v129, off, s[0:3], 0 offset:432
	;; [unrolled: 1-line block ×8, first 2 shown]
	s_waitcnt vmcnt(24) lgkmcnt(0)
	v_fma_f64 v[115:116], v[135:136], v[119:120], v[115:116]
	s_waitcnt vmcnt(19)
	v_fma_f64 v[135:136], v[137:138], v[121:122], v[115:116]
	ds_read_b128 v[115:118], v114 offset:800
	ds_read_b128 v[119:122], v114 offset:816
	s_waitcnt vmcnt(18) lgkmcnt(1)
	v_fma_f64 v[115:116], v[143:144], v[115:116], v[135:136]
	buffer_load_dword v136, off, s[0:3], 0 offset:444
	buffer_load_dword v135, off, s[0:3], 0 offset:440
	;; [unrolled: 1-line block ×4, first 2 shown]
	s_waitcnt vmcnt(21)
	v_fma_f64 v[115:116], v[141:142], v[117:118], v[115:116]
	s_waitcnt vmcnt(20) lgkmcnt(0)
	v_fma_f64 v[115:116], v[139:140], v[119:120], v[115:116]
	s_waitcnt vmcnt(15)
	v_fma_f64 v[123:124], v[123:124], v[121:122], v[115:116]
	ds_read_b128 v[115:118], v114 offset:832
	ds_read_b128 v[119:122], v114 offset:848
	s_waitcnt vmcnt(14) lgkmcnt(1)
	v_fma_f64 v[115:116], v[147:148], v[115:116], v[123:124]
	s_waitcnt vmcnt(13)
	v_fma_f64 v[115:116], v[145:146], v[117:118], v[115:116]
	s_waitcnt vmcnt(12) lgkmcnt(0)
	v_fma_f64 v[115:116], v[125:126], v[119:120], v[115:116]
	s_waitcnt vmcnt(7)
	v_fma_f64 v[123:124], v[127:128], v[121:122], v[115:116]
	ds_read_b128 v[115:118], v114 offset:864
	ds_read_b128 v[119:122], v114 offset:880
	s_waitcnt vmcnt(6) lgkmcnt(1)
	v_fma_f64 v[114:115], v[133:134], v[115:116], v[123:124]
	s_waitcnt vmcnt(5)
	v_fma_f64 v[114:115], v[131:132], v[117:118], v[114:115]
	s_waitcnt vmcnt(4) lgkmcnt(0)
	v_fma_f64 v[114:115], v[129:130], v[119:120], v[114:115]
	s_waitcnt vmcnt(2)
	v_fma_f64 v[114:115], v[135:136], v[121:122], v[114:115]
	s_waitcnt vmcnt(0)
	v_add_f64 v[114:115], v[137:138], -v[114:115]
	buffer_store_dword v115, off, s[0:3], 0 offset:284
	buffer_store_dword v114, off, s[0:3], 0 offset:280
	s_and_saveexec_b64 s[4:5], vcc
	s_cbranch_execz .LBB119_275
; %bb.274:
	buffer_load_dword v114, off, s[0:3], 0 offset:272
	buffer_load_dword v115, off, s[0:3], 0 offset:276
	v_mov_b32_e32 v116, 0
	buffer_store_dword v116, off, s[0:3], 0 offset:272
	buffer_store_dword v116, off, s[0:3], 0 offset:276
	s_waitcnt vmcnt(2)
	ds_write_b64 v113, v[114:115]
.LBB119_275:
	s_or_b64 exec, exec, s[4:5]
	s_waitcnt lgkmcnt(0)
	; wave barrier
	buffer_load_dword v123, off, s[0:3], 0 offset:280
	buffer_load_dword v124, off, s[0:3], 0 offset:284
	;; [unrolled: 1-line block ×21, first 2 shown]
	v_mov_b32_e32 v114, 0
	ds_read2_b64 v[115:118], v114 offset0:91 offset1:92
	ds_read2_b64 v[119:122], v114 offset0:93 offset1:94
	buffer_load_dword v140, off, s[0:3], 0 offset:364
	v_cmp_lt_u32_e32 vcc, 33, v0
	s_waitcnt vmcnt(20) lgkmcnt(1)
	v_fma_f64 v[115:116], v[123:124], v[115:116], 0
	s_waitcnt vmcnt(18)
	v_fma_f64 v[115:116], v[125:126], v[117:118], v[115:116]
	buffer_load_dword v124, off, s[0:3], 0 offset:372
	buffer_load_dword v125, off, s[0:3], 0 offset:392
	buffer_load_dword v145, off, s[0:3], 0 offset:384
	buffer_load_dword v147, off, s[0:3], 0 offset:376
	buffer_load_dword v123, off, s[0:3], 0 offset:368
	buffer_load_dword v148, off, s[0:3], 0 offset:380
	buffer_load_dword v146, off, s[0:3], 0 offset:388
	s_waitcnt vmcnt(23) lgkmcnt(0)
	v_fma_f64 v[115:116], v[127:128], v[119:120], v[115:116]
	s_waitcnt vmcnt(21)
	v_fma_f64 v[126:127], v[129:130], v[121:122], v[115:116]
	ds_read2_b64 v[115:118], v114 offset0:95 offset1:96
	ds_read2_b64 v[119:122], v114 offset0:97 offset1:98
	s_waitcnt vmcnt(19) lgkmcnt(1)
	v_fma_f64 v[115:116], v[131:132], v[115:116], v[126:127]
	buffer_load_dword v126, off, s[0:3], 0 offset:396
	s_waitcnt vmcnt(18)
	v_fma_f64 v[115:116], v[133:134], v[117:118], v[115:116]
	buffer_load_dword v128, off, s[0:3], 0 offset:404
	buffer_load_dword v129, off, s[0:3], 0 offset:424
	;; [unrolled: 1-line block ×7, first 2 shown]
	s_waitcnt vmcnt(23) lgkmcnt(0)
	v_fma_f64 v[115:116], v[135:136], v[119:120], v[115:116]
	s_waitcnt vmcnt(18)
	v_fma_f64 v[135:136], v[137:138], v[121:122], v[115:116]
	ds_read2_b64 v[115:118], v114 offset0:99 offset1:100
	ds_read2_b64 v[119:122], v114 offset0:101 offset1:102
	buffer_load_dword v130, off, s[0:3], 0 offset:428
	s_waitcnt vmcnt(18) lgkmcnt(1)
	v_fma_f64 v[115:116], v[143:144], v[115:116], v[135:136]
	buffer_load_dword v136, off, s[0:3], 0 offset:436
	buffer_load_dword v137, off, s[0:3], 0 offset:440
	buffer_load_dword v135, off, s[0:3], 0 offset:432
	buffer_load_dword v138, off, s[0:3], 0 offset:444
	s_waitcnt vmcnt(21)
	v_fma_f64 v[115:116], v[141:142], v[117:118], v[115:116]
	s_waitcnt vmcnt(20) lgkmcnt(0)
	v_fma_f64 v[115:116], v[139:140], v[119:120], v[115:116]
	buffer_load_dword v139, off, s[0:3], 0 offset:272
	buffer_load_dword v140, off, s[0:3], 0 offset:276
	s_waitcnt vmcnt(17)
	v_fma_f64 v[123:124], v[123:124], v[121:122], v[115:116]
	ds_read2_b64 v[115:118], v114 offset0:103 offset1:104
	ds_read2_b64 v[119:122], v114 offset0:105 offset1:106
	s_waitcnt vmcnt(16) lgkmcnt(1)
	v_fma_f64 v[115:116], v[147:148], v[115:116], v[123:124]
	s_waitcnt vmcnt(15)
	v_fma_f64 v[115:116], v[145:146], v[117:118], v[115:116]
	s_waitcnt vmcnt(14) lgkmcnt(0)
	v_fma_f64 v[115:116], v[125:126], v[119:120], v[115:116]
	s_waitcnt vmcnt(9)
	v_fma_f64 v[123:124], v[127:128], v[121:122], v[115:116]
	ds_read2_b64 v[115:118], v114 offset0:107 offset1:108
	ds_read2_b64 v[119:122], v114 offset0:109 offset1:110
	s_waitcnt vmcnt(8) lgkmcnt(1)
	v_fma_f64 v[115:116], v[133:134], v[115:116], v[123:124]
	s_waitcnt vmcnt(7)
	v_fma_f64 v[115:116], v[131:132], v[117:118], v[115:116]
	ds_read_b64 v[117:118], v114 offset:888
	s_waitcnt vmcnt(6) lgkmcnt(1)
	v_fma_f64 v[115:116], v[129:130], v[119:120], v[115:116]
	s_waitcnt vmcnt(3)
	v_fma_f64 v[115:116], v[135:136], v[121:122], v[115:116]
	s_waitcnt vmcnt(2) lgkmcnt(0)
	v_fma_f64 v[115:116], v[137:138], v[117:118], v[115:116]
	s_waitcnt vmcnt(0)
	v_add_f64 v[115:116], v[139:140], -v[115:116]
	buffer_store_dword v116, off, s[0:3], 0 offset:276
	buffer_store_dword v115, off, s[0:3], 0 offset:272
	s_and_saveexec_b64 s[4:5], vcc
	s_cbranch_execz .LBB119_277
; %bb.276:
	buffer_load_dword v115, off, s[0:3], 0 offset:264
	buffer_load_dword v116, off, s[0:3], 0 offset:268
	s_waitcnt vmcnt(0)
	ds_write_b64 v113, v[115:116]
	buffer_store_dword v114, off, s[0:3], 0 offset:264
	buffer_store_dword v114, off, s[0:3], 0 offset:268
.LBB119_277:
	s_or_b64 exec, exec, s[4:5]
	s_waitcnt lgkmcnt(0)
	; wave barrier
	buffer_load_dword v123, off, s[0:3], 0 offset:272
	buffer_load_dword v124, off, s[0:3], 0 offset:276
	;; [unrolled: 1-line block ×21, first 2 shown]
	ds_read_b128 v[115:118], v114 offset:720
	ds_read_b128 v[119:122], v114 offset:736
	buffer_load_dword v140, off, s[0:3], 0 offset:356
	v_cmp_lt_u32_e32 vcc, 32, v0
	s_waitcnt vmcnt(20) lgkmcnt(1)
	v_fma_f64 v[115:116], v[123:124], v[115:116], 0
	s_waitcnt vmcnt(18)
	v_fma_f64 v[115:116], v[125:126], v[117:118], v[115:116]
	buffer_load_dword v124, off, s[0:3], 0 offset:364
	buffer_load_dword v125, off, s[0:3], 0 offset:384
	buffer_load_dword v145, off, s[0:3], 0 offset:376
	buffer_load_dword v147, off, s[0:3], 0 offset:368
	buffer_load_dword v123, off, s[0:3], 0 offset:360
	buffer_load_dword v148, off, s[0:3], 0 offset:372
	buffer_load_dword v146, off, s[0:3], 0 offset:380
	s_waitcnt vmcnt(23) lgkmcnt(0)
	v_fma_f64 v[115:116], v[127:128], v[119:120], v[115:116]
	s_waitcnt vmcnt(21)
	v_fma_f64 v[126:127], v[129:130], v[121:122], v[115:116]
	ds_read_b128 v[115:118], v114 offset:752
	ds_read_b128 v[119:122], v114 offset:768
	s_waitcnt vmcnt(19) lgkmcnt(1)
	v_fma_f64 v[115:116], v[131:132], v[115:116], v[126:127]
	buffer_load_dword v126, off, s[0:3], 0 offset:388
	s_waitcnt vmcnt(18)
	v_fma_f64 v[115:116], v[133:134], v[117:118], v[115:116]
	buffer_load_dword v128, off, s[0:3], 0 offset:396
	buffer_load_dword v129, off, s[0:3], 0 offset:416
	;; [unrolled: 1-line block ×8, first 2 shown]
	s_waitcnt vmcnt(24) lgkmcnt(0)
	v_fma_f64 v[115:116], v[135:136], v[119:120], v[115:116]
	s_waitcnt vmcnt(19)
	v_fma_f64 v[135:136], v[137:138], v[121:122], v[115:116]
	ds_read_b128 v[115:118], v114 offset:784
	ds_read_b128 v[119:122], v114 offset:800
	s_waitcnt vmcnt(18) lgkmcnt(1)
	v_fma_f64 v[115:116], v[143:144], v[115:116], v[135:136]
	s_waitcnt vmcnt(17)
	v_fma_f64 v[115:116], v[141:142], v[117:118], v[115:116]
	buffer_load_dword v136, off, s[0:3], 0 offset:428
	buffer_load_dword v137, off, s[0:3], 0 offset:440
	;; [unrolled: 1-line block ×6, first 2 shown]
	s_waitcnt vmcnt(22) lgkmcnt(0)
	v_fma_f64 v[115:116], v[139:140], v[119:120], v[115:116]
	s_waitcnt vmcnt(17)
	v_fma_f64 v[123:124], v[123:124], v[121:122], v[115:116]
	ds_read_b128 v[115:118], v114 offset:816
	buffer_load_dword v139, off, s[0:3], 0 offset:264
	buffer_load_dword v140, off, s[0:3], 0 offset:268
	ds_read_b128 v[119:122], v114 offset:832
	s_waitcnt vmcnt(18) lgkmcnt(1)
	v_fma_f64 v[115:116], v[147:148], v[115:116], v[123:124]
	s_waitcnt vmcnt(17)
	v_fma_f64 v[115:116], v[145:146], v[117:118], v[115:116]
	s_waitcnt vmcnt(16) lgkmcnt(0)
	v_fma_f64 v[115:116], v[125:126], v[119:120], v[115:116]
	s_waitcnt vmcnt(11)
	v_fma_f64 v[123:124], v[127:128], v[121:122], v[115:116]
	ds_read_b128 v[115:118], v114 offset:848
	ds_read_b128 v[119:122], v114 offset:864
	s_waitcnt vmcnt(10) lgkmcnt(1)
	v_fma_f64 v[115:116], v[133:134], v[115:116], v[123:124]
	s_waitcnt vmcnt(9)
	v_fma_f64 v[115:116], v[131:132], v[117:118], v[115:116]
	s_waitcnt vmcnt(8) lgkmcnt(0)
	v_fma_f64 v[115:116], v[129:130], v[119:120], v[115:116]
	s_waitcnt vmcnt(4)
	v_fma_f64 v[118:119], v[135:136], v[121:122], v[115:116]
	ds_read_b128 v[114:117], v114 offset:880
	s_waitcnt vmcnt(3) lgkmcnt(0)
	v_fma_f64 v[114:115], v[141:142], v[114:115], v[118:119]
	s_waitcnt vmcnt(2)
	v_fma_f64 v[114:115], v[137:138], v[116:117], v[114:115]
	s_waitcnt vmcnt(0)
	v_add_f64 v[114:115], v[139:140], -v[114:115]
	buffer_store_dword v115, off, s[0:3], 0 offset:268
	buffer_store_dword v114, off, s[0:3], 0 offset:264
	s_and_saveexec_b64 s[4:5], vcc
	s_cbranch_execz .LBB119_279
; %bb.278:
	buffer_load_dword v114, off, s[0:3], 0 offset:256
	buffer_load_dword v115, off, s[0:3], 0 offset:260
	v_mov_b32_e32 v116, 0
	buffer_store_dword v116, off, s[0:3], 0 offset:256
	buffer_store_dword v116, off, s[0:3], 0 offset:260
	s_waitcnt vmcnt(2)
	ds_write_b64 v113, v[114:115]
.LBB119_279:
	s_or_b64 exec, exec, s[4:5]
	s_waitcnt lgkmcnt(0)
	; wave barrier
	buffer_load_dword v123, off, s[0:3], 0 offset:264
	buffer_load_dword v124, off, s[0:3], 0 offset:268
	;; [unrolled: 1-line block ×21, first 2 shown]
	v_mov_b32_e32 v114, 0
	ds_read2_b64 v[115:118], v114 offset0:89 offset1:90
	ds_read2_b64 v[119:122], v114 offset0:91 offset1:92
	buffer_load_dword v140, off, s[0:3], 0 offset:348
	v_cmp_lt_u32_e32 vcc, 31, v0
	s_waitcnt vmcnt(20) lgkmcnt(1)
	v_fma_f64 v[115:116], v[123:124], v[115:116], 0
	s_waitcnt vmcnt(18)
	v_fma_f64 v[115:116], v[125:126], v[117:118], v[115:116]
	buffer_load_dword v124, off, s[0:3], 0 offset:356
	buffer_load_dword v125, off, s[0:3], 0 offset:376
	;; [unrolled: 1-line block ×7, first 2 shown]
	s_waitcnt vmcnt(23) lgkmcnt(0)
	v_fma_f64 v[115:116], v[127:128], v[119:120], v[115:116]
	s_waitcnt vmcnt(21)
	v_fma_f64 v[126:127], v[129:130], v[121:122], v[115:116]
	ds_read2_b64 v[115:118], v114 offset0:93 offset1:94
	ds_read2_b64 v[119:122], v114 offset0:95 offset1:96
	s_waitcnt vmcnt(19) lgkmcnt(1)
	v_fma_f64 v[115:116], v[131:132], v[115:116], v[126:127]
	buffer_load_dword v126, off, s[0:3], 0 offset:380
	s_waitcnt vmcnt(18)
	v_fma_f64 v[115:116], v[133:134], v[117:118], v[115:116]
	buffer_load_dword v128, off, s[0:3], 0 offset:388
	buffer_load_dword v129, off, s[0:3], 0 offset:408
	;; [unrolled: 1-line block ×8, first 2 shown]
	s_waitcnt vmcnt(24) lgkmcnt(0)
	v_fma_f64 v[115:116], v[135:136], v[119:120], v[115:116]
	s_waitcnt vmcnt(19)
	v_fma_f64 v[135:136], v[137:138], v[121:122], v[115:116]
	ds_read2_b64 v[115:118], v114 offset0:97 offset1:98
	ds_read2_b64 v[119:122], v114 offset0:99 offset1:100
	s_waitcnt vmcnt(18) lgkmcnt(1)
	v_fma_f64 v[115:116], v[143:144], v[115:116], v[135:136]
	s_waitcnt vmcnt(17)
	v_fma_f64 v[115:116], v[141:142], v[117:118], v[115:116]
	buffer_load_dword v136, off, s[0:3], 0 offset:420
	buffer_load_dword v137, off, s[0:3], 0 offset:440
	;; [unrolled: 1-line block ×8, first 2 shown]
	s_waitcnt vmcnt(24) lgkmcnt(0)
	v_fma_f64 v[115:116], v[139:140], v[119:120], v[115:116]
	s_waitcnt vmcnt(19)
	v_fma_f64 v[123:124], v[123:124], v[121:122], v[115:116]
	ds_read2_b64 v[115:118], v114 offset0:101 offset1:102
	ds_read2_b64 v[119:122], v114 offset0:103 offset1:104
	s_waitcnt vmcnt(18) lgkmcnt(1)
	v_fma_f64 v[115:116], v[147:148], v[115:116], v[123:124]
	buffer_load_dword v123, off, s[0:3], 0 offset:256
	buffer_load_dword v124, off, s[0:3], 0 offset:260
	s_waitcnt vmcnt(19)
	v_fma_f64 v[115:116], v[145:146], v[117:118], v[115:116]
	s_waitcnt vmcnt(18) lgkmcnt(0)
	v_fma_f64 v[115:116], v[125:126], v[119:120], v[115:116]
	s_waitcnt vmcnt(13)
	v_fma_f64 v[125:126], v[127:128], v[121:122], v[115:116]
	ds_read2_b64 v[115:118], v114 offset0:105 offset1:106
	ds_read2_b64 v[119:122], v114 offset0:107 offset1:108
	s_waitcnt vmcnt(12) lgkmcnt(1)
	v_fma_f64 v[115:116], v[133:134], v[115:116], v[125:126]
	s_waitcnt vmcnt(11)
	v_fma_f64 v[115:116], v[131:132], v[117:118], v[115:116]
	s_waitcnt vmcnt(10) lgkmcnt(0)
	v_fma_f64 v[115:116], v[129:130], v[119:120], v[115:116]
	s_waitcnt vmcnt(5)
	v_fma_f64 v[119:120], v[135:136], v[121:122], v[115:116]
	ds_read2_b64 v[115:118], v114 offset0:109 offset1:110
	ds_read_b64 v[121:122], v114 offset:888
	s_waitcnt vmcnt(4) lgkmcnt(1)
	v_fma_f64 v[115:116], v[143:144], v[115:116], v[119:120]
	s_waitcnt vmcnt(3)
	v_fma_f64 v[115:116], v[141:142], v[117:118], v[115:116]
	s_waitcnt vmcnt(2) lgkmcnt(0)
	v_fma_f64 v[115:116], v[137:138], v[121:122], v[115:116]
	s_waitcnt vmcnt(0)
	v_add_f64 v[115:116], v[123:124], -v[115:116]
	buffer_store_dword v116, off, s[0:3], 0 offset:260
	buffer_store_dword v115, off, s[0:3], 0 offset:256
	s_and_saveexec_b64 s[4:5], vcc
	s_cbranch_execz .LBB119_281
; %bb.280:
	buffer_load_dword v115, off, s[0:3], 0 offset:248
	buffer_load_dword v116, off, s[0:3], 0 offset:252
	s_waitcnt vmcnt(0)
	ds_write_b64 v113, v[115:116]
	buffer_store_dword v114, off, s[0:3], 0 offset:248
	buffer_store_dword v114, off, s[0:3], 0 offset:252
.LBB119_281:
	s_or_b64 exec, exec, s[4:5]
	s_waitcnt lgkmcnt(0)
	; wave barrier
	buffer_load_dword v123, off, s[0:3], 0 offset:256
	buffer_load_dword v124, off, s[0:3], 0 offset:260
	;; [unrolled: 1-line block ×21, first 2 shown]
	ds_read_b128 v[115:118], v114 offset:704
	ds_read_b128 v[119:122], v114 offset:720
	buffer_load_dword v140, off, s[0:3], 0 offset:340
	v_cmp_lt_u32_e32 vcc, 30, v0
	s_waitcnt vmcnt(20) lgkmcnt(1)
	v_fma_f64 v[115:116], v[123:124], v[115:116], 0
	s_waitcnt vmcnt(18)
	v_fma_f64 v[115:116], v[125:126], v[117:118], v[115:116]
	buffer_load_dword v124, off, s[0:3], 0 offset:348
	buffer_load_dword v125, off, s[0:3], 0 offset:368
	;; [unrolled: 1-line block ×7, first 2 shown]
	s_waitcnt vmcnt(23) lgkmcnt(0)
	v_fma_f64 v[115:116], v[127:128], v[119:120], v[115:116]
	s_waitcnt vmcnt(21)
	v_fma_f64 v[126:127], v[129:130], v[121:122], v[115:116]
	ds_read_b128 v[115:118], v114 offset:736
	ds_read_b128 v[119:122], v114 offset:752
	s_waitcnt vmcnt(19) lgkmcnt(1)
	v_fma_f64 v[115:116], v[131:132], v[115:116], v[126:127]
	buffer_load_dword v126, off, s[0:3], 0 offset:372
	s_waitcnt vmcnt(18)
	v_fma_f64 v[115:116], v[133:134], v[117:118], v[115:116]
	buffer_load_dword v128, off, s[0:3], 0 offset:380
	buffer_load_dword v129, off, s[0:3], 0 offset:400
	;; [unrolled: 1-line block ×8, first 2 shown]
	s_waitcnt vmcnt(24) lgkmcnt(0)
	v_fma_f64 v[115:116], v[135:136], v[119:120], v[115:116]
	s_waitcnt vmcnt(19)
	v_fma_f64 v[135:136], v[137:138], v[121:122], v[115:116]
	ds_read_b128 v[115:118], v114 offset:768
	ds_read_b128 v[119:122], v114 offset:784
	s_waitcnt vmcnt(18) lgkmcnt(1)
	v_fma_f64 v[115:116], v[143:144], v[115:116], v[135:136]
	s_waitcnt vmcnt(17)
	v_fma_f64 v[115:116], v[141:142], v[117:118], v[115:116]
	buffer_load_dword v136, off, s[0:3], 0 offset:412
	buffer_load_dword v137, off, s[0:3], 0 offset:432
	;; [unrolled: 1-line block ×8, first 2 shown]
	s_waitcnt vmcnt(24) lgkmcnt(0)
	v_fma_f64 v[115:116], v[139:140], v[119:120], v[115:116]
	s_waitcnt vmcnt(19)
	v_fma_f64 v[123:124], v[123:124], v[121:122], v[115:116]
	ds_read_b128 v[115:118], v114 offset:800
	ds_read_b128 v[119:122], v114 offset:816
	s_waitcnt vmcnt(18) lgkmcnt(1)
	v_fma_f64 v[115:116], v[147:148], v[115:116], v[123:124]
	buffer_load_dword v124, off, s[0:3], 0 offset:444
	buffer_load_dword v123, off, s[0:3], 0 offset:440
	;; [unrolled: 1-line block ×4, first 2 shown]
	s_waitcnt vmcnt(21)
	v_fma_f64 v[115:116], v[145:146], v[117:118], v[115:116]
	s_waitcnt vmcnt(20) lgkmcnt(0)
	v_fma_f64 v[115:116], v[125:126], v[119:120], v[115:116]
	s_waitcnt vmcnt(15)
	v_fma_f64 v[125:126], v[127:128], v[121:122], v[115:116]
	ds_read_b128 v[115:118], v114 offset:832
	ds_read_b128 v[119:122], v114 offset:848
	s_waitcnt vmcnt(14) lgkmcnt(1)
	v_fma_f64 v[115:116], v[133:134], v[115:116], v[125:126]
	s_waitcnt vmcnt(13)
	v_fma_f64 v[115:116], v[131:132], v[117:118], v[115:116]
	s_waitcnt vmcnt(12) lgkmcnt(0)
	v_fma_f64 v[115:116], v[129:130], v[119:120], v[115:116]
	s_waitcnt vmcnt(7)
	v_fma_f64 v[125:126], v[135:136], v[121:122], v[115:116]
	ds_read_b128 v[115:118], v114 offset:864
	ds_read_b128 v[119:122], v114 offset:880
	s_waitcnt vmcnt(6) lgkmcnt(1)
	v_fma_f64 v[114:115], v[143:144], v[115:116], v[125:126]
	s_waitcnt vmcnt(5)
	v_fma_f64 v[114:115], v[141:142], v[117:118], v[114:115]
	s_waitcnt vmcnt(4) lgkmcnt(0)
	v_fma_f64 v[114:115], v[137:138], v[119:120], v[114:115]
	s_waitcnt vmcnt(2)
	v_fma_f64 v[114:115], v[123:124], v[121:122], v[114:115]
	s_waitcnt vmcnt(0)
	v_add_f64 v[114:115], v[139:140], -v[114:115]
	buffer_store_dword v115, off, s[0:3], 0 offset:252
	buffer_store_dword v114, off, s[0:3], 0 offset:248
	s_and_saveexec_b64 s[4:5], vcc
	s_cbranch_execz .LBB119_283
; %bb.282:
	buffer_load_dword v114, off, s[0:3], 0 offset:240
	buffer_load_dword v115, off, s[0:3], 0 offset:244
	v_mov_b32_e32 v116, 0
	buffer_store_dword v116, off, s[0:3], 0 offset:240
	buffer_store_dword v116, off, s[0:3], 0 offset:244
	s_waitcnt vmcnt(2)
	ds_write_b64 v113, v[114:115]
.LBB119_283:
	s_or_b64 exec, exec, s[4:5]
	s_waitcnt lgkmcnt(0)
	; wave barrier
	buffer_load_dword v123, off, s[0:3], 0 offset:248
	buffer_load_dword v124, off, s[0:3], 0 offset:252
	;; [unrolled: 1-line block ×21, first 2 shown]
	v_mov_b32_e32 v114, 0
	ds_read2_b64 v[115:118], v114 offset0:87 offset1:88
	ds_read2_b64 v[119:122], v114 offset0:89 offset1:90
	buffer_load_dword v140, off, s[0:3], 0 offset:332
	v_cmp_lt_u32_e32 vcc, 29, v0
	s_waitcnt vmcnt(20) lgkmcnt(1)
	v_fma_f64 v[115:116], v[123:124], v[115:116], 0
	s_waitcnt vmcnt(18)
	v_fma_f64 v[115:116], v[125:126], v[117:118], v[115:116]
	buffer_load_dword v124, off, s[0:3], 0 offset:340
	buffer_load_dword v125, off, s[0:3], 0 offset:360
	;; [unrolled: 1-line block ×7, first 2 shown]
	s_waitcnt vmcnt(23) lgkmcnt(0)
	v_fma_f64 v[115:116], v[127:128], v[119:120], v[115:116]
	s_waitcnt vmcnt(21)
	v_fma_f64 v[126:127], v[129:130], v[121:122], v[115:116]
	ds_read2_b64 v[115:118], v114 offset0:91 offset1:92
	ds_read2_b64 v[119:122], v114 offset0:93 offset1:94
	s_waitcnt vmcnt(19) lgkmcnt(1)
	v_fma_f64 v[115:116], v[131:132], v[115:116], v[126:127]
	buffer_load_dword v126, off, s[0:3], 0 offset:364
	s_waitcnt vmcnt(18)
	v_fma_f64 v[115:116], v[133:134], v[117:118], v[115:116]
	buffer_load_dword v128, off, s[0:3], 0 offset:372
	buffer_load_dword v129, off, s[0:3], 0 offset:392
	buffer_load_dword v131, off, s[0:3], 0 offset:384
	buffer_load_dword v133, off, s[0:3], 0 offset:376
	buffer_load_dword v127, off, s[0:3], 0 offset:368
	buffer_load_dword v134, off, s[0:3], 0 offset:380
	buffer_load_dword v132, off, s[0:3], 0 offset:388
	buffer_load_dword v130, off, s[0:3], 0 offset:396
	s_waitcnt vmcnt(24) lgkmcnt(0)
	v_fma_f64 v[115:116], v[135:136], v[119:120], v[115:116]
	s_waitcnt vmcnt(19)
	v_fma_f64 v[135:136], v[137:138], v[121:122], v[115:116]
	ds_read2_b64 v[115:118], v114 offset0:95 offset1:96
	ds_read2_b64 v[119:122], v114 offset0:97 offset1:98
	s_waitcnt vmcnt(18) lgkmcnt(1)
	v_fma_f64 v[115:116], v[143:144], v[115:116], v[135:136]
	s_waitcnt vmcnt(17)
	v_fma_f64 v[115:116], v[141:142], v[117:118], v[115:116]
	buffer_load_dword v136, off, s[0:3], 0 offset:404
	buffer_load_dword v137, off, s[0:3], 0 offset:424
	;; [unrolled: 1-line block ×7, first 2 shown]
	s_waitcnt vmcnt(23) lgkmcnt(0)
	v_fma_f64 v[115:116], v[139:140], v[119:120], v[115:116]
	s_waitcnt vmcnt(18)
	v_fma_f64 v[123:124], v[123:124], v[121:122], v[115:116]
	ds_read2_b64 v[115:118], v114 offset0:99 offset1:100
	ds_read2_b64 v[119:122], v114 offset0:101 offset1:102
	buffer_load_dword v138, off, s[0:3], 0 offset:428
	s_waitcnt vmcnt(18) lgkmcnt(1)
	v_fma_f64 v[115:116], v[147:148], v[115:116], v[123:124]
	buffer_load_dword v124, off, s[0:3], 0 offset:436
	buffer_load_dword v139, off, s[0:3], 0 offset:440
	;; [unrolled: 1-line block ×4, first 2 shown]
	s_waitcnt vmcnt(21)
	v_fma_f64 v[115:116], v[145:146], v[117:118], v[115:116]
	s_waitcnt vmcnt(20) lgkmcnt(0)
	v_fma_f64 v[115:116], v[125:126], v[119:120], v[115:116]
	buffer_load_dword v125, off, s[0:3], 0 offset:240
	buffer_load_dword v126, off, s[0:3], 0 offset:244
	s_waitcnt vmcnt(17)
	v_fma_f64 v[127:128], v[127:128], v[121:122], v[115:116]
	ds_read2_b64 v[115:118], v114 offset0:103 offset1:104
	ds_read2_b64 v[119:122], v114 offset0:105 offset1:106
	s_waitcnt vmcnt(16) lgkmcnt(1)
	v_fma_f64 v[115:116], v[133:134], v[115:116], v[127:128]
	s_waitcnt vmcnt(15)
	v_fma_f64 v[115:116], v[131:132], v[117:118], v[115:116]
	s_waitcnt vmcnt(14) lgkmcnt(0)
	v_fma_f64 v[115:116], v[129:130], v[119:120], v[115:116]
	s_waitcnt vmcnt(9)
	v_fma_f64 v[127:128], v[135:136], v[121:122], v[115:116]
	ds_read2_b64 v[115:118], v114 offset0:107 offset1:108
	ds_read2_b64 v[119:122], v114 offset0:109 offset1:110
	s_waitcnt vmcnt(8) lgkmcnt(1)
	v_fma_f64 v[115:116], v[143:144], v[115:116], v[127:128]
	s_waitcnt vmcnt(7)
	v_fma_f64 v[115:116], v[141:142], v[117:118], v[115:116]
	ds_read_b64 v[117:118], v114 offset:888
	s_waitcnt vmcnt(6) lgkmcnt(1)
	v_fma_f64 v[115:116], v[137:138], v[119:120], v[115:116]
	s_waitcnt vmcnt(3)
	v_fma_f64 v[115:116], v[123:124], v[121:122], v[115:116]
	s_waitcnt vmcnt(2) lgkmcnt(0)
	v_fma_f64 v[115:116], v[139:140], v[117:118], v[115:116]
	s_waitcnt vmcnt(0)
	v_add_f64 v[115:116], v[125:126], -v[115:116]
	buffer_store_dword v116, off, s[0:3], 0 offset:244
	buffer_store_dword v115, off, s[0:3], 0 offset:240
	s_and_saveexec_b64 s[4:5], vcc
	s_cbranch_execz .LBB119_285
; %bb.284:
	buffer_load_dword v115, off, s[0:3], 0 offset:232
	buffer_load_dword v116, off, s[0:3], 0 offset:236
	s_waitcnt vmcnt(0)
	ds_write_b64 v113, v[115:116]
	buffer_store_dword v114, off, s[0:3], 0 offset:232
	buffer_store_dword v114, off, s[0:3], 0 offset:236
.LBB119_285:
	s_or_b64 exec, exec, s[4:5]
	s_waitcnt lgkmcnt(0)
	; wave barrier
	buffer_load_dword v123, off, s[0:3], 0 offset:240
	buffer_load_dword v124, off, s[0:3], 0 offset:244
	;; [unrolled: 1-line block ×22, first 2 shown]
	ds_read_b128 v[115:118], v114 offset:688
	ds_read_b128 v[119:122], v114 offset:704
	v_cmp_lt_u32_e32 vcc, 28, v0
	s_waitcnt vmcnt(20) lgkmcnt(1)
	v_fma_f64 v[115:116], v[123:124], v[115:116], 0
	s_waitcnt vmcnt(18)
	v_fma_f64 v[115:116], v[125:126], v[117:118], v[115:116]
	buffer_load_dword v124, off, s[0:3], 0 offset:332
	buffer_load_dword v125, off, s[0:3], 0 offset:352
	;; [unrolled: 1-line block ×7, first 2 shown]
	s_waitcnt vmcnt(23) lgkmcnt(0)
	v_fma_f64 v[115:116], v[127:128], v[119:120], v[115:116]
	s_waitcnt vmcnt(21)
	v_fma_f64 v[126:127], v[129:130], v[121:122], v[115:116]
	ds_read_b128 v[115:118], v114 offset:720
	ds_read_b128 v[119:122], v114 offset:736
	s_waitcnt vmcnt(19) lgkmcnt(1)
	v_fma_f64 v[115:116], v[131:132], v[115:116], v[126:127]
	buffer_load_dword v126, off, s[0:3], 0 offset:356
	s_waitcnt vmcnt(18)
	v_fma_f64 v[115:116], v[133:134], v[117:118], v[115:116]
	buffer_load_dword v128, off, s[0:3], 0 offset:364
	buffer_load_dword v129, off, s[0:3], 0 offset:384
	;; [unrolled: 1-line block ×8, first 2 shown]
	s_waitcnt vmcnt(24) lgkmcnt(0)
	v_fma_f64 v[115:116], v[135:136], v[119:120], v[115:116]
	s_waitcnt vmcnt(19)
	v_fma_f64 v[135:136], v[137:138], v[121:122], v[115:116]
	ds_read_b128 v[115:118], v114 offset:752
	ds_read_b128 v[119:122], v114 offset:768
	s_waitcnt vmcnt(18) lgkmcnt(1)
	v_fma_f64 v[115:116], v[143:144], v[115:116], v[135:136]
	s_waitcnt vmcnt(17)
	v_fma_f64 v[115:116], v[141:142], v[117:118], v[115:116]
	buffer_load_dword v136, off, s[0:3], 0 offset:396
	buffer_load_dword v137, off, s[0:3], 0 offset:416
	;; [unrolled: 1-line block ×8, first 2 shown]
	s_waitcnt vmcnt(24) lgkmcnt(0)
	v_fma_f64 v[115:116], v[139:140], v[119:120], v[115:116]
	s_waitcnt vmcnt(19)
	v_fma_f64 v[123:124], v[123:124], v[121:122], v[115:116]
	ds_read_b128 v[115:118], v114 offset:784
	ds_read_b128 v[119:122], v114 offset:800
	s_waitcnt vmcnt(18) lgkmcnt(1)
	v_fma_f64 v[115:116], v[147:148], v[115:116], v[123:124]
	s_waitcnt vmcnt(17)
	v_fma_f64 v[115:116], v[145:146], v[117:118], v[115:116]
	buffer_load_dword v124, off, s[0:3], 0 offset:428
	buffer_load_dword v139, off, s[0:3], 0 offset:440
	;; [unrolled: 1-line block ×6, first 2 shown]
	s_waitcnt vmcnt(22) lgkmcnt(0)
	v_fma_f64 v[115:116], v[125:126], v[119:120], v[115:116]
	s_waitcnt vmcnt(17)
	v_fma_f64 v[125:126], v[127:128], v[121:122], v[115:116]
	ds_read_b128 v[115:118], v114 offset:816
	buffer_load_dword v127, off, s[0:3], 0 offset:232
	buffer_load_dword v128, off, s[0:3], 0 offset:236
	ds_read_b128 v[119:122], v114 offset:832
	s_waitcnt vmcnt(18) lgkmcnt(1)
	v_fma_f64 v[115:116], v[133:134], v[115:116], v[125:126]
	s_waitcnt vmcnt(17)
	v_fma_f64 v[115:116], v[131:132], v[117:118], v[115:116]
	s_waitcnt vmcnt(16) lgkmcnt(0)
	v_fma_f64 v[115:116], v[129:130], v[119:120], v[115:116]
	s_waitcnt vmcnt(11)
	v_fma_f64 v[125:126], v[135:136], v[121:122], v[115:116]
	ds_read_b128 v[115:118], v114 offset:848
	ds_read_b128 v[119:122], v114 offset:864
	s_waitcnt vmcnt(10) lgkmcnt(1)
	v_fma_f64 v[115:116], v[143:144], v[115:116], v[125:126]
	s_waitcnt vmcnt(9)
	v_fma_f64 v[115:116], v[141:142], v[117:118], v[115:116]
	s_waitcnt vmcnt(8) lgkmcnt(0)
	v_fma_f64 v[115:116], v[137:138], v[119:120], v[115:116]
	s_waitcnt vmcnt(4)
	v_fma_f64 v[118:119], v[123:124], v[121:122], v[115:116]
	ds_read_b128 v[114:117], v114 offset:880
	s_waitcnt vmcnt(3) lgkmcnt(0)
	v_fma_f64 v[114:115], v[145:146], v[114:115], v[118:119]
	s_waitcnt vmcnt(2)
	v_fma_f64 v[114:115], v[139:140], v[116:117], v[114:115]
	s_waitcnt vmcnt(0)
	v_add_f64 v[114:115], v[127:128], -v[114:115]
	buffer_store_dword v115, off, s[0:3], 0 offset:236
	buffer_store_dword v114, off, s[0:3], 0 offset:232
	s_and_saveexec_b64 s[4:5], vcc
	s_cbranch_execz .LBB119_287
; %bb.286:
	buffer_load_dword v114, off, s[0:3], 0 offset:224
	buffer_load_dword v115, off, s[0:3], 0 offset:228
	v_mov_b32_e32 v116, 0
	buffer_store_dword v116, off, s[0:3], 0 offset:224
	buffer_store_dword v116, off, s[0:3], 0 offset:228
	s_waitcnt vmcnt(2)
	ds_write_b64 v113, v[114:115]
.LBB119_287:
	s_or_b64 exec, exec, s[4:5]
	s_waitcnt lgkmcnt(0)
	; wave barrier
	buffer_load_dword v123, off, s[0:3], 0 offset:232
	buffer_load_dword v124, off, s[0:3], 0 offset:236
	;; [unrolled: 1-line block ×22, first 2 shown]
	v_mov_b32_e32 v114, 0
	ds_read2_b64 v[115:118], v114 offset0:85 offset1:86
	ds_read2_b64 v[119:122], v114 offset0:87 offset1:88
	v_cmp_lt_u32_e32 vcc, 27, v0
	s_waitcnt vmcnt(20) lgkmcnt(1)
	v_fma_f64 v[115:116], v[123:124], v[115:116], 0
	s_waitcnt vmcnt(18)
	v_fma_f64 v[115:116], v[125:126], v[117:118], v[115:116]
	buffer_load_dword v124, off, s[0:3], 0 offset:324
	buffer_load_dword v125, off, s[0:3], 0 offset:344
	;; [unrolled: 1-line block ×7, first 2 shown]
	s_waitcnt vmcnt(23) lgkmcnt(0)
	v_fma_f64 v[115:116], v[127:128], v[119:120], v[115:116]
	s_waitcnt vmcnt(21)
	v_fma_f64 v[126:127], v[129:130], v[121:122], v[115:116]
	ds_read2_b64 v[115:118], v114 offset0:89 offset1:90
	ds_read2_b64 v[119:122], v114 offset0:91 offset1:92
	s_waitcnt vmcnt(19) lgkmcnt(1)
	v_fma_f64 v[115:116], v[131:132], v[115:116], v[126:127]
	buffer_load_dword v126, off, s[0:3], 0 offset:348
	s_waitcnt vmcnt(18)
	v_fma_f64 v[115:116], v[133:134], v[117:118], v[115:116]
	buffer_load_dword v128, off, s[0:3], 0 offset:356
	buffer_load_dword v129, off, s[0:3], 0 offset:376
	buffer_load_dword v131, off, s[0:3], 0 offset:368
	buffer_load_dword v133, off, s[0:3], 0 offset:360
	buffer_load_dword v127, off, s[0:3], 0 offset:352
	buffer_load_dword v134, off, s[0:3], 0 offset:364
	buffer_load_dword v132, off, s[0:3], 0 offset:372
	buffer_load_dword v130, off, s[0:3], 0 offset:380
	s_waitcnt vmcnt(24) lgkmcnt(0)
	v_fma_f64 v[115:116], v[135:136], v[119:120], v[115:116]
	s_waitcnt vmcnt(19)
	v_fma_f64 v[135:136], v[137:138], v[121:122], v[115:116]
	ds_read2_b64 v[115:118], v114 offset0:93 offset1:94
	ds_read2_b64 v[119:122], v114 offset0:95 offset1:96
	s_waitcnt vmcnt(18) lgkmcnt(1)
	v_fma_f64 v[115:116], v[143:144], v[115:116], v[135:136]
	s_waitcnt vmcnt(17)
	v_fma_f64 v[115:116], v[141:142], v[117:118], v[115:116]
	buffer_load_dword v136, off, s[0:3], 0 offset:388
	buffer_load_dword v137, off, s[0:3], 0 offset:408
	buffer_load_dword v141, off, s[0:3], 0 offset:400
	buffer_load_dword v143, off, s[0:3], 0 offset:392
	buffer_load_dword v135, off, s[0:3], 0 offset:384
	buffer_load_dword v144, off, s[0:3], 0 offset:396
	buffer_load_dword v142, off, s[0:3], 0 offset:404
	buffer_load_dword v138, off, s[0:3], 0 offset:412
	s_waitcnt vmcnt(24) lgkmcnt(0)
	v_fma_f64 v[115:116], v[139:140], v[119:120], v[115:116]
	s_waitcnt vmcnt(19)
	v_fma_f64 v[123:124], v[123:124], v[121:122], v[115:116]
	ds_read2_b64 v[115:118], v114 offset0:97 offset1:98
	ds_read2_b64 v[119:122], v114 offset0:99 offset1:100
	s_waitcnt vmcnt(18) lgkmcnt(1)
	v_fma_f64 v[115:116], v[147:148], v[115:116], v[123:124]
	;; [unrolled: 18-line block ×3, first 2 shown]
	buffer_load_dword v125, off, s[0:3], 0 offset:224
	buffer_load_dword v126, off, s[0:3], 0 offset:228
	s_waitcnt vmcnt(19)
	v_fma_f64 v[115:116], v[131:132], v[117:118], v[115:116]
	s_waitcnt vmcnt(18) lgkmcnt(0)
	v_fma_f64 v[115:116], v[129:130], v[119:120], v[115:116]
	s_waitcnt vmcnt(13)
	v_fma_f64 v[127:128], v[135:136], v[121:122], v[115:116]
	ds_read2_b64 v[115:118], v114 offset0:105 offset1:106
	ds_read2_b64 v[119:122], v114 offset0:107 offset1:108
	s_waitcnt vmcnt(12) lgkmcnt(1)
	v_fma_f64 v[115:116], v[143:144], v[115:116], v[127:128]
	s_waitcnt vmcnt(11)
	v_fma_f64 v[115:116], v[141:142], v[117:118], v[115:116]
	s_waitcnt vmcnt(10) lgkmcnt(0)
	v_fma_f64 v[115:116], v[137:138], v[119:120], v[115:116]
	s_waitcnt vmcnt(5)
	v_fma_f64 v[119:120], v[123:124], v[121:122], v[115:116]
	ds_read2_b64 v[115:118], v114 offset0:109 offset1:110
	ds_read_b64 v[121:122], v114 offset:888
	s_waitcnt vmcnt(4) lgkmcnt(1)
	v_fma_f64 v[115:116], v[147:148], v[115:116], v[119:120]
	s_waitcnt vmcnt(3)
	v_fma_f64 v[115:116], v[145:146], v[117:118], v[115:116]
	s_waitcnt vmcnt(2) lgkmcnt(0)
	v_fma_f64 v[115:116], v[139:140], v[121:122], v[115:116]
	s_waitcnt vmcnt(0)
	v_add_f64 v[115:116], v[125:126], -v[115:116]
	buffer_store_dword v116, off, s[0:3], 0 offset:228
	buffer_store_dword v115, off, s[0:3], 0 offset:224
	s_and_saveexec_b64 s[4:5], vcc
	s_cbranch_execz .LBB119_289
; %bb.288:
	buffer_load_dword v115, off, s[0:3], 0 offset:216
	buffer_load_dword v116, off, s[0:3], 0 offset:220
	s_waitcnt vmcnt(0)
	ds_write_b64 v113, v[115:116]
	buffer_store_dword v114, off, s[0:3], 0 offset:216
	buffer_store_dword v114, off, s[0:3], 0 offset:220
.LBB119_289:
	s_or_b64 exec, exec, s[4:5]
	s_waitcnt lgkmcnt(0)
	; wave barrier
	buffer_load_dword v123, off, s[0:3], 0 offset:224
	buffer_load_dword v124, off, s[0:3], 0 offset:228
	;; [unrolled: 1-line block ×22, first 2 shown]
	ds_read_b128 v[115:118], v114 offset:672
	ds_read_b128 v[119:122], v114 offset:688
	v_cmp_lt_u32_e32 vcc, 26, v0
	s_waitcnt vmcnt(20) lgkmcnt(1)
	v_fma_f64 v[115:116], v[123:124], v[115:116], 0
	s_waitcnt vmcnt(18)
	v_fma_f64 v[115:116], v[125:126], v[117:118], v[115:116]
	buffer_load_dword v124, off, s[0:3], 0 offset:316
	buffer_load_dword v125, off, s[0:3], 0 offset:336
	;; [unrolled: 1-line block ×7, first 2 shown]
	s_waitcnt vmcnt(23) lgkmcnt(0)
	v_fma_f64 v[115:116], v[127:128], v[119:120], v[115:116]
	s_waitcnt vmcnt(21)
	v_fma_f64 v[126:127], v[129:130], v[121:122], v[115:116]
	ds_read_b128 v[115:118], v114 offset:704
	ds_read_b128 v[119:122], v114 offset:720
	s_waitcnt vmcnt(19) lgkmcnt(1)
	v_fma_f64 v[115:116], v[131:132], v[115:116], v[126:127]
	buffer_load_dword v126, off, s[0:3], 0 offset:340
	s_waitcnt vmcnt(18)
	v_fma_f64 v[115:116], v[133:134], v[117:118], v[115:116]
	buffer_load_dword v128, off, s[0:3], 0 offset:348
	buffer_load_dword v129, off, s[0:3], 0 offset:368
	buffer_load_dword v131, off, s[0:3], 0 offset:360
	buffer_load_dword v133, off, s[0:3], 0 offset:352
	buffer_load_dword v127, off, s[0:3], 0 offset:344
	buffer_load_dword v134, off, s[0:3], 0 offset:356
	buffer_load_dword v132, off, s[0:3], 0 offset:364
	buffer_load_dword v130, off, s[0:3], 0 offset:372
	s_waitcnt vmcnt(24) lgkmcnt(0)
	v_fma_f64 v[115:116], v[135:136], v[119:120], v[115:116]
	s_waitcnt vmcnt(19)
	v_fma_f64 v[135:136], v[137:138], v[121:122], v[115:116]
	ds_read_b128 v[115:118], v114 offset:736
	ds_read_b128 v[119:122], v114 offset:752
	s_waitcnt vmcnt(18) lgkmcnt(1)
	v_fma_f64 v[115:116], v[143:144], v[115:116], v[135:136]
	s_waitcnt vmcnt(17)
	v_fma_f64 v[115:116], v[141:142], v[117:118], v[115:116]
	buffer_load_dword v136, off, s[0:3], 0 offset:380
	buffer_load_dword v137, off, s[0:3], 0 offset:400
	buffer_load_dword v141, off, s[0:3], 0 offset:392
	buffer_load_dword v143, off, s[0:3], 0 offset:384
	buffer_load_dword v135, off, s[0:3], 0 offset:376
	buffer_load_dword v144, off, s[0:3], 0 offset:388
	buffer_load_dword v142, off, s[0:3], 0 offset:396
	buffer_load_dword v138, off, s[0:3], 0 offset:404
	s_waitcnt vmcnt(24) lgkmcnt(0)
	v_fma_f64 v[115:116], v[139:140], v[119:120], v[115:116]
	s_waitcnt vmcnt(19)
	v_fma_f64 v[123:124], v[123:124], v[121:122], v[115:116]
	ds_read_b128 v[115:118], v114 offset:768
	ds_read_b128 v[119:122], v114 offset:784
	s_waitcnt vmcnt(18) lgkmcnt(1)
	v_fma_f64 v[115:116], v[147:148], v[115:116], v[123:124]
	;; [unrolled: 18-line block ×3, first 2 shown]
	buffer_load_dword v126, off, s[0:3], 0 offset:444
	buffer_load_dword v125, off, s[0:3], 0 offset:440
	;; [unrolled: 1-line block ×4, first 2 shown]
	s_waitcnt vmcnt(21)
	v_fma_f64 v[115:116], v[131:132], v[117:118], v[115:116]
	s_waitcnt vmcnt(20) lgkmcnt(0)
	v_fma_f64 v[115:116], v[129:130], v[119:120], v[115:116]
	s_waitcnt vmcnt(15)
	v_fma_f64 v[129:130], v[135:136], v[121:122], v[115:116]
	ds_read_b128 v[115:118], v114 offset:832
	ds_read_b128 v[119:122], v114 offset:848
	s_waitcnt vmcnt(14) lgkmcnt(1)
	v_fma_f64 v[115:116], v[143:144], v[115:116], v[129:130]
	s_waitcnt vmcnt(13)
	v_fma_f64 v[115:116], v[141:142], v[117:118], v[115:116]
	s_waitcnt vmcnt(12) lgkmcnt(0)
	v_fma_f64 v[115:116], v[137:138], v[119:120], v[115:116]
	s_waitcnt vmcnt(7)
	v_fma_f64 v[123:124], v[123:124], v[121:122], v[115:116]
	ds_read_b128 v[115:118], v114 offset:864
	ds_read_b128 v[119:122], v114 offset:880
	s_waitcnt vmcnt(6) lgkmcnt(1)
	v_fma_f64 v[114:115], v[147:148], v[115:116], v[123:124]
	s_waitcnt vmcnt(5)
	v_fma_f64 v[114:115], v[145:146], v[117:118], v[114:115]
	s_waitcnt vmcnt(4) lgkmcnt(0)
	v_fma_f64 v[114:115], v[139:140], v[119:120], v[114:115]
	s_waitcnt vmcnt(2)
	v_fma_f64 v[114:115], v[125:126], v[121:122], v[114:115]
	s_waitcnt vmcnt(0)
	v_add_f64 v[114:115], v[127:128], -v[114:115]
	buffer_store_dword v115, off, s[0:3], 0 offset:220
	buffer_store_dword v114, off, s[0:3], 0 offset:216
	s_and_saveexec_b64 s[4:5], vcc
	s_cbranch_execz .LBB119_291
; %bb.290:
	buffer_load_dword v114, off, s[0:3], 0 offset:208
	buffer_load_dword v115, off, s[0:3], 0 offset:212
	v_mov_b32_e32 v116, 0
	buffer_store_dword v116, off, s[0:3], 0 offset:208
	buffer_store_dword v116, off, s[0:3], 0 offset:212
	s_waitcnt vmcnt(2)
	ds_write_b64 v113, v[114:115]
.LBB119_291:
	s_or_b64 exec, exec, s[4:5]
	s_waitcnt lgkmcnt(0)
	; wave barrier
	buffer_load_dword v123, off, s[0:3], 0 offset:216
	buffer_load_dword v124, off, s[0:3], 0 offset:220
	;; [unrolled: 1-line block ×22, first 2 shown]
	v_mov_b32_e32 v114, 0
	ds_read2_b64 v[115:118], v114 offset0:83 offset1:84
	ds_read2_b64 v[119:122], v114 offset0:85 offset1:86
	v_cmp_lt_u32_e32 vcc, 25, v0
	s_waitcnt vmcnt(20) lgkmcnt(1)
	v_fma_f64 v[115:116], v[123:124], v[115:116], 0
	s_waitcnt vmcnt(18)
	v_fma_f64 v[115:116], v[125:126], v[117:118], v[115:116]
	buffer_load_dword v124, off, s[0:3], 0 offset:308
	buffer_load_dword v125, off, s[0:3], 0 offset:328
	;; [unrolled: 1-line block ×7, first 2 shown]
	s_waitcnt vmcnt(23) lgkmcnt(0)
	v_fma_f64 v[115:116], v[127:128], v[119:120], v[115:116]
	s_waitcnt vmcnt(21)
	v_fma_f64 v[126:127], v[129:130], v[121:122], v[115:116]
	ds_read2_b64 v[115:118], v114 offset0:87 offset1:88
	ds_read2_b64 v[119:122], v114 offset0:89 offset1:90
	s_waitcnt vmcnt(19) lgkmcnt(1)
	v_fma_f64 v[115:116], v[131:132], v[115:116], v[126:127]
	buffer_load_dword v126, off, s[0:3], 0 offset:332
	s_waitcnt vmcnt(18)
	v_fma_f64 v[115:116], v[133:134], v[117:118], v[115:116]
	buffer_load_dword v128, off, s[0:3], 0 offset:340
	buffer_load_dword v129, off, s[0:3], 0 offset:360
	;; [unrolled: 1-line block ×7, first 2 shown]
	s_waitcnt vmcnt(23) lgkmcnt(0)
	v_fma_f64 v[115:116], v[135:136], v[119:120], v[115:116]
	s_waitcnt vmcnt(18)
	v_fma_f64 v[135:136], v[137:138], v[121:122], v[115:116]
	ds_read2_b64 v[115:118], v114 offset0:91 offset1:92
	ds_read2_b64 v[119:122], v114 offset0:93 offset1:94
	buffer_load_dword v130, off, s[0:3], 0 offset:364
	s_waitcnt vmcnt(18) lgkmcnt(1)
	v_fma_f64 v[115:116], v[143:144], v[115:116], v[135:136]
	s_waitcnt vmcnt(17)
	v_fma_f64 v[115:116], v[141:142], v[117:118], v[115:116]
	buffer_load_dword v136, off, s[0:3], 0 offset:372
	buffer_load_dword v137, off, s[0:3], 0 offset:392
	;; [unrolled: 1-line block ×8, first 2 shown]
	s_waitcnt vmcnt(24) lgkmcnt(0)
	v_fma_f64 v[115:116], v[139:140], v[119:120], v[115:116]
	s_waitcnt vmcnt(19)
	v_fma_f64 v[123:124], v[123:124], v[121:122], v[115:116]
	ds_read2_b64 v[115:118], v114 offset0:95 offset1:96
	ds_read2_b64 v[119:122], v114 offset0:97 offset1:98
	s_waitcnt vmcnt(18) lgkmcnt(1)
	v_fma_f64 v[115:116], v[147:148], v[115:116], v[123:124]
	s_waitcnt vmcnt(17)
	v_fma_f64 v[115:116], v[145:146], v[117:118], v[115:116]
	buffer_load_dword v124, off, s[0:3], 0 offset:404
	buffer_load_dword v139, off, s[0:3], 0 offset:424
	;; [unrolled: 1-line block ×7, first 2 shown]
	s_waitcnt vmcnt(23) lgkmcnt(0)
	v_fma_f64 v[115:116], v[125:126], v[119:120], v[115:116]
	s_waitcnt vmcnt(18)
	v_fma_f64 v[125:126], v[127:128], v[121:122], v[115:116]
	ds_read2_b64 v[115:118], v114 offset0:99 offset1:100
	ds_read2_b64 v[119:122], v114 offset0:101 offset1:102
	buffer_load_dword v140, off, s[0:3], 0 offset:428
	s_waitcnt vmcnt(18) lgkmcnt(1)
	v_fma_f64 v[115:116], v[133:134], v[115:116], v[125:126]
	buffer_load_dword v126, off, s[0:3], 0 offset:436
	buffer_load_dword v127, off, s[0:3], 0 offset:440
	;; [unrolled: 1-line block ×4, first 2 shown]
	s_waitcnt vmcnt(21)
	v_fma_f64 v[115:116], v[131:132], v[117:118], v[115:116]
	s_waitcnt vmcnt(20) lgkmcnt(0)
	v_fma_f64 v[115:116], v[129:130], v[119:120], v[115:116]
	buffer_load_dword v129, off, s[0:3], 0 offset:208
	buffer_load_dword v130, off, s[0:3], 0 offset:212
	s_waitcnt vmcnt(17)
	v_fma_f64 v[131:132], v[135:136], v[121:122], v[115:116]
	ds_read2_b64 v[115:118], v114 offset0:103 offset1:104
	ds_read2_b64 v[119:122], v114 offset0:105 offset1:106
	s_waitcnt vmcnt(16) lgkmcnt(1)
	v_fma_f64 v[115:116], v[143:144], v[115:116], v[131:132]
	s_waitcnt vmcnt(15)
	v_fma_f64 v[115:116], v[141:142], v[117:118], v[115:116]
	s_waitcnt vmcnt(14) lgkmcnt(0)
	v_fma_f64 v[115:116], v[137:138], v[119:120], v[115:116]
	s_waitcnt vmcnt(9)
	v_fma_f64 v[123:124], v[123:124], v[121:122], v[115:116]
	ds_read2_b64 v[115:118], v114 offset0:107 offset1:108
	ds_read2_b64 v[119:122], v114 offset0:109 offset1:110
	s_waitcnt vmcnt(8) lgkmcnt(1)
	v_fma_f64 v[115:116], v[147:148], v[115:116], v[123:124]
	s_waitcnt vmcnt(7)
	v_fma_f64 v[115:116], v[145:146], v[117:118], v[115:116]
	ds_read_b64 v[117:118], v114 offset:888
	s_waitcnt vmcnt(6) lgkmcnt(1)
	v_fma_f64 v[115:116], v[139:140], v[119:120], v[115:116]
	s_waitcnt vmcnt(3)
	v_fma_f64 v[115:116], v[125:126], v[121:122], v[115:116]
	s_waitcnt vmcnt(2) lgkmcnt(0)
	v_fma_f64 v[115:116], v[127:128], v[117:118], v[115:116]
	s_waitcnt vmcnt(0)
	v_add_f64 v[115:116], v[129:130], -v[115:116]
	buffer_store_dword v116, off, s[0:3], 0 offset:212
	buffer_store_dword v115, off, s[0:3], 0 offset:208
	s_and_saveexec_b64 s[4:5], vcc
	s_cbranch_execz .LBB119_293
; %bb.292:
	buffer_load_dword v115, off, s[0:3], 0 offset:200
	buffer_load_dword v116, off, s[0:3], 0 offset:204
	s_waitcnt vmcnt(0)
	ds_write_b64 v113, v[115:116]
	buffer_store_dword v114, off, s[0:3], 0 offset:200
	buffer_store_dword v114, off, s[0:3], 0 offset:204
.LBB119_293:
	s_or_b64 exec, exec, s[4:5]
	s_waitcnt lgkmcnt(0)
	; wave barrier
	buffer_load_dword v123, off, s[0:3], 0 offset:208
	buffer_load_dword v124, off, s[0:3], 0 offset:212
	;; [unrolled: 1-line block ×22, first 2 shown]
	ds_read_b128 v[115:118], v114 offset:656
	ds_read_b128 v[119:122], v114 offset:672
	v_cmp_lt_u32_e32 vcc, 24, v0
	s_waitcnt vmcnt(20) lgkmcnt(1)
	v_fma_f64 v[115:116], v[123:124], v[115:116], 0
	s_waitcnt vmcnt(18)
	v_fma_f64 v[115:116], v[125:126], v[117:118], v[115:116]
	buffer_load_dword v124, off, s[0:3], 0 offset:300
	buffer_load_dword v125, off, s[0:3], 0 offset:320
	;; [unrolled: 1-line block ×7, first 2 shown]
	s_waitcnt vmcnt(23) lgkmcnt(0)
	v_fma_f64 v[115:116], v[127:128], v[119:120], v[115:116]
	s_waitcnt vmcnt(21)
	v_fma_f64 v[126:127], v[129:130], v[121:122], v[115:116]
	ds_read_b128 v[115:118], v114 offset:688
	ds_read_b128 v[119:122], v114 offset:704
	s_waitcnt vmcnt(19) lgkmcnt(1)
	v_fma_f64 v[115:116], v[131:132], v[115:116], v[126:127]
	buffer_load_dword v126, off, s[0:3], 0 offset:324
	s_waitcnt vmcnt(18)
	v_fma_f64 v[115:116], v[133:134], v[117:118], v[115:116]
	buffer_load_dword v128, off, s[0:3], 0 offset:332
	buffer_load_dword v129, off, s[0:3], 0 offset:352
	;; [unrolled: 1-line block ×7, first 2 shown]
	s_waitcnt vmcnt(23) lgkmcnt(0)
	v_fma_f64 v[115:116], v[135:136], v[119:120], v[115:116]
	s_waitcnt vmcnt(18)
	v_fma_f64 v[135:136], v[137:138], v[121:122], v[115:116]
	ds_read_b128 v[115:118], v114 offset:720
	ds_read_b128 v[119:122], v114 offset:736
	buffer_load_dword v130, off, s[0:3], 0 offset:356
	s_waitcnt vmcnt(18) lgkmcnt(1)
	v_fma_f64 v[115:116], v[143:144], v[115:116], v[135:136]
	s_waitcnt vmcnt(17)
	v_fma_f64 v[115:116], v[141:142], v[117:118], v[115:116]
	buffer_load_dword v136, off, s[0:3], 0 offset:364
	buffer_load_dword v137, off, s[0:3], 0 offset:384
	;; [unrolled: 1-line block ×8, first 2 shown]
	s_waitcnt vmcnt(24) lgkmcnt(0)
	v_fma_f64 v[115:116], v[139:140], v[119:120], v[115:116]
	s_waitcnt vmcnt(19)
	v_fma_f64 v[123:124], v[123:124], v[121:122], v[115:116]
	ds_read_b128 v[115:118], v114 offset:752
	ds_read_b128 v[119:122], v114 offset:768
	s_waitcnt vmcnt(18) lgkmcnt(1)
	v_fma_f64 v[115:116], v[147:148], v[115:116], v[123:124]
	s_waitcnt vmcnt(17)
	v_fma_f64 v[115:116], v[145:146], v[117:118], v[115:116]
	buffer_load_dword v124, off, s[0:3], 0 offset:396
	buffer_load_dword v139, off, s[0:3], 0 offset:416
	;; [unrolled: 1-line block ×8, first 2 shown]
	s_waitcnt vmcnt(24) lgkmcnt(0)
	v_fma_f64 v[115:116], v[125:126], v[119:120], v[115:116]
	s_waitcnt vmcnt(19)
	v_fma_f64 v[125:126], v[127:128], v[121:122], v[115:116]
	ds_read_b128 v[115:118], v114 offset:784
	ds_read_b128 v[119:122], v114 offset:800
	s_waitcnt vmcnt(18) lgkmcnt(1)
	v_fma_f64 v[115:116], v[133:134], v[115:116], v[125:126]
	s_waitcnt vmcnt(17)
	v_fma_f64 v[115:116], v[131:132], v[117:118], v[115:116]
	buffer_load_dword v126, off, s[0:3], 0 offset:428
	buffer_load_dword v127, off, s[0:3], 0 offset:440
	buffer_load_dword v131, off, s[0:3], 0 offset:432
	buffer_load_dword v125, off, s[0:3], 0 offset:424
	buffer_load_dword v132, off, s[0:3], 0 offset:436
	buffer_load_dword v128, off, s[0:3], 0 offset:444
	s_waitcnt vmcnt(22) lgkmcnt(0)
	v_fma_f64 v[115:116], v[129:130], v[119:120], v[115:116]
	s_waitcnt vmcnt(17)
	v_fma_f64 v[129:130], v[135:136], v[121:122], v[115:116]
	ds_read_b128 v[115:118], v114 offset:816
	buffer_load_dword v133, off, s[0:3], 0 offset:200
	buffer_load_dword v134, off, s[0:3], 0 offset:204
	ds_read_b128 v[119:122], v114 offset:832
	s_waitcnt vmcnt(18) lgkmcnt(1)
	v_fma_f64 v[115:116], v[143:144], v[115:116], v[129:130]
	s_waitcnt vmcnt(17)
	v_fma_f64 v[115:116], v[141:142], v[117:118], v[115:116]
	s_waitcnt vmcnt(16) lgkmcnt(0)
	v_fma_f64 v[115:116], v[137:138], v[119:120], v[115:116]
	s_waitcnt vmcnt(11)
	v_fma_f64 v[123:124], v[123:124], v[121:122], v[115:116]
	ds_read_b128 v[115:118], v114 offset:848
	ds_read_b128 v[119:122], v114 offset:864
	s_waitcnt vmcnt(10) lgkmcnt(1)
	v_fma_f64 v[115:116], v[147:148], v[115:116], v[123:124]
	s_waitcnt vmcnt(9)
	v_fma_f64 v[115:116], v[145:146], v[117:118], v[115:116]
	s_waitcnt vmcnt(8) lgkmcnt(0)
	v_fma_f64 v[115:116], v[139:140], v[119:120], v[115:116]
	s_waitcnt vmcnt(4)
	v_fma_f64 v[118:119], v[125:126], v[121:122], v[115:116]
	ds_read_b128 v[114:117], v114 offset:880
	s_waitcnt vmcnt(3) lgkmcnt(0)
	v_fma_f64 v[114:115], v[131:132], v[114:115], v[118:119]
	s_waitcnt vmcnt(2)
	v_fma_f64 v[114:115], v[127:128], v[116:117], v[114:115]
	s_waitcnt vmcnt(0)
	v_add_f64 v[114:115], v[133:134], -v[114:115]
	buffer_store_dword v115, off, s[0:3], 0 offset:204
	buffer_store_dword v114, off, s[0:3], 0 offset:200
	s_and_saveexec_b64 s[4:5], vcc
	s_cbranch_execz .LBB119_295
; %bb.294:
	buffer_load_dword v114, off, s[0:3], 0 offset:192
	buffer_load_dword v115, off, s[0:3], 0 offset:196
	v_mov_b32_e32 v116, 0
	buffer_store_dword v116, off, s[0:3], 0 offset:192
	buffer_store_dword v116, off, s[0:3], 0 offset:196
	s_waitcnt vmcnt(2)
	ds_write_b64 v113, v[114:115]
.LBB119_295:
	s_or_b64 exec, exec, s[4:5]
	s_waitcnt lgkmcnt(0)
	; wave barrier
	buffer_load_dword v123, off, s[0:3], 0 offset:200
	buffer_load_dword v124, off, s[0:3], 0 offset:204
	;; [unrolled: 1-line block ×22, first 2 shown]
	v_mov_b32_e32 v114, 0
	ds_read2_b64 v[115:118], v114 offset0:81 offset1:82
	ds_read2_b64 v[119:122], v114 offset0:83 offset1:84
	v_cmp_lt_u32_e32 vcc, 23, v0
	s_waitcnt vmcnt(20) lgkmcnt(1)
	v_fma_f64 v[115:116], v[123:124], v[115:116], 0
	s_waitcnt vmcnt(18)
	v_fma_f64 v[115:116], v[125:126], v[117:118], v[115:116]
	buffer_load_dword v124, off, s[0:3], 0 offset:292
	buffer_load_dword v125, off, s[0:3], 0 offset:312
	;; [unrolled: 1-line block ×7, first 2 shown]
	s_waitcnt vmcnt(23) lgkmcnt(0)
	v_fma_f64 v[115:116], v[127:128], v[119:120], v[115:116]
	s_waitcnt vmcnt(21)
	v_fma_f64 v[126:127], v[129:130], v[121:122], v[115:116]
	ds_read2_b64 v[115:118], v114 offset0:85 offset1:86
	ds_read2_b64 v[119:122], v114 offset0:87 offset1:88
	s_waitcnt vmcnt(19) lgkmcnt(1)
	v_fma_f64 v[115:116], v[131:132], v[115:116], v[126:127]
	buffer_load_dword v126, off, s[0:3], 0 offset:316
	s_waitcnt vmcnt(18)
	v_fma_f64 v[115:116], v[133:134], v[117:118], v[115:116]
	buffer_load_dword v128, off, s[0:3], 0 offset:324
	buffer_load_dword v129, off, s[0:3], 0 offset:344
	;; [unrolled: 1-line block ×7, first 2 shown]
	s_waitcnt vmcnt(23) lgkmcnt(0)
	v_fma_f64 v[115:116], v[135:136], v[119:120], v[115:116]
	s_waitcnt vmcnt(18)
	v_fma_f64 v[135:136], v[137:138], v[121:122], v[115:116]
	ds_read2_b64 v[115:118], v114 offset0:89 offset1:90
	ds_read2_b64 v[119:122], v114 offset0:91 offset1:92
	buffer_load_dword v130, off, s[0:3], 0 offset:348
	s_waitcnt vmcnt(18) lgkmcnt(1)
	v_fma_f64 v[115:116], v[143:144], v[115:116], v[135:136]
	s_waitcnt vmcnt(17)
	v_fma_f64 v[115:116], v[141:142], v[117:118], v[115:116]
	buffer_load_dword v136, off, s[0:3], 0 offset:356
	buffer_load_dword v137, off, s[0:3], 0 offset:376
	buffer_load_dword v141, off, s[0:3], 0 offset:368
	buffer_load_dword v143, off, s[0:3], 0 offset:360
	buffer_load_dword v135, off, s[0:3], 0 offset:352
	buffer_load_dword v144, off, s[0:3], 0 offset:364
	buffer_load_dword v142, off, s[0:3], 0 offset:372
	buffer_load_dword v138, off, s[0:3], 0 offset:380
	s_waitcnt vmcnt(24) lgkmcnt(0)
	v_fma_f64 v[115:116], v[139:140], v[119:120], v[115:116]
	s_waitcnt vmcnt(19)
	v_fma_f64 v[123:124], v[123:124], v[121:122], v[115:116]
	ds_read2_b64 v[115:118], v114 offset0:93 offset1:94
	ds_read2_b64 v[119:122], v114 offset0:95 offset1:96
	s_waitcnt vmcnt(18) lgkmcnt(1)
	v_fma_f64 v[115:116], v[147:148], v[115:116], v[123:124]
	s_waitcnt vmcnt(17)
	v_fma_f64 v[115:116], v[145:146], v[117:118], v[115:116]
	buffer_load_dword v124, off, s[0:3], 0 offset:388
	buffer_load_dword v139, off, s[0:3], 0 offset:408
	buffer_load_dword v145, off, s[0:3], 0 offset:400
	buffer_load_dword v147, off, s[0:3], 0 offset:392
	buffer_load_dword v123, off, s[0:3], 0 offset:384
	buffer_load_dword v148, off, s[0:3], 0 offset:396
	buffer_load_dword v146, off, s[0:3], 0 offset:404
	buffer_load_dword v140, off, s[0:3], 0 offset:412
	s_waitcnt vmcnt(24) lgkmcnt(0)
	v_fma_f64 v[115:116], v[125:126], v[119:120], v[115:116]
	s_waitcnt vmcnt(19)
	v_fma_f64 v[125:126], v[127:128], v[121:122], v[115:116]
	ds_read2_b64 v[115:118], v114 offset0:97 offset1:98
	ds_read2_b64 v[119:122], v114 offset0:99 offset1:100
	;; [unrolled: 18-line block ×3, first 2 shown]
	s_waitcnt vmcnt(18) lgkmcnt(1)
	v_fma_f64 v[115:116], v[143:144], v[115:116], v[129:130]
	buffer_load_dword v129, off, s[0:3], 0 offset:192
	buffer_load_dword v130, off, s[0:3], 0 offset:196
	s_waitcnt vmcnt(19)
	v_fma_f64 v[115:116], v[141:142], v[117:118], v[115:116]
	s_waitcnt vmcnt(18) lgkmcnt(0)
	v_fma_f64 v[115:116], v[137:138], v[119:120], v[115:116]
	s_waitcnt vmcnt(13)
	v_fma_f64 v[123:124], v[123:124], v[121:122], v[115:116]
	ds_read2_b64 v[115:118], v114 offset0:105 offset1:106
	ds_read2_b64 v[119:122], v114 offset0:107 offset1:108
	s_waitcnt vmcnt(12) lgkmcnt(1)
	v_fma_f64 v[115:116], v[147:148], v[115:116], v[123:124]
	s_waitcnt vmcnt(11)
	v_fma_f64 v[115:116], v[145:146], v[117:118], v[115:116]
	s_waitcnt vmcnt(10) lgkmcnt(0)
	v_fma_f64 v[115:116], v[139:140], v[119:120], v[115:116]
	s_waitcnt vmcnt(5)
	v_fma_f64 v[119:120], v[125:126], v[121:122], v[115:116]
	ds_read2_b64 v[115:118], v114 offset0:109 offset1:110
	ds_read_b64 v[121:122], v114 offset:888
	s_waitcnt vmcnt(4) lgkmcnt(1)
	v_fma_f64 v[115:116], v[133:134], v[115:116], v[119:120]
	s_waitcnt vmcnt(3)
	v_fma_f64 v[115:116], v[131:132], v[117:118], v[115:116]
	s_waitcnt vmcnt(2) lgkmcnt(0)
	v_fma_f64 v[115:116], v[127:128], v[121:122], v[115:116]
	s_waitcnt vmcnt(0)
	v_add_f64 v[115:116], v[129:130], -v[115:116]
	buffer_store_dword v116, off, s[0:3], 0 offset:196
	buffer_store_dword v115, off, s[0:3], 0 offset:192
	s_and_saveexec_b64 s[4:5], vcc
	s_cbranch_execz .LBB119_297
; %bb.296:
	buffer_load_dword v115, off, s[0:3], 0 offset:184
	buffer_load_dword v116, off, s[0:3], 0 offset:188
	s_waitcnt vmcnt(0)
	ds_write_b64 v113, v[115:116]
	buffer_store_dword v114, off, s[0:3], 0 offset:184
	buffer_store_dword v114, off, s[0:3], 0 offset:188
.LBB119_297:
	s_or_b64 exec, exec, s[4:5]
	s_waitcnt lgkmcnt(0)
	; wave barrier
	buffer_load_dword v123, off, s[0:3], 0 offset:192
	buffer_load_dword v124, off, s[0:3], 0 offset:196
	;; [unrolled: 1-line block ×22, first 2 shown]
	ds_read_b128 v[115:118], v114 offset:640
	ds_read_b128 v[119:122], v114 offset:656
	v_cmp_lt_u32_e32 vcc, 22, v0
	s_waitcnt vmcnt(20) lgkmcnt(1)
	v_fma_f64 v[115:116], v[123:124], v[115:116], 0
	s_waitcnt vmcnt(18)
	v_fma_f64 v[115:116], v[125:126], v[117:118], v[115:116]
	buffer_load_dword v124, off, s[0:3], 0 offset:284
	buffer_load_dword v125, off, s[0:3], 0 offset:304
	;; [unrolled: 1-line block ×7, first 2 shown]
	s_waitcnt vmcnt(23) lgkmcnt(0)
	v_fma_f64 v[115:116], v[127:128], v[119:120], v[115:116]
	s_waitcnt vmcnt(21)
	v_fma_f64 v[126:127], v[129:130], v[121:122], v[115:116]
	ds_read_b128 v[115:118], v114 offset:672
	ds_read_b128 v[119:122], v114 offset:688
	s_waitcnt vmcnt(19) lgkmcnt(1)
	v_fma_f64 v[115:116], v[131:132], v[115:116], v[126:127]
	buffer_load_dword v126, off, s[0:3], 0 offset:308
	s_waitcnt vmcnt(18)
	v_fma_f64 v[115:116], v[133:134], v[117:118], v[115:116]
	buffer_load_dword v128, off, s[0:3], 0 offset:316
	buffer_load_dword v129, off, s[0:3], 0 offset:336
	;; [unrolled: 1-line block ×7, first 2 shown]
	s_waitcnt vmcnt(23) lgkmcnt(0)
	v_fma_f64 v[115:116], v[135:136], v[119:120], v[115:116]
	s_waitcnt vmcnt(18)
	v_fma_f64 v[135:136], v[137:138], v[121:122], v[115:116]
	ds_read_b128 v[115:118], v114 offset:704
	ds_read_b128 v[119:122], v114 offset:720
	buffer_load_dword v130, off, s[0:3], 0 offset:340
	s_waitcnt vmcnt(18) lgkmcnt(1)
	v_fma_f64 v[115:116], v[143:144], v[115:116], v[135:136]
	s_waitcnt vmcnt(17)
	v_fma_f64 v[115:116], v[141:142], v[117:118], v[115:116]
	buffer_load_dword v136, off, s[0:3], 0 offset:348
	buffer_load_dword v137, off, s[0:3], 0 offset:368
	buffer_load_dword v141, off, s[0:3], 0 offset:360
	buffer_load_dword v143, off, s[0:3], 0 offset:352
	buffer_load_dword v135, off, s[0:3], 0 offset:344
	buffer_load_dword v144, off, s[0:3], 0 offset:356
	buffer_load_dword v142, off, s[0:3], 0 offset:364
	buffer_load_dword v138, off, s[0:3], 0 offset:372
	s_waitcnt vmcnt(24) lgkmcnt(0)
	v_fma_f64 v[115:116], v[139:140], v[119:120], v[115:116]
	s_waitcnt vmcnt(19)
	v_fma_f64 v[123:124], v[123:124], v[121:122], v[115:116]
	ds_read_b128 v[115:118], v114 offset:736
	ds_read_b128 v[119:122], v114 offset:752
	s_waitcnt vmcnt(18) lgkmcnt(1)
	v_fma_f64 v[115:116], v[147:148], v[115:116], v[123:124]
	s_waitcnt vmcnt(17)
	v_fma_f64 v[115:116], v[145:146], v[117:118], v[115:116]
	buffer_load_dword v124, off, s[0:3], 0 offset:380
	buffer_load_dword v139, off, s[0:3], 0 offset:400
	buffer_load_dword v145, off, s[0:3], 0 offset:392
	buffer_load_dword v147, off, s[0:3], 0 offset:384
	buffer_load_dword v123, off, s[0:3], 0 offset:376
	buffer_load_dword v148, off, s[0:3], 0 offset:388
	buffer_load_dword v146, off, s[0:3], 0 offset:396
	buffer_load_dword v140, off, s[0:3], 0 offset:404
	s_waitcnt vmcnt(24) lgkmcnt(0)
	v_fma_f64 v[115:116], v[125:126], v[119:120], v[115:116]
	s_waitcnt vmcnt(19)
	v_fma_f64 v[125:126], v[127:128], v[121:122], v[115:116]
	ds_read_b128 v[115:118], v114 offset:768
	ds_read_b128 v[119:122], v114 offset:784
	;; [unrolled: 18-line block ×3, first 2 shown]
	s_waitcnt vmcnt(18) lgkmcnt(1)
	v_fma_f64 v[115:116], v[143:144], v[115:116], v[129:130]
	buffer_load_dword v130, off, s[0:3], 0 offset:444
	buffer_load_dword v129, off, s[0:3], 0 offset:440
	;; [unrolled: 1-line block ×4, first 2 shown]
	s_waitcnt vmcnt(21)
	v_fma_f64 v[115:116], v[141:142], v[117:118], v[115:116]
	s_waitcnt vmcnt(20) lgkmcnt(0)
	v_fma_f64 v[115:116], v[137:138], v[119:120], v[115:116]
	s_waitcnt vmcnt(15)
	v_fma_f64 v[123:124], v[123:124], v[121:122], v[115:116]
	ds_read_b128 v[115:118], v114 offset:832
	ds_read_b128 v[119:122], v114 offset:848
	s_waitcnt vmcnt(14) lgkmcnt(1)
	v_fma_f64 v[115:116], v[147:148], v[115:116], v[123:124]
	s_waitcnt vmcnt(13)
	v_fma_f64 v[115:116], v[145:146], v[117:118], v[115:116]
	s_waitcnt vmcnt(12) lgkmcnt(0)
	v_fma_f64 v[115:116], v[139:140], v[119:120], v[115:116]
	s_waitcnt vmcnt(7)
	v_fma_f64 v[123:124], v[125:126], v[121:122], v[115:116]
	ds_read_b128 v[115:118], v114 offset:864
	ds_read_b128 v[119:122], v114 offset:880
	s_waitcnt vmcnt(6) lgkmcnt(1)
	v_fma_f64 v[114:115], v[133:134], v[115:116], v[123:124]
	s_waitcnt vmcnt(5)
	v_fma_f64 v[114:115], v[131:132], v[117:118], v[114:115]
	s_waitcnt vmcnt(4) lgkmcnt(0)
	v_fma_f64 v[114:115], v[127:128], v[119:120], v[114:115]
	s_waitcnt vmcnt(2)
	v_fma_f64 v[114:115], v[129:130], v[121:122], v[114:115]
	s_waitcnt vmcnt(0)
	v_add_f64 v[114:115], v[135:136], -v[114:115]
	buffer_store_dword v115, off, s[0:3], 0 offset:188
	buffer_store_dword v114, off, s[0:3], 0 offset:184
	s_and_saveexec_b64 s[4:5], vcc
	s_cbranch_execz .LBB119_299
; %bb.298:
	buffer_load_dword v114, off, s[0:3], 0 offset:176
	buffer_load_dword v115, off, s[0:3], 0 offset:180
	v_mov_b32_e32 v116, 0
	buffer_store_dword v116, off, s[0:3], 0 offset:176
	buffer_store_dword v116, off, s[0:3], 0 offset:180
	s_waitcnt vmcnt(2)
	ds_write_b64 v113, v[114:115]
.LBB119_299:
	s_or_b64 exec, exec, s[4:5]
	s_waitcnt lgkmcnt(0)
	; wave barrier
	buffer_load_dword v123, off, s[0:3], 0 offset:184
	buffer_load_dword v124, off, s[0:3], 0 offset:188
	;; [unrolled: 1-line block ×21, first 2 shown]
	v_mov_b32_e32 v114, 0
	ds_read2_b64 v[115:118], v114 offset0:79 offset1:80
	ds_read2_b64 v[119:122], v114 offset0:81 offset1:82
	buffer_load_dword v140, off, s[0:3], 0 offset:268
	v_cmp_lt_u32_e32 vcc, 21, v0
	s_waitcnt vmcnt(20) lgkmcnt(1)
	v_fma_f64 v[115:116], v[123:124], v[115:116], 0
	s_waitcnt vmcnt(18)
	v_fma_f64 v[115:116], v[125:126], v[117:118], v[115:116]
	buffer_load_dword v124, off, s[0:3], 0 offset:276
	buffer_load_dword v125, off, s[0:3], 0 offset:296
	buffer_load_dword v145, off, s[0:3], 0 offset:288
	buffer_load_dword v147, off, s[0:3], 0 offset:280
	buffer_load_dword v123, off, s[0:3], 0 offset:272
	buffer_load_dword v148, off, s[0:3], 0 offset:284
	buffer_load_dword v146, off, s[0:3], 0 offset:292
	s_waitcnt vmcnt(23) lgkmcnt(0)
	v_fma_f64 v[115:116], v[127:128], v[119:120], v[115:116]
	s_waitcnt vmcnt(21)
	v_fma_f64 v[126:127], v[129:130], v[121:122], v[115:116]
	ds_read2_b64 v[115:118], v114 offset0:83 offset1:84
	ds_read2_b64 v[119:122], v114 offset0:85 offset1:86
	s_waitcnt vmcnt(19) lgkmcnt(1)
	v_fma_f64 v[115:116], v[131:132], v[115:116], v[126:127]
	buffer_load_dword v126, off, s[0:3], 0 offset:300
	s_waitcnt vmcnt(18)
	v_fma_f64 v[115:116], v[133:134], v[117:118], v[115:116]
	buffer_load_dword v128, off, s[0:3], 0 offset:308
	buffer_load_dword v129, off, s[0:3], 0 offset:328
	;; [unrolled: 1-line block ×7, first 2 shown]
	s_waitcnt vmcnt(23) lgkmcnt(0)
	v_fma_f64 v[115:116], v[135:136], v[119:120], v[115:116]
	s_waitcnt vmcnt(18)
	v_fma_f64 v[135:136], v[137:138], v[121:122], v[115:116]
	ds_read2_b64 v[115:118], v114 offset0:87 offset1:88
	ds_read2_b64 v[119:122], v114 offset0:89 offset1:90
	buffer_load_dword v130, off, s[0:3], 0 offset:332
	s_waitcnt vmcnt(18) lgkmcnt(1)
	v_fma_f64 v[115:116], v[143:144], v[115:116], v[135:136]
	s_waitcnt vmcnt(17)
	v_fma_f64 v[115:116], v[141:142], v[117:118], v[115:116]
	buffer_load_dword v136, off, s[0:3], 0 offset:340
	buffer_load_dword v137, off, s[0:3], 0 offset:360
	;; [unrolled: 1-line block ×7, first 2 shown]
	s_waitcnt vmcnt(23) lgkmcnt(0)
	v_fma_f64 v[115:116], v[139:140], v[119:120], v[115:116]
	s_waitcnt vmcnt(18)
	v_fma_f64 v[123:124], v[123:124], v[121:122], v[115:116]
	ds_read2_b64 v[115:118], v114 offset0:91 offset1:92
	ds_read2_b64 v[119:122], v114 offset0:93 offset1:94
	buffer_load_dword v138, off, s[0:3], 0 offset:364
	s_waitcnt vmcnt(18) lgkmcnt(1)
	v_fma_f64 v[115:116], v[147:148], v[115:116], v[123:124]
	s_waitcnt vmcnt(17)
	v_fma_f64 v[115:116], v[145:146], v[117:118], v[115:116]
	buffer_load_dword v124, off, s[0:3], 0 offset:372
	buffer_load_dword v139, off, s[0:3], 0 offset:392
	;; [unrolled: 1-line block ×8, first 2 shown]
	s_waitcnt vmcnt(24) lgkmcnt(0)
	v_fma_f64 v[115:116], v[125:126], v[119:120], v[115:116]
	s_waitcnt vmcnt(19)
	v_fma_f64 v[125:126], v[127:128], v[121:122], v[115:116]
	ds_read2_b64 v[115:118], v114 offset0:95 offset1:96
	ds_read2_b64 v[119:122], v114 offset0:97 offset1:98
	s_waitcnt vmcnt(18) lgkmcnt(1)
	v_fma_f64 v[115:116], v[133:134], v[115:116], v[125:126]
	s_waitcnt vmcnt(17)
	v_fma_f64 v[115:116], v[131:132], v[117:118], v[115:116]
	buffer_load_dword v126, off, s[0:3], 0 offset:404
	buffer_load_dword v127, off, s[0:3], 0 offset:424
	;; [unrolled: 1-line block ×7, first 2 shown]
	s_waitcnt vmcnt(23) lgkmcnt(0)
	v_fma_f64 v[115:116], v[129:130], v[119:120], v[115:116]
	s_waitcnt vmcnt(18)
	v_fma_f64 v[128:129], v[135:136], v[121:122], v[115:116]
	ds_read2_b64 v[115:118], v114 offset0:99 offset1:100
	ds_read2_b64 v[119:122], v114 offset0:101 offset1:102
	s_waitcnt vmcnt(17) lgkmcnt(1)
	v_fma_f64 v[115:116], v[143:144], v[115:116], v[128:129]
	buffer_load_dword v128, off, s[0:3], 0 offset:428
	buffer_load_dword v130, off, s[0:3], 0 offset:436
	;; [unrolled: 1-line block ×5, first 2 shown]
	s_waitcnt vmcnt(21)
	v_fma_f64 v[115:116], v[141:142], v[117:118], v[115:116]
	s_waitcnt vmcnt(20) lgkmcnt(0)
	v_fma_f64 v[115:116], v[137:138], v[119:120], v[115:116]
	buffer_load_dword v137, off, s[0:3], 0 offset:176
	buffer_load_dword v138, off, s[0:3], 0 offset:180
	s_waitcnt vmcnt(17)
	v_fma_f64 v[123:124], v[123:124], v[121:122], v[115:116]
	ds_read2_b64 v[115:118], v114 offset0:103 offset1:104
	ds_read2_b64 v[119:122], v114 offset0:105 offset1:106
	s_waitcnt vmcnt(16) lgkmcnt(1)
	v_fma_f64 v[115:116], v[147:148], v[115:116], v[123:124]
	s_waitcnt vmcnt(15)
	v_fma_f64 v[115:116], v[145:146], v[117:118], v[115:116]
	s_waitcnt vmcnt(14) lgkmcnt(0)
	v_fma_f64 v[115:116], v[139:140], v[119:120], v[115:116]
	s_waitcnt vmcnt(9)
	v_fma_f64 v[123:124], v[125:126], v[121:122], v[115:116]
	ds_read2_b64 v[115:118], v114 offset0:107 offset1:108
	ds_read2_b64 v[119:122], v114 offset0:109 offset1:110
	s_waitcnt vmcnt(8) lgkmcnt(1)
	v_fma_f64 v[115:116], v[133:134], v[115:116], v[123:124]
	s_waitcnt vmcnt(7)
	v_fma_f64 v[115:116], v[131:132], v[117:118], v[115:116]
	ds_read_b64 v[117:118], v114 offset:888
	s_waitcnt vmcnt(6) lgkmcnt(1)
	v_fma_f64 v[115:116], v[127:128], v[119:120], v[115:116]
	s_waitcnt vmcnt(3)
	v_fma_f64 v[115:116], v[129:130], v[121:122], v[115:116]
	s_waitcnt vmcnt(2) lgkmcnt(0)
	v_fma_f64 v[115:116], v[135:136], v[117:118], v[115:116]
	s_waitcnt vmcnt(0)
	v_add_f64 v[115:116], v[137:138], -v[115:116]
	buffer_store_dword v116, off, s[0:3], 0 offset:180
	buffer_store_dword v115, off, s[0:3], 0 offset:176
	s_and_saveexec_b64 s[4:5], vcc
	s_cbranch_execz .LBB119_301
; %bb.300:
	buffer_load_dword v115, off, s[0:3], 0 offset:168
	buffer_load_dword v116, off, s[0:3], 0 offset:172
	s_waitcnt vmcnt(0)
	ds_write_b64 v113, v[115:116]
	buffer_store_dword v114, off, s[0:3], 0 offset:168
	buffer_store_dword v114, off, s[0:3], 0 offset:172
.LBB119_301:
	s_or_b64 exec, exec, s[4:5]
	s_waitcnt lgkmcnt(0)
	; wave barrier
	buffer_load_dword v123, off, s[0:3], 0 offset:176
	buffer_load_dword v124, off, s[0:3], 0 offset:180
	buffer_load_dword v125, off, s[0:3], 0 offset:184
	buffer_load_dword v126, off, s[0:3], 0 offset:188
	buffer_load_dword v127, off, s[0:3], 0 offset:192
	buffer_load_dword v128, off, s[0:3], 0 offset:196
	buffer_load_dword v129, off, s[0:3], 0 offset:200
	buffer_load_dword v130, off, s[0:3], 0 offset:204
	buffer_load_dword v131, off, s[0:3], 0 offset:208
	buffer_load_dword v132, off, s[0:3], 0 offset:212
	buffer_load_dword v133, off, s[0:3], 0 offset:216
	buffer_load_dword v134, off, s[0:3], 0 offset:220
	buffer_load_dword v135, off, s[0:3], 0 offset:224
	buffer_load_dword v136, off, s[0:3], 0 offset:228
	buffer_load_dword v138, off, s[0:3], 0 offset:236
	buffer_load_dword v139, off, s[0:3], 0 offset:256
	buffer_load_dword v141, off, s[0:3], 0 offset:248
	buffer_load_dword v143, off, s[0:3], 0 offset:240
	buffer_load_dword v137, off, s[0:3], 0 offset:232
	buffer_load_dword v144, off, s[0:3], 0 offset:244
	buffer_load_dword v142, off, s[0:3], 0 offset:252
	ds_read_b128 v[115:118], v114 offset:624
	ds_read_b128 v[119:122], v114 offset:640
	buffer_load_dword v140, off, s[0:3], 0 offset:260
	v_cmp_lt_u32_e32 vcc, 20, v0
	s_waitcnt vmcnt(20) lgkmcnt(1)
	v_fma_f64 v[115:116], v[123:124], v[115:116], 0
	s_waitcnt vmcnt(18)
	v_fma_f64 v[115:116], v[125:126], v[117:118], v[115:116]
	buffer_load_dword v124, off, s[0:3], 0 offset:268
	buffer_load_dword v125, off, s[0:3], 0 offset:288
	buffer_load_dword v145, off, s[0:3], 0 offset:280
	buffer_load_dword v147, off, s[0:3], 0 offset:272
	buffer_load_dword v123, off, s[0:3], 0 offset:264
	buffer_load_dword v148, off, s[0:3], 0 offset:276
	buffer_load_dword v146, off, s[0:3], 0 offset:284
	s_waitcnt vmcnt(23) lgkmcnt(0)
	v_fma_f64 v[115:116], v[127:128], v[119:120], v[115:116]
	s_waitcnt vmcnt(21)
	v_fma_f64 v[126:127], v[129:130], v[121:122], v[115:116]
	ds_read_b128 v[115:118], v114 offset:656
	ds_read_b128 v[119:122], v114 offset:672
	s_waitcnt vmcnt(19) lgkmcnt(1)
	v_fma_f64 v[115:116], v[131:132], v[115:116], v[126:127]
	buffer_load_dword v126, off, s[0:3], 0 offset:292
	s_waitcnt vmcnt(18)
	v_fma_f64 v[115:116], v[133:134], v[117:118], v[115:116]
	buffer_load_dword v128, off, s[0:3], 0 offset:300
	buffer_load_dword v129, off, s[0:3], 0 offset:320
	;; [unrolled: 1-line block ×8, first 2 shown]
	s_waitcnt vmcnt(24) lgkmcnt(0)
	v_fma_f64 v[115:116], v[135:136], v[119:120], v[115:116]
	s_waitcnt vmcnt(19)
	v_fma_f64 v[135:136], v[137:138], v[121:122], v[115:116]
	ds_read_b128 v[115:118], v114 offset:688
	ds_read_b128 v[119:122], v114 offset:704
	s_waitcnt vmcnt(18) lgkmcnt(1)
	v_fma_f64 v[115:116], v[143:144], v[115:116], v[135:136]
	s_waitcnt vmcnt(17)
	v_fma_f64 v[115:116], v[141:142], v[117:118], v[115:116]
	buffer_load_dword v136, off, s[0:3], 0 offset:332
	buffer_load_dword v137, off, s[0:3], 0 offset:352
	;; [unrolled: 1-line block ×7, first 2 shown]
	s_waitcnt vmcnt(23) lgkmcnt(0)
	v_fma_f64 v[115:116], v[139:140], v[119:120], v[115:116]
	s_waitcnt vmcnt(18)
	v_fma_f64 v[123:124], v[123:124], v[121:122], v[115:116]
	ds_read_b128 v[115:118], v114 offset:720
	ds_read_b128 v[119:122], v114 offset:736
	buffer_load_dword v138, off, s[0:3], 0 offset:356
	s_waitcnt vmcnt(18) lgkmcnt(1)
	v_fma_f64 v[115:116], v[147:148], v[115:116], v[123:124]
	s_waitcnt vmcnt(17)
	v_fma_f64 v[115:116], v[145:146], v[117:118], v[115:116]
	buffer_load_dword v124, off, s[0:3], 0 offset:364
	buffer_load_dword v139, off, s[0:3], 0 offset:384
	;; [unrolled: 1-line block ×8, first 2 shown]
	s_waitcnt vmcnt(24) lgkmcnt(0)
	v_fma_f64 v[115:116], v[125:126], v[119:120], v[115:116]
	s_waitcnt vmcnt(19)
	v_fma_f64 v[125:126], v[127:128], v[121:122], v[115:116]
	ds_read_b128 v[115:118], v114 offset:752
	ds_read_b128 v[119:122], v114 offset:768
	s_waitcnt vmcnt(18) lgkmcnt(1)
	v_fma_f64 v[115:116], v[133:134], v[115:116], v[125:126]
	s_waitcnt vmcnt(17)
	v_fma_f64 v[115:116], v[131:132], v[117:118], v[115:116]
	buffer_load_dword v126, off, s[0:3], 0 offset:396
	buffer_load_dword v127, off, s[0:3], 0 offset:416
	;; [unrolled: 1-line block ×7, first 2 shown]
	s_waitcnt vmcnt(23) lgkmcnt(0)
	v_fma_f64 v[115:116], v[129:130], v[119:120], v[115:116]
	s_waitcnt vmcnt(18)
	v_fma_f64 v[128:129], v[135:136], v[121:122], v[115:116]
	ds_read_b128 v[115:118], v114 offset:784
	ds_read_b128 v[119:122], v114 offset:800
	s_waitcnt vmcnt(17) lgkmcnt(1)
	v_fma_f64 v[115:116], v[143:144], v[115:116], v[128:129]
	buffer_load_dword v128, off, s[0:3], 0 offset:420
	s_waitcnt vmcnt(17)
	v_fma_f64 v[115:116], v[141:142], v[117:118], v[115:116]
	buffer_load_dword v130, off, s[0:3], 0 offset:428
	buffer_load_dword v135, off, s[0:3], 0 offset:440
	;; [unrolled: 1-line block ×6, first 2 shown]
	s_waitcnt vmcnt(22) lgkmcnt(0)
	v_fma_f64 v[115:116], v[137:138], v[119:120], v[115:116]
	s_waitcnt vmcnt(17)
	v_fma_f64 v[123:124], v[123:124], v[121:122], v[115:116]
	ds_read_b128 v[115:118], v114 offset:816
	buffer_load_dword v137, off, s[0:3], 0 offset:168
	buffer_load_dword v138, off, s[0:3], 0 offset:172
	ds_read_b128 v[119:122], v114 offset:832
	s_waitcnt vmcnt(18) lgkmcnt(1)
	v_fma_f64 v[115:116], v[147:148], v[115:116], v[123:124]
	s_waitcnt vmcnt(17)
	v_fma_f64 v[115:116], v[145:146], v[117:118], v[115:116]
	s_waitcnt vmcnt(16) lgkmcnt(0)
	v_fma_f64 v[115:116], v[139:140], v[119:120], v[115:116]
	s_waitcnt vmcnt(11)
	v_fma_f64 v[123:124], v[125:126], v[121:122], v[115:116]
	ds_read_b128 v[115:118], v114 offset:848
	ds_read_b128 v[119:122], v114 offset:864
	s_waitcnt vmcnt(10) lgkmcnt(1)
	v_fma_f64 v[115:116], v[133:134], v[115:116], v[123:124]
	s_waitcnt vmcnt(9)
	v_fma_f64 v[115:116], v[131:132], v[117:118], v[115:116]
	s_waitcnt vmcnt(8) lgkmcnt(0)
	v_fma_f64 v[115:116], v[127:128], v[119:120], v[115:116]
	s_waitcnt vmcnt(4)
	v_fma_f64 v[118:119], v[129:130], v[121:122], v[115:116]
	ds_read_b128 v[114:117], v114 offset:880
	s_waitcnt vmcnt(3) lgkmcnt(0)
	v_fma_f64 v[114:115], v[141:142], v[114:115], v[118:119]
	s_waitcnt vmcnt(2)
	v_fma_f64 v[114:115], v[135:136], v[116:117], v[114:115]
	s_waitcnt vmcnt(0)
	v_add_f64 v[114:115], v[137:138], -v[114:115]
	buffer_store_dword v115, off, s[0:3], 0 offset:172
	buffer_store_dword v114, off, s[0:3], 0 offset:168
	s_and_saveexec_b64 s[4:5], vcc
	s_cbranch_execz .LBB119_303
; %bb.302:
	buffer_load_dword v114, off, s[0:3], 0 offset:160
	buffer_load_dword v115, off, s[0:3], 0 offset:164
	v_mov_b32_e32 v116, 0
	buffer_store_dword v116, off, s[0:3], 0 offset:160
	buffer_store_dword v116, off, s[0:3], 0 offset:164
	s_waitcnt vmcnt(2)
	ds_write_b64 v113, v[114:115]
.LBB119_303:
	s_or_b64 exec, exec, s[4:5]
	s_waitcnt lgkmcnt(0)
	; wave barrier
	buffer_load_dword v123, off, s[0:3], 0 offset:168
	buffer_load_dword v124, off, s[0:3], 0 offset:172
	;; [unrolled: 1-line block ×21, first 2 shown]
	v_mov_b32_e32 v114, 0
	ds_read2_b64 v[115:118], v114 offset0:77 offset1:78
	ds_read2_b64 v[119:122], v114 offset0:79 offset1:80
	buffer_load_dword v140, off, s[0:3], 0 offset:252
	v_cmp_lt_u32_e32 vcc, 19, v0
	s_waitcnt vmcnt(20) lgkmcnt(1)
	v_fma_f64 v[115:116], v[123:124], v[115:116], 0
	s_waitcnt vmcnt(18)
	v_fma_f64 v[115:116], v[125:126], v[117:118], v[115:116]
	buffer_load_dword v124, off, s[0:3], 0 offset:260
	buffer_load_dword v125, off, s[0:3], 0 offset:280
	;; [unrolled: 1-line block ×7, first 2 shown]
	s_waitcnt vmcnt(23) lgkmcnt(0)
	v_fma_f64 v[115:116], v[127:128], v[119:120], v[115:116]
	s_waitcnt vmcnt(21)
	v_fma_f64 v[126:127], v[129:130], v[121:122], v[115:116]
	ds_read2_b64 v[115:118], v114 offset0:81 offset1:82
	ds_read2_b64 v[119:122], v114 offset0:83 offset1:84
	s_waitcnt vmcnt(19) lgkmcnt(1)
	v_fma_f64 v[115:116], v[131:132], v[115:116], v[126:127]
	buffer_load_dword v126, off, s[0:3], 0 offset:284
	s_waitcnt vmcnt(18)
	v_fma_f64 v[115:116], v[133:134], v[117:118], v[115:116]
	buffer_load_dword v128, off, s[0:3], 0 offset:292
	buffer_load_dword v129, off, s[0:3], 0 offset:312
	;; [unrolled: 1-line block ×8, first 2 shown]
	s_waitcnt vmcnt(24) lgkmcnt(0)
	v_fma_f64 v[115:116], v[135:136], v[119:120], v[115:116]
	s_waitcnt vmcnt(19)
	v_fma_f64 v[135:136], v[137:138], v[121:122], v[115:116]
	ds_read2_b64 v[115:118], v114 offset0:85 offset1:86
	ds_read2_b64 v[119:122], v114 offset0:87 offset1:88
	s_waitcnt vmcnt(18) lgkmcnt(1)
	v_fma_f64 v[115:116], v[143:144], v[115:116], v[135:136]
	s_waitcnt vmcnt(17)
	v_fma_f64 v[115:116], v[141:142], v[117:118], v[115:116]
	buffer_load_dword v136, off, s[0:3], 0 offset:324
	buffer_load_dword v137, off, s[0:3], 0 offset:344
	;; [unrolled: 1-line block ×7, first 2 shown]
	s_waitcnt vmcnt(23) lgkmcnt(0)
	v_fma_f64 v[115:116], v[139:140], v[119:120], v[115:116]
	s_waitcnt vmcnt(18)
	v_fma_f64 v[123:124], v[123:124], v[121:122], v[115:116]
	ds_read2_b64 v[115:118], v114 offset0:89 offset1:90
	ds_read2_b64 v[119:122], v114 offset0:91 offset1:92
	buffer_load_dword v138, off, s[0:3], 0 offset:348
	s_waitcnt vmcnt(18) lgkmcnt(1)
	v_fma_f64 v[115:116], v[147:148], v[115:116], v[123:124]
	s_waitcnt vmcnt(17)
	v_fma_f64 v[115:116], v[145:146], v[117:118], v[115:116]
	buffer_load_dword v124, off, s[0:3], 0 offset:356
	buffer_load_dword v139, off, s[0:3], 0 offset:376
	;; [unrolled: 1-line block ×8, first 2 shown]
	s_waitcnt vmcnt(24) lgkmcnt(0)
	v_fma_f64 v[115:116], v[125:126], v[119:120], v[115:116]
	s_waitcnt vmcnt(19)
	v_fma_f64 v[125:126], v[127:128], v[121:122], v[115:116]
	ds_read2_b64 v[115:118], v114 offset0:93 offset1:94
	ds_read2_b64 v[119:122], v114 offset0:95 offset1:96
	s_waitcnt vmcnt(18) lgkmcnt(1)
	v_fma_f64 v[115:116], v[133:134], v[115:116], v[125:126]
	s_waitcnt vmcnt(17)
	v_fma_f64 v[115:116], v[131:132], v[117:118], v[115:116]
	buffer_load_dword v126, off, s[0:3], 0 offset:388
	buffer_load_dword v127, off, s[0:3], 0 offset:408
	;; [unrolled: 1-line block ×7, first 2 shown]
	s_waitcnt vmcnt(23) lgkmcnt(0)
	v_fma_f64 v[115:116], v[129:130], v[119:120], v[115:116]
	s_waitcnt vmcnt(18)
	v_fma_f64 v[128:129], v[135:136], v[121:122], v[115:116]
	ds_read2_b64 v[115:118], v114 offset0:97 offset1:98
	ds_read2_b64 v[119:122], v114 offset0:99 offset1:100
	s_waitcnt vmcnt(17) lgkmcnt(1)
	v_fma_f64 v[115:116], v[143:144], v[115:116], v[128:129]
	buffer_load_dword v128, off, s[0:3], 0 offset:412
	s_waitcnt vmcnt(17)
	v_fma_f64 v[115:116], v[141:142], v[117:118], v[115:116]
	buffer_load_dword v130, off, s[0:3], 0 offset:420
	buffer_load_dword v135, off, s[0:3], 0 offset:440
	;; [unrolled: 1-line block ×8, first 2 shown]
	s_waitcnt vmcnt(24) lgkmcnt(0)
	v_fma_f64 v[115:116], v[137:138], v[119:120], v[115:116]
	s_waitcnt vmcnt(19)
	v_fma_f64 v[123:124], v[123:124], v[121:122], v[115:116]
	ds_read2_b64 v[115:118], v114 offset0:101 offset1:102
	ds_read2_b64 v[119:122], v114 offset0:103 offset1:104
	s_waitcnt vmcnt(18) lgkmcnt(1)
	v_fma_f64 v[115:116], v[147:148], v[115:116], v[123:124]
	buffer_load_dword v123, off, s[0:3], 0 offset:160
	buffer_load_dword v124, off, s[0:3], 0 offset:164
	s_waitcnt vmcnt(19)
	v_fma_f64 v[115:116], v[145:146], v[117:118], v[115:116]
	s_waitcnt vmcnt(18) lgkmcnt(0)
	v_fma_f64 v[115:116], v[139:140], v[119:120], v[115:116]
	s_waitcnt vmcnt(13)
	v_fma_f64 v[125:126], v[125:126], v[121:122], v[115:116]
	ds_read2_b64 v[115:118], v114 offset0:105 offset1:106
	ds_read2_b64 v[119:122], v114 offset0:107 offset1:108
	s_waitcnt vmcnt(12) lgkmcnt(1)
	v_fma_f64 v[115:116], v[133:134], v[115:116], v[125:126]
	s_waitcnt vmcnt(11)
	v_fma_f64 v[115:116], v[131:132], v[117:118], v[115:116]
	s_waitcnt vmcnt(10) lgkmcnt(0)
	v_fma_f64 v[115:116], v[127:128], v[119:120], v[115:116]
	s_waitcnt vmcnt(5)
	v_fma_f64 v[119:120], v[129:130], v[121:122], v[115:116]
	ds_read2_b64 v[115:118], v114 offset0:109 offset1:110
	ds_read_b64 v[121:122], v114 offset:888
	s_waitcnt vmcnt(4) lgkmcnt(1)
	v_fma_f64 v[115:116], v[143:144], v[115:116], v[119:120]
	s_waitcnt vmcnt(3)
	v_fma_f64 v[115:116], v[141:142], v[117:118], v[115:116]
	s_waitcnt vmcnt(2) lgkmcnt(0)
	v_fma_f64 v[115:116], v[135:136], v[121:122], v[115:116]
	s_waitcnt vmcnt(0)
	v_add_f64 v[115:116], v[123:124], -v[115:116]
	buffer_store_dword v116, off, s[0:3], 0 offset:164
	buffer_store_dword v115, off, s[0:3], 0 offset:160
	s_and_saveexec_b64 s[4:5], vcc
	s_cbranch_execz .LBB119_305
; %bb.304:
	buffer_load_dword v115, off, s[0:3], 0 offset:152
	buffer_load_dword v116, off, s[0:3], 0 offset:156
	s_waitcnt vmcnt(0)
	ds_write_b64 v113, v[115:116]
	buffer_store_dword v114, off, s[0:3], 0 offset:152
	buffer_store_dword v114, off, s[0:3], 0 offset:156
.LBB119_305:
	s_or_b64 exec, exec, s[4:5]
	s_waitcnt lgkmcnt(0)
	; wave barrier
	buffer_load_dword v123, off, s[0:3], 0 offset:160
	buffer_load_dword v124, off, s[0:3], 0 offset:164
	;; [unrolled: 1-line block ×21, first 2 shown]
	ds_read_b128 v[115:118], v114 offset:608
	ds_read_b128 v[119:122], v114 offset:624
	buffer_load_dword v140, off, s[0:3], 0 offset:244
	v_cmp_lt_u32_e32 vcc, 18, v0
	s_waitcnt vmcnt(20) lgkmcnt(1)
	v_fma_f64 v[115:116], v[123:124], v[115:116], 0
	s_waitcnt vmcnt(18)
	v_fma_f64 v[115:116], v[125:126], v[117:118], v[115:116]
	buffer_load_dword v124, off, s[0:3], 0 offset:252
	buffer_load_dword v125, off, s[0:3], 0 offset:272
	;; [unrolled: 1-line block ×7, first 2 shown]
	s_waitcnt vmcnt(23) lgkmcnt(0)
	v_fma_f64 v[115:116], v[127:128], v[119:120], v[115:116]
	s_waitcnt vmcnt(21)
	v_fma_f64 v[126:127], v[129:130], v[121:122], v[115:116]
	ds_read_b128 v[115:118], v114 offset:640
	ds_read_b128 v[119:122], v114 offset:656
	s_waitcnt vmcnt(19) lgkmcnt(1)
	v_fma_f64 v[115:116], v[131:132], v[115:116], v[126:127]
	buffer_load_dword v126, off, s[0:3], 0 offset:276
	s_waitcnt vmcnt(18)
	v_fma_f64 v[115:116], v[133:134], v[117:118], v[115:116]
	buffer_load_dword v128, off, s[0:3], 0 offset:284
	buffer_load_dword v129, off, s[0:3], 0 offset:304
	;; [unrolled: 1-line block ×8, first 2 shown]
	s_waitcnt vmcnt(24) lgkmcnt(0)
	v_fma_f64 v[115:116], v[135:136], v[119:120], v[115:116]
	s_waitcnt vmcnt(19)
	v_fma_f64 v[135:136], v[137:138], v[121:122], v[115:116]
	ds_read_b128 v[115:118], v114 offset:672
	ds_read_b128 v[119:122], v114 offset:688
	s_waitcnt vmcnt(18) lgkmcnt(1)
	v_fma_f64 v[115:116], v[143:144], v[115:116], v[135:136]
	s_waitcnt vmcnt(17)
	v_fma_f64 v[115:116], v[141:142], v[117:118], v[115:116]
	buffer_load_dword v136, off, s[0:3], 0 offset:316
	buffer_load_dword v137, off, s[0:3], 0 offset:336
	;; [unrolled: 1-line block ×7, first 2 shown]
	s_waitcnt vmcnt(23) lgkmcnt(0)
	v_fma_f64 v[115:116], v[139:140], v[119:120], v[115:116]
	s_waitcnt vmcnt(18)
	v_fma_f64 v[123:124], v[123:124], v[121:122], v[115:116]
	ds_read_b128 v[115:118], v114 offset:704
	ds_read_b128 v[119:122], v114 offset:720
	buffer_load_dword v138, off, s[0:3], 0 offset:340
	s_waitcnt vmcnt(18) lgkmcnt(1)
	v_fma_f64 v[115:116], v[147:148], v[115:116], v[123:124]
	s_waitcnt vmcnt(17)
	v_fma_f64 v[115:116], v[145:146], v[117:118], v[115:116]
	buffer_load_dword v124, off, s[0:3], 0 offset:348
	buffer_load_dword v139, off, s[0:3], 0 offset:368
	;; [unrolled: 1-line block ×8, first 2 shown]
	s_waitcnt vmcnt(24) lgkmcnt(0)
	v_fma_f64 v[115:116], v[125:126], v[119:120], v[115:116]
	s_waitcnt vmcnt(19)
	v_fma_f64 v[125:126], v[127:128], v[121:122], v[115:116]
	ds_read_b128 v[115:118], v114 offset:736
	ds_read_b128 v[119:122], v114 offset:752
	s_waitcnt vmcnt(18) lgkmcnt(1)
	v_fma_f64 v[115:116], v[133:134], v[115:116], v[125:126]
	s_waitcnt vmcnt(17)
	v_fma_f64 v[115:116], v[131:132], v[117:118], v[115:116]
	buffer_load_dword v126, off, s[0:3], 0 offset:380
	buffer_load_dword v127, off, s[0:3], 0 offset:400
	;; [unrolled: 1-line block ×7, first 2 shown]
	s_waitcnt vmcnt(23) lgkmcnt(0)
	v_fma_f64 v[115:116], v[129:130], v[119:120], v[115:116]
	s_waitcnt vmcnt(18)
	v_fma_f64 v[128:129], v[135:136], v[121:122], v[115:116]
	ds_read_b128 v[115:118], v114 offset:768
	ds_read_b128 v[119:122], v114 offset:784
	s_waitcnt vmcnt(17) lgkmcnt(1)
	v_fma_f64 v[115:116], v[143:144], v[115:116], v[128:129]
	buffer_load_dword v128, off, s[0:3], 0 offset:404
	s_waitcnt vmcnt(17)
	v_fma_f64 v[115:116], v[141:142], v[117:118], v[115:116]
	buffer_load_dword v130, off, s[0:3], 0 offset:412
	buffer_load_dword v135, off, s[0:3], 0 offset:432
	;; [unrolled: 1-line block ×8, first 2 shown]
	s_waitcnt vmcnt(24) lgkmcnt(0)
	v_fma_f64 v[115:116], v[137:138], v[119:120], v[115:116]
	s_waitcnt vmcnt(19)
	v_fma_f64 v[123:124], v[123:124], v[121:122], v[115:116]
	ds_read_b128 v[115:118], v114 offset:800
	ds_read_b128 v[119:122], v114 offset:816
	s_waitcnt vmcnt(18) lgkmcnt(1)
	v_fma_f64 v[115:116], v[147:148], v[115:116], v[123:124]
	buffer_load_dword v124, off, s[0:3], 0 offset:444
	buffer_load_dword v123, off, s[0:3], 0 offset:440
	;; [unrolled: 1-line block ×4, first 2 shown]
	s_waitcnt vmcnt(21)
	v_fma_f64 v[115:116], v[145:146], v[117:118], v[115:116]
	s_waitcnt vmcnt(20) lgkmcnt(0)
	v_fma_f64 v[115:116], v[139:140], v[119:120], v[115:116]
	s_waitcnt vmcnt(15)
	v_fma_f64 v[125:126], v[125:126], v[121:122], v[115:116]
	ds_read_b128 v[115:118], v114 offset:832
	ds_read_b128 v[119:122], v114 offset:848
	s_waitcnt vmcnt(14) lgkmcnt(1)
	v_fma_f64 v[115:116], v[133:134], v[115:116], v[125:126]
	s_waitcnt vmcnt(13)
	v_fma_f64 v[115:116], v[131:132], v[117:118], v[115:116]
	s_waitcnt vmcnt(12) lgkmcnt(0)
	v_fma_f64 v[115:116], v[127:128], v[119:120], v[115:116]
	s_waitcnt vmcnt(7)
	v_fma_f64 v[125:126], v[129:130], v[121:122], v[115:116]
	ds_read_b128 v[115:118], v114 offset:864
	ds_read_b128 v[119:122], v114 offset:880
	s_waitcnt vmcnt(6) lgkmcnt(1)
	v_fma_f64 v[114:115], v[143:144], v[115:116], v[125:126]
	s_waitcnt vmcnt(5)
	v_fma_f64 v[114:115], v[141:142], v[117:118], v[114:115]
	s_waitcnt vmcnt(4) lgkmcnt(0)
	v_fma_f64 v[114:115], v[135:136], v[119:120], v[114:115]
	s_waitcnt vmcnt(2)
	v_fma_f64 v[114:115], v[123:124], v[121:122], v[114:115]
	s_waitcnt vmcnt(0)
	v_add_f64 v[114:115], v[137:138], -v[114:115]
	buffer_store_dword v115, off, s[0:3], 0 offset:156
	buffer_store_dword v114, off, s[0:3], 0 offset:152
	s_and_saveexec_b64 s[4:5], vcc
	s_cbranch_execz .LBB119_307
; %bb.306:
	buffer_load_dword v114, off, s[0:3], 0 offset:144
	buffer_load_dword v115, off, s[0:3], 0 offset:148
	v_mov_b32_e32 v116, 0
	buffer_store_dword v116, off, s[0:3], 0 offset:144
	buffer_store_dword v116, off, s[0:3], 0 offset:148
	s_waitcnt vmcnt(2)
	ds_write_b64 v113, v[114:115]
.LBB119_307:
	s_or_b64 exec, exec, s[4:5]
	s_waitcnt lgkmcnt(0)
	; wave barrier
	buffer_load_dword v123, off, s[0:3], 0 offset:152
	buffer_load_dword v124, off, s[0:3], 0 offset:156
	;; [unrolled: 1-line block ×21, first 2 shown]
	v_mov_b32_e32 v114, 0
	ds_read2_b64 v[115:118], v114 offset0:75 offset1:76
	ds_read2_b64 v[119:122], v114 offset0:77 offset1:78
	buffer_load_dword v140, off, s[0:3], 0 offset:236
	v_cmp_lt_u32_e32 vcc, 17, v0
	s_waitcnt vmcnt(20) lgkmcnt(1)
	v_fma_f64 v[115:116], v[123:124], v[115:116], 0
	s_waitcnt vmcnt(18)
	v_fma_f64 v[115:116], v[125:126], v[117:118], v[115:116]
	buffer_load_dword v124, off, s[0:3], 0 offset:244
	buffer_load_dword v125, off, s[0:3], 0 offset:264
	;; [unrolled: 1-line block ×7, first 2 shown]
	s_waitcnt vmcnt(23) lgkmcnt(0)
	v_fma_f64 v[115:116], v[127:128], v[119:120], v[115:116]
	s_waitcnt vmcnt(21)
	v_fma_f64 v[126:127], v[129:130], v[121:122], v[115:116]
	ds_read2_b64 v[115:118], v114 offset0:79 offset1:80
	ds_read2_b64 v[119:122], v114 offset0:81 offset1:82
	s_waitcnt vmcnt(19) lgkmcnt(1)
	v_fma_f64 v[115:116], v[131:132], v[115:116], v[126:127]
	buffer_load_dword v126, off, s[0:3], 0 offset:268
	s_waitcnt vmcnt(18)
	v_fma_f64 v[115:116], v[133:134], v[117:118], v[115:116]
	buffer_load_dword v128, off, s[0:3], 0 offset:276
	buffer_load_dword v129, off, s[0:3], 0 offset:296
	;; [unrolled: 1-line block ×8, first 2 shown]
	s_waitcnt vmcnt(24) lgkmcnt(0)
	v_fma_f64 v[115:116], v[135:136], v[119:120], v[115:116]
	s_waitcnt vmcnt(19)
	v_fma_f64 v[135:136], v[137:138], v[121:122], v[115:116]
	ds_read2_b64 v[115:118], v114 offset0:83 offset1:84
	ds_read2_b64 v[119:122], v114 offset0:85 offset1:86
	s_waitcnt vmcnt(18) lgkmcnt(1)
	v_fma_f64 v[115:116], v[143:144], v[115:116], v[135:136]
	s_waitcnt vmcnt(17)
	v_fma_f64 v[115:116], v[141:142], v[117:118], v[115:116]
	buffer_load_dword v136, off, s[0:3], 0 offset:308
	buffer_load_dword v137, off, s[0:3], 0 offset:328
	;; [unrolled: 1-line block ×7, first 2 shown]
	s_waitcnt vmcnt(23) lgkmcnt(0)
	v_fma_f64 v[115:116], v[139:140], v[119:120], v[115:116]
	s_waitcnt vmcnt(18)
	v_fma_f64 v[123:124], v[123:124], v[121:122], v[115:116]
	ds_read2_b64 v[115:118], v114 offset0:87 offset1:88
	ds_read2_b64 v[119:122], v114 offset0:89 offset1:90
	buffer_load_dword v138, off, s[0:3], 0 offset:332
	s_waitcnt vmcnt(18) lgkmcnt(1)
	v_fma_f64 v[115:116], v[147:148], v[115:116], v[123:124]
	s_waitcnt vmcnt(17)
	v_fma_f64 v[115:116], v[145:146], v[117:118], v[115:116]
	buffer_load_dword v124, off, s[0:3], 0 offset:340
	buffer_load_dword v139, off, s[0:3], 0 offset:360
	;; [unrolled: 1-line block ×7, first 2 shown]
	s_waitcnt vmcnt(23) lgkmcnt(0)
	v_fma_f64 v[115:116], v[125:126], v[119:120], v[115:116]
	s_waitcnt vmcnt(18)
	v_fma_f64 v[125:126], v[127:128], v[121:122], v[115:116]
	ds_read2_b64 v[115:118], v114 offset0:91 offset1:92
	ds_read2_b64 v[119:122], v114 offset0:93 offset1:94
	buffer_load_dword v140, off, s[0:3], 0 offset:364
	s_waitcnt vmcnt(18) lgkmcnt(1)
	v_fma_f64 v[115:116], v[133:134], v[115:116], v[125:126]
	s_waitcnt vmcnt(17)
	v_fma_f64 v[115:116], v[131:132], v[117:118], v[115:116]
	buffer_load_dword v126, off, s[0:3], 0 offset:372
	buffer_load_dword v127, off, s[0:3], 0 offset:392
	;; [unrolled: 1-line block ×7, first 2 shown]
	s_waitcnt vmcnt(23) lgkmcnt(0)
	v_fma_f64 v[115:116], v[129:130], v[119:120], v[115:116]
	s_waitcnt vmcnt(18)
	v_fma_f64 v[128:129], v[135:136], v[121:122], v[115:116]
	ds_read2_b64 v[115:118], v114 offset0:95 offset1:96
	ds_read2_b64 v[119:122], v114 offset0:97 offset1:98
	s_waitcnt vmcnt(17) lgkmcnt(1)
	v_fma_f64 v[115:116], v[143:144], v[115:116], v[128:129]
	buffer_load_dword v128, off, s[0:3], 0 offset:396
	s_waitcnt vmcnt(17)
	v_fma_f64 v[115:116], v[141:142], v[117:118], v[115:116]
	buffer_load_dword v130, off, s[0:3], 0 offset:404
	buffer_load_dword v135, off, s[0:3], 0 offset:424
	;; [unrolled: 1-line block ×7, first 2 shown]
	s_waitcnt vmcnt(23) lgkmcnt(0)
	v_fma_f64 v[115:116], v[137:138], v[119:120], v[115:116]
	s_waitcnt vmcnt(18)
	v_fma_f64 v[123:124], v[123:124], v[121:122], v[115:116]
	ds_read2_b64 v[115:118], v114 offset0:99 offset1:100
	ds_read2_b64 v[119:122], v114 offset0:101 offset1:102
	buffer_load_dword v136, off, s[0:3], 0 offset:428
	s_waitcnt vmcnt(18) lgkmcnt(1)
	v_fma_f64 v[115:116], v[147:148], v[115:116], v[123:124]
	buffer_load_dword v124, off, s[0:3], 0 offset:436
	buffer_load_dword v137, off, s[0:3], 0 offset:440
	buffer_load_dword v123, off, s[0:3], 0 offset:432
	buffer_load_dword v138, off, s[0:3], 0 offset:444
	s_waitcnt vmcnt(21)
	v_fma_f64 v[115:116], v[145:146], v[117:118], v[115:116]
	s_waitcnt vmcnt(20) lgkmcnt(0)
	v_fma_f64 v[115:116], v[139:140], v[119:120], v[115:116]
	buffer_load_dword v139, off, s[0:3], 0 offset:144
	buffer_load_dword v140, off, s[0:3], 0 offset:148
	s_waitcnt vmcnt(17)
	v_fma_f64 v[125:126], v[125:126], v[121:122], v[115:116]
	ds_read2_b64 v[115:118], v114 offset0:103 offset1:104
	ds_read2_b64 v[119:122], v114 offset0:105 offset1:106
	s_waitcnt vmcnt(16) lgkmcnt(1)
	v_fma_f64 v[115:116], v[133:134], v[115:116], v[125:126]
	s_waitcnt vmcnt(15)
	v_fma_f64 v[115:116], v[131:132], v[117:118], v[115:116]
	s_waitcnt vmcnt(14) lgkmcnt(0)
	v_fma_f64 v[115:116], v[127:128], v[119:120], v[115:116]
	s_waitcnt vmcnt(9)
	v_fma_f64 v[125:126], v[129:130], v[121:122], v[115:116]
	ds_read2_b64 v[115:118], v114 offset0:107 offset1:108
	ds_read2_b64 v[119:122], v114 offset0:109 offset1:110
	s_waitcnt vmcnt(8) lgkmcnt(1)
	v_fma_f64 v[115:116], v[143:144], v[115:116], v[125:126]
	s_waitcnt vmcnt(7)
	v_fma_f64 v[115:116], v[141:142], v[117:118], v[115:116]
	ds_read_b64 v[117:118], v114 offset:888
	s_waitcnt vmcnt(6) lgkmcnt(1)
	v_fma_f64 v[115:116], v[135:136], v[119:120], v[115:116]
	s_waitcnt vmcnt(3)
	v_fma_f64 v[115:116], v[123:124], v[121:122], v[115:116]
	s_waitcnt vmcnt(2) lgkmcnt(0)
	v_fma_f64 v[115:116], v[137:138], v[117:118], v[115:116]
	s_waitcnt vmcnt(0)
	v_add_f64 v[115:116], v[139:140], -v[115:116]
	buffer_store_dword v116, off, s[0:3], 0 offset:148
	buffer_store_dword v115, off, s[0:3], 0 offset:144
	s_and_saveexec_b64 s[4:5], vcc
	s_cbranch_execz .LBB119_309
; %bb.308:
	buffer_load_dword v115, off, s[0:3], 0 offset:136
	buffer_load_dword v116, off, s[0:3], 0 offset:140
	s_waitcnt vmcnt(0)
	ds_write_b64 v113, v[115:116]
	buffer_store_dword v114, off, s[0:3], 0 offset:136
	buffer_store_dword v114, off, s[0:3], 0 offset:140
.LBB119_309:
	s_or_b64 exec, exec, s[4:5]
	s_waitcnt lgkmcnt(0)
	; wave barrier
	buffer_load_dword v123, off, s[0:3], 0 offset:144
	buffer_load_dword v124, off, s[0:3], 0 offset:148
	;; [unrolled: 1-line block ×22, first 2 shown]
	ds_read_b128 v[115:118], v114 offset:592
	ds_read_b128 v[119:122], v114 offset:608
	v_cmp_lt_u32_e32 vcc, 16, v0
	s_waitcnt vmcnt(20) lgkmcnt(1)
	v_fma_f64 v[115:116], v[123:124], v[115:116], 0
	s_waitcnt vmcnt(18)
	v_fma_f64 v[115:116], v[125:126], v[117:118], v[115:116]
	buffer_load_dword v124, off, s[0:3], 0 offset:236
	buffer_load_dword v125, off, s[0:3], 0 offset:256
	buffer_load_dword v145, off, s[0:3], 0 offset:248
	buffer_load_dword v147, off, s[0:3], 0 offset:240
	buffer_load_dword v123, off, s[0:3], 0 offset:232
	buffer_load_dword v148, off, s[0:3], 0 offset:244
	buffer_load_dword v146, off, s[0:3], 0 offset:252
	s_waitcnt vmcnt(23) lgkmcnt(0)
	v_fma_f64 v[115:116], v[127:128], v[119:120], v[115:116]
	s_waitcnt vmcnt(21)
	v_fma_f64 v[126:127], v[129:130], v[121:122], v[115:116]
	ds_read_b128 v[115:118], v114 offset:624
	ds_read_b128 v[119:122], v114 offset:640
	s_waitcnt vmcnt(19) lgkmcnt(1)
	v_fma_f64 v[115:116], v[131:132], v[115:116], v[126:127]
	buffer_load_dword v126, off, s[0:3], 0 offset:260
	s_waitcnt vmcnt(18)
	v_fma_f64 v[115:116], v[133:134], v[117:118], v[115:116]
	buffer_load_dword v128, off, s[0:3], 0 offset:268
	buffer_load_dword v129, off, s[0:3], 0 offset:288
	;; [unrolled: 1-line block ×8, first 2 shown]
	s_waitcnt vmcnt(24) lgkmcnt(0)
	v_fma_f64 v[115:116], v[135:136], v[119:120], v[115:116]
	s_waitcnt vmcnt(19)
	v_fma_f64 v[135:136], v[137:138], v[121:122], v[115:116]
	ds_read_b128 v[115:118], v114 offset:656
	ds_read_b128 v[119:122], v114 offset:672
	s_waitcnt vmcnt(18) lgkmcnt(1)
	v_fma_f64 v[115:116], v[143:144], v[115:116], v[135:136]
	s_waitcnt vmcnt(17)
	v_fma_f64 v[115:116], v[141:142], v[117:118], v[115:116]
	buffer_load_dword v136, off, s[0:3], 0 offset:300
	buffer_load_dword v137, off, s[0:3], 0 offset:320
	;; [unrolled: 1-line block ×8, first 2 shown]
	s_waitcnt vmcnt(24) lgkmcnt(0)
	v_fma_f64 v[115:116], v[139:140], v[119:120], v[115:116]
	s_waitcnt vmcnt(19)
	v_fma_f64 v[123:124], v[123:124], v[121:122], v[115:116]
	ds_read_b128 v[115:118], v114 offset:688
	ds_read_b128 v[119:122], v114 offset:704
	s_waitcnt vmcnt(18) lgkmcnt(1)
	v_fma_f64 v[115:116], v[147:148], v[115:116], v[123:124]
	s_waitcnt vmcnt(17)
	v_fma_f64 v[115:116], v[145:146], v[117:118], v[115:116]
	buffer_load_dword v124, off, s[0:3], 0 offset:332
	buffer_load_dword v139, off, s[0:3], 0 offset:352
	;; [unrolled: 1-line block ×7, first 2 shown]
	s_waitcnt vmcnt(23) lgkmcnt(0)
	v_fma_f64 v[115:116], v[125:126], v[119:120], v[115:116]
	s_waitcnt vmcnt(18)
	v_fma_f64 v[125:126], v[127:128], v[121:122], v[115:116]
	ds_read_b128 v[115:118], v114 offset:720
	ds_read_b128 v[119:122], v114 offset:736
	buffer_load_dword v140, off, s[0:3], 0 offset:356
	s_waitcnt vmcnt(18) lgkmcnt(1)
	v_fma_f64 v[115:116], v[133:134], v[115:116], v[125:126]
	s_waitcnt vmcnt(17)
	v_fma_f64 v[115:116], v[131:132], v[117:118], v[115:116]
	buffer_load_dword v126, off, s[0:3], 0 offset:364
	buffer_load_dword v127, off, s[0:3], 0 offset:384
	;; [unrolled: 1-line block ×7, first 2 shown]
	s_waitcnt vmcnt(23) lgkmcnt(0)
	v_fma_f64 v[115:116], v[129:130], v[119:120], v[115:116]
	s_waitcnt vmcnt(18)
	v_fma_f64 v[128:129], v[135:136], v[121:122], v[115:116]
	ds_read_b128 v[115:118], v114 offset:752
	ds_read_b128 v[119:122], v114 offset:768
	s_waitcnt vmcnt(17) lgkmcnt(1)
	v_fma_f64 v[115:116], v[143:144], v[115:116], v[128:129]
	buffer_load_dword v128, off, s[0:3], 0 offset:388
	s_waitcnt vmcnt(17)
	v_fma_f64 v[115:116], v[141:142], v[117:118], v[115:116]
	buffer_load_dword v130, off, s[0:3], 0 offset:396
	buffer_load_dword v135, off, s[0:3], 0 offset:416
	;; [unrolled: 1-line block ×8, first 2 shown]
	s_waitcnt vmcnt(24) lgkmcnt(0)
	v_fma_f64 v[115:116], v[137:138], v[119:120], v[115:116]
	s_waitcnt vmcnt(19)
	v_fma_f64 v[123:124], v[123:124], v[121:122], v[115:116]
	ds_read_b128 v[115:118], v114 offset:784
	ds_read_b128 v[119:122], v114 offset:800
	s_waitcnt vmcnt(18) lgkmcnt(1)
	v_fma_f64 v[115:116], v[147:148], v[115:116], v[123:124]
	s_waitcnt vmcnt(17)
	v_fma_f64 v[115:116], v[145:146], v[117:118], v[115:116]
	buffer_load_dword v124, off, s[0:3], 0 offset:428
	buffer_load_dword v137, off, s[0:3], 0 offset:440
	;; [unrolled: 1-line block ×6, first 2 shown]
	s_waitcnt vmcnt(22) lgkmcnt(0)
	v_fma_f64 v[115:116], v[139:140], v[119:120], v[115:116]
	s_waitcnt vmcnt(17)
	v_fma_f64 v[125:126], v[125:126], v[121:122], v[115:116]
	ds_read_b128 v[115:118], v114 offset:816
	buffer_load_dword v139, off, s[0:3], 0 offset:136
	buffer_load_dword v140, off, s[0:3], 0 offset:140
	ds_read_b128 v[119:122], v114 offset:832
	s_waitcnt vmcnt(18) lgkmcnt(1)
	v_fma_f64 v[115:116], v[133:134], v[115:116], v[125:126]
	s_waitcnt vmcnt(17)
	v_fma_f64 v[115:116], v[131:132], v[117:118], v[115:116]
	s_waitcnt vmcnt(16) lgkmcnt(0)
	v_fma_f64 v[115:116], v[127:128], v[119:120], v[115:116]
	s_waitcnt vmcnt(11)
	v_fma_f64 v[125:126], v[129:130], v[121:122], v[115:116]
	ds_read_b128 v[115:118], v114 offset:848
	ds_read_b128 v[119:122], v114 offset:864
	s_waitcnt vmcnt(10) lgkmcnt(1)
	v_fma_f64 v[115:116], v[143:144], v[115:116], v[125:126]
	s_waitcnt vmcnt(9)
	v_fma_f64 v[115:116], v[141:142], v[117:118], v[115:116]
	s_waitcnt vmcnt(8) lgkmcnt(0)
	v_fma_f64 v[115:116], v[135:136], v[119:120], v[115:116]
	s_waitcnt vmcnt(4)
	v_fma_f64 v[118:119], v[123:124], v[121:122], v[115:116]
	ds_read_b128 v[114:117], v114 offset:880
	s_waitcnt vmcnt(3) lgkmcnt(0)
	v_fma_f64 v[114:115], v[145:146], v[114:115], v[118:119]
	s_waitcnt vmcnt(2)
	v_fma_f64 v[114:115], v[137:138], v[116:117], v[114:115]
	s_waitcnt vmcnt(0)
	v_add_f64 v[114:115], v[139:140], -v[114:115]
	buffer_store_dword v115, off, s[0:3], 0 offset:140
	buffer_store_dword v114, off, s[0:3], 0 offset:136
	s_and_saveexec_b64 s[4:5], vcc
	s_cbranch_execz .LBB119_311
; %bb.310:
	buffer_load_dword v114, off, s[0:3], 0 offset:128
	buffer_load_dword v115, off, s[0:3], 0 offset:132
	v_mov_b32_e32 v116, 0
	buffer_store_dword v116, off, s[0:3], 0 offset:128
	buffer_store_dword v116, off, s[0:3], 0 offset:132
	s_waitcnt vmcnt(2)
	ds_write_b64 v113, v[114:115]
.LBB119_311:
	s_or_b64 exec, exec, s[4:5]
	s_waitcnt lgkmcnt(0)
	; wave barrier
	buffer_load_dword v123, off, s[0:3], 0 offset:136
	buffer_load_dword v124, off, s[0:3], 0 offset:140
	;; [unrolled: 1-line block ×22, first 2 shown]
	v_mov_b32_e32 v114, 0
	ds_read2_b64 v[115:118], v114 offset0:73 offset1:74
	ds_read2_b64 v[119:122], v114 offset0:75 offset1:76
	v_cmp_lt_u32_e32 vcc, 15, v0
	s_waitcnt vmcnt(20) lgkmcnt(1)
	v_fma_f64 v[115:116], v[123:124], v[115:116], 0
	s_waitcnt vmcnt(18)
	v_fma_f64 v[115:116], v[125:126], v[117:118], v[115:116]
	buffer_load_dword v124, off, s[0:3], 0 offset:228
	buffer_load_dword v125, off, s[0:3], 0 offset:248
	;; [unrolled: 1-line block ×7, first 2 shown]
	s_waitcnt vmcnt(23) lgkmcnt(0)
	v_fma_f64 v[115:116], v[127:128], v[119:120], v[115:116]
	s_waitcnt vmcnt(21)
	v_fma_f64 v[126:127], v[129:130], v[121:122], v[115:116]
	ds_read2_b64 v[115:118], v114 offset0:77 offset1:78
	ds_read2_b64 v[119:122], v114 offset0:79 offset1:80
	s_waitcnt vmcnt(19) lgkmcnt(1)
	v_fma_f64 v[115:116], v[131:132], v[115:116], v[126:127]
	buffer_load_dword v126, off, s[0:3], 0 offset:252
	s_waitcnt vmcnt(18)
	v_fma_f64 v[115:116], v[133:134], v[117:118], v[115:116]
	buffer_load_dword v128, off, s[0:3], 0 offset:260
	buffer_load_dword v129, off, s[0:3], 0 offset:280
	;; [unrolled: 1-line block ×8, first 2 shown]
	s_waitcnt vmcnt(24) lgkmcnt(0)
	v_fma_f64 v[115:116], v[135:136], v[119:120], v[115:116]
	s_waitcnt vmcnt(19)
	v_fma_f64 v[135:136], v[137:138], v[121:122], v[115:116]
	ds_read2_b64 v[115:118], v114 offset0:81 offset1:82
	ds_read2_b64 v[119:122], v114 offset0:83 offset1:84
	s_waitcnt vmcnt(18) lgkmcnt(1)
	v_fma_f64 v[115:116], v[143:144], v[115:116], v[135:136]
	s_waitcnt vmcnt(17)
	v_fma_f64 v[115:116], v[141:142], v[117:118], v[115:116]
	buffer_load_dword v136, off, s[0:3], 0 offset:292
	buffer_load_dword v137, off, s[0:3], 0 offset:312
	;; [unrolled: 1-line block ×8, first 2 shown]
	s_waitcnt vmcnt(24) lgkmcnt(0)
	v_fma_f64 v[115:116], v[139:140], v[119:120], v[115:116]
	s_waitcnt vmcnt(19)
	v_fma_f64 v[123:124], v[123:124], v[121:122], v[115:116]
	ds_read2_b64 v[115:118], v114 offset0:85 offset1:86
	ds_read2_b64 v[119:122], v114 offset0:87 offset1:88
	s_waitcnt vmcnt(18) lgkmcnt(1)
	v_fma_f64 v[115:116], v[147:148], v[115:116], v[123:124]
	s_waitcnt vmcnt(17)
	v_fma_f64 v[115:116], v[145:146], v[117:118], v[115:116]
	buffer_load_dword v124, off, s[0:3], 0 offset:324
	buffer_load_dword v139, off, s[0:3], 0 offset:344
	;; [unrolled: 1-line block ×7, first 2 shown]
	s_waitcnt vmcnt(23) lgkmcnt(0)
	v_fma_f64 v[115:116], v[125:126], v[119:120], v[115:116]
	s_waitcnt vmcnt(18)
	v_fma_f64 v[125:126], v[127:128], v[121:122], v[115:116]
	ds_read2_b64 v[115:118], v114 offset0:89 offset1:90
	ds_read2_b64 v[119:122], v114 offset0:91 offset1:92
	buffer_load_dword v140, off, s[0:3], 0 offset:348
	s_waitcnt vmcnt(18) lgkmcnt(1)
	v_fma_f64 v[115:116], v[133:134], v[115:116], v[125:126]
	s_waitcnt vmcnt(17)
	v_fma_f64 v[115:116], v[131:132], v[117:118], v[115:116]
	buffer_load_dword v126, off, s[0:3], 0 offset:356
	buffer_load_dword v127, off, s[0:3], 0 offset:376
	;; [unrolled: 1-line block ×7, first 2 shown]
	s_waitcnt vmcnt(23) lgkmcnt(0)
	v_fma_f64 v[115:116], v[129:130], v[119:120], v[115:116]
	s_waitcnt vmcnt(18)
	v_fma_f64 v[128:129], v[135:136], v[121:122], v[115:116]
	ds_read2_b64 v[115:118], v114 offset0:93 offset1:94
	ds_read2_b64 v[119:122], v114 offset0:95 offset1:96
	s_waitcnt vmcnt(17) lgkmcnt(1)
	v_fma_f64 v[115:116], v[143:144], v[115:116], v[128:129]
	buffer_load_dword v128, off, s[0:3], 0 offset:380
	s_waitcnt vmcnt(17)
	v_fma_f64 v[115:116], v[141:142], v[117:118], v[115:116]
	buffer_load_dword v130, off, s[0:3], 0 offset:388
	buffer_load_dword v135, off, s[0:3], 0 offset:408
	;; [unrolled: 1-line block ×8, first 2 shown]
	s_waitcnt vmcnt(24) lgkmcnt(0)
	v_fma_f64 v[115:116], v[137:138], v[119:120], v[115:116]
	s_waitcnt vmcnt(19)
	v_fma_f64 v[123:124], v[123:124], v[121:122], v[115:116]
	ds_read2_b64 v[115:118], v114 offset0:97 offset1:98
	ds_read2_b64 v[119:122], v114 offset0:99 offset1:100
	s_waitcnt vmcnt(18) lgkmcnt(1)
	v_fma_f64 v[115:116], v[147:148], v[115:116], v[123:124]
	s_waitcnt vmcnt(17)
	v_fma_f64 v[115:116], v[145:146], v[117:118], v[115:116]
	buffer_load_dword v124, off, s[0:3], 0 offset:420
	buffer_load_dword v137, off, s[0:3], 0 offset:440
	buffer_load_dword v145, off, s[0:3], 0 offset:432
	buffer_load_dword v147, off, s[0:3], 0 offset:424
	buffer_load_dword v123, off, s[0:3], 0 offset:416
	buffer_load_dword v148, off, s[0:3], 0 offset:428
	buffer_load_dword v146, off, s[0:3], 0 offset:436
	buffer_load_dword v138, off, s[0:3], 0 offset:444
	s_waitcnt vmcnt(24) lgkmcnt(0)
	v_fma_f64 v[115:116], v[139:140], v[119:120], v[115:116]
	s_waitcnt vmcnt(19)
	v_fma_f64 v[125:126], v[125:126], v[121:122], v[115:116]
	ds_read2_b64 v[115:118], v114 offset0:101 offset1:102
	ds_read2_b64 v[119:122], v114 offset0:103 offset1:104
	s_waitcnt vmcnt(18) lgkmcnt(1)
	v_fma_f64 v[115:116], v[133:134], v[115:116], v[125:126]
	buffer_load_dword v125, off, s[0:3], 0 offset:128
	buffer_load_dword v126, off, s[0:3], 0 offset:132
	s_waitcnt vmcnt(19)
	v_fma_f64 v[115:116], v[131:132], v[117:118], v[115:116]
	s_waitcnt vmcnt(18) lgkmcnt(0)
	v_fma_f64 v[115:116], v[127:128], v[119:120], v[115:116]
	s_waitcnt vmcnt(13)
	v_fma_f64 v[127:128], v[129:130], v[121:122], v[115:116]
	ds_read2_b64 v[115:118], v114 offset0:105 offset1:106
	ds_read2_b64 v[119:122], v114 offset0:107 offset1:108
	s_waitcnt vmcnt(12) lgkmcnt(1)
	v_fma_f64 v[115:116], v[143:144], v[115:116], v[127:128]
	s_waitcnt vmcnt(11)
	v_fma_f64 v[115:116], v[141:142], v[117:118], v[115:116]
	s_waitcnt vmcnt(10) lgkmcnt(0)
	v_fma_f64 v[115:116], v[135:136], v[119:120], v[115:116]
	s_waitcnt vmcnt(5)
	v_fma_f64 v[119:120], v[123:124], v[121:122], v[115:116]
	ds_read2_b64 v[115:118], v114 offset0:109 offset1:110
	ds_read_b64 v[121:122], v114 offset:888
	s_waitcnt vmcnt(4) lgkmcnt(1)
	v_fma_f64 v[115:116], v[147:148], v[115:116], v[119:120]
	s_waitcnt vmcnt(3)
	v_fma_f64 v[115:116], v[145:146], v[117:118], v[115:116]
	s_waitcnt vmcnt(2) lgkmcnt(0)
	v_fma_f64 v[115:116], v[137:138], v[121:122], v[115:116]
	s_waitcnt vmcnt(0)
	v_add_f64 v[115:116], v[125:126], -v[115:116]
	buffer_store_dword v116, off, s[0:3], 0 offset:132
	buffer_store_dword v115, off, s[0:3], 0 offset:128
	s_and_saveexec_b64 s[4:5], vcc
	s_cbranch_execz .LBB119_313
; %bb.312:
	buffer_load_dword v115, off, s[0:3], 0 offset:120
	buffer_load_dword v116, off, s[0:3], 0 offset:124
	s_waitcnt vmcnt(0)
	ds_write_b64 v113, v[115:116]
	buffer_store_dword v114, off, s[0:3], 0 offset:120
	buffer_store_dword v114, off, s[0:3], 0 offset:124
.LBB119_313:
	s_or_b64 exec, exec, s[4:5]
	s_waitcnt lgkmcnt(0)
	; wave barrier
	buffer_load_dword v123, off, s[0:3], 0 offset:128
	buffer_load_dword v124, off, s[0:3], 0 offset:132
	;; [unrolled: 1-line block ×22, first 2 shown]
	ds_read_b128 v[115:118], v114 offset:576
	ds_read_b128 v[119:122], v114 offset:592
	v_cmp_lt_u32_e32 vcc, 14, v0
	s_waitcnt vmcnt(20) lgkmcnt(1)
	v_fma_f64 v[115:116], v[123:124], v[115:116], 0
	s_waitcnt vmcnt(18)
	v_fma_f64 v[115:116], v[125:126], v[117:118], v[115:116]
	buffer_load_dword v124, off, s[0:3], 0 offset:220
	buffer_load_dword v125, off, s[0:3], 0 offset:240
	;; [unrolled: 1-line block ×7, first 2 shown]
	s_waitcnt vmcnt(23) lgkmcnt(0)
	v_fma_f64 v[115:116], v[127:128], v[119:120], v[115:116]
	s_waitcnt vmcnt(21)
	v_fma_f64 v[126:127], v[129:130], v[121:122], v[115:116]
	ds_read_b128 v[115:118], v114 offset:608
	ds_read_b128 v[119:122], v114 offset:624
	s_waitcnt vmcnt(19) lgkmcnt(1)
	v_fma_f64 v[115:116], v[131:132], v[115:116], v[126:127]
	buffer_load_dword v126, off, s[0:3], 0 offset:244
	s_waitcnt vmcnt(18)
	v_fma_f64 v[115:116], v[133:134], v[117:118], v[115:116]
	buffer_load_dword v128, off, s[0:3], 0 offset:252
	buffer_load_dword v129, off, s[0:3], 0 offset:272
	;; [unrolled: 1-line block ×8, first 2 shown]
	s_waitcnt vmcnt(24) lgkmcnt(0)
	v_fma_f64 v[115:116], v[135:136], v[119:120], v[115:116]
	s_waitcnt vmcnt(19)
	v_fma_f64 v[135:136], v[137:138], v[121:122], v[115:116]
	ds_read_b128 v[115:118], v114 offset:640
	ds_read_b128 v[119:122], v114 offset:656
	s_waitcnt vmcnt(18) lgkmcnt(1)
	v_fma_f64 v[115:116], v[143:144], v[115:116], v[135:136]
	s_waitcnt vmcnt(17)
	v_fma_f64 v[115:116], v[141:142], v[117:118], v[115:116]
	buffer_load_dword v136, off, s[0:3], 0 offset:284
	buffer_load_dword v137, off, s[0:3], 0 offset:304
	buffer_load_dword v141, off, s[0:3], 0 offset:296
	buffer_load_dword v143, off, s[0:3], 0 offset:288
	buffer_load_dword v135, off, s[0:3], 0 offset:280
	buffer_load_dword v144, off, s[0:3], 0 offset:292
	buffer_load_dword v142, off, s[0:3], 0 offset:300
	buffer_load_dword v138, off, s[0:3], 0 offset:308
	s_waitcnt vmcnt(24) lgkmcnt(0)
	v_fma_f64 v[115:116], v[139:140], v[119:120], v[115:116]
	s_waitcnt vmcnt(19)
	v_fma_f64 v[123:124], v[123:124], v[121:122], v[115:116]
	ds_read_b128 v[115:118], v114 offset:672
	ds_read_b128 v[119:122], v114 offset:688
	s_waitcnt vmcnt(18) lgkmcnt(1)
	v_fma_f64 v[115:116], v[147:148], v[115:116], v[123:124]
	s_waitcnt vmcnt(17)
	v_fma_f64 v[115:116], v[145:146], v[117:118], v[115:116]
	buffer_load_dword v124, off, s[0:3], 0 offset:316
	buffer_load_dword v139, off, s[0:3], 0 offset:336
	;; [unrolled: 1-line block ×7, first 2 shown]
	s_waitcnt vmcnt(23) lgkmcnt(0)
	v_fma_f64 v[115:116], v[125:126], v[119:120], v[115:116]
	s_waitcnt vmcnt(18)
	v_fma_f64 v[125:126], v[127:128], v[121:122], v[115:116]
	ds_read_b128 v[115:118], v114 offset:704
	ds_read_b128 v[119:122], v114 offset:720
	buffer_load_dword v140, off, s[0:3], 0 offset:340
	s_waitcnt vmcnt(18) lgkmcnt(1)
	v_fma_f64 v[115:116], v[133:134], v[115:116], v[125:126]
	s_waitcnt vmcnt(17)
	v_fma_f64 v[115:116], v[131:132], v[117:118], v[115:116]
	buffer_load_dword v126, off, s[0:3], 0 offset:348
	buffer_load_dword v127, off, s[0:3], 0 offset:368
	;; [unrolled: 1-line block ×7, first 2 shown]
	s_waitcnt vmcnt(23) lgkmcnt(0)
	v_fma_f64 v[115:116], v[129:130], v[119:120], v[115:116]
	s_waitcnt vmcnt(18)
	v_fma_f64 v[128:129], v[135:136], v[121:122], v[115:116]
	ds_read_b128 v[115:118], v114 offset:736
	ds_read_b128 v[119:122], v114 offset:752
	s_waitcnt vmcnt(17) lgkmcnt(1)
	v_fma_f64 v[115:116], v[143:144], v[115:116], v[128:129]
	buffer_load_dword v128, off, s[0:3], 0 offset:372
	s_waitcnt vmcnt(17)
	v_fma_f64 v[115:116], v[141:142], v[117:118], v[115:116]
	buffer_load_dword v130, off, s[0:3], 0 offset:380
	buffer_load_dword v135, off, s[0:3], 0 offset:400
	;; [unrolled: 1-line block ×8, first 2 shown]
	s_waitcnt vmcnt(24) lgkmcnt(0)
	v_fma_f64 v[115:116], v[137:138], v[119:120], v[115:116]
	s_waitcnt vmcnt(19)
	v_fma_f64 v[123:124], v[123:124], v[121:122], v[115:116]
	ds_read_b128 v[115:118], v114 offset:768
	ds_read_b128 v[119:122], v114 offset:784
	s_waitcnt vmcnt(18) lgkmcnt(1)
	v_fma_f64 v[115:116], v[147:148], v[115:116], v[123:124]
	s_waitcnt vmcnt(17)
	v_fma_f64 v[115:116], v[145:146], v[117:118], v[115:116]
	buffer_load_dword v124, off, s[0:3], 0 offset:412
	buffer_load_dword v137, off, s[0:3], 0 offset:432
	;; [unrolled: 1-line block ×8, first 2 shown]
	s_waitcnt vmcnt(24) lgkmcnt(0)
	v_fma_f64 v[115:116], v[139:140], v[119:120], v[115:116]
	s_waitcnt vmcnt(19)
	v_fma_f64 v[125:126], v[125:126], v[121:122], v[115:116]
	ds_read_b128 v[115:118], v114 offset:800
	ds_read_b128 v[119:122], v114 offset:816
	s_waitcnt vmcnt(18) lgkmcnt(1)
	v_fma_f64 v[115:116], v[133:134], v[115:116], v[125:126]
	buffer_load_dword v126, off, s[0:3], 0 offset:444
	buffer_load_dword v125, off, s[0:3], 0 offset:440
	s_waitcnt vmcnt(19)
	v_fma_f64 v[115:116], v[131:132], v[117:118], v[115:116]
	buffer_load_dword v131, off, s[0:3], 0 offset:120
	buffer_load_dword v132, off, s[0:3], 0 offset:124
	s_waitcnt vmcnt(20) lgkmcnt(0)
	v_fma_f64 v[115:116], v[127:128], v[119:120], v[115:116]
	s_waitcnt vmcnt(15)
	v_fma_f64 v[127:128], v[129:130], v[121:122], v[115:116]
	ds_read_b128 v[115:118], v114 offset:832
	ds_read_b128 v[119:122], v114 offset:848
	s_waitcnt vmcnt(14) lgkmcnt(1)
	v_fma_f64 v[115:116], v[143:144], v[115:116], v[127:128]
	s_waitcnt vmcnt(13)
	v_fma_f64 v[115:116], v[141:142], v[117:118], v[115:116]
	s_waitcnt vmcnt(12) lgkmcnt(0)
	v_fma_f64 v[115:116], v[135:136], v[119:120], v[115:116]
	s_waitcnt vmcnt(7)
	v_fma_f64 v[123:124], v[123:124], v[121:122], v[115:116]
	ds_read_b128 v[115:118], v114 offset:864
	ds_read_b128 v[119:122], v114 offset:880
	s_waitcnt vmcnt(6) lgkmcnt(1)
	v_fma_f64 v[114:115], v[147:148], v[115:116], v[123:124]
	s_waitcnt vmcnt(5)
	v_fma_f64 v[114:115], v[145:146], v[117:118], v[114:115]
	s_waitcnt vmcnt(4) lgkmcnt(0)
	v_fma_f64 v[114:115], v[137:138], v[119:120], v[114:115]
	s_waitcnt vmcnt(2)
	v_fma_f64 v[114:115], v[125:126], v[121:122], v[114:115]
	s_waitcnt vmcnt(0)
	v_add_f64 v[114:115], v[131:132], -v[114:115]
	buffer_store_dword v115, off, s[0:3], 0 offset:124
	buffer_store_dword v114, off, s[0:3], 0 offset:120
	s_and_saveexec_b64 s[4:5], vcc
	s_cbranch_execz .LBB119_315
; %bb.314:
	buffer_load_dword v114, off, s[0:3], 0 offset:112
	buffer_load_dword v115, off, s[0:3], 0 offset:116
	v_mov_b32_e32 v116, 0
	buffer_store_dword v116, off, s[0:3], 0 offset:112
	buffer_store_dword v116, off, s[0:3], 0 offset:116
	s_waitcnt vmcnt(2)
	ds_write_b64 v113, v[114:115]
.LBB119_315:
	s_or_b64 exec, exec, s[4:5]
	s_waitcnt lgkmcnt(0)
	; wave barrier
	buffer_load_dword v123, off, s[0:3], 0 offset:120
	buffer_load_dword v124, off, s[0:3], 0 offset:124
	;; [unrolled: 1-line block ×22, first 2 shown]
	v_mov_b32_e32 v114, 0
	ds_read2_b64 v[115:118], v114 offset0:71 offset1:72
	ds_read2_b64 v[119:122], v114 offset0:73 offset1:74
	v_cmp_lt_u32_e32 vcc, 13, v0
	s_waitcnt vmcnt(20) lgkmcnt(1)
	v_fma_f64 v[115:116], v[123:124], v[115:116], 0
	s_waitcnt vmcnt(18)
	v_fma_f64 v[115:116], v[125:126], v[117:118], v[115:116]
	buffer_load_dword v124, off, s[0:3], 0 offset:212
	buffer_load_dword v125, off, s[0:3], 0 offset:232
	;; [unrolled: 1-line block ×7, first 2 shown]
	s_waitcnt vmcnt(23) lgkmcnt(0)
	v_fma_f64 v[115:116], v[127:128], v[119:120], v[115:116]
	s_waitcnt vmcnt(21)
	v_fma_f64 v[126:127], v[129:130], v[121:122], v[115:116]
	ds_read2_b64 v[115:118], v114 offset0:75 offset1:76
	ds_read2_b64 v[119:122], v114 offset0:77 offset1:78
	s_waitcnt vmcnt(19) lgkmcnt(1)
	v_fma_f64 v[115:116], v[131:132], v[115:116], v[126:127]
	buffer_load_dword v126, off, s[0:3], 0 offset:236
	s_waitcnt vmcnt(18)
	v_fma_f64 v[115:116], v[133:134], v[117:118], v[115:116]
	buffer_load_dword v128, off, s[0:3], 0 offset:244
	buffer_load_dword v129, off, s[0:3], 0 offset:264
	;; [unrolled: 1-line block ×7, first 2 shown]
	s_waitcnt vmcnt(23) lgkmcnt(0)
	v_fma_f64 v[115:116], v[135:136], v[119:120], v[115:116]
	s_waitcnt vmcnt(18)
	v_fma_f64 v[135:136], v[137:138], v[121:122], v[115:116]
	ds_read2_b64 v[115:118], v114 offset0:79 offset1:80
	ds_read2_b64 v[119:122], v114 offset0:81 offset1:82
	buffer_load_dword v130, off, s[0:3], 0 offset:268
	s_waitcnt vmcnt(18) lgkmcnt(1)
	v_fma_f64 v[115:116], v[143:144], v[115:116], v[135:136]
	s_waitcnt vmcnt(17)
	v_fma_f64 v[115:116], v[141:142], v[117:118], v[115:116]
	buffer_load_dword v136, off, s[0:3], 0 offset:276
	buffer_load_dword v137, off, s[0:3], 0 offset:296
	;; [unrolled: 1-line block ×8, first 2 shown]
	s_waitcnt vmcnt(24) lgkmcnt(0)
	v_fma_f64 v[115:116], v[139:140], v[119:120], v[115:116]
	s_waitcnt vmcnt(19)
	v_fma_f64 v[123:124], v[123:124], v[121:122], v[115:116]
	ds_read2_b64 v[115:118], v114 offset0:83 offset1:84
	ds_read2_b64 v[119:122], v114 offset0:85 offset1:86
	s_waitcnt vmcnt(18) lgkmcnt(1)
	v_fma_f64 v[115:116], v[147:148], v[115:116], v[123:124]
	s_waitcnt vmcnt(17)
	v_fma_f64 v[115:116], v[145:146], v[117:118], v[115:116]
	buffer_load_dword v124, off, s[0:3], 0 offset:308
	buffer_load_dword v139, off, s[0:3], 0 offset:328
	buffer_load_dword v145, off, s[0:3], 0 offset:320
	buffer_load_dword v147, off, s[0:3], 0 offset:312
	buffer_load_dword v123, off, s[0:3], 0 offset:304
	buffer_load_dword v148, off, s[0:3], 0 offset:316
	buffer_load_dword v146, off, s[0:3], 0 offset:324
	s_waitcnt vmcnt(23) lgkmcnt(0)
	v_fma_f64 v[115:116], v[125:126], v[119:120], v[115:116]
	s_waitcnt vmcnt(18)
	v_fma_f64 v[125:126], v[127:128], v[121:122], v[115:116]
	ds_read2_b64 v[115:118], v114 offset0:87 offset1:88
	ds_read2_b64 v[119:122], v114 offset0:89 offset1:90
	buffer_load_dword v140, off, s[0:3], 0 offset:332
	s_waitcnt vmcnt(18) lgkmcnt(1)
	v_fma_f64 v[115:116], v[133:134], v[115:116], v[125:126]
	s_waitcnt vmcnt(17)
	v_fma_f64 v[115:116], v[131:132], v[117:118], v[115:116]
	buffer_load_dword v126, off, s[0:3], 0 offset:340
	buffer_load_dword v127, off, s[0:3], 0 offset:360
	;; [unrolled: 1-line block ×7, first 2 shown]
	s_waitcnt vmcnt(23) lgkmcnt(0)
	v_fma_f64 v[115:116], v[129:130], v[119:120], v[115:116]
	s_waitcnt vmcnt(18)
	v_fma_f64 v[128:129], v[135:136], v[121:122], v[115:116]
	ds_read2_b64 v[115:118], v114 offset0:91 offset1:92
	ds_read2_b64 v[119:122], v114 offset0:93 offset1:94
	s_waitcnt vmcnt(17) lgkmcnt(1)
	v_fma_f64 v[115:116], v[143:144], v[115:116], v[128:129]
	buffer_load_dword v128, off, s[0:3], 0 offset:364
	s_waitcnt vmcnt(17)
	v_fma_f64 v[115:116], v[141:142], v[117:118], v[115:116]
	buffer_load_dword v130, off, s[0:3], 0 offset:372
	buffer_load_dword v135, off, s[0:3], 0 offset:392
	buffer_load_dword v141, off, s[0:3], 0 offset:384
	buffer_load_dword v143, off, s[0:3], 0 offset:376
	buffer_load_dword v129, off, s[0:3], 0 offset:368
	buffer_load_dword v144, off, s[0:3], 0 offset:380
	buffer_load_dword v142, off, s[0:3], 0 offset:388
	buffer_load_dword v136, off, s[0:3], 0 offset:396
	s_waitcnt vmcnt(24) lgkmcnt(0)
	v_fma_f64 v[115:116], v[137:138], v[119:120], v[115:116]
	s_waitcnt vmcnt(19)
	v_fma_f64 v[123:124], v[123:124], v[121:122], v[115:116]
	ds_read2_b64 v[115:118], v114 offset0:95 offset1:96
	ds_read2_b64 v[119:122], v114 offset0:97 offset1:98
	s_waitcnt vmcnt(18) lgkmcnt(1)
	v_fma_f64 v[115:116], v[147:148], v[115:116], v[123:124]
	s_waitcnt vmcnt(17)
	v_fma_f64 v[115:116], v[145:146], v[117:118], v[115:116]
	buffer_load_dword v124, off, s[0:3], 0 offset:404
	buffer_load_dword v137, off, s[0:3], 0 offset:424
	;; [unrolled: 1-line block ×7, first 2 shown]
	s_waitcnt vmcnt(23) lgkmcnt(0)
	v_fma_f64 v[115:116], v[139:140], v[119:120], v[115:116]
	s_waitcnt vmcnt(18)
	v_fma_f64 v[125:126], v[125:126], v[121:122], v[115:116]
	ds_read2_b64 v[115:118], v114 offset0:99 offset1:100
	ds_read2_b64 v[119:122], v114 offset0:101 offset1:102
	buffer_load_dword v138, off, s[0:3], 0 offset:428
	s_waitcnt vmcnt(18) lgkmcnt(1)
	v_fma_f64 v[115:116], v[133:134], v[115:116], v[125:126]
	s_waitcnt vmcnt(17)
	v_fma_f64 v[115:116], v[131:132], v[117:118], v[115:116]
	buffer_load_dword v126, off, s[0:3], 0 offset:436
	buffer_load_dword v131, off, s[0:3], 0 offset:440
	;; [unrolled: 1-line block ×4, first 2 shown]
	s_waitcnt vmcnt(20) lgkmcnt(0)
	v_fma_f64 v[115:116], v[127:128], v[119:120], v[115:116]
	buffer_load_dword v127, off, s[0:3], 0 offset:112
	buffer_load_dword v128, off, s[0:3], 0 offset:116
	s_waitcnt vmcnt(17)
	v_fma_f64 v[129:130], v[129:130], v[121:122], v[115:116]
	ds_read2_b64 v[115:118], v114 offset0:103 offset1:104
	ds_read2_b64 v[119:122], v114 offset0:105 offset1:106
	s_waitcnt vmcnt(16) lgkmcnt(1)
	v_fma_f64 v[115:116], v[143:144], v[115:116], v[129:130]
	s_waitcnt vmcnt(15)
	v_fma_f64 v[115:116], v[141:142], v[117:118], v[115:116]
	s_waitcnt vmcnt(14) lgkmcnt(0)
	v_fma_f64 v[115:116], v[135:136], v[119:120], v[115:116]
	s_waitcnt vmcnt(9)
	v_fma_f64 v[123:124], v[123:124], v[121:122], v[115:116]
	ds_read2_b64 v[115:118], v114 offset0:107 offset1:108
	ds_read2_b64 v[119:122], v114 offset0:109 offset1:110
	s_waitcnt vmcnt(8) lgkmcnt(1)
	v_fma_f64 v[115:116], v[147:148], v[115:116], v[123:124]
	s_waitcnt vmcnt(7)
	v_fma_f64 v[115:116], v[145:146], v[117:118], v[115:116]
	ds_read_b64 v[117:118], v114 offset:888
	s_waitcnt vmcnt(6) lgkmcnt(1)
	v_fma_f64 v[115:116], v[137:138], v[119:120], v[115:116]
	s_waitcnt vmcnt(3)
	v_fma_f64 v[115:116], v[125:126], v[121:122], v[115:116]
	s_waitcnt vmcnt(2) lgkmcnt(0)
	v_fma_f64 v[115:116], v[131:132], v[117:118], v[115:116]
	s_waitcnt vmcnt(0)
	v_add_f64 v[115:116], v[127:128], -v[115:116]
	buffer_store_dword v116, off, s[0:3], 0 offset:116
	buffer_store_dword v115, off, s[0:3], 0 offset:112
	s_and_saveexec_b64 s[4:5], vcc
	s_cbranch_execz .LBB119_317
; %bb.316:
	buffer_load_dword v115, off, s[0:3], 0 offset:104
	buffer_load_dword v116, off, s[0:3], 0 offset:108
	s_waitcnt vmcnt(0)
	ds_write_b64 v113, v[115:116]
	buffer_store_dword v114, off, s[0:3], 0 offset:104
	buffer_store_dword v114, off, s[0:3], 0 offset:108
.LBB119_317:
	s_or_b64 exec, exec, s[4:5]
	s_waitcnt lgkmcnt(0)
	; wave barrier
	buffer_load_dword v123, off, s[0:3], 0 offset:112
	buffer_load_dword v124, off, s[0:3], 0 offset:116
	;; [unrolled: 1-line block ×22, first 2 shown]
	ds_read_b128 v[115:118], v114 offset:560
	ds_read_b128 v[119:122], v114 offset:576
	v_cmp_lt_u32_e32 vcc, 12, v0
	s_waitcnt vmcnt(20) lgkmcnt(1)
	v_fma_f64 v[115:116], v[123:124], v[115:116], 0
	s_waitcnt vmcnt(18)
	v_fma_f64 v[115:116], v[125:126], v[117:118], v[115:116]
	buffer_load_dword v124, off, s[0:3], 0 offset:204
	buffer_load_dword v125, off, s[0:3], 0 offset:224
	;; [unrolled: 1-line block ×7, first 2 shown]
	s_waitcnt vmcnt(23) lgkmcnt(0)
	v_fma_f64 v[115:116], v[127:128], v[119:120], v[115:116]
	s_waitcnt vmcnt(21)
	v_fma_f64 v[126:127], v[129:130], v[121:122], v[115:116]
	ds_read_b128 v[115:118], v114 offset:592
	ds_read_b128 v[119:122], v114 offset:608
	s_waitcnt vmcnt(19) lgkmcnt(1)
	v_fma_f64 v[115:116], v[131:132], v[115:116], v[126:127]
	buffer_load_dword v126, off, s[0:3], 0 offset:228
	s_waitcnt vmcnt(18)
	v_fma_f64 v[115:116], v[133:134], v[117:118], v[115:116]
	buffer_load_dword v128, off, s[0:3], 0 offset:236
	buffer_load_dword v129, off, s[0:3], 0 offset:256
	;; [unrolled: 1-line block ×7, first 2 shown]
	s_waitcnt vmcnt(23) lgkmcnt(0)
	v_fma_f64 v[115:116], v[135:136], v[119:120], v[115:116]
	s_waitcnt vmcnt(18)
	v_fma_f64 v[135:136], v[137:138], v[121:122], v[115:116]
	ds_read_b128 v[115:118], v114 offset:624
	ds_read_b128 v[119:122], v114 offset:640
	buffer_load_dword v130, off, s[0:3], 0 offset:260
	s_waitcnt vmcnt(18) lgkmcnt(1)
	v_fma_f64 v[115:116], v[143:144], v[115:116], v[135:136]
	s_waitcnt vmcnt(17)
	v_fma_f64 v[115:116], v[141:142], v[117:118], v[115:116]
	buffer_load_dword v136, off, s[0:3], 0 offset:268
	buffer_load_dword v137, off, s[0:3], 0 offset:288
	;; [unrolled: 1-line block ×8, first 2 shown]
	s_waitcnt vmcnt(24) lgkmcnt(0)
	v_fma_f64 v[115:116], v[139:140], v[119:120], v[115:116]
	s_waitcnt vmcnt(19)
	v_fma_f64 v[123:124], v[123:124], v[121:122], v[115:116]
	ds_read_b128 v[115:118], v114 offset:656
	ds_read_b128 v[119:122], v114 offset:672
	s_waitcnt vmcnt(18) lgkmcnt(1)
	v_fma_f64 v[115:116], v[147:148], v[115:116], v[123:124]
	s_waitcnt vmcnt(17)
	v_fma_f64 v[115:116], v[145:146], v[117:118], v[115:116]
	buffer_load_dword v124, off, s[0:3], 0 offset:300
	buffer_load_dword v139, off, s[0:3], 0 offset:320
	;; [unrolled: 1-line block ×8, first 2 shown]
	s_waitcnt vmcnt(24) lgkmcnt(0)
	v_fma_f64 v[115:116], v[125:126], v[119:120], v[115:116]
	s_waitcnt vmcnt(19)
	v_fma_f64 v[125:126], v[127:128], v[121:122], v[115:116]
	ds_read_b128 v[115:118], v114 offset:688
	ds_read_b128 v[119:122], v114 offset:704
	s_waitcnt vmcnt(18) lgkmcnt(1)
	v_fma_f64 v[115:116], v[133:134], v[115:116], v[125:126]
	s_waitcnt vmcnt(17)
	v_fma_f64 v[115:116], v[131:132], v[117:118], v[115:116]
	buffer_load_dword v126, off, s[0:3], 0 offset:332
	buffer_load_dword v127, off, s[0:3], 0 offset:352
	;; [unrolled: 1-line block ×7, first 2 shown]
	s_waitcnt vmcnt(23) lgkmcnt(0)
	v_fma_f64 v[115:116], v[129:130], v[119:120], v[115:116]
	s_waitcnt vmcnt(18)
	v_fma_f64 v[128:129], v[135:136], v[121:122], v[115:116]
	ds_read_b128 v[115:118], v114 offset:720
	ds_read_b128 v[119:122], v114 offset:736
	s_waitcnt vmcnt(17) lgkmcnt(1)
	v_fma_f64 v[115:116], v[143:144], v[115:116], v[128:129]
	buffer_load_dword v128, off, s[0:3], 0 offset:356
	s_waitcnt vmcnt(17)
	v_fma_f64 v[115:116], v[141:142], v[117:118], v[115:116]
	buffer_load_dword v130, off, s[0:3], 0 offset:364
	buffer_load_dword v135, off, s[0:3], 0 offset:384
	buffer_load_dword v141, off, s[0:3], 0 offset:376
	buffer_load_dword v143, off, s[0:3], 0 offset:368
	buffer_load_dword v129, off, s[0:3], 0 offset:360
	buffer_load_dword v144, off, s[0:3], 0 offset:372
	buffer_load_dword v142, off, s[0:3], 0 offset:380
	buffer_load_dword v136, off, s[0:3], 0 offset:388
	s_waitcnt vmcnt(24) lgkmcnt(0)
	v_fma_f64 v[115:116], v[137:138], v[119:120], v[115:116]
	s_waitcnt vmcnt(19)
	v_fma_f64 v[123:124], v[123:124], v[121:122], v[115:116]
	ds_read_b128 v[115:118], v114 offset:752
	ds_read_b128 v[119:122], v114 offset:768
	s_waitcnt vmcnt(18) lgkmcnt(1)
	v_fma_f64 v[115:116], v[147:148], v[115:116], v[123:124]
	s_waitcnt vmcnt(17)
	v_fma_f64 v[115:116], v[145:146], v[117:118], v[115:116]
	buffer_load_dword v124, off, s[0:3], 0 offset:396
	buffer_load_dword v137, off, s[0:3], 0 offset:416
	;; [unrolled: 1-line block ×8, first 2 shown]
	s_waitcnt vmcnt(24) lgkmcnt(0)
	v_fma_f64 v[115:116], v[139:140], v[119:120], v[115:116]
	s_waitcnt vmcnt(19)
	v_fma_f64 v[125:126], v[125:126], v[121:122], v[115:116]
	ds_read_b128 v[115:118], v114 offset:784
	ds_read_b128 v[119:122], v114 offset:800
	s_waitcnt vmcnt(18) lgkmcnt(1)
	v_fma_f64 v[115:116], v[133:134], v[115:116], v[125:126]
	s_waitcnt vmcnt(17)
	v_fma_f64 v[115:116], v[131:132], v[117:118], v[115:116]
	buffer_load_dword v126, off, s[0:3], 0 offset:428
	buffer_load_dword v131, off, s[0:3], 0 offset:440
	;; [unrolled: 1-line block ×6, first 2 shown]
	s_waitcnt vmcnt(22) lgkmcnt(0)
	v_fma_f64 v[115:116], v[127:128], v[119:120], v[115:116]
	s_waitcnt vmcnt(17)
	v_fma_f64 v[127:128], v[129:130], v[121:122], v[115:116]
	ds_read_b128 v[115:118], v114 offset:816
	buffer_load_dword v129, off, s[0:3], 0 offset:104
	buffer_load_dword v130, off, s[0:3], 0 offset:108
	ds_read_b128 v[119:122], v114 offset:832
	s_waitcnt vmcnt(18) lgkmcnt(1)
	v_fma_f64 v[115:116], v[143:144], v[115:116], v[127:128]
	s_waitcnt vmcnt(17)
	v_fma_f64 v[115:116], v[141:142], v[117:118], v[115:116]
	s_waitcnt vmcnt(16) lgkmcnt(0)
	v_fma_f64 v[115:116], v[135:136], v[119:120], v[115:116]
	s_waitcnt vmcnt(11)
	v_fma_f64 v[123:124], v[123:124], v[121:122], v[115:116]
	ds_read_b128 v[115:118], v114 offset:848
	ds_read_b128 v[119:122], v114 offset:864
	s_waitcnt vmcnt(10) lgkmcnt(1)
	v_fma_f64 v[115:116], v[147:148], v[115:116], v[123:124]
	s_waitcnt vmcnt(9)
	v_fma_f64 v[115:116], v[145:146], v[117:118], v[115:116]
	s_waitcnt vmcnt(8) lgkmcnt(0)
	v_fma_f64 v[115:116], v[137:138], v[119:120], v[115:116]
	s_waitcnt vmcnt(4)
	v_fma_f64 v[118:119], v[125:126], v[121:122], v[115:116]
	ds_read_b128 v[114:117], v114 offset:880
	s_waitcnt vmcnt(3) lgkmcnt(0)
	v_fma_f64 v[114:115], v[133:134], v[114:115], v[118:119]
	s_waitcnt vmcnt(2)
	v_fma_f64 v[114:115], v[131:132], v[116:117], v[114:115]
	s_waitcnt vmcnt(0)
	v_add_f64 v[114:115], v[129:130], -v[114:115]
	buffer_store_dword v115, off, s[0:3], 0 offset:108
	buffer_store_dword v114, off, s[0:3], 0 offset:104
	s_and_saveexec_b64 s[4:5], vcc
	s_cbranch_execz .LBB119_319
; %bb.318:
	buffer_load_dword v114, off, s[0:3], 0 offset:96
	buffer_load_dword v115, off, s[0:3], 0 offset:100
	v_mov_b32_e32 v116, 0
	buffer_store_dword v116, off, s[0:3], 0 offset:96
	buffer_store_dword v116, off, s[0:3], 0 offset:100
	s_waitcnt vmcnt(2)
	ds_write_b64 v113, v[114:115]
.LBB119_319:
	s_or_b64 exec, exec, s[4:5]
	s_waitcnt lgkmcnt(0)
	; wave barrier
	buffer_load_dword v123, off, s[0:3], 0 offset:104
	buffer_load_dword v124, off, s[0:3], 0 offset:108
	;; [unrolled: 1-line block ×22, first 2 shown]
	v_mov_b32_e32 v114, 0
	ds_read2_b64 v[115:118], v114 offset0:69 offset1:70
	ds_read2_b64 v[119:122], v114 offset0:71 offset1:72
	v_cmp_lt_u32_e32 vcc, 11, v0
	s_waitcnt vmcnt(20) lgkmcnt(1)
	v_fma_f64 v[115:116], v[123:124], v[115:116], 0
	s_waitcnt vmcnt(18)
	v_fma_f64 v[115:116], v[125:126], v[117:118], v[115:116]
	buffer_load_dword v124, off, s[0:3], 0 offset:196
	buffer_load_dword v125, off, s[0:3], 0 offset:216
	;; [unrolled: 1-line block ×7, first 2 shown]
	s_waitcnt vmcnt(23) lgkmcnt(0)
	v_fma_f64 v[115:116], v[127:128], v[119:120], v[115:116]
	s_waitcnt vmcnt(21)
	v_fma_f64 v[126:127], v[129:130], v[121:122], v[115:116]
	ds_read2_b64 v[115:118], v114 offset0:73 offset1:74
	ds_read2_b64 v[119:122], v114 offset0:75 offset1:76
	s_waitcnt vmcnt(19) lgkmcnt(1)
	v_fma_f64 v[115:116], v[131:132], v[115:116], v[126:127]
	buffer_load_dword v126, off, s[0:3], 0 offset:220
	s_waitcnt vmcnt(18)
	v_fma_f64 v[115:116], v[133:134], v[117:118], v[115:116]
	buffer_load_dword v128, off, s[0:3], 0 offset:228
	buffer_load_dword v129, off, s[0:3], 0 offset:248
	buffer_load_dword v131, off, s[0:3], 0 offset:240
	buffer_load_dword v133, off, s[0:3], 0 offset:232
	buffer_load_dword v127, off, s[0:3], 0 offset:224
	buffer_load_dword v134, off, s[0:3], 0 offset:236
	buffer_load_dword v132, off, s[0:3], 0 offset:244
	s_waitcnt vmcnt(23) lgkmcnt(0)
	v_fma_f64 v[115:116], v[135:136], v[119:120], v[115:116]
	s_waitcnt vmcnt(18)
	v_fma_f64 v[135:136], v[137:138], v[121:122], v[115:116]
	ds_read2_b64 v[115:118], v114 offset0:77 offset1:78
	ds_read2_b64 v[119:122], v114 offset0:79 offset1:80
	buffer_load_dword v130, off, s[0:3], 0 offset:252
	s_waitcnt vmcnt(18) lgkmcnt(1)
	v_fma_f64 v[115:116], v[143:144], v[115:116], v[135:136]
	s_waitcnt vmcnt(17)
	v_fma_f64 v[115:116], v[141:142], v[117:118], v[115:116]
	buffer_load_dword v136, off, s[0:3], 0 offset:260
	buffer_load_dword v137, off, s[0:3], 0 offset:280
	;; [unrolled: 1-line block ×8, first 2 shown]
	s_waitcnt vmcnt(24) lgkmcnt(0)
	v_fma_f64 v[115:116], v[139:140], v[119:120], v[115:116]
	s_waitcnt vmcnt(19)
	v_fma_f64 v[123:124], v[123:124], v[121:122], v[115:116]
	ds_read2_b64 v[115:118], v114 offset0:81 offset1:82
	ds_read2_b64 v[119:122], v114 offset0:83 offset1:84
	s_waitcnt vmcnt(18) lgkmcnt(1)
	v_fma_f64 v[115:116], v[147:148], v[115:116], v[123:124]
	s_waitcnt vmcnt(17)
	v_fma_f64 v[115:116], v[145:146], v[117:118], v[115:116]
	buffer_load_dword v124, off, s[0:3], 0 offset:292
	buffer_load_dword v139, off, s[0:3], 0 offset:312
	;; [unrolled: 1-line block ×8, first 2 shown]
	s_waitcnt vmcnt(24) lgkmcnt(0)
	v_fma_f64 v[115:116], v[125:126], v[119:120], v[115:116]
	s_waitcnt vmcnt(19)
	v_fma_f64 v[125:126], v[127:128], v[121:122], v[115:116]
	ds_read2_b64 v[115:118], v114 offset0:85 offset1:86
	ds_read2_b64 v[119:122], v114 offset0:87 offset1:88
	s_waitcnt vmcnt(18) lgkmcnt(1)
	v_fma_f64 v[115:116], v[133:134], v[115:116], v[125:126]
	s_waitcnt vmcnt(17)
	v_fma_f64 v[115:116], v[131:132], v[117:118], v[115:116]
	buffer_load_dword v126, off, s[0:3], 0 offset:324
	buffer_load_dword v127, off, s[0:3], 0 offset:344
	;; [unrolled: 1-line block ×7, first 2 shown]
	s_waitcnt vmcnt(23) lgkmcnt(0)
	v_fma_f64 v[115:116], v[129:130], v[119:120], v[115:116]
	s_waitcnt vmcnt(18)
	v_fma_f64 v[128:129], v[135:136], v[121:122], v[115:116]
	ds_read2_b64 v[115:118], v114 offset0:89 offset1:90
	ds_read2_b64 v[119:122], v114 offset0:91 offset1:92
	s_waitcnt vmcnt(17) lgkmcnt(1)
	v_fma_f64 v[115:116], v[143:144], v[115:116], v[128:129]
	buffer_load_dword v128, off, s[0:3], 0 offset:348
	s_waitcnt vmcnt(17)
	v_fma_f64 v[115:116], v[141:142], v[117:118], v[115:116]
	buffer_load_dword v130, off, s[0:3], 0 offset:356
	buffer_load_dword v135, off, s[0:3], 0 offset:376
	buffer_load_dword v141, off, s[0:3], 0 offset:368
	buffer_load_dword v143, off, s[0:3], 0 offset:360
	buffer_load_dword v129, off, s[0:3], 0 offset:352
	buffer_load_dword v144, off, s[0:3], 0 offset:364
	buffer_load_dword v142, off, s[0:3], 0 offset:372
	buffer_load_dword v136, off, s[0:3], 0 offset:380
	s_waitcnt vmcnt(24) lgkmcnt(0)
	v_fma_f64 v[115:116], v[137:138], v[119:120], v[115:116]
	s_waitcnt vmcnt(19)
	v_fma_f64 v[123:124], v[123:124], v[121:122], v[115:116]
	ds_read2_b64 v[115:118], v114 offset0:93 offset1:94
	ds_read2_b64 v[119:122], v114 offset0:95 offset1:96
	s_waitcnt vmcnt(18) lgkmcnt(1)
	v_fma_f64 v[115:116], v[147:148], v[115:116], v[123:124]
	s_waitcnt vmcnt(17)
	v_fma_f64 v[115:116], v[145:146], v[117:118], v[115:116]
	buffer_load_dword v124, off, s[0:3], 0 offset:388
	buffer_load_dword v137, off, s[0:3], 0 offset:408
	buffer_load_dword v145, off, s[0:3], 0 offset:400
	buffer_load_dword v147, off, s[0:3], 0 offset:392
	buffer_load_dword v123, off, s[0:3], 0 offset:384
	buffer_load_dword v148, off, s[0:3], 0 offset:396
	buffer_load_dword v146, off, s[0:3], 0 offset:404
	buffer_load_dword v138, off, s[0:3], 0 offset:412
	s_waitcnt vmcnt(24) lgkmcnt(0)
	v_fma_f64 v[115:116], v[139:140], v[119:120], v[115:116]
	s_waitcnt vmcnt(19)
	v_fma_f64 v[125:126], v[125:126], v[121:122], v[115:116]
	ds_read2_b64 v[115:118], v114 offset0:97 offset1:98
	ds_read2_b64 v[119:122], v114 offset0:99 offset1:100
	s_waitcnt vmcnt(18) lgkmcnt(1)
	v_fma_f64 v[115:116], v[133:134], v[115:116], v[125:126]
	;; [unrolled: 18-line block ×3, first 2 shown]
	buffer_load_dword v127, off, s[0:3], 0 offset:96
	buffer_load_dword v128, off, s[0:3], 0 offset:100
	s_waitcnt vmcnt(19)
	v_fma_f64 v[115:116], v[141:142], v[117:118], v[115:116]
	s_waitcnt vmcnt(18) lgkmcnt(0)
	v_fma_f64 v[115:116], v[135:136], v[119:120], v[115:116]
	s_waitcnt vmcnt(13)
	v_fma_f64 v[123:124], v[123:124], v[121:122], v[115:116]
	ds_read2_b64 v[115:118], v114 offset0:105 offset1:106
	ds_read2_b64 v[119:122], v114 offset0:107 offset1:108
	s_waitcnt vmcnt(12) lgkmcnt(1)
	v_fma_f64 v[115:116], v[147:148], v[115:116], v[123:124]
	s_waitcnt vmcnt(11)
	v_fma_f64 v[115:116], v[145:146], v[117:118], v[115:116]
	s_waitcnt vmcnt(10) lgkmcnt(0)
	v_fma_f64 v[115:116], v[137:138], v[119:120], v[115:116]
	s_waitcnt vmcnt(5)
	v_fma_f64 v[119:120], v[125:126], v[121:122], v[115:116]
	ds_read2_b64 v[115:118], v114 offset0:109 offset1:110
	ds_read_b64 v[121:122], v114 offset:888
	s_waitcnt vmcnt(4) lgkmcnt(1)
	v_fma_f64 v[115:116], v[139:140], v[115:116], v[119:120]
	s_waitcnt vmcnt(3)
	v_fma_f64 v[115:116], v[133:134], v[117:118], v[115:116]
	s_waitcnt vmcnt(2) lgkmcnt(0)
	v_fma_f64 v[115:116], v[131:132], v[121:122], v[115:116]
	s_waitcnt vmcnt(0)
	v_add_f64 v[115:116], v[127:128], -v[115:116]
	buffer_store_dword v116, off, s[0:3], 0 offset:100
	buffer_store_dword v115, off, s[0:3], 0 offset:96
	s_and_saveexec_b64 s[4:5], vcc
	s_cbranch_execz .LBB119_321
; %bb.320:
	buffer_load_dword v115, off, s[0:3], 0 offset:88
	buffer_load_dword v116, off, s[0:3], 0 offset:92
	s_waitcnt vmcnt(0)
	ds_write_b64 v113, v[115:116]
	buffer_store_dword v114, off, s[0:3], 0 offset:88
	buffer_store_dword v114, off, s[0:3], 0 offset:92
.LBB119_321:
	s_or_b64 exec, exec, s[4:5]
	s_waitcnt lgkmcnt(0)
	; wave barrier
	buffer_load_dword v123, off, s[0:3], 0 offset:96
	buffer_load_dword v124, off, s[0:3], 0 offset:100
	;; [unrolled: 1-line block ×22, first 2 shown]
	ds_read_b128 v[115:118], v114 offset:544
	ds_read_b128 v[119:122], v114 offset:560
	v_cmp_lt_u32_e32 vcc, 10, v0
	s_waitcnt vmcnt(20) lgkmcnt(1)
	v_fma_f64 v[115:116], v[123:124], v[115:116], 0
	s_waitcnt vmcnt(18)
	v_fma_f64 v[115:116], v[125:126], v[117:118], v[115:116]
	buffer_load_dword v124, off, s[0:3], 0 offset:188
	buffer_load_dword v125, off, s[0:3], 0 offset:208
	buffer_load_dword v145, off, s[0:3], 0 offset:200
	buffer_load_dword v147, off, s[0:3], 0 offset:192
	buffer_load_dword v123, off, s[0:3], 0 offset:184
	buffer_load_dword v148, off, s[0:3], 0 offset:196
	buffer_load_dword v146, off, s[0:3], 0 offset:204
	s_waitcnt vmcnt(23) lgkmcnt(0)
	v_fma_f64 v[115:116], v[127:128], v[119:120], v[115:116]
	s_waitcnt vmcnt(21)
	v_fma_f64 v[126:127], v[129:130], v[121:122], v[115:116]
	ds_read_b128 v[115:118], v114 offset:576
	ds_read_b128 v[119:122], v114 offset:592
	s_waitcnt vmcnt(19) lgkmcnt(1)
	v_fma_f64 v[115:116], v[131:132], v[115:116], v[126:127]
	buffer_load_dword v126, off, s[0:3], 0 offset:212
	s_waitcnt vmcnt(18)
	v_fma_f64 v[115:116], v[133:134], v[117:118], v[115:116]
	buffer_load_dword v128, off, s[0:3], 0 offset:220
	buffer_load_dword v129, off, s[0:3], 0 offset:240
	;; [unrolled: 1-line block ×7, first 2 shown]
	s_waitcnt vmcnt(23) lgkmcnt(0)
	v_fma_f64 v[115:116], v[135:136], v[119:120], v[115:116]
	s_waitcnt vmcnt(18)
	v_fma_f64 v[135:136], v[137:138], v[121:122], v[115:116]
	ds_read_b128 v[115:118], v114 offset:608
	ds_read_b128 v[119:122], v114 offset:624
	buffer_load_dword v130, off, s[0:3], 0 offset:244
	s_waitcnt vmcnt(18) lgkmcnt(1)
	v_fma_f64 v[115:116], v[143:144], v[115:116], v[135:136]
	s_waitcnt vmcnt(17)
	v_fma_f64 v[115:116], v[141:142], v[117:118], v[115:116]
	buffer_load_dword v136, off, s[0:3], 0 offset:252
	buffer_load_dword v137, off, s[0:3], 0 offset:272
	;; [unrolled: 1-line block ×8, first 2 shown]
	s_waitcnt vmcnt(24) lgkmcnt(0)
	v_fma_f64 v[115:116], v[139:140], v[119:120], v[115:116]
	s_waitcnt vmcnt(19)
	v_fma_f64 v[123:124], v[123:124], v[121:122], v[115:116]
	ds_read_b128 v[115:118], v114 offset:640
	ds_read_b128 v[119:122], v114 offset:656
	s_waitcnt vmcnt(18) lgkmcnt(1)
	v_fma_f64 v[115:116], v[147:148], v[115:116], v[123:124]
	s_waitcnt vmcnt(17)
	v_fma_f64 v[115:116], v[145:146], v[117:118], v[115:116]
	buffer_load_dword v124, off, s[0:3], 0 offset:284
	buffer_load_dword v139, off, s[0:3], 0 offset:304
	;; [unrolled: 1-line block ×8, first 2 shown]
	s_waitcnt vmcnt(24) lgkmcnt(0)
	v_fma_f64 v[115:116], v[125:126], v[119:120], v[115:116]
	s_waitcnt vmcnt(19)
	v_fma_f64 v[125:126], v[127:128], v[121:122], v[115:116]
	ds_read_b128 v[115:118], v114 offset:672
	ds_read_b128 v[119:122], v114 offset:688
	s_waitcnt vmcnt(18) lgkmcnt(1)
	v_fma_f64 v[115:116], v[133:134], v[115:116], v[125:126]
	s_waitcnt vmcnt(17)
	v_fma_f64 v[115:116], v[131:132], v[117:118], v[115:116]
	buffer_load_dword v126, off, s[0:3], 0 offset:316
	buffer_load_dword v127, off, s[0:3], 0 offset:336
	buffer_load_dword v131, off, s[0:3], 0 offset:328
	buffer_load_dword v133, off, s[0:3], 0 offset:320
	buffer_load_dword v125, off, s[0:3], 0 offset:312
	buffer_load_dword v134, off, s[0:3], 0 offset:324
	buffer_load_dword v132, off, s[0:3], 0 offset:332
	s_waitcnt vmcnt(23) lgkmcnt(0)
	v_fma_f64 v[115:116], v[129:130], v[119:120], v[115:116]
	s_waitcnt vmcnt(18)
	v_fma_f64 v[128:129], v[135:136], v[121:122], v[115:116]
	ds_read_b128 v[115:118], v114 offset:704
	ds_read_b128 v[119:122], v114 offset:720
	s_waitcnt vmcnt(17) lgkmcnt(1)
	v_fma_f64 v[115:116], v[143:144], v[115:116], v[128:129]
	buffer_load_dword v128, off, s[0:3], 0 offset:340
	s_waitcnt vmcnt(17)
	v_fma_f64 v[115:116], v[141:142], v[117:118], v[115:116]
	buffer_load_dword v130, off, s[0:3], 0 offset:348
	buffer_load_dword v135, off, s[0:3], 0 offset:368
	buffer_load_dword v141, off, s[0:3], 0 offset:360
	buffer_load_dword v143, off, s[0:3], 0 offset:352
	buffer_load_dword v129, off, s[0:3], 0 offset:344
	buffer_load_dword v144, off, s[0:3], 0 offset:356
	buffer_load_dword v142, off, s[0:3], 0 offset:364
	buffer_load_dword v136, off, s[0:3], 0 offset:372
	s_waitcnt vmcnt(24) lgkmcnt(0)
	v_fma_f64 v[115:116], v[137:138], v[119:120], v[115:116]
	s_waitcnt vmcnt(19)
	v_fma_f64 v[123:124], v[123:124], v[121:122], v[115:116]
	ds_read_b128 v[115:118], v114 offset:736
	ds_read_b128 v[119:122], v114 offset:752
	s_waitcnt vmcnt(18) lgkmcnt(1)
	v_fma_f64 v[115:116], v[147:148], v[115:116], v[123:124]
	s_waitcnt vmcnt(17)
	v_fma_f64 v[115:116], v[145:146], v[117:118], v[115:116]
	buffer_load_dword v124, off, s[0:3], 0 offset:380
	buffer_load_dword v137, off, s[0:3], 0 offset:400
	buffer_load_dword v145, off, s[0:3], 0 offset:392
	buffer_load_dword v147, off, s[0:3], 0 offset:384
	buffer_load_dword v123, off, s[0:3], 0 offset:376
	buffer_load_dword v148, off, s[0:3], 0 offset:388
	buffer_load_dword v146, off, s[0:3], 0 offset:396
	buffer_load_dword v138, off, s[0:3], 0 offset:404
	s_waitcnt vmcnt(24) lgkmcnt(0)
	v_fma_f64 v[115:116], v[139:140], v[119:120], v[115:116]
	s_waitcnt vmcnt(19)
	v_fma_f64 v[125:126], v[125:126], v[121:122], v[115:116]
	ds_read_b128 v[115:118], v114 offset:768
	ds_read_b128 v[119:122], v114 offset:784
	s_waitcnt vmcnt(18) lgkmcnt(1)
	v_fma_f64 v[115:116], v[133:134], v[115:116], v[125:126]
	;; [unrolled: 18-line block ×3, first 2 shown]
	buffer_load_dword v128, off, s[0:3], 0 offset:444
	buffer_load_dword v127, off, s[0:3], 0 offset:440
	buffer_load_dword v129, off, s[0:3], 0 offset:88
	buffer_load_dword v130, off, s[0:3], 0 offset:92
	s_waitcnt vmcnt(21)
	v_fma_f64 v[115:116], v[141:142], v[117:118], v[115:116]
	s_waitcnt vmcnt(20) lgkmcnt(0)
	v_fma_f64 v[115:116], v[135:136], v[119:120], v[115:116]
	s_waitcnt vmcnt(15)
	v_fma_f64 v[123:124], v[123:124], v[121:122], v[115:116]
	ds_read_b128 v[115:118], v114 offset:832
	ds_read_b128 v[119:122], v114 offset:848
	s_waitcnt vmcnt(14) lgkmcnt(1)
	v_fma_f64 v[115:116], v[147:148], v[115:116], v[123:124]
	s_waitcnt vmcnt(13)
	v_fma_f64 v[115:116], v[145:146], v[117:118], v[115:116]
	s_waitcnt vmcnt(12) lgkmcnt(0)
	v_fma_f64 v[115:116], v[137:138], v[119:120], v[115:116]
	s_waitcnt vmcnt(7)
	v_fma_f64 v[123:124], v[125:126], v[121:122], v[115:116]
	ds_read_b128 v[115:118], v114 offset:864
	ds_read_b128 v[119:122], v114 offset:880
	s_waitcnt vmcnt(6) lgkmcnt(1)
	v_fma_f64 v[114:115], v[139:140], v[115:116], v[123:124]
	s_waitcnt vmcnt(5)
	v_fma_f64 v[114:115], v[133:134], v[117:118], v[114:115]
	s_waitcnt vmcnt(4) lgkmcnt(0)
	v_fma_f64 v[114:115], v[131:132], v[119:120], v[114:115]
	s_waitcnt vmcnt(2)
	v_fma_f64 v[114:115], v[127:128], v[121:122], v[114:115]
	s_waitcnt vmcnt(0)
	v_add_f64 v[114:115], v[129:130], -v[114:115]
	buffer_store_dword v115, off, s[0:3], 0 offset:92
	buffer_store_dword v114, off, s[0:3], 0 offset:88
	s_and_saveexec_b64 s[4:5], vcc
	s_cbranch_execz .LBB119_323
; %bb.322:
	buffer_load_dword v114, off, s[0:3], 0 offset:80
	buffer_load_dword v115, off, s[0:3], 0 offset:84
	v_mov_b32_e32 v116, 0
	buffer_store_dword v116, off, s[0:3], 0 offset:80
	buffer_store_dword v116, off, s[0:3], 0 offset:84
	s_waitcnt vmcnt(2)
	ds_write_b64 v113, v[114:115]
.LBB119_323:
	s_or_b64 exec, exec, s[4:5]
	s_waitcnt lgkmcnt(0)
	; wave barrier
	buffer_load_dword v123, off, s[0:3], 0 offset:88
	buffer_load_dword v124, off, s[0:3], 0 offset:92
	;; [unrolled: 1-line block ×21, first 2 shown]
	v_mov_b32_e32 v114, 0
	ds_read2_b64 v[115:118], v114 offset0:67 offset1:68
	ds_read2_b64 v[119:122], v114 offset0:69 offset1:70
	buffer_load_dword v140, off, s[0:3], 0 offset:172
	v_cmp_lt_u32_e32 vcc, 9, v0
	s_waitcnt vmcnt(20) lgkmcnt(1)
	v_fma_f64 v[115:116], v[123:124], v[115:116], 0
	s_waitcnt vmcnt(18)
	v_fma_f64 v[115:116], v[125:126], v[117:118], v[115:116]
	buffer_load_dword v124, off, s[0:3], 0 offset:180
	buffer_load_dword v125, off, s[0:3], 0 offset:200
	;; [unrolled: 1-line block ×7, first 2 shown]
	s_waitcnt vmcnt(23) lgkmcnt(0)
	v_fma_f64 v[115:116], v[127:128], v[119:120], v[115:116]
	s_waitcnt vmcnt(21)
	v_fma_f64 v[126:127], v[129:130], v[121:122], v[115:116]
	ds_read2_b64 v[115:118], v114 offset0:71 offset1:72
	ds_read2_b64 v[119:122], v114 offset0:73 offset1:74
	s_waitcnt vmcnt(19) lgkmcnt(1)
	v_fma_f64 v[115:116], v[131:132], v[115:116], v[126:127]
	buffer_load_dword v126, off, s[0:3], 0 offset:204
	s_waitcnt vmcnt(18)
	v_fma_f64 v[115:116], v[133:134], v[117:118], v[115:116]
	buffer_load_dword v128, off, s[0:3], 0 offset:212
	buffer_load_dword v129, off, s[0:3], 0 offset:232
	buffer_load_dword v131, off, s[0:3], 0 offset:224
	buffer_load_dword v133, off, s[0:3], 0 offset:216
	buffer_load_dword v127, off, s[0:3], 0 offset:208
	buffer_load_dword v134, off, s[0:3], 0 offset:220
	buffer_load_dword v132, off, s[0:3], 0 offset:228
	s_waitcnt vmcnt(23) lgkmcnt(0)
	v_fma_f64 v[115:116], v[135:136], v[119:120], v[115:116]
	s_waitcnt vmcnt(18)
	v_fma_f64 v[135:136], v[137:138], v[121:122], v[115:116]
	ds_read2_b64 v[115:118], v114 offset0:75 offset1:76
	ds_read2_b64 v[119:122], v114 offset0:77 offset1:78
	buffer_load_dword v130, off, s[0:3], 0 offset:236
	s_waitcnt vmcnt(18) lgkmcnt(1)
	v_fma_f64 v[115:116], v[143:144], v[115:116], v[135:136]
	s_waitcnt vmcnt(17)
	v_fma_f64 v[115:116], v[141:142], v[117:118], v[115:116]
	buffer_load_dword v136, off, s[0:3], 0 offset:244
	buffer_load_dword v137, off, s[0:3], 0 offset:264
	;; [unrolled: 1-line block ×7, first 2 shown]
	s_waitcnt vmcnt(23) lgkmcnt(0)
	v_fma_f64 v[115:116], v[139:140], v[119:120], v[115:116]
	s_waitcnt vmcnt(18)
	v_fma_f64 v[123:124], v[123:124], v[121:122], v[115:116]
	ds_read2_b64 v[115:118], v114 offset0:79 offset1:80
	ds_read2_b64 v[119:122], v114 offset0:81 offset1:82
	buffer_load_dword v138, off, s[0:3], 0 offset:268
	s_waitcnt vmcnt(18) lgkmcnt(1)
	v_fma_f64 v[115:116], v[147:148], v[115:116], v[123:124]
	s_waitcnt vmcnt(17)
	v_fma_f64 v[115:116], v[145:146], v[117:118], v[115:116]
	buffer_load_dword v124, off, s[0:3], 0 offset:276
	buffer_load_dword v139, off, s[0:3], 0 offset:296
	;; [unrolled: 1-line block ×8, first 2 shown]
	s_waitcnt vmcnt(24) lgkmcnt(0)
	v_fma_f64 v[115:116], v[125:126], v[119:120], v[115:116]
	s_waitcnt vmcnt(19)
	v_fma_f64 v[125:126], v[127:128], v[121:122], v[115:116]
	ds_read2_b64 v[115:118], v114 offset0:83 offset1:84
	ds_read2_b64 v[119:122], v114 offset0:85 offset1:86
	s_waitcnt vmcnt(18) lgkmcnt(1)
	v_fma_f64 v[115:116], v[133:134], v[115:116], v[125:126]
	s_waitcnt vmcnt(17)
	v_fma_f64 v[115:116], v[131:132], v[117:118], v[115:116]
	buffer_load_dword v126, off, s[0:3], 0 offset:308
	buffer_load_dword v127, off, s[0:3], 0 offset:328
	;; [unrolled: 1-line block ×7, first 2 shown]
	s_waitcnt vmcnt(23) lgkmcnt(0)
	v_fma_f64 v[115:116], v[129:130], v[119:120], v[115:116]
	s_waitcnt vmcnt(18)
	v_fma_f64 v[128:129], v[135:136], v[121:122], v[115:116]
	ds_read2_b64 v[115:118], v114 offset0:87 offset1:88
	ds_read2_b64 v[119:122], v114 offset0:89 offset1:90
	s_waitcnt vmcnt(17) lgkmcnt(1)
	v_fma_f64 v[115:116], v[143:144], v[115:116], v[128:129]
	buffer_load_dword v128, off, s[0:3], 0 offset:332
	s_waitcnt vmcnt(17)
	v_fma_f64 v[115:116], v[141:142], v[117:118], v[115:116]
	buffer_load_dword v130, off, s[0:3], 0 offset:340
	buffer_load_dword v135, off, s[0:3], 0 offset:360
	;; [unrolled: 1-line block ×7, first 2 shown]
	s_waitcnt vmcnt(23) lgkmcnt(0)
	v_fma_f64 v[115:116], v[137:138], v[119:120], v[115:116]
	s_waitcnt vmcnt(18)
	v_fma_f64 v[123:124], v[123:124], v[121:122], v[115:116]
	ds_read2_b64 v[115:118], v114 offset0:91 offset1:92
	ds_read2_b64 v[119:122], v114 offset0:93 offset1:94
	buffer_load_dword v136, off, s[0:3], 0 offset:364
	s_waitcnt vmcnt(18) lgkmcnt(1)
	v_fma_f64 v[115:116], v[147:148], v[115:116], v[123:124]
	s_waitcnt vmcnt(17)
	v_fma_f64 v[115:116], v[145:146], v[117:118], v[115:116]
	buffer_load_dword v124, off, s[0:3], 0 offset:372
	buffer_load_dword v137, off, s[0:3], 0 offset:392
	;; [unrolled: 1-line block ×8, first 2 shown]
	s_waitcnt vmcnt(24) lgkmcnt(0)
	v_fma_f64 v[115:116], v[139:140], v[119:120], v[115:116]
	s_waitcnt vmcnt(19)
	v_fma_f64 v[125:126], v[125:126], v[121:122], v[115:116]
	ds_read2_b64 v[115:118], v114 offset0:95 offset1:96
	ds_read2_b64 v[119:122], v114 offset0:97 offset1:98
	s_waitcnt vmcnt(18) lgkmcnt(1)
	v_fma_f64 v[115:116], v[133:134], v[115:116], v[125:126]
	s_waitcnt vmcnt(17)
	v_fma_f64 v[115:116], v[131:132], v[117:118], v[115:116]
	buffer_load_dword v126, off, s[0:3], 0 offset:404
	buffer_load_dword v131, off, s[0:3], 0 offset:424
	;; [unrolled: 1-line block ×7, first 2 shown]
	s_waitcnt vmcnt(23) lgkmcnt(0)
	v_fma_f64 v[115:116], v[127:128], v[119:120], v[115:116]
	s_waitcnt vmcnt(18)
	v_fma_f64 v[127:128], v[129:130], v[121:122], v[115:116]
	ds_read2_b64 v[115:118], v114 offset0:99 offset1:100
	ds_read2_b64 v[119:122], v114 offset0:101 offset1:102
	buffer_load_dword v132, off, s[0:3], 0 offset:428
	s_waitcnt vmcnt(18) lgkmcnt(1)
	v_fma_f64 v[115:116], v[143:144], v[115:116], v[127:128]
	buffer_load_dword v128, off, s[0:3], 0 offset:436
	buffer_load_dword v129, off, s[0:3], 0 offset:440
	;; [unrolled: 1-line block ×4, first 2 shown]
	s_waitcnt vmcnt(21)
	v_fma_f64 v[115:116], v[141:142], v[117:118], v[115:116]
	s_waitcnt vmcnt(20) lgkmcnt(0)
	v_fma_f64 v[115:116], v[135:136], v[119:120], v[115:116]
	buffer_load_dword v135, off, s[0:3], 0 offset:80
	buffer_load_dword v136, off, s[0:3], 0 offset:84
	s_waitcnt vmcnt(17)
	v_fma_f64 v[123:124], v[123:124], v[121:122], v[115:116]
	ds_read2_b64 v[115:118], v114 offset0:103 offset1:104
	ds_read2_b64 v[119:122], v114 offset0:105 offset1:106
	s_waitcnt vmcnt(16) lgkmcnt(1)
	v_fma_f64 v[115:116], v[147:148], v[115:116], v[123:124]
	s_waitcnt vmcnt(15)
	v_fma_f64 v[115:116], v[145:146], v[117:118], v[115:116]
	s_waitcnt vmcnt(14) lgkmcnt(0)
	v_fma_f64 v[115:116], v[137:138], v[119:120], v[115:116]
	s_waitcnt vmcnt(9)
	v_fma_f64 v[123:124], v[125:126], v[121:122], v[115:116]
	ds_read2_b64 v[115:118], v114 offset0:107 offset1:108
	ds_read2_b64 v[119:122], v114 offset0:109 offset1:110
	s_waitcnt vmcnt(8) lgkmcnt(1)
	v_fma_f64 v[115:116], v[139:140], v[115:116], v[123:124]
	s_waitcnt vmcnt(7)
	v_fma_f64 v[115:116], v[133:134], v[117:118], v[115:116]
	ds_read_b64 v[117:118], v114 offset:888
	s_waitcnt vmcnt(6) lgkmcnt(1)
	v_fma_f64 v[115:116], v[131:132], v[119:120], v[115:116]
	s_waitcnt vmcnt(3)
	v_fma_f64 v[115:116], v[127:128], v[121:122], v[115:116]
	s_waitcnt vmcnt(2) lgkmcnt(0)
	v_fma_f64 v[115:116], v[129:130], v[117:118], v[115:116]
	s_waitcnt vmcnt(0)
	v_add_f64 v[115:116], v[135:136], -v[115:116]
	buffer_store_dword v116, off, s[0:3], 0 offset:84
	buffer_store_dword v115, off, s[0:3], 0 offset:80
	s_and_saveexec_b64 s[4:5], vcc
	s_cbranch_execz .LBB119_325
; %bb.324:
	buffer_load_dword v115, off, s[0:3], 0 offset:72
	buffer_load_dword v116, off, s[0:3], 0 offset:76
	s_waitcnt vmcnt(0)
	ds_write_b64 v113, v[115:116]
	buffer_store_dword v114, off, s[0:3], 0 offset:72
	buffer_store_dword v114, off, s[0:3], 0 offset:76
.LBB119_325:
	s_or_b64 exec, exec, s[4:5]
	s_waitcnt lgkmcnt(0)
	; wave barrier
	buffer_load_dword v123, off, s[0:3], 0 offset:80
	buffer_load_dword v124, off, s[0:3], 0 offset:84
	;; [unrolled: 1-line block ×21, first 2 shown]
	ds_read_b128 v[115:118], v114 offset:528
	ds_read_b128 v[119:122], v114 offset:544
	buffer_load_dword v140, off, s[0:3], 0 offset:164
	v_cmp_lt_u32_e32 vcc, 8, v0
	s_waitcnt vmcnt(20) lgkmcnt(1)
	v_fma_f64 v[115:116], v[123:124], v[115:116], 0
	s_waitcnt vmcnt(18)
	v_fma_f64 v[115:116], v[125:126], v[117:118], v[115:116]
	buffer_load_dword v124, off, s[0:3], 0 offset:172
	buffer_load_dword v125, off, s[0:3], 0 offset:192
	buffer_load_dword v145, off, s[0:3], 0 offset:184
	buffer_load_dword v147, off, s[0:3], 0 offset:176
	buffer_load_dword v123, off, s[0:3], 0 offset:168
	buffer_load_dword v148, off, s[0:3], 0 offset:180
	buffer_load_dword v146, off, s[0:3], 0 offset:188
	s_waitcnt vmcnt(23) lgkmcnt(0)
	v_fma_f64 v[115:116], v[127:128], v[119:120], v[115:116]
	s_waitcnt vmcnt(21)
	v_fma_f64 v[126:127], v[129:130], v[121:122], v[115:116]
	ds_read_b128 v[115:118], v114 offset:560
	ds_read_b128 v[119:122], v114 offset:576
	s_waitcnt vmcnt(19) lgkmcnt(1)
	v_fma_f64 v[115:116], v[131:132], v[115:116], v[126:127]
	buffer_load_dword v126, off, s[0:3], 0 offset:196
	s_waitcnt vmcnt(18)
	v_fma_f64 v[115:116], v[133:134], v[117:118], v[115:116]
	buffer_load_dword v128, off, s[0:3], 0 offset:204
	buffer_load_dword v129, off, s[0:3], 0 offset:224
	;; [unrolled: 1-line block ×8, first 2 shown]
	s_waitcnt vmcnt(24) lgkmcnt(0)
	v_fma_f64 v[115:116], v[135:136], v[119:120], v[115:116]
	s_waitcnt vmcnt(19)
	v_fma_f64 v[135:136], v[137:138], v[121:122], v[115:116]
	ds_read_b128 v[115:118], v114 offset:592
	ds_read_b128 v[119:122], v114 offset:608
	s_waitcnt vmcnt(18) lgkmcnt(1)
	v_fma_f64 v[115:116], v[143:144], v[115:116], v[135:136]
	s_waitcnt vmcnt(17)
	v_fma_f64 v[115:116], v[141:142], v[117:118], v[115:116]
	buffer_load_dword v136, off, s[0:3], 0 offset:236
	buffer_load_dword v137, off, s[0:3], 0 offset:256
	;; [unrolled: 1-line block ×7, first 2 shown]
	s_waitcnt vmcnt(23) lgkmcnt(0)
	v_fma_f64 v[115:116], v[139:140], v[119:120], v[115:116]
	s_waitcnt vmcnt(18)
	v_fma_f64 v[123:124], v[123:124], v[121:122], v[115:116]
	ds_read_b128 v[115:118], v114 offset:624
	ds_read_b128 v[119:122], v114 offset:640
	buffer_load_dword v138, off, s[0:3], 0 offset:260
	s_waitcnt vmcnt(18) lgkmcnt(1)
	v_fma_f64 v[115:116], v[147:148], v[115:116], v[123:124]
	s_waitcnt vmcnt(17)
	v_fma_f64 v[115:116], v[145:146], v[117:118], v[115:116]
	buffer_load_dword v124, off, s[0:3], 0 offset:268
	buffer_load_dword v139, off, s[0:3], 0 offset:288
	buffer_load_dword v145, off, s[0:3], 0 offset:280
	buffer_load_dword v147, off, s[0:3], 0 offset:272
	buffer_load_dword v123, off, s[0:3], 0 offset:264
	buffer_load_dword v148, off, s[0:3], 0 offset:276
	buffer_load_dword v146, off, s[0:3], 0 offset:284
	buffer_load_dword v140, off, s[0:3], 0 offset:292
	s_waitcnt vmcnt(24) lgkmcnt(0)
	v_fma_f64 v[115:116], v[125:126], v[119:120], v[115:116]
	s_waitcnt vmcnt(19)
	v_fma_f64 v[125:126], v[127:128], v[121:122], v[115:116]
	ds_read_b128 v[115:118], v114 offset:656
	ds_read_b128 v[119:122], v114 offset:672
	s_waitcnt vmcnt(18) lgkmcnt(1)
	v_fma_f64 v[115:116], v[133:134], v[115:116], v[125:126]
	s_waitcnt vmcnt(17)
	v_fma_f64 v[115:116], v[131:132], v[117:118], v[115:116]
	buffer_load_dword v126, off, s[0:3], 0 offset:300
	buffer_load_dword v127, off, s[0:3], 0 offset:320
	;; [unrolled: 1-line block ×7, first 2 shown]
	s_waitcnt vmcnt(23) lgkmcnt(0)
	v_fma_f64 v[115:116], v[129:130], v[119:120], v[115:116]
	s_waitcnt vmcnt(18)
	v_fma_f64 v[128:129], v[135:136], v[121:122], v[115:116]
	ds_read_b128 v[115:118], v114 offset:688
	ds_read_b128 v[119:122], v114 offset:704
	s_waitcnt vmcnt(17) lgkmcnt(1)
	v_fma_f64 v[115:116], v[143:144], v[115:116], v[128:129]
	buffer_load_dword v128, off, s[0:3], 0 offset:324
	s_waitcnt vmcnt(17)
	v_fma_f64 v[115:116], v[141:142], v[117:118], v[115:116]
	buffer_load_dword v130, off, s[0:3], 0 offset:332
	buffer_load_dword v135, off, s[0:3], 0 offset:352
	;; [unrolled: 1-line block ×7, first 2 shown]
	s_waitcnt vmcnt(23) lgkmcnt(0)
	v_fma_f64 v[115:116], v[137:138], v[119:120], v[115:116]
	s_waitcnt vmcnt(18)
	v_fma_f64 v[123:124], v[123:124], v[121:122], v[115:116]
	ds_read_b128 v[115:118], v114 offset:720
	ds_read_b128 v[119:122], v114 offset:736
	buffer_load_dword v136, off, s[0:3], 0 offset:356
	s_waitcnt vmcnt(18) lgkmcnt(1)
	v_fma_f64 v[115:116], v[147:148], v[115:116], v[123:124]
	s_waitcnt vmcnt(17)
	v_fma_f64 v[115:116], v[145:146], v[117:118], v[115:116]
	buffer_load_dword v124, off, s[0:3], 0 offset:364
	buffer_load_dword v137, off, s[0:3], 0 offset:384
	;; [unrolled: 1-line block ×8, first 2 shown]
	s_waitcnt vmcnt(24) lgkmcnt(0)
	v_fma_f64 v[115:116], v[139:140], v[119:120], v[115:116]
	s_waitcnt vmcnt(19)
	v_fma_f64 v[125:126], v[125:126], v[121:122], v[115:116]
	ds_read_b128 v[115:118], v114 offset:752
	ds_read_b128 v[119:122], v114 offset:768
	s_waitcnt vmcnt(18) lgkmcnt(1)
	v_fma_f64 v[115:116], v[133:134], v[115:116], v[125:126]
	s_waitcnt vmcnt(17)
	v_fma_f64 v[115:116], v[131:132], v[117:118], v[115:116]
	buffer_load_dword v126, off, s[0:3], 0 offset:396
	buffer_load_dword v131, off, s[0:3], 0 offset:416
	buffer_load_dword v133, off, s[0:3], 0 offset:408
	buffer_load_dword v139, off, s[0:3], 0 offset:400
	buffer_load_dword v125, off, s[0:3], 0 offset:392
	buffer_load_dword v140, off, s[0:3], 0 offset:404
	buffer_load_dword v134, off, s[0:3], 0 offset:412
	buffer_load_dword v132, off, s[0:3], 0 offset:420
	s_waitcnt vmcnt(24) lgkmcnt(0)
	v_fma_f64 v[115:116], v[127:128], v[119:120], v[115:116]
	s_waitcnt vmcnt(19)
	v_fma_f64 v[127:128], v[129:130], v[121:122], v[115:116]
	ds_read_b128 v[115:118], v114 offset:784
	ds_read_b128 v[119:122], v114 offset:800
	s_waitcnt vmcnt(18) lgkmcnt(1)
	v_fma_f64 v[115:116], v[143:144], v[115:116], v[127:128]
	s_waitcnt vmcnt(17)
	v_fma_f64 v[115:116], v[141:142], v[117:118], v[115:116]
	buffer_load_dword v128, off, s[0:3], 0 offset:428
	buffer_load_dword v129, off, s[0:3], 0 offset:440
	buffer_load_dword v141, off, s[0:3], 0 offset:432
	buffer_load_dword v127, off, s[0:3], 0 offset:424
	buffer_load_dword v142, off, s[0:3], 0 offset:436
	buffer_load_dword v130, off, s[0:3], 0 offset:444
	s_waitcnt vmcnt(22) lgkmcnt(0)
	v_fma_f64 v[115:116], v[135:136], v[119:120], v[115:116]
	s_waitcnt vmcnt(17)
	v_fma_f64 v[123:124], v[123:124], v[121:122], v[115:116]
	ds_read_b128 v[115:118], v114 offset:816
	buffer_load_dword v135, off, s[0:3], 0 offset:72
	buffer_load_dword v136, off, s[0:3], 0 offset:76
	ds_read_b128 v[119:122], v114 offset:832
	s_waitcnt vmcnt(18) lgkmcnt(1)
	v_fma_f64 v[115:116], v[147:148], v[115:116], v[123:124]
	s_waitcnt vmcnt(17)
	v_fma_f64 v[115:116], v[145:146], v[117:118], v[115:116]
	s_waitcnt vmcnt(16) lgkmcnt(0)
	v_fma_f64 v[115:116], v[137:138], v[119:120], v[115:116]
	s_waitcnt vmcnt(11)
	v_fma_f64 v[123:124], v[125:126], v[121:122], v[115:116]
	ds_read_b128 v[115:118], v114 offset:848
	ds_read_b128 v[119:122], v114 offset:864
	s_waitcnt vmcnt(10) lgkmcnt(1)
	v_fma_f64 v[115:116], v[139:140], v[115:116], v[123:124]
	s_waitcnt vmcnt(9)
	v_fma_f64 v[115:116], v[133:134], v[117:118], v[115:116]
	s_waitcnt vmcnt(8) lgkmcnt(0)
	v_fma_f64 v[115:116], v[131:132], v[119:120], v[115:116]
	s_waitcnt vmcnt(4)
	v_fma_f64 v[118:119], v[127:128], v[121:122], v[115:116]
	ds_read_b128 v[114:117], v114 offset:880
	s_waitcnt vmcnt(3) lgkmcnt(0)
	v_fma_f64 v[114:115], v[141:142], v[114:115], v[118:119]
	s_waitcnt vmcnt(2)
	v_fma_f64 v[114:115], v[129:130], v[116:117], v[114:115]
	s_waitcnt vmcnt(0)
	v_add_f64 v[114:115], v[135:136], -v[114:115]
	buffer_store_dword v115, off, s[0:3], 0 offset:76
	buffer_store_dword v114, off, s[0:3], 0 offset:72
	s_and_saveexec_b64 s[4:5], vcc
	s_cbranch_execz .LBB119_327
; %bb.326:
	buffer_load_dword v114, off, s[0:3], 0 offset:64
	buffer_load_dword v115, off, s[0:3], 0 offset:68
	v_mov_b32_e32 v116, 0
	buffer_store_dword v116, off, s[0:3], 0 offset:64
	buffer_store_dword v116, off, s[0:3], 0 offset:68
	s_waitcnt vmcnt(2)
	ds_write_b64 v113, v[114:115]
.LBB119_327:
	s_or_b64 exec, exec, s[4:5]
	s_waitcnt lgkmcnt(0)
	; wave barrier
	buffer_load_dword v123, off, s[0:3], 0 offset:72
	buffer_load_dword v124, off, s[0:3], 0 offset:76
	;; [unrolled: 1-line block ×21, first 2 shown]
	v_mov_b32_e32 v114, 0
	ds_read2_b64 v[115:118], v114 offset0:65 offset1:66
	ds_read2_b64 v[119:122], v114 offset0:67 offset1:68
	buffer_load_dword v140, off, s[0:3], 0 offset:156
	v_cmp_lt_u32_e32 vcc, 7, v0
	s_waitcnt vmcnt(20) lgkmcnt(1)
	v_fma_f64 v[115:116], v[123:124], v[115:116], 0
	s_waitcnt vmcnt(18)
	v_fma_f64 v[115:116], v[125:126], v[117:118], v[115:116]
	buffer_load_dword v124, off, s[0:3], 0 offset:164
	buffer_load_dword v125, off, s[0:3], 0 offset:184
	buffer_load_dword v145, off, s[0:3], 0 offset:176
	buffer_load_dword v147, off, s[0:3], 0 offset:168
	buffer_load_dword v123, off, s[0:3], 0 offset:160
	buffer_load_dword v148, off, s[0:3], 0 offset:172
	buffer_load_dword v146, off, s[0:3], 0 offset:180
	s_waitcnt vmcnt(23) lgkmcnt(0)
	v_fma_f64 v[115:116], v[127:128], v[119:120], v[115:116]
	s_waitcnt vmcnt(21)
	v_fma_f64 v[126:127], v[129:130], v[121:122], v[115:116]
	ds_read2_b64 v[115:118], v114 offset0:69 offset1:70
	ds_read2_b64 v[119:122], v114 offset0:71 offset1:72
	s_waitcnt vmcnt(19) lgkmcnt(1)
	v_fma_f64 v[115:116], v[131:132], v[115:116], v[126:127]
	buffer_load_dword v126, off, s[0:3], 0 offset:188
	s_waitcnt vmcnt(18)
	v_fma_f64 v[115:116], v[133:134], v[117:118], v[115:116]
	buffer_load_dword v128, off, s[0:3], 0 offset:196
	buffer_load_dword v129, off, s[0:3], 0 offset:216
	;; [unrolled: 1-line block ×8, first 2 shown]
	s_waitcnt vmcnt(24) lgkmcnt(0)
	v_fma_f64 v[115:116], v[135:136], v[119:120], v[115:116]
	s_waitcnt vmcnt(19)
	v_fma_f64 v[135:136], v[137:138], v[121:122], v[115:116]
	ds_read2_b64 v[115:118], v114 offset0:73 offset1:74
	ds_read2_b64 v[119:122], v114 offset0:75 offset1:76
	s_waitcnt vmcnt(18) lgkmcnt(1)
	v_fma_f64 v[115:116], v[143:144], v[115:116], v[135:136]
	s_waitcnt vmcnt(17)
	v_fma_f64 v[115:116], v[141:142], v[117:118], v[115:116]
	buffer_load_dword v136, off, s[0:3], 0 offset:228
	buffer_load_dword v137, off, s[0:3], 0 offset:248
	buffer_load_dword v141, off, s[0:3], 0 offset:240
	buffer_load_dword v143, off, s[0:3], 0 offset:232
	buffer_load_dword v135, off, s[0:3], 0 offset:224
	buffer_load_dword v144, off, s[0:3], 0 offset:236
	buffer_load_dword v142, off, s[0:3], 0 offset:244
	s_waitcnt vmcnt(23) lgkmcnt(0)
	v_fma_f64 v[115:116], v[139:140], v[119:120], v[115:116]
	s_waitcnt vmcnt(18)
	v_fma_f64 v[123:124], v[123:124], v[121:122], v[115:116]
	ds_read2_b64 v[115:118], v114 offset0:77 offset1:78
	ds_read2_b64 v[119:122], v114 offset0:79 offset1:80
	buffer_load_dword v138, off, s[0:3], 0 offset:252
	s_waitcnt vmcnt(18) lgkmcnt(1)
	v_fma_f64 v[115:116], v[147:148], v[115:116], v[123:124]
	s_waitcnt vmcnt(17)
	v_fma_f64 v[115:116], v[145:146], v[117:118], v[115:116]
	buffer_load_dword v124, off, s[0:3], 0 offset:260
	buffer_load_dword v139, off, s[0:3], 0 offset:280
	;; [unrolled: 1-line block ×8, first 2 shown]
	s_waitcnt vmcnt(24) lgkmcnt(0)
	v_fma_f64 v[115:116], v[125:126], v[119:120], v[115:116]
	s_waitcnt vmcnt(19)
	v_fma_f64 v[125:126], v[127:128], v[121:122], v[115:116]
	ds_read2_b64 v[115:118], v114 offset0:81 offset1:82
	ds_read2_b64 v[119:122], v114 offset0:83 offset1:84
	s_waitcnt vmcnt(18) lgkmcnt(1)
	v_fma_f64 v[115:116], v[133:134], v[115:116], v[125:126]
	s_waitcnt vmcnt(17)
	v_fma_f64 v[115:116], v[131:132], v[117:118], v[115:116]
	buffer_load_dword v126, off, s[0:3], 0 offset:292
	buffer_load_dword v127, off, s[0:3], 0 offset:312
	;; [unrolled: 1-line block ×7, first 2 shown]
	s_waitcnt vmcnt(23) lgkmcnt(0)
	v_fma_f64 v[115:116], v[129:130], v[119:120], v[115:116]
	s_waitcnt vmcnt(18)
	v_fma_f64 v[128:129], v[135:136], v[121:122], v[115:116]
	ds_read2_b64 v[115:118], v114 offset0:85 offset1:86
	ds_read2_b64 v[119:122], v114 offset0:87 offset1:88
	s_waitcnt vmcnt(17) lgkmcnt(1)
	v_fma_f64 v[115:116], v[143:144], v[115:116], v[128:129]
	buffer_load_dword v128, off, s[0:3], 0 offset:316
	s_waitcnt vmcnt(17)
	v_fma_f64 v[115:116], v[141:142], v[117:118], v[115:116]
	buffer_load_dword v130, off, s[0:3], 0 offset:324
	buffer_load_dword v135, off, s[0:3], 0 offset:344
	;; [unrolled: 1-line block ×7, first 2 shown]
	s_waitcnt vmcnt(23) lgkmcnt(0)
	v_fma_f64 v[115:116], v[137:138], v[119:120], v[115:116]
	s_waitcnt vmcnt(18)
	v_fma_f64 v[123:124], v[123:124], v[121:122], v[115:116]
	ds_read2_b64 v[115:118], v114 offset0:89 offset1:90
	ds_read2_b64 v[119:122], v114 offset0:91 offset1:92
	buffer_load_dword v136, off, s[0:3], 0 offset:348
	s_waitcnt vmcnt(18) lgkmcnt(1)
	v_fma_f64 v[115:116], v[147:148], v[115:116], v[123:124]
	s_waitcnt vmcnt(17)
	v_fma_f64 v[115:116], v[145:146], v[117:118], v[115:116]
	buffer_load_dword v124, off, s[0:3], 0 offset:356
	buffer_load_dword v137, off, s[0:3], 0 offset:376
	buffer_load_dword v145, off, s[0:3], 0 offset:368
	buffer_load_dword v147, off, s[0:3], 0 offset:360
	buffer_load_dword v123, off, s[0:3], 0 offset:352
	buffer_load_dword v148, off, s[0:3], 0 offset:364
	buffer_load_dword v146, off, s[0:3], 0 offset:372
	buffer_load_dword v138, off, s[0:3], 0 offset:380
	s_waitcnt vmcnt(24) lgkmcnt(0)
	v_fma_f64 v[115:116], v[139:140], v[119:120], v[115:116]
	s_waitcnt vmcnt(19)
	v_fma_f64 v[125:126], v[125:126], v[121:122], v[115:116]
	ds_read2_b64 v[115:118], v114 offset0:93 offset1:94
	ds_read2_b64 v[119:122], v114 offset0:95 offset1:96
	s_waitcnt vmcnt(18) lgkmcnt(1)
	v_fma_f64 v[115:116], v[133:134], v[115:116], v[125:126]
	s_waitcnt vmcnt(17)
	v_fma_f64 v[115:116], v[131:132], v[117:118], v[115:116]
	buffer_load_dword v126, off, s[0:3], 0 offset:388
	buffer_load_dword v131, off, s[0:3], 0 offset:408
	buffer_load_dword v133, off, s[0:3], 0 offset:400
	buffer_load_dword v139, off, s[0:3], 0 offset:392
	buffer_load_dword v125, off, s[0:3], 0 offset:384
	buffer_load_dword v140, off, s[0:3], 0 offset:396
	buffer_load_dword v134, off, s[0:3], 0 offset:404
	buffer_load_dword v132, off, s[0:3], 0 offset:412
	s_waitcnt vmcnt(24) lgkmcnt(0)
	v_fma_f64 v[115:116], v[127:128], v[119:120], v[115:116]
	s_waitcnt vmcnt(19)
	v_fma_f64 v[127:128], v[129:130], v[121:122], v[115:116]
	ds_read2_b64 v[115:118], v114 offset0:97 offset1:98
	ds_read2_b64 v[119:122], v114 offset0:99 offset1:100
	;; [unrolled: 18-line block ×3, first 2 shown]
	s_waitcnt vmcnt(18) lgkmcnt(1)
	v_fma_f64 v[115:116], v[147:148], v[115:116], v[123:124]
	buffer_load_dword v123, off, s[0:3], 0 offset:64
	buffer_load_dword v124, off, s[0:3], 0 offset:68
	s_waitcnt vmcnt(19)
	v_fma_f64 v[115:116], v[145:146], v[117:118], v[115:116]
	s_waitcnt vmcnt(18) lgkmcnt(0)
	v_fma_f64 v[115:116], v[137:138], v[119:120], v[115:116]
	s_waitcnt vmcnt(13)
	v_fma_f64 v[125:126], v[125:126], v[121:122], v[115:116]
	ds_read2_b64 v[115:118], v114 offset0:105 offset1:106
	ds_read2_b64 v[119:122], v114 offset0:107 offset1:108
	s_waitcnt vmcnt(12) lgkmcnt(1)
	v_fma_f64 v[115:116], v[139:140], v[115:116], v[125:126]
	s_waitcnt vmcnt(11)
	v_fma_f64 v[115:116], v[133:134], v[117:118], v[115:116]
	s_waitcnt vmcnt(10) lgkmcnt(0)
	v_fma_f64 v[115:116], v[131:132], v[119:120], v[115:116]
	s_waitcnt vmcnt(5)
	v_fma_f64 v[119:120], v[127:128], v[121:122], v[115:116]
	ds_read2_b64 v[115:118], v114 offset0:109 offset1:110
	ds_read_b64 v[121:122], v114 offset:888
	s_waitcnt vmcnt(4) lgkmcnt(1)
	v_fma_f64 v[115:116], v[143:144], v[115:116], v[119:120]
	s_waitcnt vmcnt(3)
	v_fma_f64 v[115:116], v[141:142], v[117:118], v[115:116]
	s_waitcnt vmcnt(2) lgkmcnt(0)
	v_fma_f64 v[115:116], v[129:130], v[121:122], v[115:116]
	s_waitcnt vmcnt(0)
	v_add_f64 v[115:116], v[123:124], -v[115:116]
	buffer_store_dword v116, off, s[0:3], 0 offset:68
	buffer_store_dword v115, off, s[0:3], 0 offset:64
	s_and_saveexec_b64 s[4:5], vcc
	s_cbranch_execz .LBB119_329
; %bb.328:
	buffer_load_dword v115, off, s[0:3], 0 offset:56
	buffer_load_dword v116, off, s[0:3], 0 offset:60
	s_waitcnt vmcnt(0)
	ds_write_b64 v113, v[115:116]
	buffer_store_dword v114, off, s[0:3], 0 offset:56
	buffer_store_dword v114, off, s[0:3], 0 offset:60
.LBB119_329:
	s_or_b64 exec, exec, s[4:5]
	s_waitcnt lgkmcnt(0)
	; wave barrier
	buffer_load_dword v123, off, s[0:3], 0 offset:64
	buffer_load_dword v124, off, s[0:3], 0 offset:68
	;; [unrolled: 1-line block ×21, first 2 shown]
	ds_read_b128 v[115:118], v114 offset:512
	ds_read_b128 v[119:122], v114 offset:528
	buffer_load_dword v140, off, s[0:3], 0 offset:148
	v_cmp_lt_u32_e32 vcc, 6, v0
	s_waitcnt vmcnt(20) lgkmcnt(1)
	v_fma_f64 v[115:116], v[123:124], v[115:116], 0
	s_waitcnt vmcnt(18)
	v_fma_f64 v[115:116], v[125:126], v[117:118], v[115:116]
	buffer_load_dword v124, off, s[0:3], 0 offset:156
	buffer_load_dword v125, off, s[0:3], 0 offset:176
	;; [unrolled: 1-line block ×7, first 2 shown]
	s_waitcnt vmcnt(23) lgkmcnt(0)
	v_fma_f64 v[115:116], v[127:128], v[119:120], v[115:116]
	s_waitcnt vmcnt(21)
	v_fma_f64 v[126:127], v[129:130], v[121:122], v[115:116]
	ds_read_b128 v[115:118], v114 offset:544
	ds_read_b128 v[119:122], v114 offset:560
	s_waitcnt vmcnt(19) lgkmcnt(1)
	v_fma_f64 v[115:116], v[131:132], v[115:116], v[126:127]
	buffer_load_dword v126, off, s[0:3], 0 offset:180
	s_waitcnt vmcnt(18)
	v_fma_f64 v[115:116], v[133:134], v[117:118], v[115:116]
	buffer_load_dword v128, off, s[0:3], 0 offset:188
	buffer_load_dword v129, off, s[0:3], 0 offset:208
	;; [unrolled: 1-line block ×8, first 2 shown]
	s_waitcnt vmcnt(24) lgkmcnt(0)
	v_fma_f64 v[115:116], v[135:136], v[119:120], v[115:116]
	s_waitcnt vmcnt(19)
	v_fma_f64 v[135:136], v[137:138], v[121:122], v[115:116]
	ds_read_b128 v[115:118], v114 offset:576
	ds_read_b128 v[119:122], v114 offset:592
	s_waitcnt vmcnt(18) lgkmcnt(1)
	v_fma_f64 v[115:116], v[143:144], v[115:116], v[135:136]
	s_waitcnt vmcnt(17)
	v_fma_f64 v[115:116], v[141:142], v[117:118], v[115:116]
	buffer_load_dword v136, off, s[0:3], 0 offset:220
	buffer_load_dword v137, off, s[0:3], 0 offset:240
	;; [unrolled: 1-line block ×7, first 2 shown]
	s_waitcnt vmcnt(23) lgkmcnt(0)
	v_fma_f64 v[115:116], v[139:140], v[119:120], v[115:116]
	s_waitcnt vmcnt(18)
	v_fma_f64 v[123:124], v[123:124], v[121:122], v[115:116]
	ds_read_b128 v[115:118], v114 offset:608
	ds_read_b128 v[119:122], v114 offset:624
	buffer_load_dword v138, off, s[0:3], 0 offset:244
	s_waitcnt vmcnt(18) lgkmcnt(1)
	v_fma_f64 v[115:116], v[147:148], v[115:116], v[123:124]
	s_waitcnt vmcnt(17)
	v_fma_f64 v[115:116], v[145:146], v[117:118], v[115:116]
	buffer_load_dword v124, off, s[0:3], 0 offset:252
	buffer_load_dword v139, off, s[0:3], 0 offset:272
	;; [unrolled: 1-line block ×8, first 2 shown]
	s_waitcnt vmcnt(24) lgkmcnt(0)
	v_fma_f64 v[115:116], v[125:126], v[119:120], v[115:116]
	s_waitcnt vmcnt(19)
	v_fma_f64 v[125:126], v[127:128], v[121:122], v[115:116]
	ds_read_b128 v[115:118], v114 offset:640
	ds_read_b128 v[119:122], v114 offset:656
	s_waitcnt vmcnt(18) lgkmcnt(1)
	v_fma_f64 v[115:116], v[133:134], v[115:116], v[125:126]
	s_waitcnt vmcnt(17)
	v_fma_f64 v[115:116], v[131:132], v[117:118], v[115:116]
	buffer_load_dword v126, off, s[0:3], 0 offset:284
	buffer_load_dword v127, off, s[0:3], 0 offset:304
	;; [unrolled: 1-line block ×7, first 2 shown]
	s_waitcnt vmcnt(23) lgkmcnt(0)
	v_fma_f64 v[115:116], v[129:130], v[119:120], v[115:116]
	s_waitcnt vmcnt(18)
	v_fma_f64 v[128:129], v[135:136], v[121:122], v[115:116]
	ds_read_b128 v[115:118], v114 offset:672
	ds_read_b128 v[119:122], v114 offset:688
	s_waitcnt vmcnt(17) lgkmcnt(1)
	v_fma_f64 v[115:116], v[143:144], v[115:116], v[128:129]
	buffer_load_dword v128, off, s[0:3], 0 offset:308
	s_waitcnt vmcnt(17)
	v_fma_f64 v[115:116], v[141:142], v[117:118], v[115:116]
	buffer_load_dword v130, off, s[0:3], 0 offset:316
	buffer_load_dword v135, off, s[0:3], 0 offset:336
	;; [unrolled: 1-line block ×7, first 2 shown]
	s_waitcnt vmcnt(23) lgkmcnt(0)
	v_fma_f64 v[115:116], v[137:138], v[119:120], v[115:116]
	s_waitcnt vmcnt(18)
	v_fma_f64 v[123:124], v[123:124], v[121:122], v[115:116]
	ds_read_b128 v[115:118], v114 offset:704
	ds_read_b128 v[119:122], v114 offset:720
	buffer_load_dword v136, off, s[0:3], 0 offset:340
	s_waitcnt vmcnt(18) lgkmcnt(1)
	v_fma_f64 v[115:116], v[147:148], v[115:116], v[123:124]
	s_waitcnt vmcnt(17)
	v_fma_f64 v[115:116], v[145:146], v[117:118], v[115:116]
	buffer_load_dword v124, off, s[0:3], 0 offset:348
	buffer_load_dword v137, off, s[0:3], 0 offset:368
	buffer_load_dword v145, off, s[0:3], 0 offset:360
	buffer_load_dword v147, off, s[0:3], 0 offset:352
	buffer_load_dword v123, off, s[0:3], 0 offset:344
	buffer_load_dword v148, off, s[0:3], 0 offset:356
	buffer_load_dword v146, off, s[0:3], 0 offset:364
	buffer_load_dword v138, off, s[0:3], 0 offset:372
	s_waitcnt vmcnt(24) lgkmcnt(0)
	v_fma_f64 v[115:116], v[139:140], v[119:120], v[115:116]
	s_waitcnt vmcnt(19)
	v_fma_f64 v[125:126], v[125:126], v[121:122], v[115:116]
	ds_read_b128 v[115:118], v114 offset:736
	ds_read_b128 v[119:122], v114 offset:752
	s_waitcnt vmcnt(18) lgkmcnt(1)
	v_fma_f64 v[115:116], v[133:134], v[115:116], v[125:126]
	s_waitcnt vmcnt(17)
	v_fma_f64 v[115:116], v[131:132], v[117:118], v[115:116]
	buffer_load_dword v126, off, s[0:3], 0 offset:380
	buffer_load_dword v131, off, s[0:3], 0 offset:400
	buffer_load_dword v133, off, s[0:3], 0 offset:392
	buffer_load_dword v139, off, s[0:3], 0 offset:384
	buffer_load_dword v125, off, s[0:3], 0 offset:376
	buffer_load_dword v140, off, s[0:3], 0 offset:388
	buffer_load_dword v134, off, s[0:3], 0 offset:396
	buffer_load_dword v132, off, s[0:3], 0 offset:404
	s_waitcnt vmcnt(24) lgkmcnt(0)
	v_fma_f64 v[115:116], v[127:128], v[119:120], v[115:116]
	s_waitcnt vmcnt(19)
	v_fma_f64 v[127:128], v[129:130], v[121:122], v[115:116]
	ds_read_b128 v[115:118], v114 offset:768
	ds_read_b128 v[119:122], v114 offset:784
	;; [unrolled: 18-line block ×3, first 2 shown]
	s_waitcnt vmcnt(18) lgkmcnt(1)
	v_fma_f64 v[115:116], v[147:148], v[115:116], v[123:124]
	buffer_load_dword v124, off, s[0:3], 0 offset:444
	buffer_load_dword v123, off, s[0:3], 0 offset:440
	;; [unrolled: 1-line block ×4, first 2 shown]
	s_waitcnt vmcnt(21)
	v_fma_f64 v[115:116], v[145:146], v[117:118], v[115:116]
	s_waitcnt vmcnt(20) lgkmcnt(0)
	v_fma_f64 v[115:116], v[137:138], v[119:120], v[115:116]
	s_waitcnt vmcnt(15)
	v_fma_f64 v[125:126], v[125:126], v[121:122], v[115:116]
	ds_read_b128 v[115:118], v114 offset:832
	ds_read_b128 v[119:122], v114 offset:848
	s_waitcnt vmcnt(14) lgkmcnt(1)
	v_fma_f64 v[115:116], v[139:140], v[115:116], v[125:126]
	s_waitcnt vmcnt(13)
	v_fma_f64 v[115:116], v[133:134], v[117:118], v[115:116]
	s_waitcnt vmcnt(12) lgkmcnt(0)
	v_fma_f64 v[115:116], v[131:132], v[119:120], v[115:116]
	s_waitcnt vmcnt(7)
	v_fma_f64 v[125:126], v[127:128], v[121:122], v[115:116]
	ds_read_b128 v[115:118], v114 offset:864
	ds_read_b128 v[119:122], v114 offset:880
	s_waitcnt vmcnt(6) lgkmcnt(1)
	v_fma_f64 v[114:115], v[143:144], v[115:116], v[125:126]
	s_waitcnt vmcnt(5)
	v_fma_f64 v[114:115], v[141:142], v[117:118], v[114:115]
	s_waitcnt vmcnt(4) lgkmcnt(0)
	v_fma_f64 v[114:115], v[129:130], v[119:120], v[114:115]
	s_waitcnt vmcnt(2)
	v_fma_f64 v[114:115], v[123:124], v[121:122], v[114:115]
	s_waitcnt vmcnt(0)
	v_add_f64 v[114:115], v[135:136], -v[114:115]
	buffer_store_dword v115, off, s[0:3], 0 offset:60
	buffer_store_dword v114, off, s[0:3], 0 offset:56
	s_and_saveexec_b64 s[4:5], vcc
	s_cbranch_execz .LBB119_331
; %bb.330:
	buffer_load_dword v114, off, s[0:3], 0 offset:48
	buffer_load_dword v115, off, s[0:3], 0 offset:52
	v_mov_b32_e32 v116, 0
	buffer_store_dword v116, off, s[0:3], 0 offset:48
	buffer_store_dword v116, off, s[0:3], 0 offset:52
	s_waitcnt vmcnt(2)
	ds_write_b64 v113, v[114:115]
.LBB119_331:
	s_or_b64 exec, exec, s[4:5]
	s_waitcnt lgkmcnt(0)
	; wave barrier
	buffer_load_dword v123, off, s[0:3], 0 offset:56
	buffer_load_dword v124, off, s[0:3], 0 offset:60
	;; [unrolled: 1-line block ×21, first 2 shown]
	v_mov_b32_e32 v114, 0
	ds_read2_b64 v[115:118], v114 offset0:63 offset1:64
	ds_read2_b64 v[119:122], v114 offset0:65 offset1:66
	buffer_load_dword v140, off, s[0:3], 0 offset:140
	v_cmp_lt_u32_e32 vcc, 5, v0
	s_waitcnt vmcnt(20) lgkmcnt(1)
	v_fma_f64 v[115:116], v[123:124], v[115:116], 0
	s_waitcnt vmcnt(18)
	v_fma_f64 v[115:116], v[125:126], v[117:118], v[115:116]
	buffer_load_dword v124, off, s[0:3], 0 offset:148
	buffer_load_dword v125, off, s[0:3], 0 offset:168
	;; [unrolled: 1-line block ×7, first 2 shown]
	s_waitcnt vmcnt(23) lgkmcnt(0)
	v_fma_f64 v[115:116], v[127:128], v[119:120], v[115:116]
	s_waitcnt vmcnt(21)
	v_fma_f64 v[126:127], v[129:130], v[121:122], v[115:116]
	ds_read2_b64 v[115:118], v114 offset0:67 offset1:68
	ds_read2_b64 v[119:122], v114 offset0:69 offset1:70
	s_waitcnt vmcnt(19) lgkmcnt(1)
	v_fma_f64 v[115:116], v[131:132], v[115:116], v[126:127]
	buffer_load_dword v126, off, s[0:3], 0 offset:172
	s_waitcnt vmcnt(18)
	v_fma_f64 v[115:116], v[133:134], v[117:118], v[115:116]
	buffer_load_dword v128, off, s[0:3], 0 offset:180
	buffer_load_dword v129, off, s[0:3], 0 offset:200
	;; [unrolled: 1-line block ×8, first 2 shown]
	s_waitcnt vmcnt(24) lgkmcnt(0)
	v_fma_f64 v[115:116], v[135:136], v[119:120], v[115:116]
	s_waitcnt vmcnt(19)
	v_fma_f64 v[135:136], v[137:138], v[121:122], v[115:116]
	ds_read2_b64 v[115:118], v114 offset0:71 offset1:72
	ds_read2_b64 v[119:122], v114 offset0:73 offset1:74
	s_waitcnt vmcnt(18) lgkmcnt(1)
	v_fma_f64 v[115:116], v[143:144], v[115:116], v[135:136]
	s_waitcnt vmcnt(17)
	v_fma_f64 v[115:116], v[141:142], v[117:118], v[115:116]
	buffer_load_dword v136, off, s[0:3], 0 offset:212
	buffer_load_dword v137, off, s[0:3], 0 offset:232
	;; [unrolled: 1-line block ×7, first 2 shown]
	s_waitcnt vmcnt(23) lgkmcnt(0)
	v_fma_f64 v[115:116], v[139:140], v[119:120], v[115:116]
	s_waitcnt vmcnt(18)
	v_fma_f64 v[123:124], v[123:124], v[121:122], v[115:116]
	ds_read2_b64 v[115:118], v114 offset0:75 offset1:76
	ds_read2_b64 v[119:122], v114 offset0:77 offset1:78
	buffer_load_dword v138, off, s[0:3], 0 offset:236
	s_waitcnt vmcnt(18) lgkmcnt(1)
	v_fma_f64 v[115:116], v[147:148], v[115:116], v[123:124]
	s_waitcnt vmcnt(17)
	v_fma_f64 v[115:116], v[145:146], v[117:118], v[115:116]
	buffer_load_dword v124, off, s[0:3], 0 offset:244
	buffer_load_dword v139, off, s[0:3], 0 offset:264
	;; [unrolled: 1-line block ×7, first 2 shown]
	s_waitcnt vmcnt(23) lgkmcnt(0)
	v_fma_f64 v[115:116], v[125:126], v[119:120], v[115:116]
	s_waitcnt vmcnt(18)
	v_fma_f64 v[125:126], v[127:128], v[121:122], v[115:116]
	ds_read2_b64 v[115:118], v114 offset0:79 offset1:80
	ds_read2_b64 v[119:122], v114 offset0:81 offset1:82
	buffer_load_dword v140, off, s[0:3], 0 offset:268
	s_waitcnt vmcnt(18) lgkmcnt(1)
	v_fma_f64 v[115:116], v[133:134], v[115:116], v[125:126]
	s_waitcnt vmcnt(17)
	v_fma_f64 v[115:116], v[131:132], v[117:118], v[115:116]
	buffer_load_dword v126, off, s[0:3], 0 offset:276
	buffer_load_dword v127, off, s[0:3], 0 offset:296
	;; [unrolled: 1-line block ×7, first 2 shown]
	s_waitcnt vmcnt(23) lgkmcnt(0)
	v_fma_f64 v[115:116], v[129:130], v[119:120], v[115:116]
	s_waitcnt vmcnt(18)
	v_fma_f64 v[128:129], v[135:136], v[121:122], v[115:116]
	ds_read2_b64 v[115:118], v114 offset0:83 offset1:84
	ds_read2_b64 v[119:122], v114 offset0:85 offset1:86
	s_waitcnt vmcnt(17) lgkmcnt(1)
	v_fma_f64 v[115:116], v[143:144], v[115:116], v[128:129]
	buffer_load_dword v128, off, s[0:3], 0 offset:300
	s_waitcnt vmcnt(17)
	v_fma_f64 v[115:116], v[141:142], v[117:118], v[115:116]
	buffer_load_dword v130, off, s[0:3], 0 offset:308
	buffer_load_dword v135, off, s[0:3], 0 offset:328
	;; [unrolled: 1-line block ×7, first 2 shown]
	s_waitcnt vmcnt(23) lgkmcnt(0)
	v_fma_f64 v[115:116], v[137:138], v[119:120], v[115:116]
	s_waitcnt vmcnt(18)
	v_fma_f64 v[123:124], v[123:124], v[121:122], v[115:116]
	ds_read2_b64 v[115:118], v114 offset0:87 offset1:88
	ds_read2_b64 v[119:122], v114 offset0:89 offset1:90
	buffer_load_dword v136, off, s[0:3], 0 offset:332
	s_waitcnt vmcnt(18) lgkmcnt(1)
	v_fma_f64 v[115:116], v[147:148], v[115:116], v[123:124]
	s_waitcnt vmcnt(17)
	v_fma_f64 v[115:116], v[145:146], v[117:118], v[115:116]
	buffer_load_dword v124, off, s[0:3], 0 offset:340
	buffer_load_dword v137, off, s[0:3], 0 offset:360
	;; [unrolled: 1-line block ×7, first 2 shown]
	s_waitcnt vmcnt(23) lgkmcnt(0)
	v_fma_f64 v[115:116], v[139:140], v[119:120], v[115:116]
	s_waitcnt vmcnt(18)
	v_fma_f64 v[125:126], v[125:126], v[121:122], v[115:116]
	ds_read2_b64 v[115:118], v114 offset0:91 offset1:92
	ds_read2_b64 v[119:122], v114 offset0:93 offset1:94
	buffer_load_dword v138, off, s[0:3], 0 offset:364
	s_waitcnt vmcnt(18) lgkmcnt(1)
	v_fma_f64 v[115:116], v[133:134], v[115:116], v[125:126]
	s_waitcnt vmcnt(17)
	v_fma_f64 v[115:116], v[131:132], v[117:118], v[115:116]
	buffer_load_dword v126, off, s[0:3], 0 offset:372
	buffer_load_dword v131, off, s[0:3], 0 offset:392
	;; [unrolled: 1-line block ×8, first 2 shown]
	s_waitcnt vmcnt(24) lgkmcnt(0)
	v_fma_f64 v[115:116], v[127:128], v[119:120], v[115:116]
	s_waitcnt vmcnt(19)
	v_fma_f64 v[127:128], v[129:130], v[121:122], v[115:116]
	ds_read2_b64 v[115:118], v114 offset0:95 offset1:96
	ds_read2_b64 v[119:122], v114 offset0:97 offset1:98
	s_waitcnt vmcnt(18) lgkmcnt(1)
	v_fma_f64 v[115:116], v[143:144], v[115:116], v[127:128]
	s_waitcnt vmcnt(17)
	v_fma_f64 v[115:116], v[141:142], v[117:118], v[115:116]
	buffer_load_dword v128, off, s[0:3], 0 offset:404
	buffer_load_dword v129, off, s[0:3], 0 offset:424
	;; [unrolled: 1-line block ×7, first 2 shown]
	s_waitcnt vmcnt(23) lgkmcnt(0)
	v_fma_f64 v[115:116], v[135:136], v[119:120], v[115:116]
	s_waitcnt vmcnt(18)
	v_fma_f64 v[123:124], v[123:124], v[121:122], v[115:116]
	ds_read2_b64 v[115:118], v114 offset0:99 offset1:100
	ds_read2_b64 v[119:122], v114 offset0:101 offset1:102
	buffer_load_dword v130, off, s[0:3], 0 offset:428
	s_waitcnt vmcnt(18) lgkmcnt(1)
	v_fma_f64 v[115:116], v[147:148], v[115:116], v[123:124]
	buffer_load_dword v124, off, s[0:3], 0 offset:436
	buffer_load_dword v135, off, s[0:3], 0 offset:440
	;; [unrolled: 1-line block ×4, first 2 shown]
	s_waitcnt vmcnt(21)
	v_fma_f64 v[115:116], v[145:146], v[117:118], v[115:116]
	s_waitcnt vmcnt(20) lgkmcnt(0)
	v_fma_f64 v[115:116], v[137:138], v[119:120], v[115:116]
	buffer_load_dword v137, off, s[0:3], 0 offset:48
	buffer_load_dword v138, off, s[0:3], 0 offset:52
	s_waitcnt vmcnt(17)
	v_fma_f64 v[125:126], v[125:126], v[121:122], v[115:116]
	ds_read2_b64 v[115:118], v114 offset0:103 offset1:104
	ds_read2_b64 v[119:122], v114 offset0:105 offset1:106
	s_waitcnt vmcnt(16) lgkmcnt(1)
	v_fma_f64 v[115:116], v[139:140], v[115:116], v[125:126]
	s_waitcnt vmcnt(15)
	v_fma_f64 v[115:116], v[133:134], v[117:118], v[115:116]
	s_waitcnt vmcnt(14) lgkmcnt(0)
	v_fma_f64 v[115:116], v[131:132], v[119:120], v[115:116]
	s_waitcnt vmcnt(9)
	v_fma_f64 v[125:126], v[127:128], v[121:122], v[115:116]
	ds_read2_b64 v[115:118], v114 offset0:107 offset1:108
	ds_read2_b64 v[119:122], v114 offset0:109 offset1:110
	s_waitcnt vmcnt(8) lgkmcnt(1)
	v_fma_f64 v[115:116], v[143:144], v[115:116], v[125:126]
	s_waitcnt vmcnt(7)
	v_fma_f64 v[115:116], v[141:142], v[117:118], v[115:116]
	ds_read_b64 v[117:118], v114 offset:888
	s_waitcnt vmcnt(6) lgkmcnt(1)
	v_fma_f64 v[115:116], v[129:130], v[119:120], v[115:116]
	s_waitcnt vmcnt(3)
	v_fma_f64 v[115:116], v[123:124], v[121:122], v[115:116]
	s_waitcnt vmcnt(2) lgkmcnt(0)
	v_fma_f64 v[115:116], v[135:136], v[117:118], v[115:116]
	s_waitcnt vmcnt(0)
	v_add_f64 v[115:116], v[137:138], -v[115:116]
	buffer_store_dword v116, off, s[0:3], 0 offset:52
	buffer_store_dword v115, off, s[0:3], 0 offset:48
	s_and_saveexec_b64 s[4:5], vcc
	s_cbranch_execz .LBB119_333
; %bb.332:
	buffer_load_dword v115, off, s[0:3], 0 offset:40
	buffer_load_dword v116, off, s[0:3], 0 offset:44
	s_waitcnt vmcnt(0)
	ds_write_b64 v113, v[115:116]
	buffer_store_dword v114, off, s[0:3], 0 offset:40
	buffer_store_dword v114, off, s[0:3], 0 offset:44
.LBB119_333:
	s_or_b64 exec, exec, s[4:5]
	s_waitcnt lgkmcnt(0)
	; wave barrier
	buffer_load_dword v123, off, s[0:3], 0 offset:48
	buffer_load_dword v124, off, s[0:3], 0 offset:52
	;; [unrolled: 1-line block ×22, first 2 shown]
	ds_read_b128 v[115:118], v114 offset:496
	ds_read_b128 v[119:122], v114 offset:512
	v_cmp_lt_u32_e32 vcc, 4, v0
	s_waitcnt vmcnt(20) lgkmcnt(1)
	v_fma_f64 v[115:116], v[123:124], v[115:116], 0
	s_waitcnt vmcnt(18)
	v_fma_f64 v[115:116], v[125:126], v[117:118], v[115:116]
	buffer_load_dword v124, off, s[0:3], 0 offset:140
	buffer_load_dword v125, off, s[0:3], 0 offset:160
	;; [unrolled: 1-line block ×7, first 2 shown]
	s_waitcnt vmcnt(23) lgkmcnt(0)
	v_fma_f64 v[115:116], v[127:128], v[119:120], v[115:116]
	s_waitcnt vmcnt(21)
	v_fma_f64 v[126:127], v[129:130], v[121:122], v[115:116]
	ds_read_b128 v[115:118], v114 offset:528
	ds_read_b128 v[119:122], v114 offset:544
	s_waitcnt vmcnt(19) lgkmcnt(1)
	v_fma_f64 v[115:116], v[131:132], v[115:116], v[126:127]
	buffer_load_dword v126, off, s[0:3], 0 offset:164
	s_waitcnt vmcnt(18)
	v_fma_f64 v[115:116], v[133:134], v[117:118], v[115:116]
	buffer_load_dword v128, off, s[0:3], 0 offset:172
	buffer_load_dword v129, off, s[0:3], 0 offset:192
	;; [unrolled: 1-line block ×8, first 2 shown]
	s_waitcnt vmcnt(24) lgkmcnt(0)
	v_fma_f64 v[115:116], v[135:136], v[119:120], v[115:116]
	s_waitcnt vmcnt(19)
	v_fma_f64 v[135:136], v[137:138], v[121:122], v[115:116]
	ds_read_b128 v[115:118], v114 offset:560
	ds_read_b128 v[119:122], v114 offset:576
	s_waitcnt vmcnt(18) lgkmcnt(1)
	v_fma_f64 v[115:116], v[143:144], v[115:116], v[135:136]
	s_waitcnt vmcnt(17)
	v_fma_f64 v[115:116], v[141:142], v[117:118], v[115:116]
	buffer_load_dword v136, off, s[0:3], 0 offset:204
	buffer_load_dword v137, off, s[0:3], 0 offset:224
	;; [unrolled: 1-line block ×8, first 2 shown]
	s_waitcnt vmcnt(24) lgkmcnt(0)
	v_fma_f64 v[115:116], v[139:140], v[119:120], v[115:116]
	s_waitcnt vmcnt(19)
	v_fma_f64 v[123:124], v[123:124], v[121:122], v[115:116]
	ds_read_b128 v[115:118], v114 offset:592
	ds_read_b128 v[119:122], v114 offset:608
	s_waitcnt vmcnt(18) lgkmcnt(1)
	v_fma_f64 v[115:116], v[147:148], v[115:116], v[123:124]
	s_waitcnt vmcnt(17)
	v_fma_f64 v[115:116], v[145:146], v[117:118], v[115:116]
	buffer_load_dword v124, off, s[0:3], 0 offset:236
	buffer_load_dword v139, off, s[0:3], 0 offset:256
	;; [unrolled: 1-line block ×7, first 2 shown]
	s_waitcnt vmcnt(23) lgkmcnt(0)
	v_fma_f64 v[115:116], v[125:126], v[119:120], v[115:116]
	s_waitcnt vmcnt(18)
	v_fma_f64 v[125:126], v[127:128], v[121:122], v[115:116]
	ds_read_b128 v[115:118], v114 offset:624
	ds_read_b128 v[119:122], v114 offset:640
	buffer_load_dword v140, off, s[0:3], 0 offset:260
	s_waitcnt vmcnt(18) lgkmcnt(1)
	v_fma_f64 v[115:116], v[133:134], v[115:116], v[125:126]
	s_waitcnt vmcnt(17)
	v_fma_f64 v[115:116], v[131:132], v[117:118], v[115:116]
	buffer_load_dword v126, off, s[0:3], 0 offset:268
	buffer_load_dword v127, off, s[0:3], 0 offset:288
	;; [unrolled: 1-line block ×7, first 2 shown]
	s_waitcnt vmcnt(23) lgkmcnt(0)
	v_fma_f64 v[115:116], v[129:130], v[119:120], v[115:116]
	s_waitcnt vmcnt(18)
	v_fma_f64 v[128:129], v[135:136], v[121:122], v[115:116]
	ds_read_b128 v[115:118], v114 offset:656
	ds_read_b128 v[119:122], v114 offset:672
	s_waitcnt vmcnt(17) lgkmcnt(1)
	v_fma_f64 v[115:116], v[143:144], v[115:116], v[128:129]
	buffer_load_dword v128, off, s[0:3], 0 offset:292
	s_waitcnt vmcnt(17)
	v_fma_f64 v[115:116], v[141:142], v[117:118], v[115:116]
	buffer_load_dword v130, off, s[0:3], 0 offset:300
	buffer_load_dword v135, off, s[0:3], 0 offset:320
	;; [unrolled: 1-line block ×8, first 2 shown]
	s_waitcnt vmcnt(24) lgkmcnt(0)
	v_fma_f64 v[115:116], v[137:138], v[119:120], v[115:116]
	s_waitcnt vmcnt(19)
	v_fma_f64 v[123:124], v[123:124], v[121:122], v[115:116]
	ds_read_b128 v[115:118], v114 offset:688
	ds_read_b128 v[119:122], v114 offset:704
	s_waitcnt vmcnt(18) lgkmcnt(1)
	v_fma_f64 v[115:116], v[147:148], v[115:116], v[123:124]
	s_waitcnt vmcnt(17)
	v_fma_f64 v[115:116], v[145:146], v[117:118], v[115:116]
	buffer_load_dword v124, off, s[0:3], 0 offset:332
	buffer_load_dword v137, off, s[0:3], 0 offset:352
	;; [unrolled: 1-line block ×7, first 2 shown]
	s_waitcnt vmcnt(23) lgkmcnt(0)
	v_fma_f64 v[115:116], v[139:140], v[119:120], v[115:116]
	s_waitcnt vmcnt(18)
	v_fma_f64 v[125:126], v[125:126], v[121:122], v[115:116]
	ds_read_b128 v[115:118], v114 offset:720
	ds_read_b128 v[119:122], v114 offset:736
	buffer_load_dword v138, off, s[0:3], 0 offset:356
	s_waitcnt vmcnt(18) lgkmcnt(1)
	v_fma_f64 v[115:116], v[133:134], v[115:116], v[125:126]
	s_waitcnt vmcnt(17)
	v_fma_f64 v[115:116], v[131:132], v[117:118], v[115:116]
	buffer_load_dword v126, off, s[0:3], 0 offset:364
	buffer_load_dword v131, off, s[0:3], 0 offset:384
	;; [unrolled: 1-line block ×8, first 2 shown]
	s_waitcnt vmcnt(24) lgkmcnt(0)
	v_fma_f64 v[115:116], v[127:128], v[119:120], v[115:116]
	s_waitcnt vmcnt(19)
	v_fma_f64 v[127:128], v[129:130], v[121:122], v[115:116]
	ds_read_b128 v[115:118], v114 offset:752
	ds_read_b128 v[119:122], v114 offset:768
	s_waitcnt vmcnt(18) lgkmcnt(1)
	v_fma_f64 v[115:116], v[143:144], v[115:116], v[127:128]
	s_waitcnt vmcnt(17)
	v_fma_f64 v[115:116], v[141:142], v[117:118], v[115:116]
	buffer_load_dword v128, off, s[0:3], 0 offset:396
	buffer_load_dword v129, off, s[0:3], 0 offset:416
	;; [unrolled: 1-line block ×8, first 2 shown]
	s_waitcnt vmcnt(24) lgkmcnt(0)
	v_fma_f64 v[115:116], v[135:136], v[119:120], v[115:116]
	s_waitcnt vmcnt(19)
	v_fma_f64 v[123:124], v[123:124], v[121:122], v[115:116]
	ds_read_b128 v[115:118], v114 offset:784
	ds_read_b128 v[119:122], v114 offset:800
	s_waitcnt vmcnt(18) lgkmcnt(1)
	v_fma_f64 v[115:116], v[147:148], v[115:116], v[123:124]
	s_waitcnt vmcnt(17)
	v_fma_f64 v[115:116], v[145:146], v[117:118], v[115:116]
	buffer_load_dword v124, off, s[0:3], 0 offset:428
	buffer_load_dword v135, off, s[0:3], 0 offset:440
	;; [unrolled: 1-line block ×6, first 2 shown]
	s_waitcnt vmcnt(22) lgkmcnt(0)
	v_fma_f64 v[115:116], v[137:138], v[119:120], v[115:116]
	s_waitcnt vmcnt(17)
	v_fma_f64 v[125:126], v[125:126], v[121:122], v[115:116]
	ds_read_b128 v[115:118], v114 offset:816
	buffer_load_dword v137, off, s[0:3], 0 offset:40
	buffer_load_dword v138, off, s[0:3], 0 offset:44
	ds_read_b128 v[119:122], v114 offset:832
	s_waitcnt vmcnt(18) lgkmcnt(1)
	v_fma_f64 v[115:116], v[139:140], v[115:116], v[125:126]
	s_waitcnt vmcnt(17)
	v_fma_f64 v[115:116], v[133:134], v[117:118], v[115:116]
	s_waitcnt vmcnt(16) lgkmcnt(0)
	v_fma_f64 v[115:116], v[131:132], v[119:120], v[115:116]
	s_waitcnt vmcnt(11)
	v_fma_f64 v[125:126], v[127:128], v[121:122], v[115:116]
	ds_read_b128 v[115:118], v114 offset:848
	ds_read_b128 v[119:122], v114 offset:864
	s_waitcnt vmcnt(10) lgkmcnt(1)
	v_fma_f64 v[115:116], v[143:144], v[115:116], v[125:126]
	s_waitcnt vmcnt(9)
	v_fma_f64 v[115:116], v[141:142], v[117:118], v[115:116]
	s_waitcnt vmcnt(8) lgkmcnt(0)
	v_fma_f64 v[115:116], v[129:130], v[119:120], v[115:116]
	s_waitcnt vmcnt(4)
	v_fma_f64 v[118:119], v[123:124], v[121:122], v[115:116]
	ds_read_b128 v[114:117], v114 offset:880
	s_waitcnt vmcnt(3) lgkmcnt(0)
	v_fma_f64 v[114:115], v[145:146], v[114:115], v[118:119]
	s_waitcnt vmcnt(2)
	v_fma_f64 v[114:115], v[135:136], v[116:117], v[114:115]
	s_waitcnt vmcnt(0)
	v_add_f64 v[114:115], v[137:138], -v[114:115]
	buffer_store_dword v115, off, s[0:3], 0 offset:44
	buffer_store_dword v114, off, s[0:3], 0 offset:40
	s_and_saveexec_b64 s[4:5], vcc
	s_cbranch_execz .LBB119_335
; %bb.334:
	buffer_load_dword v114, off, s[0:3], 0 offset:32
	buffer_load_dword v115, off, s[0:3], 0 offset:36
	v_mov_b32_e32 v116, 0
	buffer_store_dword v116, off, s[0:3], 0 offset:32
	buffer_store_dword v116, off, s[0:3], 0 offset:36
	s_waitcnt vmcnt(2)
	ds_write_b64 v113, v[114:115]
.LBB119_335:
	s_or_b64 exec, exec, s[4:5]
	s_waitcnt lgkmcnt(0)
	; wave barrier
	buffer_load_dword v123, off, s[0:3], 0 offset:40
	buffer_load_dword v124, off, s[0:3], 0 offset:44
	;; [unrolled: 1-line block ×22, first 2 shown]
	v_mov_b32_e32 v114, 0
	ds_read2_b64 v[115:118], v114 offset0:61 offset1:62
	ds_read2_b64 v[119:122], v114 offset0:63 offset1:64
	v_cmp_lt_u32_e32 vcc, 3, v0
	s_waitcnt vmcnt(20) lgkmcnt(1)
	v_fma_f64 v[115:116], v[123:124], v[115:116], 0
	s_waitcnt vmcnt(18)
	v_fma_f64 v[115:116], v[125:126], v[117:118], v[115:116]
	buffer_load_dword v124, off, s[0:3], 0 offset:132
	buffer_load_dword v125, off, s[0:3], 0 offset:152
	;; [unrolled: 1-line block ×7, first 2 shown]
	s_waitcnt vmcnt(23) lgkmcnt(0)
	v_fma_f64 v[115:116], v[127:128], v[119:120], v[115:116]
	s_waitcnt vmcnt(21)
	v_fma_f64 v[126:127], v[129:130], v[121:122], v[115:116]
	ds_read2_b64 v[115:118], v114 offset0:65 offset1:66
	ds_read2_b64 v[119:122], v114 offset0:67 offset1:68
	s_waitcnt vmcnt(19) lgkmcnt(1)
	v_fma_f64 v[115:116], v[131:132], v[115:116], v[126:127]
	buffer_load_dword v126, off, s[0:3], 0 offset:156
	s_waitcnt vmcnt(18)
	v_fma_f64 v[115:116], v[133:134], v[117:118], v[115:116]
	buffer_load_dword v128, off, s[0:3], 0 offset:164
	buffer_load_dword v129, off, s[0:3], 0 offset:184
	;; [unrolled: 1-line block ×8, first 2 shown]
	s_waitcnt vmcnt(24) lgkmcnt(0)
	v_fma_f64 v[115:116], v[135:136], v[119:120], v[115:116]
	s_waitcnt vmcnt(19)
	v_fma_f64 v[135:136], v[137:138], v[121:122], v[115:116]
	ds_read2_b64 v[115:118], v114 offset0:69 offset1:70
	ds_read2_b64 v[119:122], v114 offset0:71 offset1:72
	s_waitcnt vmcnt(18) lgkmcnt(1)
	v_fma_f64 v[115:116], v[143:144], v[115:116], v[135:136]
	s_waitcnt vmcnt(17)
	v_fma_f64 v[115:116], v[141:142], v[117:118], v[115:116]
	buffer_load_dword v136, off, s[0:3], 0 offset:196
	buffer_load_dword v137, off, s[0:3], 0 offset:216
	;; [unrolled: 1-line block ×8, first 2 shown]
	s_waitcnt vmcnt(24) lgkmcnt(0)
	v_fma_f64 v[115:116], v[139:140], v[119:120], v[115:116]
	s_waitcnt vmcnt(19)
	v_fma_f64 v[123:124], v[123:124], v[121:122], v[115:116]
	ds_read2_b64 v[115:118], v114 offset0:73 offset1:74
	ds_read2_b64 v[119:122], v114 offset0:75 offset1:76
	s_waitcnt vmcnt(18) lgkmcnt(1)
	v_fma_f64 v[115:116], v[147:148], v[115:116], v[123:124]
	s_waitcnt vmcnt(17)
	v_fma_f64 v[115:116], v[145:146], v[117:118], v[115:116]
	buffer_load_dword v124, off, s[0:3], 0 offset:228
	buffer_load_dword v139, off, s[0:3], 0 offset:248
	buffer_load_dword v145, off, s[0:3], 0 offset:240
	buffer_load_dword v147, off, s[0:3], 0 offset:232
	buffer_load_dword v123, off, s[0:3], 0 offset:224
	buffer_load_dword v148, off, s[0:3], 0 offset:236
	buffer_load_dword v146, off, s[0:3], 0 offset:244
	s_waitcnt vmcnt(23) lgkmcnt(0)
	v_fma_f64 v[115:116], v[125:126], v[119:120], v[115:116]
	s_waitcnt vmcnt(18)
	v_fma_f64 v[125:126], v[127:128], v[121:122], v[115:116]
	ds_read2_b64 v[115:118], v114 offset0:77 offset1:78
	ds_read2_b64 v[119:122], v114 offset0:79 offset1:80
	buffer_load_dword v140, off, s[0:3], 0 offset:252
	s_waitcnt vmcnt(18) lgkmcnt(1)
	v_fma_f64 v[115:116], v[133:134], v[115:116], v[125:126]
	s_waitcnt vmcnt(17)
	v_fma_f64 v[115:116], v[131:132], v[117:118], v[115:116]
	buffer_load_dword v126, off, s[0:3], 0 offset:260
	buffer_load_dword v127, off, s[0:3], 0 offset:280
	;; [unrolled: 1-line block ×7, first 2 shown]
	s_waitcnt vmcnt(23) lgkmcnt(0)
	v_fma_f64 v[115:116], v[129:130], v[119:120], v[115:116]
	s_waitcnt vmcnt(18)
	v_fma_f64 v[128:129], v[135:136], v[121:122], v[115:116]
	ds_read2_b64 v[115:118], v114 offset0:81 offset1:82
	ds_read2_b64 v[119:122], v114 offset0:83 offset1:84
	s_waitcnt vmcnt(17) lgkmcnt(1)
	v_fma_f64 v[115:116], v[143:144], v[115:116], v[128:129]
	buffer_load_dword v128, off, s[0:3], 0 offset:284
	s_waitcnt vmcnt(17)
	v_fma_f64 v[115:116], v[141:142], v[117:118], v[115:116]
	buffer_load_dword v130, off, s[0:3], 0 offset:292
	buffer_load_dword v135, off, s[0:3], 0 offset:312
	;; [unrolled: 1-line block ×8, first 2 shown]
	s_waitcnt vmcnt(24) lgkmcnt(0)
	v_fma_f64 v[115:116], v[137:138], v[119:120], v[115:116]
	s_waitcnt vmcnt(19)
	v_fma_f64 v[123:124], v[123:124], v[121:122], v[115:116]
	ds_read2_b64 v[115:118], v114 offset0:85 offset1:86
	ds_read2_b64 v[119:122], v114 offset0:87 offset1:88
	s_waitcnt vmcnt(18) lgkmcnt(1)
	v_fma_f64 v[115:116], v[147:148], v[115:116], v[123:124]
	s_waitcnt vmcnt(17)
	v_fma_f64 v[115:116], v[145:146], v[117:118], v[115:116]
	buffer_load_dword v124, off, s[0:3], 0 offset:324
	buffer_load_dword v137, off, s[0:3], 0 offset:344
	;; [unrolled: 1-line block ×7, first 2 shown]
	s_waitcnt vmcnt(23) lgkmcnt(0)
	v_fma_f64 v[115:116], v[139:140], v[119:120], v[115:116]
	s_waitcnt vmcnt(18)
	v_fma_f64 v[125:126], v[125:126], v[121:122], v[115:116]
	ds_read2_b64 v[115:118], v114 offset0:89 offset1:90
	ds_read2_b64 v[119:122], v114 offset0:91 offset1:92
	buffer_load_dword v138, off, s[0:3], 0 offset:348
	s_waitcnt vmcnt(18) lgkmcnt(1)
	v_fma_f64 v[115:116], v[133:134], v[115:116], v[125:126]
	s_waitcnt vmcnt(17)
	v_fma_f64 v[115:116], v[131:132], v[117:118], v[115:116]
	buffer_load_dword v126, off, s[0:3], 0 offset:356
	buffer_load_dword v131, off, s[0:3], 0 offset:376
	buffer_load_dword v133, off, s[0:3], 0 offset:368
	buffer_load_dword v139, off, s[0:3], 0 offset:360
	buffer_load_dword v125, off, s[0:3], 0 offset:352
	buffer_load_dword v140, off, s[0:3], 0 offset:364
	buffer_load_dword v134, off, s[0:3], 0 offset:372
	buffer_load_dword v132, off, s[0:3], 0 offset:380
	s_waitcnt vmcnt(24) lgkmcnt(0)
	v_fma_f64 v[115:116], v[127:128], v[119:120], v[115:116]
	s_waitcnt vmcnt(19)
	v_fma_f64 v[127:128], v[129:130], v[121:122], v[115:116]
	ds_read2_b64 v[115:118], v114 offset0:93 offset1:94
	ds_read2_b64 v[119:122], v114 offset0:95 offset1:96
	s_waitcnt vmcnt(18) lgkmcnt(1)
	v_fma_f64 v[115:116], v[143:144], v[115:116], v[127:128]
	s_waitcnt vmcnt(17)
	v_fma_f64 v[115:116], v[141:142], v[117:118], v[115:116]
	buffer_load_dword v128, off, s[0:3], 0 offset:388
	buffer_load_dword v129, off, s[0:3], 0 offset:408
	buffer_load_dword v141, off, s[0:3], 0 offset:400
	buffer_load_dword v143, off, s[0:3], 0 offset:392
	buffer_load_dword v127, off, s[0:3], 0 offset:384
	buffer_load_dword v144, off, s[0:3], 0 offset:396
	buffer_load_dword v142, off, s[0:3], 0 offset:404
	buffer_load_dword v130, off, s[0:3], 0 offset:412
	s_waitcnt vmcnt(24) lgkmcnt(0)
	v_fma_f64 v[115:116], v[135:136], v[119:120], v[115:116]
	s_waitcnt vmcnt(19)
	v_fma_f64 v[123:124], v[123:124], v[121:122], v[115:116]
	ds_read2_b64 v[115:118], v114 offset0:97 offset1:98
	ds_read2_b64 v[119:122], v114 offset0:99 offset1:100
	s_waitcnt vmcnt(18) lgkmcnt(1)
	v_fma_f64 v[115:116], v[147:148], v[115:116], v[123:124]
	s_waitcnt vmcnt(17)
	v_fma_f64 v[115:116], v[145:146], v[117:118], v[115:116]
	buffer_load_dword v124, off, s[0:3], 0 offset:420
	buffer_load_dword v135, off, s[0:3], 0 offset:440
	buffer_load_dword v145, off, s[0:3], 0 offset:432
	buffer_load_dword v147, off, s[0:3], 0 offset:424
	buffer_load_dword v123, off, s[0:3], 0 offset:416
	buffer_load_dword v148, off, s[0:3], 0 offset:428
	buffer_load_dword v146, off, s[0:3], 0 offset:436
	buffer_load_dword v136, off, s[0:3], 0 offset:444
	s_waitcnt vmcnt(24) lgkmcnt(0)
	v_fma_f64 v[115:116], v[137:138], v[119:120], v[115:116]
	s_waitcnt vmcnt(19)
	v_fma_f64 v[125:126], v[125:126], v[121:122], v[115:116]
	ds_read2_b64 v[115:118], v114 offset0:101 offset1:102
	ds_read2_b64 v[119:122], v114 offset0:103 offset1:104
	s_waitcnt vmcnt(18) lgkmcnt(1)
	v_fma_f64 v[115:116], v[139:140], v[115:116], v[125:126]
	buffer_load_dword v125, off, s[0:3], 0 offset:32
	buffer_load_dword v126, off, s[0:3], 0 offset:36
	s_waitcnt vmcnt(19)
	v_fma_f64 v[115:116], v[133:134], v[117:118], v[115:116]
	s_waitcnt vmcnt(18) lgkmcnt(0)
	v_fma_f64 v[115:116], v[131:132], v[119:120], v[115:116]
	s_waitcnt vmcnt(13)
	v_fma_f64 v[127:128], v[127:128], v[121:122], v[115:116]
	ds_read2_b64 v[115:118], v114 offset0:105 offset1:106
	ds_read2_b64 v[119:122], v114 offset0:107 offset1:108
	s_waitcnt vmcnt(12) lgkmcnt(1)
	v_fma_f64 v[115:116], v[143:144], v[115:116], v[127:128]
	s_waitcnt vmcnt(11)
	v_fma_f64 v[115:116], v[141:142], v[117:118], v[115:116]
	s_waitcnt vmcnt(10) lgkmcnt(0)
	v_fma_f64 v[115:116], v[129:130], v[119:120], v[115:116]
	s_waitcnt vmcnt(5)
	v_fma_f64 v[119:120], v[123:124], v[121:122], v[115:116]
	ds_read2_b64 v[115:118], v114 offset0:109 offset1:110
	ds_read_b64 v[121:122], v114 offset:888
	s_waitcnt vmcnt(4) lgkmcnt(1)
	v_fma_f64 v[115:116], v[147:148], v[115:116], v[119:120]
	s_waitcnt vmcnt(3)
	v_fma_f64 v[115:116], v[145:146], v[117:118], v[115:116]
	s_waitcnt vmcnt(2) lgkmcnt(0)
	v_fma_f64 v[115:116], v[135:136], v[121:122], v[115:116]
	s_waitcnt vmcnt(0)
	v_add_f64 v[115:116], v[125:126], -v[115:116]
	buffer_store_dword v116, off, s[0:3], 0 offset:36
	buffer_store_dword v115, off, s[0:3], 0 offset:32
	s_and_saveexec_b64 s[4:5], vcc
	s_cbranch_execz .LBB119_337
; %bb.336:
	buffer_load_dword v115, off, s[0:3], 0 offset:24
	buffer_load_dword v116, off, s[0:3], 0 offset:28
	s_waitcnt vmcnt(0)
	ds_write_b64 v113, v[115:116]
	buffer_store_dword v114, off, s[0:3], 0 offset:24
	buffer_store_dword v114, off, s[0:3], 0 offset:28
.LBB119_337:
	s_or_b64 exec, exec, s[4:5]
	s_waitcnt lgkmcnt(0)
	; wave barrier
	buffer_load_dword v123, off, s[0:3], 0 offset:32
	buffer_load_dword v124, off, s[0:3], 0 offset:36
	;; [unrolled: 1-line block ×22, first 2 shown]
	ds_read_b128 v[115:118], v114 offset:480
	ds_read_b128 v[119:122], v114 offset:496
	v_cmp_lt_u32_e32 vcc, 2, v0
	s_waitcnt vmcnt(20) lgkmcnt(1)
	v_fma_f64 v[115:116], v[123:124], v[115:116], 0
	s_waitcnt vmcnt(18)
	v_fma_f64 v[115:116], v[125:126], v[117:118], v[115:116]
	buffer_load_dword v124, off, s[0:3], 0 offset:124
	buffer_load_dword v125, off, s[0:3], 0 offset:144
	;; [unrolled: 1-line block ×7, first 2 shown]
	s_waitcnt vmcnt(23) lgkmcnt(0)
	v_fma_f64 v[115:116], v[127:128], v[119:120], v[115:116]
	s_waitcnt vmcnt(21)
	v_fma_f64 v[126:127], v[129:130], v[121:122], v[115:116]
	ds_read_b128 v[115:118], v114 offset:512
	ds_read_b128 v[119:122], v114 offset:528
	s_waitcnt vmcnt(19) lgkmcnt(1)
	v_fma_f64 v[115:116], v[131:132], v[115:116], v[126:127]
	buffer_load_dword v126, off, s[0:3], 0 offset:148
	s_waitcnt vmcnt(18)
	v_fma_f64 v[115:116], v[133:134], v[117:118], v[115:116]
	buffer_load_dword v128, off, s[0:3], 0 offset:156
	buffer_load_dword v129, off, s[0:3], 0 offset:176
	;; [unrolled: 1-line block ×8, first 2 shown]
	s_waitcnt vmcnt(24) lgkmcnt(0)
	v_fma_f64 v[115:116], v[135:136], v[119:120], v[115:116]
	s_waitcnt vmcnt(19)
	v_fma_f64 v[135:136], v[137:138], v[121:122], v[115:116]
	ds_read_b128 v[115:118], v114 offset:544
	ds_read_b128 v[119:122], v114 offset:560
	s_waitcnt vmcnt(18) lgkmcnt(1)
	v_fma_f64 v[115:116], v[143:144], v[115:116], v[135:136]
	s_waitcnt vmcnt(17)
	v_fma_f64 v[115:116], v[141:142], v[117:118], v[115:116]
	buffer_load_dword v136, off, s[0:3], 0 offset:188
	buffer_load_dword v137, off, s[0:3], 0 offset:208
	;; [unrolled: 1-line block ×8, first 2 shown]
	s_waitcnt vmcnt(24) lgkmcnt(0)
	v_fma_f64 v[115:116], v[139:140], v[119:120], v[115:116]
	s_waitcnt vmcnt(19)
	v_fma_f64 v[123:124], v[123:124], v[121:122], v[115:116]
	ds_read_b128 v[115:118], v114 offset:576
	ds_read_b128 v[119:122], v114 offset:592
	s_waitcnt vmcnt(18) lgkmcnt(1)
	v_fma_f64 v[115:116], v[147:148], v[115:116], v[123:124]
	s_waitcnt vmcnt(17)
	v_fma_f64 v[115:116], v[145:146], v[117:118], v[115:116]
	buffer_load_dword v124, off, s[0:3], 0 offset:220
	buffer_load_dword v139, off, s[0:3], 0 offset:240
	;; [unrolled: 1-line block ×7, first 2 shown]
	s_waitcnt vmcnt(23) lgkmcnt(0)
	v_fma_f64 v[115:116], v[125:126], v[119:120], v[115:116]
	s_waitcnt vmcnt(18)
	v_fma_f64 v[125:126], v[127:128], v[121:122], v[115:116]
	ds_read_b128 v[115:118], v114 offset:608
	ds_read_b128 v[119:122], v114 offset:624
	buffer_load_dword v140, off, s[0:3], 0 offset:244
	s_waitcnt vmcnt(18) lgkmcnt(1)
	v_fma_f64 v[115:116], v[133:134], v[115:116], v[125:126]
	s_waitcnt vmcnt(17)
	v_fma_f64 v[115:116], v[131:132], v[117:118], v[115:116]
	buffer_load_dword v126, off, s[0:3], 0 offset:252
	buffer_load_dword v127, off, s[0:3], 0 offset:272
	;; [unrolled: 1-line block ×7, first 2 shown]
	s_waitcnt vmcnt(23) lgkmcnt(0)
	v_fma_f64 v[115:116], v[129:130], v[119:120], v[115:116]
	s_waitcnt vmcnt(18)
	v_fma_f64 v[128:129], v[135:136], v[121:122], v[115:116]
	ds_read_b128 v[115:118], v114 offset:640
	ds_read_b128 v[119:122], v114 offset:656
	s_waitcnt vmcnt(17) lgkmcnt(1)
	v_fma_f64 v[115:116], v[143:144], v[115:116], v[128:129]
	buffer_load_dword v128, off, s[0:3], 0 offset:276
	s_waitcnt vmcnt(17)
	v_fma_f64 v[115:116], v[141:142], v[117:118], v[115:116]
	buffer_load_dword v130, off, s[0:3], 0 offset:284
	buffer_load_dword v135, off, s[0:3], 0 offset:304
	;; [unrolled: 1-line block ×8, first 2 shown]
	s_waitcnt vmcnt(24) lgkmcnt(0)
	v_fma_f64 v[115:116], v[137:138], v[119:120], v[115:116]
	s_waitcnt vmcnt(19)
	v_fma_f64 v[123:124], v[123:124], v[121:122], v[115:116]
	ds_read_b128 v[115:118], v114 offset:672
	ds_read_b128 v[119:122], v114 offset:688
	s_waitcnt vmcnt(18) lgkmcnt(1)
	v_fma_f64 v[115:116], v[147:148], v[115:116], v[123:124]
	s_waitcnt vmcnt(17)
	v_fma_f64 v[115:116], v[145:146], v[117:118], v[115:116]
	buffer_load_dword v124, off, s[0:3], 0 offset:316
	buffer_load_dword v137, off, s[0:3], 0 offset:336
	;; [unrolled: 1-line block ×7, first 2 shown]
	s_waitcnt vmcnt(23) lgkmcnt(0)
	v_fma_f64 v[115:116], v[139:140], v[119:120], v[115:116]
	s_waitcnt vmcnt(18)
	v_fma_f64 v[125:126], v[125:126], v[121:122], v[115:116]
	ds_read_b128 v[115:118], v114 offset:704
	ds_read_b128 v[119:122], v114 offset:720
	buffer_load_dword v138, off, s[0:3], 0 offset:340
	s_waitcnt vmcnt(18) lgkmcnt(1)
	v_fma_f64 v[115:116], v[133:134], v[115:116], v[125:126]
	s_waitcnt vmcnt(17)
	v_fma_f64 v[115:116], v[131:132], v[117:118], v[115:116]
	buffer_load_dword v126, off, s[0:3], 0 offset:348
	buffer_load_dword v131, off, s[0:3], 0 offset:368
	buffer_load_dword v133, off, s[0:3], 0 offset:360
	buffer_load_dword v139, off, s[0:3], 0 offset:352
	buffer_load_dword v125, off, s[0:3], 0 offset:344
	buffer_load_dword v140, off, s[0:3], 0 offset:356
	buffer_load_dword v134, off, s[0:3], 0 offset:364
	buffer_load_dword v132, off, s[0:3], 0 offset:372
	s_waitcnt vmcnt(24) lgkmcnt(0)
	v_fma_f64 v[115:116], v[127:128], v[119:120], v[115:116]
	s_waitcnt vmcnt(19)
	v_fma_f64 v[127:128], v[129:130], v[121:122], v[115:116]
	ds_read_b128 v[115:118], v114 offset:736
	ds_read_b128 v[119:122], v114 offset:752
	s_waitcnt vmcnt(18) lgkmcnt(1)
	v_fma_f64 v[115:116], v[143:144], v[115:116], v[127:128]
	s_waitcnt vmcnt(17)
	v_fma_f64 v[115:116], v[141:142], v[117:118], v[115:116]
	buffer_load_dword v128, off, s[0:3], 0 offset:380
	buffer_load_dword v129, off, s[0:3], 0 offset:400
	buffer_load_dword v141, off, s[0:3], 0 offset:392
	buffer_load_dword v143, off, s[0:3], 0 offset:384
	buffer_load_dword v127, off, s[0:3], 0 offset:376
	buffer_load_dword v144, off, s[0:3], 0 offset:388
	buffer_load_dword v142, off, s[0:3], 0 offset:396
	buffer_load_dword v130, off, s[0:3], 0 offset:404
	s_waitcnt vmcnt(24) lgkmcnt(0)
	v_fma_f64 v[115:116], v[135:136], v[119:120], v[115:116]
	s_waitcnt vmcnt(19)
	v_fma_f64 v[123:124], v[123:124], v[121:122], v[115:116]
	ds_read_b128 v[115:118], v114 offset:768
	ds_read_b128 v[119:122], v114 offset:784
	;; [unrolled: 18-line block ×3, first 2 shown]
	s_waitcnt vmcnt(18) lgkmcnt(1)
	v_fma_f64 v[115:116], v[139:140], v[115:116], v[125:126]
	buffer_load_dword v126, off, s[0:3], 0 offset:444
	buffer_load_dword v125, off, s[0:3], 0 offset:440
	s_waitcnt vmcnt(19)
	v_fma_f64 v[115:116], v[133:134], v[117:118], v[115:116]
	buffer_load_dword v133, off, s[0:3], 0 offset:24
	buffer_load_dword v134, off, s[0:3], 0 offset:28
	s_waitcnt vmcnt(20) lgkmcnt(0)
	v_fma_f64 v[115:116], v[131:132], v[119:120], v[115:116]
	s_waitcnt vmcnt(15)
	v_fma_f64 v[127:128], v[127:128], v[121:122], v[115:116]
	ds_read_b128 v[115:118], v114 offset:832
	ds_read_b128 v[119:122], v114 offset:848
	s_waitcnt vmcnt(14) lgkmcnt(1)
	v_fma_f64 v[115:116], v[143:144], v[115:116], v[127:128]
	s_waitcnt vmcnt(13)
	v_fma_f64 v[115:116], v[141:142], v[117:118], v[115:116]
	s_waitcnt vmcnt(12) lgkmcnt(0)
	v_fma_f64 v[115:116], v[129:130], v[119:120], v[115:116]
	s_waitcnt vmcnt(7)
	v_fma_f64 v[123:124], v[123:124], v[121:122], v[115:116]
	ds_read_b128 v[115:118], v114 offset:864
	ds_read_b128 v[119:122], v114 offset:880
	s_waitcnt vmcnt(6) lgkmcnt(1)
	v_fma_f64 v[114:115], v[147:148], v[115:116], v[123:124]
	s_waitcnt vmcnt(5)
	v_fma_f64 v[114:115], v[145:146], v[117:118], v[114:115]
	s_waitcnt vmcnt(4) lgkmcnt(0)
	v_fma_f64 v[114:115], v[135:136], v[119:120], v[114:115]
	s_waitcnt vmcnt(2)
	v_fma_f64 v[114:115], v[125:126], v[121:122], v[114:115]
	s_waitcnt vmcnt(0)
	v_add_f64 v[114:115], v[133:134], -v[114:115]
	buffer_store_dword v115, off, s[0:3], 0 offset:28
	buffer_store_dword v114, off, s[0:3], 0 offset:24
	s_and_saveexec_b64 s[4:5], vcc
	s_cbranch_execz .LBB119_339
; %bb.338:
	buffer_load_dword v114, off, s[0:3], 0 offset:16
	buffer_load_dword v115, off, s[0:3], 0 offset:20
	v_mov_b32_e32 v116, 0
	buffer_store_dword v116, off, s[0:3], 0 offset:16
	buffer_store_dword v116, off, s[0:3], 0 offset:20
	s_waitcnt vmcnt(2)
	ds_write_b64 v113, v[114:115]
.LBB119_339:
	s_or_b64 exec, exec, s[4:5]
	s_waitcnt lgkmcnt(0)
	; wave barrier
	buffer_load_dword v123, off, s[0:3], 0 offset:24
	buffer_load_dword v124, off, s[0:3], 0 offset:28
	;; [unrolled: 1-line block ×22, first 2 shown]
	v_mov_b32_e32 v114, 0
	ds_read2_b64 v[115:118], v114 offset0:59 offset1:60
	ds_read2_b64 v[119:122], v114 offset0:61 offset1:62
	v_cmp_lt_u32_e32 vcc, 1, v0
	s_waitcnt vmcnt(20) lgkmcnt(1)
	v_fma_f64 v[115:116], v[123:124], v[115:116], 0
	s_waitcnt vmcnt(18)
	v_fma_f64 v[115:116], v[125:126], v[117:118], v[115:116]
	buffer_load_dword v124, off, s[0:3], 0 offset:116
	buffer_load_dword v125, off, s[0:3], 0 offset:136
	;; [unrolled: 1-line block ×7, first 2 shown]
	s_waitcnt vmcnt(23) lgkmcnt(0)
	v_fma_f64 v[115:116], v[127:128], v[119:120], v[115:116]
	s_waitcnt vmcnt(21)
	v_fma_f64 v[126:127], v[129:130], v[121:122], v[115:116]
	ds_read2_b64 v[115:118], v114 offset0:63 offset1:64
	ds_read2_b64 v[119:122], v114 offset0:65 offset1:66
	s_waitcnt vmcnt(19) lgkmcnt(1)
	v_fma_f64 v[115:116], v[131:132], v[115:116], v[126:127]
	buffer_load_dword v126, off, s[0:3], 0 offset:140
	s_waitcnt vmcnt(18)
	v_fma_f64 v[115:116], v[133:134], v[117:118], v[115:116]
	buffer_load_dword v128, off, s[0:3], 0 offset:148
	buffer_load_dword v129, off, s[0:3], 0 offset:168
	;; [unrolled: 1-line block ×7, first 2 shown]
	s_waitcnt vmcnt(23) lgkmcnt(0)
	v_fma_f64 v[115:116], v[135:136], v[119:120], v[115:116]
	s_waitcnt vmcnt(18)
	v_fma_f64 v[135:136], v[137:138], v[121:122], v[115:116]
	ds_read2_b64 v[115:118], v114 offset0:67 offset1:68
	ds_read2_b64 v[119:122], v114 offset0:69 offset1:70
	buffer_load_dword v130, off, s[0:3], 0 offset:172
	s_waitcnt vmcnt(18) lgkmcnt(1)
	v_fma_f64 v[115:116], v[143:144], v[115:116], v[135:136]
	s_waitcnt vmcnt(17)
	v_fma_f64 v[115:116], v[141:142], v[117:118], v[115:116]
	buffer_load_dword v136, off, s[0:3], 0 offset:180
	buffer_load_dword v137, off, s[0:3], 0 offset:200
	;; [unrolled: 1-line block ×8, first 2 shown]
	s_waitcnt vmcnt(24) lgkmcnt(0)
	v_fma_f64 v[115:116], v[139:140], v[119:120], v[115:116]
	s_waitcnt vmcnt(19)
	v_fma_f64 v[123:124], v[123:124], v[121:122], v[115:116]
	ds_read2_b64 v[115:118], v114 offset0:71 offset1:72
	ds_read2_b64 v[119:122], v114 offset0:73 offset1:74
	s_waitcnt vmcnt(18) lgkmcnt(1)
	v_fma_f64 v[115:116], v[147:148], v[115:116], v[123:124]
	s_waitcnt vmcnt(17)
	v_fma_f64 v[115:116], v[145:146], v[117:118], v[115:116]
	buffer_load_dword v124, off, s[0:3], 0 offset:212
	buffer_load_dword v139, off, s[0:3], 0 offset:232
	;; [unrolled: 1-line block ×7, first 2 shown]
	s_waitcnt vmcnt(23) lgkmcnt(0)
	v_fma_f64 v[115:116], v[125:126], v[119:120], v[115:116]
	s_waitcnt vmcnt(18)
	v_fma_f64 v[125:126], v[127:128], v[121:122], v[115:116]
	ds_read2_b64 v[115:118], v114 offset0:75 offset1:76
	ds_read2_b64 v[119:122], v114 offset0:77 offset1:78
	buffer_load_dword v140, off, s[0:3], 0 offset:236
	s_waitcnt vmcnt(18) lgkmcnt(1)
	v_fma_f64 v[115:116], v[133:134], v[115:116], v[125:126]
	s_waitcnt vmcnt(17)
	v_fma_f64 v[115:116], v[131:132], v[117:118], v[115:116]
	buffer_load_dword v126, off, s[0:3], 0 offset:244
	buffer_load_dword v127, off, s[0:3], 0 offset:264
	;; [unrolled: 1-line block ×7, first 2 shown]
	s_waitcnt vmcnt(23) lgkmcnt(0)
	v_fma_f64 v[115:116], v[129:130], v[119:120], v[115:116]
	s_waitcnt vmcnt(18)
	v_fma_f64 v[128:129], v[135:136], v[121:122], v[115:116]
	ds_read2_b64 v[115:118], v114 offset0:79 offset1:80
	ds_read2_b64 v[119:122], v114 offset0:81 offset1:82
	s_waitcnt vmcnt(17) lgkmcnt(1)
	v_fma_f64 v[115:116], v[143:144], v[115:116], v[128:129]
	buffer_load_dword v128, off, s[0:3], 0 offset:268
	s_waitcnt vmcnt(17)
	v_fma_f64 v[115:116], v[141:142], v[117:118], v[115:116]
	buffer_load_dword v130, off, s[0:3], 0 offset:276
	buffer_load_dword v135, off, s[0:3], 0 offset:296
	;; [unrolled: 1-line block ×8, first 2 shown]
	s_waitcnt vmcnt(24) lgkmcnt(0)
	v_fma_f64 v[115:116], v[137:138], v[119:120], v[115:116]
	s_waitcnt vmcnt(19)
	v_fma_f64 v[123:124], v[123:124], v[121:122], v[115:116]
	ds_read2_b64 v[115:118], v114 offset0:83 offset1:84
	ds_read2_b64 v[119:122], v114 offset0:85 offset1:86
	s_waitcnt vmcnt(18) lgkmcnt(1)
	v_fma_f64 v[115:116], v[147:148], v[115:116], v[123:124]
	s_waitcnt vmcnt(17)
	v_fma_f64 v[115:116], v[145:146], v[117:118], v[115:116]
	buffer_load_dword v124, off, s[0:3], 0 offset:308
	buffer_load_dword v137, off, s[0:3], 0 offset:328
	;; [unrolled: 1-line block ×7, first 2 shown]
	s_waitcnt vmcnt(23) lgkmcnt(0)
	v_fma_f64 v[115:116], v[139:140], v[119:120], v[115:116]
	s_waitcnt vmcnt(18)
	v_fma_f64 v[125:126], v[125:126], v[121:122], v[115:116]
	ds_read2_b64 v[115:118], v114 offset0:87 offset1:88
	ds_read2_b64 v[119:122], v114 offset0:89 offset1:90
	buffer_load_dword v138, off, s[0:3], 0 offset:332
	s_waitcnt vmcnt(18) lgkmcnt(1)
	v_fma_f64 v[115:116], v[133:134], v[115:116], v[125:126]
	s_waitcnt vmcnt(17)
	v_fma_f64 v[115:116], v[131:132], v[117:118], v[115:116]
	buffer_load_dword v126, off, s[0:3], 0 offset:340
	buffer_load_dword v131, off, s[0:3], 0 offset:360
	;; [unrolled: 1-line block ×7, first 2 shown]
	s_waitcnt vmcnt(23) lgkmcnt(0)
	v_fma_f64 v[115:116], v[127:128], v[119:120], v[115:116]
	s_waitcnt vmcnt(18)
	v_fma_f64 v[127:128], v[129:130], v[121:122], v[115:116]
	ds_read2_b64 v[115:118], v114 offset0:91 offset1:92
	ds_read2_b64 v[119:122], v114 offset0:93 offset1:94
	buffer_load_dword v132, off, s[0:3], 0 offset:364
	s_waitcnt vmcnt(18) lgkmcnt(1)
	v_fma_f64 v[115:116], v[143:144], v[115:116], v[127:128]
	s_waitcnt vmcnt(17)
	v_fma_f64 v[115:116], v[141:142], v[117:118], v[115:116]
	buffer_load_dword v128, off, s[0:3], 0 offset:372
	buffer_load_dword v129, off, s[0:3], 0 offset:392
	;; [unrolled: 1-line block ×8, first 2 shown]
	s_waitcnt vmcnt(24) lgkmcnt(0)
	v_fma_f64 v[115:116], v[135:136], v[119:120], v[115:116]
	s_waitcnt vmcnt(19)
	v_fma_f64 v[123:124], v[123:124], v[121:122], v[115:116]
	ds_read2_b64 v[115:118], v114 offset0:95 offset1:96
	ds_read2_b64 v[119:122], v114 offset0:97 offset1:98
	s_waitcnt vmcnt(18) lgkmcnt(1)
	v_fma_f64 v[115:116], v[147:148], v[115:116], v[123:124]
	s_waitcnt vmcnt(17)
	v_fma_f64 v[115:116], v[145:146], v[117:118], v[115:116]
	buffer_load_dword v124, off, s[0:3], 0 offset:404
	buffer_load_dword v135, off, s[0:3], 0 offset:424
	;; [unrolled: 1-line block ×7, first 2 shown]
	s_waitcnt vmcnt(23) lgkmcnt(0)
	v_fma_f64 v[115:116], v[137:138], v[119:120], v[115:116]
	s_waitcnt vmcnt(18)
	v_fma_f64 v[125:126], v[125:126], v[121:122], v[115:116]
	ds_read2_b64 v[115:118], v114 offset0:99 offset1:100
	ds_read2_b64 v[119:122], v114 offset0:101 offset1:102
	buffer_load_dword v136, off, s[0:3], 0 offset:428
	s_waitcnt vmcnt(18) lgkmcnt(1)
	v_fma_f64 v[115:116], v[139:140], v[115:116], v[125:126]
	s_waitcnt vmcnt(17)
	v_fma_f64 v[115:116], v[133:134], v[117:118], v[115:116]
	buffer_load_dword v126, off, s[0:3], 0 offset:436
	buffer_load_dword v133, off, s[0:3], 0 offset:440
	;; [unrolled: 1-line block ×4, first 2 shown]
	s_waitcnt vmcnt(20) lgkmcnt(0)
	v_fma_f64 v[115:116], v[131:132], v[119:120], v[115:116]
	buffer_load_dword v131, off, s[0:3], 0 offset:16
	buffer_load_dword v132, off, s[0:3], 0 offset:20
	s_waitcnt vmcnt(17)
	v_fma_f64 v[127:128], v[127:128], v[121:122], v[115:116]
	ds_read2_b64 v[115:118], v114 offset0:103 offset1:104
	ds_read2_b64 v[119:122], v114 offset0:105 offset1:106
	s_waitcnt vmcnt(16) lgkmcnt(1)
	v_fma_f64 v[115:116], v[143:144], v[115:116], v[127:128]
	s_waitcnt vmcnt(15)
	v_fma_f64 v[115:116], v[141:142], v[117:118], v[115:116]
	s_waitcnt vmcnt(14) lgkmcnt(0)
	v_fma_f64 v[115:116], v[129:130], v[119:120], v[115:116]
	s_waitcnt vmcnt(9)
	v_fma_f64 v[123:124], v[123:124], v[121:122], v[115:116]
	ds_read2_b64 v[115:118], v114 offset0:107 offset1:108
	ds_read2_b64 v[119:122], v114 offset0:109 offset1:110
	s_waitcnt vmcnt(8) lgkmcnt(1)
	v_fma_f64 v[115:116], v[147:148], v[115:116], v[123:124]
	s_waitcnt vmcnt(7)
	v_fma_f64 v[115:116], v[145:146], v[117:118], v[115:116]
	ds_read_b64 v[117:118], v114 offset:888
	s_waitcnt vmcnt(6) lgkmcnt(1)
	v_fma_f64 v[115:116], v[135:136], v[119:120], v[115:116]
	s_waitcnt vmcnt(3)
	v_fma_f64 v[115:116], v[125:126], v[121:122], v[115:116]
	s_waitcnt vmcnt(2) lgkmcnt(0)
	v_fma_f64 v[115:116], v[133:134], v[117:118], v[115:116]
	s_waitcnt vmcnt(0)
	v_add_f64 v[115:116], v[131:132], -v[115:116]
	buffer_store_dword v116, off, s[0:3], 0 offset:20
	buffer_store_dword v115, off, s[0:3], 0 offset:16
	s_and_saveexec_b64 s[4:5], vcc
	s_cbranch_execz .LBB119_341
; %bb.340:
	buffer_load_dword v115, off, s[0:3], 0 offset:8
	buffer_load_dword v116, off, s[0:3], 0 offset:12
	s_waitcnt vmcnt(0)
	ds_write_b64 v113, v[115:116]
	buffer_store_dword v114, off, s[0:3], 0 offset:8
	buffer_store_dword v114, off, s[0:3], 0 offset:12
.LBB119_341:
	s_or_b64 exec, exec, s[4:5]
	s_waitcnt lgkmcnt(0)
	; wave barrier
	buffer_load_dword v123, off, s[0:3], 0 offset:16
	buffer_load_dword v124, off, s[0:3], 0 offset:20
	;; [unrolled: 1-line block ×22, first 2 shown]
	ds_read_b128 v[115:118], v114 offset:464
	ds_read_b128 v[119:122], v114 offset:480
	v_cmp_ne_u32_e32 vcc, 0, v0
	s_waitcnt vmcnt(20) lgkmcnt(1)
	v_fma_f64 v[115:116], v[123:124], v[115:116], 0
	s_waitcnt vmcnt(18)
	v_fma_f64 v[115:116], v[125:126], v[117:118], v[115:116]
	buffer_load_dword v124, off, s[0:3], 0 offset:108
	buffer_load_dword v125, off, s[0:3], 0 offset:128
	;; [unrolled: 1-line block ×7, first 2 shown]
	s_waitcnt vmcnt(23) lgkmcnt(0)
	v_fma_f64 v[115:116], v[127:128], v[119:120], v[115:116]
	s_waitcnt vmcnt(21)
	v_fma_f64 v[126:127], v[129:130], v[121:122], v[115:116]
	ds_read_b128 v[115:118], v114 offset:496
	ds_read_b128 v[119:122], v114 offset:512
	s_waitcnt vmcnt(19) lgkmcnt(1)
	v_fma_f64 v[115:116], v[131:132], v[115:116], v[126:127]
	buffer_load_dword v126, off, s[0:3], 0 offset:132
	s_waitcnt vmcnt(18)
	v_fma_f64 v[115:116], v[133:134], v[117:118], v[115:116]
	buffer_load_dword v128, off, s[0:3], 0 offset:140
	buffer_load_dword v129, off, s[0:3], 0 offset:160
	;; [unrolled: 1-line block ×7, first 2 shown]
	s_waitcnt vmcnt(23) lgkmcnt(0)
	v_fma_f64 v[115:116], v[135:136], v[119:120], v[115:116]
	s_waitcnt vmcnt(18)
	v_fma_f64 v[135:136], v[137:138], v[121:122], v[115:116]
	ds_read_b128 v[115:118], v114 offset:528
	ds_read_b128 v[119:122], v114 offset:544
	buffer_load_dword v130, off, s[0:3], 0 offset:164
	s_waitcnt vmcnt(18) lgkmcnt(1)
	v_fma_f64 v[115:116], v[143:144], v[115:116], v[135:136]
	s_waitcnt vmcnt(17)
	v_fma_f64 v[115:116], v[141:142], v[117:118], v[115:116]
	buffer_load_dword v136, off, s[0:3], 0 offset:172
	buffer_load_dword v137, off, s[0:3], 0 offset:192
	;; [unrolled: 1-line block ×8, first 2 shown]
	s_waitcnt vmcnt(24) lgkmcnt(0)
	v_fma_f64 v[115:116], v[139:140], v[119:120], v[115:116]
	s_waitcnt vmcnt(19)
	v_fma_f64 v[123:124], v[123:124], v[121:122], v[115:116]
	ds_read_b128 v[115:118], v114 offset:560
	ds_read_b128 v[119:122], v114 offset:576
	s_waitcnt vmcnt(18) lgkmcnt(1)
	v_fma_f64 v[115:116], v[147:148], v[115:116], v[123:124]
	s_waitcnt vmcnt(17)
	v_fma_f64 v[115:116], v[145:146], v[117:118], v[115:116]
	buffer_load_dword v124, off, s[0:3], 0 offset:204
	buffer_load_dword v139, off, s[0:3], 0 offset:224
	;; [unrolled: 1-line block ×8, first 2 shown]
	s_waitcnt vmcnt(24) lgkmcnt(0)
	v_fma_f64 v[115:116], v[125:126], v[119:120], v[115:116]
	s_waitcnt vmcnt(19)
	v_fma_f64 v[125:126], v[127:128], v[121:122], v[115:116]
	ds_read_b128 v[115:118], v114 offset:592
	ds_read_b128 v[119:122], v114 offset:608
	s_waitcnt vmcnt(18) lgkmcnt(1)
	v_fma_f64 v[115:116], v[133:134], v[115:116], v[125:126]
	s_waitcnt vmcnt(17)
	v_fma_f64 v[115:116], v[131:132], v[117:118], v[115:116]
	buffer_load_dword v126, off, s[0:3], 0 offset:236
	buffer_load_dword v127, off, s[0:3], 0 offset:256
	;; [unrolled: 1-line block ×7, first 2 shown]
	s_waitcnt vmcnt(23) lgkmcnt(0)
	v_fma_f64 v[115:116], v[129:130], v[119:120], v[115:116]
	s_waitcnt vmcnt(18)
	v_fma_f64 v[128:129], v[135:136], v[121:122], v[115:116]
	ds_read_b128 v[115:118], v114 offset:624
	ds_read_b128 v[119:122], v114 offset:640
	s_waitcnt vmcnt(17) lgkmcnt(1)
	v_fma_f64 v[115:116], v[143:144], v[115:116], v[128:129]
	buffer_load_dword v128, off, s[0:3], 0 offset:260
	s_waitcnt vmcnt(17)
	v_fma_f64 v[115:116], v[141:142], v[117:118], v[115:116]
	buffer_load_dword v130, off, s[0:3], 0 offset:268
	buffer_load_dword v135, off, s[0:3], 0 offset:288
	;; [unrolled: 1-line block ×8, first 2 shown]
	s_waitcnt vmcnt(24) lgkmcnt(0)
	v_fma_f64 v[115:116], v[137:138], v[119:120], v[115:116]
	s_waitcnt vmcnt(19)
	v_fma_f64 v[123:124], v[123:124], v[121:122], v[115:116]
	ds_read_b128 v[115:118], v114 offset:656
	ds_read_b128 v[119:122], v114 offset:672
	s_waitcnt vmcnt(18) lgkmcnt(1)
	v_fma_f64 v[115:116], v[147:148], v[115:116], v[123:124]
	s_waitcnt vmcnt(17)
	v_fma_f64 v[115:116], v[145:146], v[117:118], v[115:116]
	buffer_load_dword v124, off, s[0:3], 0 offset:300
	buffer_load_dword v137, off, s[0:3], 0 offset:320
	buffer_load_dword v145, off, s[0:3], 0 offset:312
	buffer_load_dword v147, off, s[0:3], 0 offset:304
	buffer_load_dword v123, off, s[0:3], 0 offset:296
	buffer_load_dword v148, off, s[0:3], 0 offset:308
	buffer_load_dword v146, off, s[0:3], 0 offset:316
	buffer_load_dword v138, off, s[0:3], 0 offset:324
	s_waitcnt vmcnt(24) lgkmcnt(0)
	v_fma_f64 v[115:116], v[139:140], v[119:120], v[115:116]
	s_waitcnt vmcnt(19)
	v_fma_f64 v[125:126], v[125:126], v[121:122], v[115:116]
	ds_read_b128 v[115:118], v114 offset:688
	ds_read_b128 v[119:122], v114 offset:704
	s_waitcnt vmcnt(18) lgkmcnt(1)
	v_fma_f64 v[115:116], v[133:134], v[115:116], v[125:126]
	s_waitcnt vmcnt(17)
	v_fma_f64 v[115:116], v[131:132], v[117:118], v[115:116]
	buffer_load_dword v126, off, s[0:3], 0 offset:332
	buffer_load_dword v131, off, s[0:3], 0 offset:352
	;; [unrolled: 1-line block ×7, first 2 shown]
	s_waitcnt vmcnt(23) lgkmcnt(0)
	v_fma_f64 v[115:116], v[127:128], v[119:120], v[115:116]
	s_waitcnt vmcnt(18)
	v_fma_f64 v[127:128], v[129:130], v[121:122], v[115:116]
	ds_read_b128 v[115:118], v114 offset:720
	ds_read_b128 v[119:122], v114 offset:736
	buffer_load_dword v132, off, s[0:3], 0 offset:356
	s_waitcnt vmcnt(18) lgkmcnt(1)
	v_fma_f64 v[115:116], v[143:144], v[115:116], v[127:128]
	s_waitcnt vmcnt(17)
	v_fma_f64 v[115:116], v[141:142], v[117:118], v[115:116]
	buffer_load_dword v128, off, s[0:3], 0 offset:364
	buffer_load_dword v129, off, s[0:3], 0 offset:384
	;; [unrolled: 1-line block ×8, first 2 shown]
	s_waitcnt vmcnt(24) lgkmcnt(0)
	v_fma_f64 v[115:116], v[135:136], v[119:120], v[115:116]
	s_waitcnt vmcnt(19)
	v_fma_f64 v[123:124], v[123:124], v[121:122], v[115:116]
	ds_read_b128 v[115:118], v114 offset:752
	ds_read_b128 v[119:122], v114 offset:768
	s_waitcnt vmcnt(18) lgkmcnt(1)
	v_fma_f64 v[115:116], v[147:148], v[115:116], v[123:124]
	s_waitcnt vmcnt(17)
	v_fma_f64 v[115:116], v[145:146], v[117:118], v[115:116]
	buffer_load_dword v124, off, s[0:3], 0 offset:396
	buffer_load_dword v135, off, s[0:3], 0 offset:416
	;; [unrolled: 1-line block ×8, first 2 shown]
	s_waitcnt vmcnt(24) lgkmcnt(0)
	v_fma_f64 v[115:116], v[137:138], v[119:120], v[115:116]
	s_waitcnt vmcnt(19)
	v_fma_f64 v[125:126], v[125:126], v[121:122], v[115:116]
	ds_read_b128 v[115:118], v114 offset:784
	ds_read_b128 v[119:122], v114 offset:800
	s_waitcnt vmcnt(18) lgkmcnt(1)
	v_fma_f64 v[115:116], v[139:140], v[115:116], v[125:126]
	s_waitcnt vmcnt(17)
	v_fma_f64 v[115:116], v[133:134], v[117:118], v[115:116]
	buffer_load_dword v126, off, s[0:3], 0 offset:428
	buffer_load_dword v133, off, s[0:3], 0 offset:440
	;; [unrolled: 1-line block ×6, first 2 shown]
	s_waitcnt vmcnt(22) lgkmcnt(0)
	v_fma_f64 v[115:116], v[131:132], v[119:120], v[115:116]
	s_waitcnt vmcnt(17)
	v_fma_f64 v[127:128], v[127:128], v[121:122], v[115:116]
	ds_read_b128 v[115:118], v114 offset:816
	buffer_load_dword v131, off, s[0:3], 0 offset:8
	buffer_load_dword v132, off, s[0:3], 0 offset:12
	ds_read_b128 v[119:122], v114 offset:832
	s_waitcnt vmcnt(18) lgkmcnt(1)
	v_fma_f64 v[115:116], v[143:144], v[115:116], v[127:128]
	s_waitcnt vmcnt(17)
	v_fma_f64 v[115:116], v[141:142], v[117:118], v[115:116]
	s_waitcnt vmcnt(16) lgkmcnt(0)
	v_fma_f64 v[115:116], v[129:130], v[119:120], v[115:116]
	s_waitcnt vmcnt(11)
	v_fma_f64 v[123:124], v[123:124], v[121:122], v[115:116]
	ds_read_b128 v[115:118], v114 offset:848
	ds_read_b128 v[119:122], v114 offset:864
	s_waitcnt vmcnt(10) lgkmcnt(1)
	v_fma_f64 v[115:116], v[147:148], v[115:116], v[123:124]
	s_waitcnt vmcnt(9)
	v_fma_f64 v[115:116], v[145:146], v[117:118], v[115:116]
	s_waitcnt vmcnt(8) lgkmcnt(0)
	v_fma_f64 v[115:116], v[135:136], v[119:120], v[115:116]
	s_waitcnt vmcnt(4)
	v_fma_f64 v[118:119], v[125:126], v[121:122], v[115:116]
	ds_read_b128 v[114:117], v114 offset:880
	s_waitcnt vmcnt(3) lgkmcnt(0)
	v_fma_f64 v[114:115], v[137:138], v[114:115], v[118:119]
	s_waitcnt vmcnt(2)
	v_fma_f64 v[114:115], v[133:134], v[116:117], v[114:115]
	s_waitcnt vmcnt(0)
	v_add_f64 v[114:115], v[131:132], -v[114:115]
	buffer_store_dword v115, off, s[0:3], 0 offset:12
	buffer_store_dword v114, off, s[0:3], 0 offset:8
	s_and_saveexec_b64 s[4:5], vcc
	s_cbranch_execz .LBB119_343
; %bb.342:
	buffer_load_dword v114, off, s[0:3], 0
	buffer_load_dword v115, off, s[0:3], 0 offset:4
	v_mov_b32_e32 v0, 0
	buffer_store_dword v0, off, s[0:3], 0
	buffer_store_dword v0, off, s[0:3], 0 offset:4
	s_waitcnt vmcnt(2)
	ds_write_b64 v113, v[114:115]
.LBB119_343:
	s_or_b64 exec, exec, s[4:5]
	s_waitcnt lgkmcnt(0)
	; wave barrier
	buffer_load_dword v121, off, s[0:3], 0 offset:8
	buffer_load_dword v122, off, s[0:3], 0 offset:12
	;; [unrolled: 1-line block ×22, first 2 shown]
	v_mov_b32_e32 v0, 0
	ds_read2_b64 v[113:116], v0 offset0:57 offset1:58
	ds_read2_b64 v[117:120], v0 offset0:59 offset1:60
	s_and_b64 vcc, exec, s[14:15]
	s_waitcnt vmcnt(20) lgkmcnt(1)
	v_fma_f64 v[113:114], v[121:122], v[113:114], 0
	s_waitcnt vmcnt(18)
	v_fma_f64 v[113:114], v[123:124], v[115:116], v[113:114]
	buffer_load_dword v122, off, s[0:3], 0 offset:100
	buffer_load_dword v123, off, s[0:3], 0 offset:120
	;; [unrolled: 1-line block ×7, first 2 shown]
	s_waitcnt vmcnt(23) lgkmcnt(0)
	v_fma_f64 v[113:114], v[125:126], v[117:118], v[113:114]
	s_waitcnt vmcnt(21)
	v_fma_f64 v[124:125], v[127:128], v[119:120], v[113:114]
	ds_read2_b64 v[113:116], v0 offset0:61 offset1:62
	ds_read2_b64 v[117:120], v0 offset0:63 offset1:64
	s_waitcnt vmcnt(19) lgkmcnt(1)
	v_fma_f64 v[113:114], v[129:130], v[113:114], v[124:125]
	buffer_load_dword v124, off, s[0:3], 0 offset:124
	s_waitcnt vmcnt(18)
	v_fma_f64 v[113:114], v[131:132], v[115:116], v[113:114]
	buffer_load_dword v126, off, s[0:3], 0 offset:132
	buffer_load_dword v127, off, s[0:3], 0 offset:152
	;; [unrolled: 1-line block ×7, first 2 shown]
	s_waitcnt vmcnt(23) lgkmcnt(0)
	v_fma_f64 v[113:114], v[133:134], v[117:118], v[113:114]
	s_waitcnt vmcnt(18)
	v_fma_f64 v[133:134], v[135:136], v[119:120], v[113:114]
	ds_read2_b64 v[113:116], v0 offset0:65 offset1:66
	ds_read2_b64 v[117:120], v0 offset0:67 offset1:68
	buffer_load_dword v128, off, s[0:3], 0 offset:156
	s_waitcnt vmcnt(18) lgkmcnt(1)
	v_fma_f64 v[113:114], v[141:142], v[113:114], v[133:134]
	s_waitcnt vmcnt(17)
	v_fma_f64 v[113:114], v[139:140], v[115:116], v[113:114]
	buffer_load_dword v134, off, s[0:3], 0 offset:164
	buffer_load_dword v135, off, s[0:3], 0 offset:184
	;; [unrolled: 1-line block ×8, first 2 shown]
	s_waitcnt vmcnt(24) lgkmcnt(0)
	v_fma_f64 v[113:114], v[137:138], v[117:118], v[113:114]
	s_waitcnt vmcnt(19)
	v_fma_f64 v[121:122], v[121:122], v[119:120], v[113:114]
	ds_read2_b64 v[113:116], v0 offset0:69 offset1:70
	ds_read2_b64 v[117:120], v0 offset0:71 offset1:72
	s_waitcnt vmcnt(18) lgkmcnt(1)
	v_fma_f64 v[113:114], v[145:146], v[113:114], v[121:122]
	s_waitcnt vmcnt(17)
	v_fma_f64 v[113:114], v[143:144], v[115:116], v[113:114]
	buffer_load_dword v122, off, s[0:3], 0 offset:196
	buffer_load_dword v137, off, s[0:3], 0 offset:216
	;; [unrolled: 1-line block ×8, first 2 shown]
	s_waitcnt vmcnt(24) lgkmcnt(0)
	v_fma_f64 v[113:114], v[123:124], v[117:118], v[113:114]
	s_waitcnt vmcnt(19)
	v_fma_f64 v[123:124], v[125:126], v[119:120], v[113:114]
	ds_read2_b64 v[113:116], v0 offset0:73 offset1:74
	ds_read2_b64 v[117:120], v0 offset0:75 offset1:76
	s_waitcnt vmcnt(18) lgkmcnt(1)
	v_fma_f64 v[113:114], v[131:132], v[113:114], v[123:124]
	s_waitcnt vmcnt(17)
	v_fma_f64 v[113:114], v[129:130], v[115:116], v[113:114]
	buffer_load_dword v124, off, s[0:3], 0 offset:228
	buffer_load_dword v125, off, s[0:3], 0 offset:248
	;; [unrolled: 1-line block ×7, first 2 shown]
	s_waitcnt vmcnt(23) lgkmcnt(0)
	v_fma_f64 v[113:114], v[127:128], v[117:118], v[113:114]
	s_waitcnt vmcnt(18)
	v_fma_f64 v[126:127], v[133:134], v[119:120], v[113:114]
	ds_read2_b64 v[113:116], v0 offset0:77 offset1:78
	ds_read2_b64 v[117:120], v0 offset0:79 offset1:80
	s_waitcnt vmcnt(17) lgkmcnt(1)
	v_fma_f64 v[113:114], v[141:142], v[113:114], v[126:127]
	buffer_load_dword v126, off, s[0:3], 0 offset:252
	s_waitcnt vmcnt(17)
	v_fma_f64 v[113:114], v[139:140], v[115:116], v[113:114]
	buffer_load_dword v128, off, s[0:3], 0 offset:260
	buffer_load_dword v133, off, s[0:3], 0 offset:280
	;; [unrolled: 1-line block ×8, first 2 shown]
	s_waitcnt vmcnt(24) lgkmcnt(0)
	v_fma_f64 v[113:114], v[135:136], v[117:118], v[113:114]
	s_waitcnt vmcnt(19)
	v_fma_f64 v[121:122], v[121:122], v[119:120], v[113:114]
	ds_read2_b64 v[113:116], v0 offset0:81 offset1:82
	ds_read2_b64 v[117:120], v0 offset0:83 offset1:84
	s_waitcnt vmcnt(18) lgkmcnt(1)
	v_fma_f64 v[113:114], v[145:146], v[113:114], v[121:122]
	s_waitcnt vmcnt(17)
	v_fma_f64 v[113:114], v[143:144], v[115:116], v[113:114]
	buffer_load_dword v122, off, s[0:3], 0 offset:292
	buffer_load_dword v135, off, s[0:3], 0 offset:312
	;; [unrolled: 1-line block ×8, first 2 shown]
	s_waitcnt vmcnt(24) lgkmcnt(0)
	v_fma_f64 v[113:114], v[137:138], v[117:118], v[113:114]
	s_waitcnt vmcnt(19)
	v_fma_f64 v[123:124], v[123:124], v[119:120], v[113:114]
	ds_read2_b64 v[113:116], v0 offset0:85 offset1:86
	ds_read2_b64 v[117:120], v0 offset0:87 offset1:88
	s_waitcnt vmcnt(18) lgkmcnt(1)
	v_fma_f64 v[113:114], v[131:132], v[113:114], v[123:124]
	s_waitcnt vmcnt(17)
	v_fma_f64 v[113:114], v[129:130], v[115:116], v[113:114]
	buffer_load_dword v124, off, s[0:3], 0 offset:324
	buffer_load_dword v129, off, s[0:3], 0 offset:344
	;; [unrolled: 1-line block ×7, first 2 shown]
	s_waitcnt vmcnt(23) lgkmcnt(0)
	v_fma_f64 v[113:114], v[125:126], v[117:118], v[113:114]
	s_waitcnt vmcnt(18)
	v_fma_f64 v[125:126], v[127:128], v[119:120], v[113:114]
	ds_read2_b64 v[113:116], v0 offset0:89 offset1:90
	ds_read2_b64 v[117:120], v0 offset0:91 offset1:92
	buffer_load_dword v130, off, s[0:3], 0 offset:348
	s_waitcnt vmcnt(18) lgkmcnt(1)
	v_fma_f64 v[113:114], v[141:142], v[113:114], v[125:126]
	s_waitcnt vmcnt(17)
	v_fma_f64 v[113:114], v[139:140], v[115:116], v[113:114]
	buffer_load_dword v126, off, s[0:3], 0 offset:356
	buffer_load_dword v127, off, s[0:3], 0 offset:376
	;; [unrolled: 1-line block ×8, first 2 shown]
	s_waitcnt vmcnt(24) lgkmcnt(0)
	v_fma_f64 v[113:114], v[133:134], v[117:118], v[113:114]
	s_waitcnt vmcnt(19)
	v_fma_f64 v[121:122], v[121:122], v[119:120], v[113:114]
	ds_read2_b64 v[113:116], v0 offset0:93 offset1:94
	ds_read2_b64 v[117:120], v0 offset0:95 offset1:96
	s_waitcnt vmcnt(18) lgkmcnt(1)
	v_fma_f64 v[113:114], v[145:146], v[113:114], v[121:122]
	s_waitcnt vmcnt(17)
	v_fma_f64 v[113:114], v[143:144], v[115:116], v[113:114]
	buffer_load_dword v134, off, s[0:3], 0 offset:388
	buffer_load_dword v143, off, s[0:3], 0 offset:408
	;; [unrolled: 1-line block ×8, first 2 shown]
	s_waitcnt vmcnt(24) lgkmcnt(0)
	v_fma_f64 v[113:114], v[135:136], v[117:118], v[113:114]
	s_waitcnt vmcnt(19)
	v_fma_f64 v[121:122], v[123:124], v[119:120], v[113:114]
	ds_read2_b64 v[113:116], v0 offset0:97 offset1:98
	ds_read2_b64 v[117:120], v0 offset0:99 offset1:100
	s_waitcnt vmcnt(18) lgkmcnt(1)
	v_fma_f64 v[113:114], v[137:138], v[113:114], v[121:122]
	s_waitcnt vmcnt(17)
	v_fma_f64 v[114:115], v[131:132], v[115:116], v[113:114]
	buffer_load_dword v124, off, s[0:3], 0 offset:420
	buffer_load_dword v131, off, s[0:3], 0 offset:440
	;; [unrolled: 1-line block ×5, first 2 shown]
	s_waitcnt vmcnt(21) lgkmcnt(0)
	v_fma_f64 v[115:116], v[129:130], v[117:118], v[114:115]
	buffer_load_dword v136, off, s[0:3], 0 offset:428
	buffer_load_dword v114, off, s[0:3], 0 offset:436
	;; [unrolled: 1-line block ×3, first 2 shown]
	s_waitcnt vmcnt(19)
	v_fma_f64 v[125:126], v[125:126], v[119:120], v[115:116]
	ds_read2_b64 v[115:118], v0 offset0:101 offset1:102
	ds_read2_b64 v[119:122], v0 offset0:103 offset1:104
	s_waitcnt vmcnt(18) lgkmcnt(1)
	v_fma_f64 v[115:116], v[141:142], v[115:116], v[125:126]
	buffer_load_dword v125, off, s[0:3], 0
	buffer_load_dword v126, off, s[0:3], 0 offset:4
	s_waitcnt vmcnt(19)
	v_fma_f64 v[115:116], v[139:140], v[117:118], v[115:116]
	s_waitcnt vmcnt(18) lgkmcnt(0)
	v_fma_f64 v[115:116], v[127:128], v[119:120], v[115:116]
	s_waitcnt vmcnt(13)
	v_fma_f64 v[127:128], v[133:134], v[121:122], v[115:116]
	ds_read2_b64 v[115:118], v0 offset0:105 offset1:106
	ds_read2_b64 v[119:122], v0 offset0:107 offset1:108
	s_waitcnt vmcnt(12) lgkmcnt(1)
	v_fma_f64 v[115:116], v[147:148], v[115:116], v[127:128]
	s_waitcnt vmcnt(11)
	v_fma_f64 v[115:116], v[145:146], v[117:118], v[115:116]
	s_waitcnt vmcnt(10) lgkmcnt(0)
	v_fma_f64 v[115:116], v[143:144], v[119:120], v[115:116]
	s_waitcnt vmcnt(5)
	v_fma_f64 v[119:120], v[123:124], v[121:122], v[115:116]
	ds_read2_b64 v[115:118], v0 offset0:109 offset1:110
	ds_read_b64 v[121:122], v0 offset:888
	s_waitcnt vmcnt(4) lgkmcnt(1)
	v_fma_f64 v[115:116], v[135:136], v[115:116], v[119:120]
	s_waitcnt vmcnt(3)
	v_fma_f64 v[115:116], v[113:114], v[117:118], v[115:116]
	s_waitcnt vmcnt(2) lgkmcnt(0)
	v_fma_f64 v[115:116], v[131:132], v[121:122], v[115:116]
	s_waitcnt vmcnt(0)
	v_add_f64 v[115:116], v[125:126], -v[115:116]
	buffer_store_dword v116, off, s[0:3], 0 offset:4
	buffer_store_dword v115, off, s[0:3], 0
	s_cbranch_vccz .LBB119_454
; %bb.344:
	global_load_dword v0, v0, s[12:13] offset:216
	s_waitcnt vmcnt(0)
	v_add_u32_e32 v0, -1, v0
	v_cmp_ne_u32_e32 vcc, 54, v0
	s_cbranch_vccz .LBB119_346
; %bb.345:
	v_lshlrev_b32_e32 v0, 3, v0
	buffer_load_dword v115, v0, s[0:3], 0 offen offset:4
	buffer_load_dword v116, v0, s[0:3], 0 offen
	s_waitcnt vmcnt(1)
	buffer_store_dword v115, off, s[0:3], 0 offset:436
	s_waitcnt vmcnt(1)
	buffer_store_dword v116, off, s[0:3], 0 offset:432
	buffer_store_dword v114, v0, s[0:3], 0 offen offset:4
	buffer_store_dword v113, v0, s[0:3], 0 offen
.LBB119_346:
	v_mov_b32_e32 v0, 0
	global_load_dword v113, v0, s[12:13] offset:212
	s_waitcnt vmcnt(0)
	v_add_u32_e32 v113, -1, v113
	v_cmp_eq_u32_e32 vcc, 53, v113
	s_cbranch_vccnz .LBB119_348
; %bb.347:
	v_lshlrev_b32_e32 v113, 3, v113
	buffer_load_dword v114, v113, s[0:3], 0 offen
	buffer_load_dword v115, v113, s[0:3], 0 offen offset:4
	buffer_load_dword v116, off, s[0:3], 0 offset:424
	buffer_load_dword v117, off, s[0:3], 0 offset:428
	s_waitcnt vmcnt(3)
	buffer_store_dword v114, off, s[0:3], 0 offset:424
	s_waitcnt vmcnt(3)
	buffer_store_dword v115, off, s[0:3], 0 offset:428
	s_waitcnt vmcnt(3)
	buffer_store_dword v116, v113, s[0:3], 0 offen
	s_waitcnt vmcnt(3)
	buffer_store_dword v117, v113, s[0:3], 0 offen offset:4
.LBB119_348:
	global_load_dword v0, v0, s[12:13] offset:208
	s_waitcnt vmcnt(0)
	v_add_u32_e32 v0, -1, v0
	v_cmp_eq_u32_e32 vcc, 52, v0
	s_cbranch_vccnz .LBB119_350
; %bb.349:
	v_lshlrev_b32_e32 v0, 3, v0
	buffer_load_dword v113, v0, s[0:3], 0 offen
	buffer_load_dword v114, v0, s[0:3], 0 offen offset:4
	buffer_load_dword v115, off, s[0:3], 0 offset:420
	buffer_load_dword v116, off, s[0:3], 0 offset:416
	s_waitcnt vmcnt(3)
	buffer_store_dword v113, off, s[0:3], 0 offset:416
	s_waitcnt vmcnt(3)
	buffer_store_dword v114, off, s[0:3], 0 offset:420
	s_waitcnt vmcnt(3)
	buffer_store_dword v115, v0, s[0:3], 0 offen offset:4
	s_waitcnt vmcnt(3)
	buffer_store_dword v116, v0, s[0:3], 0 offen
.LBB119_350:
	v_mov_b32_e32 v0, 0
	global_load_dword v113, v0, s[12:13] offset:204
	s_waitcnt vmcnt(0)
	v_add_u32_e32 v113, -1, v113
	v_cmp_eq_u32_e32 vcc, 51, v113
	s_cbranch_vccnz .LBB119_352
; %bb.351:
	v_lshlrev_b32_e32 v113, 3, v113
	buffer_load_dword v114, v113, s[0:3], 0 offen
	buffer_load_dword v115, v113, s[0:3], 0 offen offset:4
	buffer_load_dword v116, off, s[0:3], 0 offset:408
	buffer_load_dword v117, off, s[0:3], 0 offset:412
	s_waitcnt vmcnt(3)
	buffer_store_dword v114, off, s[0:3], 0 offset:408
	s_waitcnt vmcnt(3)
	buffer_store_dword v115, off, s[0:3], 0 offset:412
	s_waitcnt vmcnt(3)
	buffer_store_dword v116, v113, s[0:3], 0 offen
	s_waitcnt vmcnt(3)
	buffer_store_dword v117, v113, s[0:3], 0 offen offset:4
.LBB119_352:
	global_load_dword v0, v0, s[12:13] offset:200
	s_waitcnt vmcnt(0)
	v_add_u32_e32 v0, -1, v0
	v_cmp_eq_u32_e32 vcc, 50, v0
	s_cbranch_vccnz .LBB119_354
; %bb.353:
	v_lshlrev_b32_e32 v0, 3, v0
	buffer_load_dword v113, v0, s[0:3], 0 offen
	buffer_load_dword v114, v0, s[0:3], 0 offen offset:4
	buffer_load_dword v115, off, s[0:3], 0 offset:404
	buffer_load_dword v116, off, s[0:3], 0 offset:400
	s_waitcnt vmcnt(3)
	buffer_store_dword v113, off, s[0:3], 0 offset:400
	s_waitcnt vmcnt(3)
	buffer_store_dword v114, off, s[0:3], 0 offset:404
	s_waitcnt vmcnt(3)
	buffer_store_dword v115, v0, s[0:3], 0 offen offset:4
	s_waitcnt vmcnt(3)
	buffer_store_dword v116, v0, s[0:3], 0 offen
.LBB119_354:
	;; [unrolled: 41-line block ×26, first 2 shown]
	v_mov_b32_e32 v0, 0
	global_load_dword v113, v0, s[12:13] offset:4
	s_waitcnt vmcnt(0)
	v_add_u32_e32 v113, -1, v113
	v_cmp_eq_u32_e32 vcc, 1, v113
	s_cbranch_vccnz .LBB119_452
; %bb.451:
	v_lshlrev_b32_e32 v113, 3, v113
	buffer_load_dword v114, v113, s[0:3], 0 offen
	buffer_load_dword v115, v113, s[0:3], 0 offen offset:4
	buffer_load_dword v116, off, s[0:3], 0 offset:8
	buffer_load_dword v117, off, s[0:3], 0 offset:12
	s_waitcnt vmcnt(3)
	buffer_store_dword v114, off, s[0:3], 0 offset:8
	s_waitcnt vmcnt(3)
	buffer_store_dword v115, off, s[0:3], 0 offset:12
	s_waitcnt vmcnt(3)
	buffer_store_dword v116, v113, s[0:3], 0 offen
	s_waitcnt vmcnt(3)
	buffer_store_dword v117, v113, s[0:3], 0 offen offset:4
.LBB119_452:
	global_load_dword v0, v0, s[12:13]
	s_nop 0
	buffer_load_dword v115, off, s[0:3], 0
	buffer_load_dword v116, off, s[0:3], 0 offset:4
	s_waitcnt vmcnt(2)
	v_add_u32_e32 v0, -1, v0
	v_cmp_eq_u32_e32 vcc, 0, v0
	s_cbranch_vccnz .LBB119_454
; %bb.453:
	v_lshlrev_b32_e32 v0, 3, v0
	buffer_load_dword v113, v0, s[0:3], 0 offen offset:4
	buffer_load_dword v114, v0, s[0:3], 0 offen
	s_waitcnt vmcnt(1)
	buffer_store_dword v113, off, s[0:3], 0 offset:4
	s_waitcnt vmcnt(1)
	buffer_store_dword v114, off, s[0:3], 0
	buffer_store_dword v116, v0, s[0:3], 0 offen offset:4
	buffer_store_dword v115, v0, s[0:3], 0 offen
	buffer_load_dword v115, off, s[0:3], 0
	s_nop 0
	buffer_load_dword v116, off, s[0:3], 0 offset:4
.LBB119_454:
	s_waitcnt vmcnt(0)
	flat_store_dwordx2 v[1:2], v[115:116]
	buffer_load_dword v0, off, s[0:3], 0 offset:8
	s_nop 0
	buffer_load_dword v1, off, s[0:3], 0 offset:12
	s_waitcnt vmcnt(0)
	flat_store_dwordx2 v[3:4], v[0:1]
	buffer_load_dword v0, off, s[0:3], 0 offset:16
	s_nop 0
	buffer_load_dword v1, off, s[0:3], 0 offset:20
	;; [unrolled: 5-line block ×55, first 2 shown]
	s_waitcnt vmcnt(0)
	flat_store_dwordx2 v[111:112], v[0:1]
	s_endpgm
	.section	.rodata,"a",@progbits
	.p2align	6, 0x0
	.amdhsa_kernel _ZN9rocsolver6v33100L18getri_kernel_smallILi56EdPKPdEEvT1_iilPiilS6_bb
		.amdhsa_group_segment_fixed_size 904
		.amdhsa_private_segment_fixed_size 464
		.amdhsa_kernarg_size 60
		.amdhsa_user_sgpr_count 6
		.amdhsa_user_sgpr_private_segment_buffer 1
		.amdhsa_user_sgpr_dispatch_ptr 0
		.amdhsa_user_sgpr_queue_ptr 0
		.amdhsa_user_sgpr_kernarg_segment_ptr 1
		.amdhsa_user_sgpr_dispatch_id 0
		.amdhsa_user_sgpr_flat_scratch_init 0
		.amdhsa_user_sgpr_private_segment_size 0
		.amdhsa_uses_dynamic_stack 0
		.amdhsa_system_sgpr_private_segment_wavefront_offset 1
		.amdhsa_system_sgpr_workgroup_id_x 1
		.amdhsa_system_sgpr_workgroup_id_y 0
		.amdhsa_system_sgpr_workgroup_id_z 0
		.amdhsa_system_sgpr_workgroup_info 0
		.amdhsa_system_vgpr_workitem_id 0
		.amdhsa_next_free_vgpr 149
		.amdhsa_next_free_sgpr 21
		.amdhsa_reserve_vcc 1
		.amdhsa_reserve_flat_scratch 0
		.amdhsa_float_round_mode_32 0
		.amdhsa_float_round_mode_16_64 0
		.amdhsa_float_denorm_mode_32 3
		.amdhsa_float_denorm_mode_16_64 3
		.amdhsa_dx10_clamp 1
		.amdhsa_ieee_mode 1
		.amdhsa_fp16_overflow 0
		.amdhsa_exception_fp_ieee_invalid_op 0
		.amdhsa_exception_fp_denorm_src 0
		.amdhsa_exception_fp_ieee_div_zero 0
		.amdhsa_exception_fp_ieee_overflow 0
		.amdhsa_exception_fp_ieee_underflow 0
		.amdhsa_exception_fp_ieee_inexact 0
		.amdhsa_exception_int_div_zero 0
	.end_amdhsa_kernel
	.section	.text._ZN9rocsolver6v33100L18getri_kernel_smallILi56EdPKPdEEvT1_iilPiilS6_bb,"axG",@progbits,_ZN9rocsolver6v33100L18getri_kernel_smallILi56EdPKPdEEvT1_iilPiilS6_bb,comdat
.Lfunc_end119:
	.size	_ZN9rocsolver6v33100L18getri_kernel_smallILi56EdPKPdEEvT1_iilPiilS6_bb, .Lfunc_end119-_ZN9rocsolver6v33100L18getri_kernel_smallILi56EdPKPdEEvT1_iilPiilS6_bb
                                        ; -- End function
	.set _ZN9rocsolver6v33100L18getri_kernel_smallILi56EdPKPdEEvT1_iilPiilS6_bb.num_vgpr, 149
	.set _ZN9rocsolver6v33100L18getri_kernel_smallILi56EdPKPdEEvT1_iilPiilS6_bb.num_agpr, 0
	.set _ZN9rocsolver6v33100L18getri_kernel_smallILi56EdPKPdEEvT1_iilPiilS6_bb.numbered_sgpr, 21
	.set _ZN9rocsolver6v33100L18getri_kernel_smallILi56EdPKPdEEvT1_iilPiilS6_bb.num_named_barrier, 0
	.set _ZN9rocsolver6v33100L18getri_kernel_smallILi56EdPKPdEEvT1_iilPiilS6_bb.private_seg_size, 464
	.set _ZN9rocsolver6v33100L18getri_kernel_smallILi56EdPKPdEEvT1_iilPiilS6_bb.uses_vcc, 1
	.set _ZN9rocsolver6v33100L18getri_kernel_smallILi56EdPKPdEEvT1_iilPiilS6_bb.uses_flat_scratch, 0
	.set _ZN9rocsolver6v33100L18getri_kernel_smallILi56EdPKPdEEvT1_iilPiilS6_bb.has_dyn_sized_stack, 0
	.set _ZN9rocsolver6v33100L18getri_kernel_smallILi56EdPKPdEEvT1_iilPiilS6_bb.has_recursion, 0
	.set _ZN9rocsolver6v33100L18getri_kernel_smallILi56EdPKPdEEvT1_iilPiilS6_bb.has_indirect_call, 0
	.section	.AMDGPU.csdata,"",@progbits
; Kernel info:
; codeLenInByte = 77208
; TotalNumSgprs: 25
; NumVgprs: 149
; ScratchSize: 464
; MemoryBound: 1
; FloatMode: 240
; IeeeMode: 1
; LDSByteSize: 904 bytes/workgroup (compile time only)
; SGPRBlocks: 3
; VGPRBlocks: 37
; NumSGPRsForWavesPerEU: 25
; NumVGPRsForWavesPerEU: 149
; Occupancy: 1
; WaveLimiterHint : 1
; COMPUTE_PGM_RSRC2:SCRATCH_EN: 1
; COMPUTE_PGM_RSRC2:USER_SGPR: 6
; COMPUTE_PGM_RSRC2:TRAP_HANDLER: 0
; COMPUTE_PGM_RSRC2:TGID_X_EN: 1
; COMPUTE_PGM_RSRC2:TGID_Y_EN: 0
; COMPUTE_PGM_RSRC2:TGID_Z_EN: 0
; COMPUTE_PGM_RSRC2:TIDIG_COMP_CNT: 0
	.section	.text._ZN9rocsolver6v33100L18getri_kernel_smallILi57EdPKPdEEvT1_iilPiilS6_bb,"axG",@progbits,_ZN9rocsolver6v33100L18getri_kernel_smallILi57EdPKPdEEvT1_iilPiilS6_bb,comdat
	.globl	_ZN9rocsolver6v33100L18getri_kernel_smallILi57EdPKPdEEvT1_iilPiilS6_bb ; -- Begin function _ZN9rocsolver6v33100L18getri_kernel_smallILi57EdPKPdEEvT1_iilPiilS6_bb
	.p2align	8
	.type	_ZN9rocsolver6v33100L18getri_kernel_smallILi57EdPKPdEEvT1_iilPiilS6_bb,@function
_ZN9rocsolver6v33100L18getri_kernel_smallILi57EdPKPdEEvT1_iilPiilS6_bb: ; @_ZN9rocsolver6v33100L18getri_kernel_smallILi57EdPKPdEEvT1_iilPiilS6_bb
; %bb.0:
	s_add_u32 s0, s0, s7
	s_addc_u32 s1, s1, 0
	v_cmp_gt_u32_e32 vcc, 57, v0
	s_and_saveexec_b64 s[8:9], vcc
	s_cbranch_execz .LBB120_236
; %bb.1:
	s_load_dword s18, s[4:5], 0x38
	s_load_dwordx2 s[12:13], s[4:5], 0x0
	s_load_dwordx4 s[8:11], s[4:5], 0x28
	s_waitcnt lgkmcnt(0)
	s_bitcmp1_b32 s18, 8
	s_cselect_b64 s[14:15], -1, 0
	s_ashr_i32 s7, s6, 31
	s_lshl_b64 s[16:17], s[6:7], 3
	s_add_u32 s12, s12, s16
	s_addc_u32 s13, s13, s17
	s_load_dwordx2 s[16:17], s[12:13], 0x0
	s_bfe_u32 s12, s18, 0x10008
	s_cmp_eq_u32 s12, 0
                                        ; implicit-def: $sgpr12_sgpr13
	s_cbranch_scc1 .LBB120_3
; %bb.2:
	s_load_dword s12, s[4:5], 0x20
	s_load_dwordx2 s[18:19], s[4:5], 0x18
	s_mul_i32 s13, s8, s7
	s_mul_hi_u32 s20, s8, s6
	s_add_i32 s20, s20, s13
	s_mul_i32 s9, s9, s6
	s_add_i32 s9, s20, s9
	s_mul_i32 s8, s8, s6
	s_waitcnt lgkmcnt(0)
	s_ashr_i32 s13, s12, 31
	s_lshl_b64 s[8:9], s[8:9], 2
	s_add_u32 s18, s18, s8
	s_addc_u32 s19, s19, s9
	s_lshl_b64 s[8:9], s[12:13], 2
	s_add_u32 s12, s18, s8
	s_addc_u32 s13, s19, s9
.LBB120_3:
	s_load_dwordx2 s[8:9], s[4:5], 0x8
	s_load_dword s18, s[4:5], 0x38
	v_lshlrev_b32_e32 v117, 3, v0
	s_waitcnt lgkmcnt(0)
	s_ashr_i32 s5, s8, 31
	s_mov_b32 s4, s8
	s_lshl_b64 s[4:5], s[4:5], 3
	s_add_u32 s4, s16, s4
	s_addc_u32 s5, s17, s5
	v_mov_b32_e32 v2, s5
	v_add_co_u32_e32 v1, vcc, s4, v117
	v_addc_co_u32_e32 v2, vcc, 0, v2, vcc
	flat_load_dwordx2 v[5:6], v[1:2]
	s_mov_b32 s16, s9
	s_ashr_i32 s17, s9, 31
	s_lshl_b64 s[16:17], s[16:17], 3
	v_mov_b32_e32 v4, s17
	v_add_co_u32_e32 v3, vcc, s16, v1
	v_addc_co_u32_e32 v4, vcc, v2, v4, vcc
	s_add_i32 s8, s9, s9
	v_add_u32_e32 v9, s8, v0
	v_ashrrev_i32_e32 v10, 31, v9
	v_mov_b32_e32 v11, s5
	v_add_u32_e32 v12, s9, v9
	v_ashrrev_i32_e32 v13, 31, v12
	v_mov_b32_e32 v14, s5
	v_mov_b32_e32 v15, s5
	v_mov_b32_e32 v17, s5
	v_mov_b32_e32 v20, s5
	v_mov_b32_e32 v21, s5
	v_mov_b32_e32 v23, s5
	v_mov_b32_e32 v26, s5
	v_mov_b32_e32 v27, s5
	v_mov_b32_e32 v29, s5
	v_mov_b32_e32 v32, s5
	v_mov_b32_e32 v33, s5
	v_mov_b32_e32 v35, s5
	v_mov_b32_e32 v38, s5
	v_mov_b32_e32 v39, s5
	v_mov_b32_e32 v41, s5
	v_mov_b32_e32 v44, s5
	v_mov_b32_e32 v45, s5
	v_mov_b32_e32 v47, s5
	v_mov_b32_e32 v50, s5
	v_mov_b32_e32 v51, s5
	v_mov_b32_e32 v53, s5
	v_mov_b32_e32 v56, s5
	v_mov_b32_e32 v57, s5
	v_mov_b32_e32 v59, s5
	v_mov_b32_e32 v62, s5
	v_mov_b32_e32 v63, s5
	v_mov_b32_e32 v65, s5
	v_mov_b32_e32 v68, s5
	v_mov_b32_e32 v69, s5
	v_mov_b32_e32 v71, s5
	v_mov_b32_e32 v74, s5
	v_mov_b32_e32 v75, s5
	v_mov_b32_e32 v77, s5
	v_mov_b32_e32 v80, s5
	v_mov_b32_e32 v81, s5
	v_mov_b32_e32 v83, s5
	v_mov_b32_e32 v86, s5
	v_mov_b32_e32 v87, s5
	v_mov_b32_e32 v89, s5
	v_mov_b32_e32 v92, s5
	v_mov_b32_e32 v93, s5
	v_mov_b32_e32 v95, s5
	v_mov_b32_e32 v98, s5
	v_mov_b32_e32 v99, s5
	v_mov_b32_e32 v101, s5
	v_mov_b32_e32 v104, s5
	v_mov_b32_e32 v105, s5
	v_mov_b32_e32 v107, s5
	v_mov_b32_e32 v110, s5
	v_mov_b32_e32 v111, s5
	v_mov_b32_e32 v113, s5
	v_mov_b32_e32 v116, s5
	v_mov_b32_e32 v118, s5
	s_bitcmp0_b32 s18, 0
	s_waitcnt vmcnt(0) lgkmcnt(0)
	buffer_store_dword v6, off, s[0:3], 0 offset:4
	buffer_store_dword v5, off, s[0:3], 0
	flat_load_dwordx2 v[7:8], v[3:4]
	v_lshlrev_b64 v[5:6], 3, v[9:10]
	s_waitcnt vmcnt(0) lgkmcnt(0)
	buffer_store_dword v8, off, s[0:3], 0 offset:12
	buffer_store_dword v7, off, s[0:3], 0 offset:8
	v_add_co_u32_e32 v5, vcc, s4, v5
	v_addc_co_u32_e32 v6, vcc, v11, v6, vcc
	flat_load_dwordx2 v[10:11], v[5:6]
	v_lshlrev_b64 v[7:8], 3, v[12:13]
	s_waitcnt vmcnt(0) lgkmcnt(0)
	buffer_store_dword v11, off, s[0:3], 0 offset:20
	buffer_store_dword v10, off, s[0:3], 0 offset:16
	v_add_co_u32_e32 v7, vcc, s4, v7
	v_addc_co_u32_e32 v8, vcc, v14, v8, vcc
	flat_load_dwordx2 v[13:14], v[7:8]
	v_add_u32_e32 v11, s9, v12
	v_ashrrev_i32_e32 v12, 31, v11
	v_lshlrev_b64 v[9:10], 3, v[11:12]
	s_waitcnt vmcnt(0) lgkmcnt(0)
	buffer_store_dword v14, off, s[0:3], 0 offset:28
	buffer_store_dword v13, off, s[0:3], 0 offset:24
	v_add_co_u32_e32 v9, vcc, s4, v9
	v_addc_co_u32_e32 v10, vcc, v15, v10, vcc
	flat_load_dwordx2 v[13:14], v[9:10]
	v_add_u32_e32 v15, s9, v11
	v_ashrrev_i32_e32 v16, 31, v15
	v_lshlrev_b64 v[11:12], 3, v[15:16]
	v_add_u32_e32 v18, s9, v15
	v_add_co_u32_e32 v11, vcc, s4, v11
	v_addc_co_u32_e32 v12, vcc, v17, v12, vcc
	v_ashrrev_i32_e32 v19, 31, v18
	s_waitcnt vmcnt(0) lgkmcnt(0)
	buffer_store_dword v14, off, s[0:3], 0 offset:36
	buffer_store_dword v13, off, s[0:3], 0 offset:32
	flat_load_dwordx2 v[16:17], v[11:12]
	v_lshlrev_b64 v[13:14], 3, v[18:19]
	s_waitcnt vmcnt(0) lgkmcnt(0)
	buffer_store_dword v17, off, s[0:3], 0 offset:44
	buffer_store_dword v16, off, s[0:3], 0 offset:40
	v_add_co_u32_e32 v13, vcc, s4, v13
	v_addc_co_u32_e32 v14, vcc, v20, v14, vcc
	flat_load_dwordx2 v[19:20], v[13:14]
	v_add_u32_e32 v17, s9, v18
	v_ashrrev_i32_e32 v18, 31, v17
	v_lshlrev_b64 v[15:16], 3, v[17:18]
	s_waitcnt vmcnt(0) lgkmcnt(0)
	buffer_store_dword v20, off, s[0:3], 0 offset:52
	buffer_store_dword v19, off, s[0:3], 0 offset:48
	v_add_co_u32_e32 v15, vcc, s4, v15
	v_addc_co_u32_e32 v16, vcc, v21, v16, vcc
	flat_load_dwordx2 v[19:20], v[15:16]
	v_add_u32_e32 v21, s9, v17
	v_ashrrev_i32_e32 v22, 31, v21
	v_lshlrev_b64 v[17:18], 3, v[21:22]
	v_add_u32_e32 v24, s9, v21
	v_add_co_u32_e32 v17, vcc, s4, v17
	v_addc_co_u32_e32 v18, vcc, v23, v18, vcc
	v_ashrrev_i32_e32 v25, 31, v24
	s_waitcnt vmcnt(0) lgkmcnt(0)
	buffer_store_dword v20, off, s[0:3], 0 offset:60
	buffer_store_dword v19, off, s[0:3], 0 offset:56
	;; [unrolled: 27-line block ×7, first 2 shown]
	flat_load_dwordx2 v[52:53], v[47:48]
	v_lshlrev_b64 v[49:50], 3, v[54:55]
	s_waitcnt vmcnt(0) lgkmcnt(0)
	buffer_store_dword v53, off, s[0:3], 0 offset:188
	buffer_store_dword v52, off, s[0:3], 0 offset:184
	v_add_co_u32_e32 v49, vcc, s4, v49
	v_addc_co_u32_e32 v50, vcc, v56, v50, vcc
	flat_load_dwordx2 v[55:56], v[49:50]
	v_add_u32_e32 v53, s9, v54
	v_ashrrev_i32_e32 v54, 31, v53
	v_lshlrev_b64 v[51:52], 3, v[53:54]
	s_waitcnt vmcnt(0) lgkmcnt(0)
	buffer_store_dword v56, off, s[0:3], 0 offset:196
	buffer_store_dword v55, off, s[0:3], 0 offset:192
	v_add_co_u32_e32 v51, vcc, s4, v51
	v_addc_co_u32_e32 v52, vcc, v57, v52, vcc
	flat_load_dwordx2 v[55:56], v[51:52]
	v_add_u32_e32 v57, s9, v53
	v_ashrrev_i32_e32 v58, 31, v57
	v_lshlrev_b64 v[53:54], 3, v[57:58]
	v_add_u32_e32 v60, s9, v57
	v_add_co_u32_e32 v53, vcc, s4, v53
	v_addc_co_u32_e32 v54, vcc, v59, v54, vcc
	s_waitcnt vmcnt(0) lgkmcnt(0)
	buffer_store_dword v56, off, s[0:3], 0 offset:204
	buffer_store_dword v55, off, s[0:3], 0 offset:200
	flat_load_dwordx2 v[58:59], v[53:54]
	v_ashrrev_i32_e32 v61, 31, v60
	v_lshlrev_b64 v[55:56], 3, v[60:61]
	s_waitcnt vmcnt(0) lgkmcnt(0)
	buffer_store_dword v59, off, s[0:3], 0 offset:212
	buffer_store_dword v58, off, s[0:3], 0 offset:208
	v_add_co_u32_e32 v55, vcc, s4, v55
	v_addc_co_u32_e32 v56, vcc, v62, v56, vcc
	flat_load_dwordx2 v[61:62], v[55:56]
	v_add_u32_e32 v59, s9, v60
	v_ashrrev_i32_e32 v60, 31, v59
	v_lshlrev_b64 v[57:58], 3, v[59:60]
	s_waitcnt vmcnt(0) lgkmcnt(0)
	buffer_store_dword v62, off, s[0:3], 0 offset:220
	buffer_store_dword v61, off, s[0:3], 0 offset:216
	v_add_co_u32_e32 v57, vcc, s4, v57
	v_addc_co_u32_e32 v58, vcc, v63, v58, vcc
	flat_load_dwordx2 v[61:62], v[57:58]
	v_add_u32_e32 v63, s9, v59
	v_ashrrev_i32_e32 v64, 31, v63
	v_lshlrev_b64 v[59:60], 3, v[63:64]
	s_waitcnt vmcnt(0) lgkmcnt(0)
	buffer_store_dword v62, off, s[0:3], 0 offset:228
	buffer_store_dword v61, off, s[0:3], 0 offset:224
	v_add_co_u32_e32 v59, vcc, s4, v59
	v_addc_co_u32_e32 v60, vcc, v65, v60, vcc
	flat_load_dwordx2 v[64:65], v[59:60]
	v_add_u32_e32 v66, s9, v63
	v_ashrrev_i32_e32 v67, 31, v66
	v_lshlrev_b64 v[61:62], 3, v[66:67]
	s_waitcnt vmcnt(0) lgkmcnt(0)
	buffer_store_dword v65, off, s[0:3], 0 offset:236
	buffer_store_dword v64, off, s[0:3], 0 offset:232
	v_add_co_u32_e32 v61, vcc, s4, v61
	v_addc_co_u32_e32 v62, vcc, v68, v62, vcc
	flat_load_dwordx2 v[67:68], v[61:62]
	v_add_u32_e32 v65, s9, v66
	v_ashrrev_i32_e32 v66, 31, v65
	v_lshlrev_b64 v[63:64], 3, v[65:66]
	s_waitcnt vmcnt(0) lgkmcnt(0)
	buffer_store_dword v68, off, s[0:3], 0 offset:244
	buffer_store_dword v67, off, s[0:3], 0 offset:240
	v_add_co_u32_e32 v63, vcc, s4, v63
	v_addc_co_u32_e32 v64, vcc, v69, v64, vcc
	flat_load_dwordx2 v[67:68], v[63:64]
	v_add_u32_e32 v69, s9, v65
	v_ashrrev_i32_e32 v70, 31, v69
	v_lshlrev_b64 v[65:66], 3, v[69:70]
	s_waitcnt vmcnt(0) lgkmcnt(0)
	buffer_store_dword v68, off, s[0:3], 0 offset:252
	buffer_store_dword v67, off, s[0:3], 0 offset:248
	v_add_co_u32_e32 v65, vcc, s4, v65
	v_addc_co_u32_e32 v66, vcc, v71, v66, vcc
	flat_load_dwordx2 v[70:71], v[65:66]
	v_add_u32_e32 v72, s9, v69
	v_ashrrev_i32_e32 v73, 31, v72
	v_lshlrev_b64 v[67:68], 3, v[72:73]
	s_waitcnt vmcnt(0) lgkmcnt(0)
	buffer_store_dword v71, off, s[0:3], 0 offset:260
	buffer_store_dword v70, off, s[0:3], 0 offset:256
	v_add_co_u32_e32 v67, vcc, s4, v67
	v_addc_co_u32_e32 v68, vcc, v74, v68, vcc
	flat_load_dwordx2 v[73:74], v[67:68]
	v_add_u32_e32 v71, s9, v72
	v_ashrrev_i32_e32 v72, 31, v71
	v_lshlrev_b64 v[69:70], 3, v[71:72]
	s_waitcnt vmcnt(0) lgkmcnt(0)
	buffer_store_dword v74, off, s[0:3], 0 offset:268
	buffer_store_dword v73, off, s[0:3], 0 offset:264
	v_add_co_u32_e32 v69, vcc, s4, v69
	v_addc_co_u32_e32 v70, vcc, v75, v70, vcc
	flat_load_dwordx2 v[73:74], v[69:70]
	v_add_u32_e32 v75, s9, v71
	v_ashrrev_i32_e32 v76, 31, v75
	v_lshlrev_b64 v[71:72], 3, v[75:76]
	s_waitcnt vmcnt(0) lgkmcnt(0)
	buffer_store_dword v74, off, s[0:3], 0 offset:276
	buffer_store_dword v73, off, s[0:3], 0 offset:272
	v_add_co_u32_e32 v71, vcc, s4, v71
	v_addc_co_u32_e32 v72, vcc, v77, v72, vcc
	flat_load_dwordx2 v[76:77], v[71:72]
	v_add_u32_e32 v78, s9, v75
	v_ashrrev_i32_e32 v79, 31, v78
	v_lshlrev_b64 v[73:74], 3, v[78:79]
	s_waitcnt vmcnt(0) lgkmcnt(0)
	buffer_store_dword v77, off, s[0:3], 0 offset:284
	buffer_store_dword v76, off, s[0:3], 0 offset:280
	v_add_co_u32_e32 v73, vcc, s4, v73
	v_addc_co_u32_e32 v74, vcc, v80, v74, vcc
	flat_load_dwordx2 v[79:80], v[73:74]
	v_add_u32_e32 v77, s9, v78
	v_ashrrev_i32_e32 v78, 31, v77
	v_lshlrev_b64 v[75:76], 3, v[77:78]
	s_waitcnt vmcnt(0) lgkmcnt(0)
	buffer_store_dword v80, off, s[0:3], 0 offset:292
	buffer_store_dword v79, off, s[0:3], 0 offset:288
	v_add_co_u32_e32 v75, vcc, s4, v75
	v_addc_co_u32_e32 v76, vcc, v81, v76, vcc
	flat_load_dwordx2 v[79:80], v[75:76]
	v_add_u32_e32 v81, s9, v77
	v_ashrrev_i32_e32 v82, 31, v81
	v_lshlrev_b64 v[77:78], 3, v[81:82]
	s_waitcnt vmcnt(0) lgkmcnt(0)
	buffer_store_dword v80, off, s[0:3], 0 offset:300
	buffer_store_dword v79, off, s[0:3], 0 offset:296
	v_add_co_u32_e32 v77, vcc, s4, v77
	v_addc_co_u32_e32 v78, vcc, v83, v78, vcc
	flat_load_dwordx2 v[82:83], v[77:78]
	v_add_u32_e32 v84, s9, v81
	v_ashrrev_i32_e32 v85, 31, v84
	v_lshlrev_b64 v[79:80], 3, v[84:85]
	s_waitcnt vmcnt(0) lgkmcnt(0)
	buffer_store_dword v83, off, s[0:3], 0 offset:308
	buffer_store_dword v82, off, s[0:3], 0 offset:304
	v_add_co_u32_e32 v79, vcc, s4, v79
	v_addc_co_u32_e32 v80, vcc, v86, v80, vcc
	flat_load_dwordx2 v[85:86], v[79:80]
	v_add_u32_e32 v83, s9, v84
	v_ashrrev_i32_e32 v84, 31, v83
	v_lshlrev_b64 v[81:82], 3, v[83:84]
	s_waitcnt vmcnt(0) lgkmcnt(0)
	buffer_store_dword v86, off, s[0:3], 0 offset:316
	buffer_store_dword v85, off, s[0:3], 0 offset:312
	v_add_co_u32_e32 v81, vcc, s4, v81
	v_addc_co_u32_e32 v82, vcc, v87, v82, vcc
	flat_load_dwordx2 v[85:86], v[81:82]
	v_add_u32_e32 v87, s9, v83
	v_ashrrev_i32_e32 v88, 31, v87
	v_lshlrev_b64 v[83:84], 3, v[87:88]
	s_waitcnt vmcnt(0) lgkmcnt(0)
	buffer_store_dword v86, off, s[0:3], 0 offset:324
	buffer_store_dword v85, off, s[0:3], 0 offset:320
	v_add_co_u32_e32 v83, vcc, s4, v83
	v_addc_co_u32_e32 v84, vcc, v89, v84, vcc
	flat_load_dwordx2 v[88:89], v[83:84]
	v_add_u32_e32 v90, s9, v87
	v_ashrrev_i32_e32 v91, 31, v90
	v_lshlrev_b64 v[85:86], 3, v[90:91]
	s_waitcnt vmcnt(0) lgkmcnt(0)
	buffer_store_dword v89, off, s[0:3], 0 offset:332
	buffer_store_dword v88, off, s[0:3], 0 offset:328
	v_add_co_u32_e32 v85, vcc, s4, v85
	v_addc_co_u32_e32 v86, vcc, v92, v86, vcc
	flat_load_dwordx2 v[91:92], v[85:86]
	v_add_u32_e32 v89, s9, v90
	v_ashrrev_i32_e32 v90, 31, v89
	v_lshlrev_b64 v[87:88], 3, v[89:90]
	s_waitcnt vmcnt(0) lgkmcnt(0)
	buffer_store_dword v92, off, s[0:3], 0 offset:340
	buffer_store_dword v91, off, s[0:3], 0 offset:336
	v_add_co_u32_e32 v87, vcc, s4, v87
	v_addc_co_u32_e32 v88, vcc, v93, v88, vcc
	flat_load_dwordx2 v[91:92], v[87:88]
	v_add_u32_e32 v93, s9, v89
	v_ashrrev_i32_e32 v94, 31, v93
	v_lshlrev_b64 v[89:90], 3, v[93:94]
	s_waitcnt vmcnt(0) lgkmcnt(0)
	buffer_store_dword v92, off, s[0:3], 0 offset:348
	buffer_store_dword v91, off, s[0:3], 0 offset:344
	v_add_co_u32_e32 v89, vcc, s4, v89
	v_addc_co_u32_e32 v90, vcc, v95, v90, vcc
	flat_load_dwordx2 v[94:95], v[89:90]
	v_add_u32_e32 v96, s9, v93
	v_ashrrev_i32_e32 v97, 31, v96
	v_lshlrev_b64 v[91:92], 3, v[96:97]
	s_waitcnt vmcnt(0) lgkmcnt(0)
	buffer_store_dword v95, off, s[0:3], 0 offset:356
	buffer_store_dword v94, off, s[0:3], 0 offset:352
	v_add_co_u32_e32 v91, vcc, s4, v91
	v_addc_co_u32_e32 v92, vcc, v98, v92, vcc
	flat_load_dwordx2 v[97:98], v[91:92]
	v_add_u32_e32 v95, s9, v96
	v_ashrrev_i32_e32 v96, 31, v95
	v_lshlrev_b64 v[93:94], 3, v[95:96]
	s_waitcnt vmcnt(0) lgkmcnt(0)
	buffer_store_dword v98, off, s[0:3], 0 offset:364
	buffer_store_dword v97, off, s[0:3], 0 offset:360
	v_add_co_u32_e32 v93, vcc, s4, v93
	v_addc_co_u32_e32 v94, vcc, v99, v94, vcc
	flat_load_dwordx2 v[97:98], v[93:94]
	v_add_u32_e32 v99, s9, v95
	v_ashrrev_i32_e32 v100, 31, v99
	v_lshlrev_b64 v[95:96], 3, v[99:100]
	s_waitcnt vmcnt(0) lgkmcnt(0)
	buffer_store_dword v98, off, s[0:3], 0 offset:372
	buffer_store_dword v97, off, s[0:3], 0 offset:368
	v_add_co_u32_e32 v95, vcc, s4, v95
	v_addc_co_u32_e32 v96, vcc, v101, v96, vcc
	flat_load_dwordx2 v[100:101], v[95:96]
	v_add_u32_e32 v102, s9, v99
	v_ashrrev_i32_e32 v103, 31, v102
	v_lshlrev_b64 v[97:98], 3, v[102:103]
	s_waitcnt vmcnt(0) lgkmcnt(0)
	buffer_store_dword v101, off, s[0:3], 0 offset:380
	buffer_store_dword v100, off, s[0:3], 0 offset:376
	v_add_co_u32_e32 v97, vcc, s4, v97
	v_addc_co_u32_e32 v98, vcc, v104, v98, vcc
	flat_load_dwordx2 v[103:104], v[97:98]
	v_add_u32_e32 v101, s9, v102
	v_ashrrev_i32_e32 v102, 31, v101
	v_lshlrev_b64 v[99:100], 3, v[101:102]
	s_waitcnt vmcnt(0) lgkmcnt(0)
	buffer_store_dword v104, off, s[0:3], 0 offset:388
	buffer_store_dword v103, off, s[0:3], 0 offset:384
	v_add_co_u32_e32 v99, vcc, s4, v99
	v_addc_co_u32_e32 v100, vcc, v105, v100, vcc
	flat_load_dwordx2 v[103:104], v[99:100]
	v_add_u32_e32 v105, s9, v101
	v_ashrrev_i32_e32 v106, 31, v105
	v_lshlrev_b64 v[101:102], 3, v[105:106]
	s_waitcnt vmcnt(0) lgkmcnt(0)
	buffer_store_dword v104, off, s[0:3], 0 offset:396
	buffer_store_dword v103, off, s[0:3], 0 offset:392
	v_add_co_u32_e32 v101, vcc, s4, v101
	v_addc_co_u32_e32 v102, vcc, v107, v102, vcc
	flat_load_dwordx2 v[106:107], v[101:102]
	v_add_u32_e32 v108, s9, v105
	v_ashrrev_i32_e32 v109, 31, v108
	v_lshlrev_b64 v[103:104], 3, v[108:109]
	s_waitcnt vmcnt(0) lgkmcnt(0)
	buffer_store_dword v107, off, s[0:3], 0 offset:404
	buffer_store_dword v106, off, s[0:3], 0 offset:400
	v_add_co_u32_e32 v103, vcc, s4, v103
	v_addc_co_u32_e32 v104, vcc, v110, v104, vcc
	flat_load_dwordx2 v[109:110], v[103:104]
	v_add_u32_e32 v107, s9, v108
	v_ashrrev_i32_e32 v108, 31, v107
	v_lshlrev_b64 v[105:106], 3, v[107:108]
	s_waitcnt vmcnt(0) lgkmcnt(0)
	buffer_store_dword v110, off, s[0:3], 0 offset:412
	buffer_store_dword v109, off, s[0:3], 0 offset:408
	v_add_co_u32_e32 v105, vcc, s4, v105
	v_addc_co_u32_e32 v106, vcc, v111, v106, vcc
	flat_load_dwordx2 v[109:110], v[105:106]
	v_add_u32_e32 v111, s9, v107
	v_ashrrev_i32_e32 v112, 31, v111
	v_lshlrev_b64 v[107:108], 3, v[111:112]
	s_waitcnt vmcnt(0) lgkmcnt(0)
	buffer_store_dword v110, off, s[0:3], 0 offset:420
	buffer_store_dword v109, off, s[0:3], 0 offset:416
	v_add_co_u32_e32 v107, vcc, s4, v107
	v_addc_co_u32_e32 v108, vcc, v113, v108, vcc
	flat_load_dwordx2 v[112:113], v[107:108]
	v_add_u32_e32 v114, s9, v111
	v_ashrrev_i32_e32 v115, 31, v114
	v_lshlrev_b64 v[109:110], 3, v[114:115]
	s_waitcnt vmcnt(0) lgkmcnt(0)
	buffer_store_dword v113, off, s[0:3], 0 offset:428
	buffer_store_dword v112, off, s[0:3], 0 offset:424
	v_add_co_u32_e32 v109, vcc, s4, v109
	v_addc_co_u32_e32 v110, vcc, v116, v110, vcc
	flat_load_dwordx2 v[115:116], v[109:110]
	v_add_u32_e32 v113, s9, v114
	v_ashrrev_i32_e32 v114, 31, v113
	v_lshlrev_b64 v[111:112], 3, v[113:114]
	s_waitcnt vmcnt(0) lgkmcnt(0)
	buffer_store_dword v116, off, s[0:3], 0 offset:436
	buffer_store_dword v115, off, s[0:3], 0 offset:432
	v_add_co_u32_e32 v111, vcc, s4, v111
	v_addc_co_u32_e32 v112, vcc, v118, v112, vcc
	flat_load_dwordx2 v[115:116], v[111:112]
	v_add_u32_e32 v113, s9, v113
	v_ashrrev_i32_e32 v114, 31, v113
	v_lshlrev_b64 v[113:114], 3, v[113:114]
	s_waitcnt vmcnt(0) lgkmcnt(0)
	buffer_store_dword v116, off, s[0:3], 0 offset:444
	buffer_store_dword v115, off, s[0:3], 0 offset:440
	v_add_co_u32_e32 v113, vcc, s4, v113
	v_addc_co_u32_e32 v114, vcc, v118, v114, vcc
	flat_load_dwordx2 v[115:116], v[113:114]
	s_mov_b64 s[8:9], -1
	s_waitcnt vmcnt(0) lgkmcnt(0)
	buffer_store_dword v116, off, s[0:3], 0 offset:452
	buffer_store_dword v115, off, s[0:3], 0 offset:448
	s_cbranch_scc1 .LBB120_234
; %bb.4:
	v_cmp_eq_u32_e64 s[4:5], 0, v0
	s_and_saveexec_b64 s[8:9], s[4:5]
; %bb.5:
	v_mov_b32_e32 v115, 0
	ds_write_b32 v115, v115 offset:456
; %bb.6:
	s_or_b64 exec, exec, s[8:9]
	v_mov_b32_e32 v115, 0
	v_lshl_add_u32 v115, v0, 3, v115
	s_waitcnt lgkmcnt(0)
	; wave barrier
	buffer_load_dword v118, v115, s[0:3], 0 offen
	buffer_load_dword v119, v115, s[0:3], 0 offen offset:4
	s_waitcnt vmcnt(0)
	v_cmp_eq_f64_e32 vcc, 0, v[118:119]
	s_and_saveexec_b64 s[16:17], vcc
	s_cbranch_execz .LBB120_10
; %bb.7:
	v_mov_b32_e32 v116, 0
	ds_read_b32 v119, v116 offset:456
	v_add_u32_e32 v118, 1, v0
	s_waitcnt lgkmcnt(0)
	v_readfirstlane_b32 s8, v119
	s_cmp_eq_u32 s8, 0
	s_cselect_b64 s[18:19], -1, 0
	v_cmp_gt_i32_e32 vcc, s8, v118
	s_or_b64 s[18:19], s[18:19], vcc
	s_and_b64 exec, exec, s[18:19]
	s_cbranch_execz .LBB120_10
; %bb.8:
	s_mov_b64 s[18:19], 0
	v_mov_b32_e32 v119, s8
.LBB120_9:                              ; =>This Inner Loop Header: Depth=1
	ds_cmpst_rtn_b32 v119, v116, v119, v118 offset:456
	s_waitcnt lgkmcnt(0)
	v_cmp_ne_u32_e32 vcc, 0, v119
	v_cmp_le_i32_e64 s[8:9], v119, v118
	s_and_b64 s[8:9], vcc, s[8:9]
	s_and_b64 s[8:9], exec, s[8:9]
	s_or_b64 s[18:19], s[8:9], s[18:19]
	s_andn2_b64 exec, exec, s[18:19]
	s_cbranch_execnz .LBB120_9
.LBB120_10:
	s_or_b64 exec, exec, s[16:17]
	v_mov_b32_e32 v118, 0
	; wave barrier
	ds_read_b32 v116, v118 offset:456
	s_and_saveexec_b64 s[8:9], s[4:5]
	s_cbranch_execz .LBB120_12
; %bb.11:
	s_lshl_b64 s[16:17], s[6:7], 2
	s_add_u32 s16, s10, s16
	s_addc_u32 s17, s11, s17
	s_waitcnt lgkmcnt(0)
	global_store_dword v118, v116, s[16:17]
.LBB120_12:
	s_or_b64 exec, exec, s[8:9]
	s_waitcnt lgkmcnt(0)
	v_cmp_ne_u32_e32 vcc, 0, v116
	s_mov_b64 s[8:9], 0
	s_cbranch_vccnz .LBB120_234
; %bb.13:
	buffer_load_dword v118, v115, s[0:3], 0 offen
	buffer_load_dword v119, v115, s[0:3], 0 offen offset:4
	s_waitcnt vmcnt(0)
	v_div_scale_f64 v[120:121], s[8:9], v[118:119], v[118:119], 1.0
	v_rcp_f64_e32 v[122:123], v[120:121]
	v_fma_f64 v[124:125], -v[120:121], v[122:123], 1.0
	v_fma_f64 v[122:123], v[122:123], v[124:125], v[122:123]
	v_div_scale_f64 v[124:125], vcc, 1.0, v[118:119], 1.0
	v_fma_f64 v[126:127], -v[120:121], v[122:123], 1.0
	v_fma_f64 v[122:123], v[122:123], v[126:127], v[122:123]
	v_mul_f64 v[126:127], v[124:125], v[122:123]
	v_fma_f64 v[120:121], -v[120:121], v[126:127], v[124:125]
	v_div_fmas_f64 v[120:121], v[120:121], v[122:123], v[126:127]
	v_div_fixup_f64 v[119:120], v[120:121], v[118:119], 1.0
	v_add_u32_e32 v118, 0x1d0, v117
	buffer_store_dword v120, v115, s[0:3], 0 offen offset:4
	buffer_store_dword v119, v115, s[0:3], 0 offen
	buffer_load_dword v122, off, s[0:3], 0 offset:12
	buffer_load_dword v121, off, s[0:3], 0 offset:8
	v_xor_b32_e32 v120, 0x80000000, v120
	s_waitcnt vmcnt(0)
	ds_write2_b64 v117, v[119:120], v[121:122] offset1:58
	s_waitcnt lgkmcnt(0)
	; wave barrier
	s_and_saveexec_b64 s[8:9], s[4:5]
	s_cbranch_execz .LBB120_15
; %bb.14:
	buffer_load_dword v119, v115, s[0:3], 0 offen
	buffer_load_dword v120, v115, s[0:3], 0 offen offset:4
	ds_read_b64 v[121:122], v118
	v_mov_b32_e32 v116, 0
	ds_read_b64 v[123:124], v116 offset:8
	s_waitcnt vmcnt(0) lgkmcnt(1)
	v_fma_f64 v[119:120], v[119:120], v[121:122], 0
	s_waitcnt lgkmcnt(0)
	v_mul_f64 v[119:120], v[119:120], v[123:124]
	buffer_store_dword v119, off, s[0:3], 0 offset:8
	buffer_store_dword v120, off, s[0:3], 0 offset:12
.LBB120_15:
	s_or_b64 exec, exec, s[8:9]
	; wave barrier
	buffer_load_dword v119, off, s[0:3], 0 offset:16
	buffer_load_dword v120, off, s[0:3], 0 offset:20
	v_cmp_gt_u32_e32 vcc, 2, v0
	s_waitcnt vmcnt(0)
	ds_write_b64 v118, v[119:120]
	s_waitcnt lgkmcnt(0)
	; wave barrier
	s_and_saveexec_b64 s[8:9], vcc
	s_cbranch_execz .LBB120_17
; %bb.16:
	buffer_load_dword v119, v115, s[0:3], 0 offen
	buffer_load_dword v120, v115, s[0:3], 0 offen offset:4
                                        ; kill: killed $vgpr115
	s_nop 0
	buffer_load_dword v115, off, s[0:3], 0 offset:8
	buffer_load_dword v116, off, s[0:3], 0 offset:12
	ds_read_b64 v[121:122], v118
	s_waitcnt vmcnt(2) lgkmcnt(0)
	v_fma_f64 v[123:124], v[119:120], v[121:122], 0
	v_mov_b32_e32 v119, 0
	ds_read2_b64 v[119:122], v119 offset0:2 offset1:59
	s_waitcnt vmcnt(0) lgkmcnt(0)
	v_fma_f64 v[115:116], v[115:116], v[121:122], v[123:124]
	v_cndmask_b32_e64 v116, v124, v116, s[4:5]
	v_cndmask_b32_e64 v115, v123, v115, s[4:5]
	v_mul_f64 v[115:116], v[115:116], v[119:120]
	buffer_store_dword v116, off, s[0:3], 0 offset:20
	buffer_store_dword v115, off, s[0:3], 0 offset:16
.LBB120_17:
	s_or_b64 exec, exec, s[8:9]
	; wave barrier
	buffer_load_dword v115, off, s[0:3], 0 offset:24
	buffer_load_dword v116, off, s[0:3], 0 offset:28
	v_cmp_gt_u32_e32 vcc, 3, v0
	v_add_u32_e32 v119, -1, v0
	s_waitcnt vmcnt(0)
	ds_write_b64 v118, v[115:116]
	s_waitcnt lgkmcnt(0)
	; wave barrier
	s_and_saveexec_b64 s[4:5], vcc
	s_cbranch_execz .LBB120_21
; %bb.18:
	v_mov_b32_e32 v115, 0
	v_add_u32_e32 v120, -1, v0
	v_add_u32_e32 v121, 0x1d0, v117
	v_mov_b32_e32 v122, v117
	v_mov_b32_e32 v116, 0
	s_mov_b64 s[8:9], 0
.LBB120_19:                             ; =>This Inner Loop Header: Depth=1
	buffer_load_dword v123, v122, s[0:3], 0 offen
	buffer_load_dword v124, v122, s[0:3], 0 offen offset:4
	ds_read_b64 v[125:126], v121
	v_add_u32_e32 v120, 1, v120
	v_cmp_lt_u32_e32 vcc, 1, v120
	v_add_u32_e32 v121, 8, v121
	s_or_b64 s[8:9], vcc, s[8:9]
	v_add_u32_e32 v122, 8, v122
	s_waitcnt vmcnt(0) lgkmcnt(0)
	v_fma_f64 v[115:116], v[123:124], v[125:126], v[115:116]
	s_andn2_b64 exec, exec, s[8:9]
	s_cbranch_execnz .LBB120_19
; %bb.20:
	s_or_b64 exec, exec, s[8:9]
	v_mov_b32_e32 v120, 0
	ds_read_b64 v[120:121], v120 offset:24
	s_waitcnt lgkmcnt(0)
	v_mul_f64 v[115:116], v[115:116], v[120:121]
	buffer_store_dword v116, off, s[0:3], 0 offset:28
	buffer_store_dword v115, off, s[0:3], 0 offset:24
.LBB120_21:
	s_or_b64 exec, exec, s[4:5]
	; wave barrier
	buffer_load_dword v115, off, s[0:3], 0 offset:32
	buffer_load_dword v116, off, s[0:3], 0 offset:36
	v_cmp_gt_u32_e32 vcc, 4, v0
	s_waitcnt vmcnt(0)
	ds_write_b64 v118, v[115:116]
	s_waitcnt lgkmcnt(0)
	; wave barrier
	s_and_saveexec_b64 s[4:5], vcc
	s_cbranch_execz .LBB120_25
; %bb.22:
	v_mov_b32_e32 v115, 0
	v_add_u32_e32 v120, -1, v0
	v_add_u32_e32 v121, 0x1d0, v117
	v_mov_b32_e32 v122, v117
	v_mov_b32_e32 v116, 0
	s_mov_b64 s[8:9], 0
.LBB120_23:                             ; =>This Inner Loop Header: Depth=1
	buffer_load_dword v123, v122, s[0:3], 0 offen
	buffer_load_dword v124, v122, s[0:3], 0 offen offset:4
	ds_read_b64 v[125:126], v121
	v_add_u32_e32 v120, 1, v120
	v_cmp_lt_u32_e32 vcc, 2, v120
	v_add_u32_e32 v121, 8, v121
	s_or_b64 s[8:9], vcc, s[8:9]
	v_add_u32_e32 v122, 8, v122
	s_waitcnt vmcnt(0) lgkmcnt(0)
	v_fma_f64 v[115:116], v[123:124], v[125:126], v[115:116]
	s_andn2_b64 exec, exec, s[8:9]
	s_cbranch_execnz .LBB120_23
; %bb.24:
	s_or_b64 exec, exec, s[8:9]
	v_mov_b32_e32 v120, 0
	ds_read_b64 v[120:121], v120 offset:32
	s_waitcnt lgkmcnt(0)
	v_mul_f64 v[115:116], v[115:116], v[120:121]
	buffer_store_dword v116, off, s[0:3], 0 offset:36
	buffer_store_dword v115, off, s[0:3], 0 offset:32
.LBB120_25:
	s_or_b64 exec, exec, s[4:5]
	; wave barrier
	buffer_load_dword v115, off, s[0:3], 0 offset:40
	buffer_load_dword v116, off, s[0:3], 0 offset:44
	v_cmp_gt_u32_e32 vcc, 5, v0
	;; [unrolled: 40-line block ×21, first 2 shown]
	s_waitcnt vmcnt(0)
	ds_write_b64 v118, v[115:116]
	s_waitcnt lgkmcnt(0)
	; wave barrier
	s_and_saveexec_b64 s[4:5], vcc
	s_cbranch_execz .LBB120_105
; %bb.102:
	v_mov_b32_e32 v115, 0
	v_add_u32_e32 v120, -1, v0
	v_add_u32_e32 v121, 0x1d0, v117
	v_mov_b32_e32 v122, v117
	v_mov_b32_e32 v116, 0
	s_mov_b64 s[8:9], 0
.LBB120_103:                            ; =>This Inner Loop Header: Depth=1
	buffer_load_dword v123, v122, s[0:3], 0 offen
	buffer_load_dword v124, v122, s[0:3], 0 offen offset:4
	ds_read_b64 v[125:126], v121
	v_add_u32_e32 v120, 1, v120
	v_cmp_lt_u32_e32 vcc, 22, v120
	v_add_u32_e32 v121, 8, v121
	s_or_b64 s[8:9], vcc, s[8:9]
	v_add_u32_e32 v122, 8, v122
	s_waitcnt vmcnt(0) lgkmcnt(0)
	v_fma_f64 v[115:116], v[123:124], v[125:126], v[115:116]
	s_andn2_b64 exec, exec, s[8:9]
	s_cbranch_execnz .LBB120_103
; %bb.104:
	s_or_b64 exec, exec, s[8:9]
	v_mov_b32_e32 v120, 0
	ds_read_b64 v[120:121], v120 offset:192
	s_waitcnt lgkmcnt(0)
	v_mul_f64 v[115:116], v[115:116], v[120:121]
	buffer_store_dword v116, off, s[0:3], 0 offset:196
	buffer_store_dword v115, off, s[0:3], 0 offset:192
.LBB120_105:
	s_or_b64 exec, exec, s[4:5]
	; wave barrier
	buffer_load_dword v115, off, s[0:3], 0 offset:200
	buffer_load_dword v116, off, s[0:3], 0 offset:204
	v_cmp_gt_u32_e32 vcc, 25, v0
	s_waitcnt vmcnt(0)
	ds_write_b64 v118, v[115:116]
	s_waitcnt lgkmcnt(0)
	; wave barrier
	s_and_saveexec_b64 s[4:5], vcc
	s_cbranch_execz .LBB120_109
; %bb.106:
	v_mov_b32_e32 v115, 0
	v_add_u32_e32 v120, -1, v0
	v_add_u32_e32 v121, 0x1d0, v117
	v_mov_b32_e32 v122, v117
	v_mov_b32_e32 v116, 0
	s_mov_b64 s[8:9], 0
.LBB120_107:                            ; =>This Inner Loop Header: Depth=1
	buffer_load_dword v123, v122, s[0:3], 0 offen
	buffer_load_dword v124, v122, s[0:3], 0 offen offset:4
	ds_read_b64 v[125:126], v121
	v_add_u32_e32 v120, 1, v120
	v_cmp_lt_u32_e32 vcc, 23, v120
	v_add_u32_e32 v121, 8, v121
	s_or_b64 s[8:9], vcc, s[8:9]
	v_add_u32_e32 v122, 8, v122
	s_waitcnt vmcnt(0) lgkmcnt(0)
	v_fma_f64 v[115:116], v[123:124], v[125:126], v[115:116]
	s_andn2_b64 exec, exec, s[8:9]
	s_cbranch_execnz .LBB120_107
; %bb.108:
	s_or_b64 exec, exec, s[8:9]
	v_mov_b32_e32 v120, 0
	ds_read_b64 v[120:121], v120 offset:200
	s_waitcnt lgkmcnt(0)
	v_mul_f64 v[115:116], v[115:116], v[120:121]
	buffer_store_dword v116, off, s[0:3], 0 offset:204
	buffer_store_dword v115, off, s[0:3], 0 offset:200
.LBB120_109:
	s_or_b64 exec, exec, s[4:5]
	; wave barrier
	buffer_load_dword v115, off, s[0:3], 0 offset:208
	buffer_load_dword v116, off, s[0:3], 0 offset:212
	v_cmp_gt_u32_e32 vcc, 26, v0
	;; [unrolled: 40-line block ×31, first 2 shown]
	s_waitcnt vmcnt(0)
	ds_write_b64 v118, v[115:116]
	s_waitcnt lgkmcnt(0)
	; wave barrier
	s_and_saveexec_b64 s[4:5], vcc
	s_cbranch_execz .LBB120_229
; %bb.226:
	v_mov_b32_e32 v115, 0
	v_add_u32_e32 v120, -1, v0
	v_add_u32_e32 v121, 0x1d0, v117
	v_mov_b32_e32 v122, v117
	v_mov_b32_e32 v116, 0
	s_mov_b64 s[8:9], 0
.LBB120_227:                            ; =>This Inner Loop Header: Depth=1
	buffer_load_dword v123, v122, s[0:3], 0 offen
	buffer_load_dword v124, v122, s[0:3], 0 offen offset:4
	ds_read_b64 v[125:126], v121
	v_add_u32_e32 v120, 1, v120
	v_cmp_lt_u32_e32 vcc, 53, v120
	v_add_u32_e32 v121, 8, v121
	s_or_b64 s[8:9], vcc, s[8:9]
	v_add_u32_e32 v122, 8, v122
	s_waitcnt vmcnt(0) lgkmcnt(0)
	v_fma_f64 v[115:116], v[123:124], v[125:126], v[115:116]
	s_andn2_b64 exec, exec, s[8:9]
	s_cbranch_execnz .LBB120_227
; %bb.228:
	s_or_b64 exec, exec, s[8:9]
	v_mov_b32_e32 v120, 0
	ds_read_b64 v[120:121], v120 offset:440
	s_waitcnt lgkmcnt(0)
	v_mul_f64 v[115:116], v[115:116], v[120:121]
	buffer_store_dword v116, off, s[0:3], 0 offset:444
	buffer_store_dword v115, off, s[0:3], 0 offset:440
.LBB120_229:
	s_or_b64 exec, exec, s[4:5]
	; wave barrier
	buffer_load_dword v115, off, s[0:3], 0 offset:448
	buffer_load_dword v116, off, s[0:3], 0 offset:452
	v_cmp_ne_u32_e32 vcc, 56, v0
	s_waitcnt vmcnt(0)
	ds_write_b64 v118, v[115:116]
	s_waitcnt lgkmcnt(0)
	; wave barrier
	s_and_saveexec_b64 s[4:5], vcc
	s_cbranch_execz .LBB120_233
; %bb.230:
	v_mov_b32_e32 v115, 0
	v_add_u32_e32 v118, 0x1d0, v117
	v_mov_b32_e32 v116, 0
	s_mov_b64 s[8:9], 0
.LBB120_231:                            ; =>This Inner Loop Header: Depth=1
	buffer_load_dword v120, v117, s[0:3], 0 offen
	buffer_load_dword v121, v117, s[0:3], 0 offen offset:4
	ds_read_b64 v[122:123], v118
	v_add_u32_e32 v119, 1, v119
	v_cmp_lt_u32_e32 vcc, 54, v119
	v_add_u32_e32 v118, 8, v118
	s_or_b64 s[8:9], vcc, s[8:9]
	v_add_u32_e32 v117, 8, v117
	s_waitcnt vmcnt(0) lgkmcnt(0)
	v_fma_f64 v[115:116], v[120:121], v[122:123], v[115:116]
	s_andn2_b64 exec, exec, s[8:9]
	s_cbranch_execnz .LBB120_231
; %bb.232:
	s_or_b64 exec, exec, s[8:9]
	v_mov_b32_e32 v117, 0
	ds_read_b64 v[117:118], v117 offset:448
	s_waitcnt lgkmcnt(0)
	v_mul_f64 v[115:116], v[115:116], v[117:118]
	buffer_store_dword v116, off, s[0:3], 0 offset:452
	buffer_store_dword v115, off, s[0:3], 0 offset:448
.LBB120_233:
	s_or_b64 exec, exec, s[4:5]
	s_mov_b64 s[8:9], -1
	; wave barrier
.LBB120_234:
	s_and_b64 vcc, exec, s[8:9]
	s_cbranch_vccz .LBB120_236
; %bb.235:
	s_lshl_b64 s[4:5], s[6:7], 2
	s_add_u32 s4, s10, s4
	s_addc_u32 s5, s11, s5
	v_mov_b32_e32 v115, 0
	global_load_dword v115, v115, s[4:5]
	s_waitcnt vmcnt(0)
	v_cmp_ne_u32_e32 vcc, 0, v115
	s_cbranch_vccz .LBB120_237
.LBB120_236:
	s_endpgm
.LBB120_237:
	v_mov_b32_e32 v115, 0x1d0
	v_lshl_add_u32 v115, v0, 3, v115
	v_cmp_eq_u32_e32 vcc, 56, v0
	s_and_saveexec_b64 s[4:5], vcc
	s_cbranch_execz .LBB120_239
; %bb.238:
	buffer_load_dword v116, off, s[0:3], 0 offset:440
	buffer_load_dword v117, off, s[0:3], 0 offset:444
	v_mov_b32_e32 v118, 0
	buffer_store_dword v118, off, s[0:3], 0 offset:440
	buffer_store_dword v118, off, s[0:3], 0 offset:444
	s_waitcnt vmcnt(2)
	ds_write_b64 v115, v[116:117]
.LBB120_239:
	s_or_b64 exec, exec, s[4:5]
	s_waitcnt lgkmcnt(0)
	; wave barrier
	buffer_load_dword v117, off, s[0:3], 0 offset:448
	buffer_load_dword v118, off, s[0:3], 0 offset:452
	;; [unrolled: 1-line block ×4, first 2 shown]
	v_mov_b32_e32 v116, 0
	ds_read_b64 v[121:122], v116 offset:912
	v_cmp_lt_u32_e32 vcc, 54, v0
	s_waitcnt vmcnt(2) lgkmcnt(0)
	v_fma_f64 v[117:118], v[117:118], v[121:122], 0
	s_waitcnt vmcnt(0)
	v_add_f64 v[117:118], v[119:120], -v[117:118]
	buffer_store_dword v117, off, s[0:3], 0 offset:440
	buffer_store_dword v118, off, s[0:3], 0 offset:444
	s_and_saveexec_b64 s[4:5], vcc
	s_cbranch_execz .LBB120_241
; %bb.240:
	buffer_load_dword v117, off, s[0:3], 0 offset:432
	buffer_load_dword v118, off, s[0:3], 0 offset:436
	s_waitcnt vmcnt(0)
	ds_write_b64 v115, v[117:118]
	buffer_store_dword v116, off, s[0:3], 0 offset:432
	buffer_store_dword v116, off, s[0:3], 0 offset:436
.LBB120_241:
	s_or_b64 exec, exec, s[4:5]
	s_waitcnt lgkmcnt(0)
	; wave barrier
	buffer_load_dword v120, off, s[0:3], 0 offset:440
	buffer_load_dword v121, off, s[0:3], 0 offset:444
	;; [unrolled: 1-line block ×6, first 2 shown]
	ds_read2_b64 v[116:119], v116 offset0:113 offset1:114
	v_cmp_lt_u32_e32 vcc, 53, v0
	s_waitcnt vmcnt(4) lgkmcnt(0)
	v_fma_f64 v[116:117], v[120:121], v[116:117], 0
	s_waitcnt vmcnt(2)
	v_fma_f64 v[116:117], v[122:123], v[118:119], v[116:117]
	s_waitcnt vmcnt(0)
	v_add_f64 v[116:117], v[124:125], -v[116:117]
	buffer_store_dword v116, off, s[0:3], 0 offset:432
	buffer_store_dword v117, off, s[0:3], 0 offset:436
	s_and_saveexec_b64 s[4:5], vcc
	s_cbranch_execz .LBB120_243
; %bb.242:
	buffer_load_dword v116, off, s[0:3], 0 offset:424
	buffer_load_dword v117, off, s[0:3], 0 offset:428
	v_mov_b32_e32 v118, 0
	buffer_store_dword v118, off, s[0:3], 0 offset:424
	buffer_store_dword v118, off, s[0:3], 0 offset:428
	s_waitcnt vmcnt(2)
	ds_write_b64 v115, v[116:117]
.LBB120_243:
	s_or_b64 exec, exec, s[4:5]
	s_waitcnt lgkmcnt(0)
	; wave barrier
	buffer_load_dword v121, off, s[0:3], 0 offset:432
	buffer_load_dword v122, off, s[0:3], 0 offset:436
	;; [unrolled: 1-line block ×8, first 2 shown]
	v_mov_b32_e32 v116, 0
	ds_read_b128 v[117:120], v116 offset:896
	ds_read_b64 v[129:130], v116 offset:912
	v_cmp_lt_u32_e32 vcc, 52, v0
	s_waitcnt vmcnt(6) lgkmcnt(1)
	v_fma_f64 v[117:118], v[121:122], v[117:118], 0
	s_waitcnt vmcnt(4)
	v_fma_f64 v[117:118], v[123:124], v[119:120], v[117:118]
	s_waitcnt vmcnt(2) lgkmcnt(0)
	v_fma_f64 v[117:118], v[125:126], v[129:130], v[117:118]
	s_waitcnt vmcnt(0)
	v_add_f64 v[117:118], v[127:128], -v[117:118]
	buffer_store_dword v117, off, s[0:3], 0 offset:424
	buffer_store_dword v118, off, s[0:3], 0 offset:428
	s_and_saveexec_b64 s[4:5], vcc
	s_cbranch_execz .LBB120_245
; %bb.244:
	buffer_load_dword v117, off, s[0:3], 0 offset:416
	buffer_load_dword v118, off, s[0:3], 0 offset:420
	s_waitcnt vmcnt(0)
	ds_write_b64 v115, v[117:118]
	buffer_store_dword v116, off, s[0:3], 0 offset:416
	buffer_store_dword v116, off, s[0:3], 0 offset:420
.LBB120_245:
	s_or_b64 exec, exec, s[4:5]
	s_waitcnt lgkmcnt(0)
	; wave barrier
	buffer_load_dword v125, off, s[0:3], 0 offset:424
	buffer_load_dword v126, off, s[0:3], 0 offset:428
	;; [unrolled: 1-line block ×10, first 2 shown]
	ds_read2_b64 v[117:120], v116 offset0:111 offset1:112
	ds_read2_b64 v[121:124], v116 offset0:113 offset1:114
	v_cmp_lt_u32_e32 vcc, 51, v0
	s_waitcnt vmcnt(8) lgkmcnt(1)
	v_fma_f64 v[116:117], v[125:126], v[117:118], 0
	s_waitcnt vmcnt(6)
	v_fma_f64 v[116:117], v[127:128], v[119:120], v[116:117]
	s_waitcnt vmcnt(4) lgkmcnt(0)
	v_fma_f64 v[116:117], v[129:130], v[121:122], v[116:117]
	s_waitcnt vmcnt(2)
	v_fma_f64 v[116:117], v[131:132], v[123:124], v[116:117]
	s_waitcnt vmcnt(0)
	v_add_f64 v[116:117], v[133:134], -v[116:117]
	buffer_store_dword v116, off, s[0:3], 0 offset:416
	buffer_store_dword v117, off, s[0:3], 0 offset:420
	s_and_saveexec_b64 s[4:5], vcc
	s_cbranch_execz .LBB120_247
; %bb.246:
	buffer_load_dword v116, off, s[0:3], 0 offset:408
	buffer_load_dword v117, off, s[0:3], 0 offset:412
	v_mov_b32_e32 v118, 0
	buffer_store_dword v118, off, s[0:3], 0 offset:408
	buffer_store_dword v118, off, s[0:3], 0 offset:412
	s_waitcnt vmcnt(2)
	ds_write_b64 v115, v[116:117]
.LBB120_247:
	s_or_b64 exec, exec, s[4:5]
	s_waitcnt lgkmcnt(0)
	; wave barrier
	buffer_load_dword v125, off, s[0:3], 0 offset:416
	buffer_load_dword v126, off, s[0:3], 0 offset:420
	buffer_load_dword v127, off, s[0:3], 0 offset:424
	buffer_load_dword v128, off, s[0:3], 0 offset:428
	buffer_load_dword v129, off, s[0:3], 0 offset:432
	buffer_load_dword v130, off, s[0:3], 0 offset:436
	buffer_load_dword v131, off, s[0:3], 0 offset:440
	buffer_load_dword v132, off, s[0:3], 0 offset:444
	buffer_load_dword v133, off, s[0:3], 0 offset:448
	buffer_load_dword v134, off, s[0:3], 0 offset:452
	buffer_load_dword v135, off, s[0:3], 0 offset:408
	buffer_load_dword v136, off, s[0:3], 0 offset:412
	v_mov_b32_e32 v116, 0
	ds_read_b128 v[117:120], v116 offset:880
	ds_read_b128 v[121:124], v116 offset:896
	v_cmp_lt_u32_e32 vcc, 50, v0
	s_waitcnt vmcnt(10) lgkmcnt(1)
	v_fma_f64 v[117:118], v[125:126], v[117:118], 0
	s_waitcnt vmcnt(8)
	v_fma_f64 v[117:118], v[127:128], v[119:120], v[117:118]
	ds_read_b64 v[119:120], v116 offset:912
	s_waitcnt vmcnt(6) lgkmcnt(1)
	v_fma_f64 v[117:118], v[129:130], v[121:122], v[117:118]
	s_waitcnt vmcnt(4)
	v_fma_f64 v[117:118], v[131:132], v[123:124], v[117:118]
	s_waitcnt vmcnt(2) lgkmcnt(0)
	v_fma_f64 v[117:118], v[133:134], v[119:120], v[117:118]
	s_waitcnt vmcnt(0)
	v_add_f64 v[117:118], v[135:136], -v[117:118]
	buffer_store_dword v117, off, s[0:3], 0 offset:408
	buffer_store_dword v118, off, s[0:3], 0 offset:412
	s_and_saveexec_b64 s[4:5], vcc
	s_cbranch_execz .LBB120_249
; %bb.248:
	buffer_load_dword v117, off, s[0:3], 0 offset:400
	buffer_load_dword v118, off, s[0:3], 0 offset:404
	s_waitcnt vmcnt(0)
	ds_write_b64 v115, v[117:118]
	buffer_store_dword v116, off, s[0:3], 0 offset:400
	buffer_store_dword v116, off, s[0:3], 0 offset:404
.LBB120_249:
	s_or_b64 exec, exec, s[4:5]
	s_waitcnt lgkmcnt(0)
	; wave barrier
	buffer_load_dword v125, off, s[0:3], 0 offset:408
	buffer_load_dword v126, off, s[0:3], 0 offset:412
	;; [unrolled: 1-line block ×14, first 2 shown]
	ds_read2_b64 v[117:120], v116 offset0:109 offset1:110
	ds_read2_b64 v[121:124], v116 offset0:111 offset1:112
	v_cmp_lt_u32_e32 vcc, 49, v0
	s_waitcnt vmcnt(12) lgkmcnt(1)
	v_fma_f64 v[117:118], v[125:126], v[117:118], 0
	s_waitcnt vmcnt(10)
	v_fma_f64 v[117:118], v[127:128], v[119:120], v[117:118]
	s_waitcnt vmcnt(8) lgkmcnt(0)
	v_fma_f64 v[117:118], v[129:130], v[121:122], v[117:118]
	s_waitcnt vmcnt(6)
	v_fma_f64 v[120:121], v[131:132], v[123:124], v[117:118]
	ds_read2_b64 v[116:119], v116 offset0:113 offset1:114
	s_waitcnt vmcnt(4) lgkmcnt(0)
	v_fma_f64 v[116:117], v[133:134], v[116:117], v[120:121]
	s_waitcnt vmcnt(2)
	v_fma_f64 v[116:117], v[135:136], v[118:119], v[116:117]
	s_waitcnt vmcnt(0)
	v_add_f64 v[116:117], v[137:138], -v[116:117]
	buffer_store_dword v116, off, s[0:3], 0 offset:400
	buffer_store_dword v117, off, s[0:3], 0 offset:404
	s_and_saveexec_b64 s[4:5], vcc
	s_cbranch_execz .LBB120_251
; %bb.250:
	buffer_load_dword v116, off, s[0:3], 0 offset:392
	buffer_load_dword v117, off, s[0:3], 0 offset:396
	v_mov_b32_e32 v118, 0
	buffer_store_dword v118, off, s[0:3], 0 offset:392
	buffer_store_dword v118, off, s[0:3], 0 offset:396
	s_waitcnt vmcnt(2)
	ds_write_b64 v115, v[116:117]
.LBB120_251:
	s_or_b64 exec, exec, s[4:5]
	s_waitcnt lgkmcnt(0)
	; wave barrier
	buffer_load_dword v125, off, s[0:3], 0 offset:400
	buffer_load_dword v126, off, s[0:3], 0 offset:404
	;; [unrolled: 1-line block ×16, first 2 shown]
	v_mov_b32_e32 v116, 0
	ds_read_b128 v[117:120], v116 offset:864
	ds_read_b128 v[121:124], v116 offset:880
	v_cmp_lt_u32_e32 vcc, 48, v0
	s_waitcnt vmcnt(14) lgkmcnt(1)
	v_fma_f64 v[117:118], v[125:126], v[117:118], 0
	s_waitcnt vmcnt(12)
	v_fma_f64 v[117:118], v[127:128], v[119:120], v[117:118]
	s_waitcnt vmcnt(10) lgkmcnt(0)
	v_fma_f64 v[117:118], v[129:130], v[121:122], v[117:118]
	s_waitcnt vmcnt(8)
	v_fma_f64 v[121:122], v[131:132], v[123:124], v[117:118]
	ds_read_b128 v[117:120], v116 offset:896
	ds_read_b64 v[123:124], v116 offset:912
	s_waitcnt vmcnt(6) lgkmcnt(1)
	v_fma_f64 v[117:118], v[133:134], v[117:118], v[121:122]
	s_waitcnt vmcnt(4)
	v_fma_f64 v[117:118], v[135:136], v[119:120], v[117:118]
	s_waitcnt vmcnt(2) lgkmcnt(0)
	v_fma_f64 v[117:118], v[137:138], v[123:124], v[117:118]
	s_waitcnt vmcnt(0)
	v_add_f64 v[117:118], v[139:140], -v[117:118]
	buffer_store_dword v117, off, s[0:3], 0 offset:392
	buffer_store_dword v118, off, s[0:3], 0 offset:396
	s_and_saveexec_b64 s[4:5], vcc
	s_cbranch_execz .LBB120_253
; %bb.252:
	buffer_load_dword v117, off, s[0:3], 0 offset:384
	buffer_load_dword v118, off, s[0:3], 0 offset:388
	s_waitcnt vmcnt(0)
	ds_write_b64 v115, v[117:118]
	buffer_store_dword v116, off, s[0:3], 0 offset:384
	buffer_store_dword v116, off, s[0:3], 0 offset:388
.LBB120_253:
	s_or_b64 exec, exec, s[4:5]
	s_waitcnt lgkmcnt(0)
	; wave barrier
	buffer_load_dword v125, off, s[0:3], 0 offset:392
	buffer_load_dword v126, off, s[0:3], 0 offset:396
	;; [unrolled: 1-line block ×18, first 2 shown]
	ds_read2_b64 v[117:120], v116 offset0:107 offset1:108
	ds_read2_b64 v[121:124], v116 offset0:109 offset1:110
	v_cmp_lt_u32_e32 vcc, 47, v0
	s_waitcnt vmcnt(16) lgkmcnt(1)
	v_fma_f64 v[117:118], v[125:126], v[117:118], 0
	s_waitcnt vmcnt(14)
	v_fma_f64 v[117:118], v[127:128], v[119:120], v[117:118]
	s_waitcnt vmcnt(12) lgkmcnt(0)
	v_fma_f64 v[117:118], v[129:130], v[121:122], v[117:118]
	s_waitcnt vmcnt(10)
	v_fma_f64 v[125:126], v[131:132], v[123:124], v[117:118]
	ds_read2_b64 v[117:120], v116 offset0:111 offset1:112
	ds_read2_b64 v[121:124], v116 offset0:113 offset1:114
	s_waitcnt vmcnt(8) lgkmcnt(1)
	v_fma_f64 v[116:117], v[133:134], v[117:118], v[125:126]
	s_waitcnt vmcnt(6)
	v_fma_f64 v[116:117], v[135:136], v[119:120], v[116:117]
	s_waitcnt vmcnt(4) lgkmcnt(0)
	v_fma_f64 v[116:117], v[137:138], v[121:122], v[116:117]
	s_waitcnt vmcnt(2)
	v_fma_f64 v[116:117], v[139:140], v[123:124], v[116:117]
	s_waitcnt vmcnt(0)
	v_add_f64 v[116:117], v[141:142], -v[116:117]
	buffer_store_dword v116, off, s[0:3], 0 offset:384
	buffer_store_dword v117, off, s[0:3], 0 offset:388
	s_and_saveexec_b64 s[4:5], vcc
	s_cbranch_execz .LBB120_255
; %bb.254:
	buffer_load_dword v116, off, s[0:3], 0 offset:376
	buffer_load_dword v117, off, s[0:3], 0 offset:380
	v_mov_b32_e32 v118, 0
	buffer_store_dword v118, off, s[0:3], 0 offset:376
	buffer_store_dword v118, off, s[0:3], 0 offset:380
	s_waitcnt vmcnt(2)
	ds_write_b64 v115, v[116:117]
.LBB120_255:
	s_or_b64 exec, exec, s[4:5]
	s_waitcnt lgkmcnt(0)
	; wave barrier
	buffer_load_dword v125, off, s[0:3], 0 offset:384
	buffer_load_dword v126, off, s[0:3], 0 offset:388
	;; [unrolled: 1-line block ×20, first 2 shown]
	v_mov_b32_e32 v116, 0
	ds_read_b128 v[117:120], v116 offset:848
	ds_read_b128 v[121:124], v116 offset:864
	v_cmp_lt_u32_e32 vcc, 46, v0
	s_waitcnt vmcnt(18) lgkmcnt(1)
	v_fma_f64 v[117:118], v[125:126], v[117:118], 0
	s_waitcnt vmcnt(16)
	v_fma_f64 v[117:118], v[127:128], v[119:120], v[117:118]
	s_waitcnt vmcnt(14) lgkmcnt(0)
	v_fma_f64 v[117:118], v[129:130], v[121:122], v[117:118]
	s_waitcnt vmcnt(12)
	v_fma_f64 v[125:126], v[131:132], v[123:124], v[117:118]
	ds_read_b128 v[117:120], v116 offset:880
	ds_read_b128 v[121:124], v116 offset:896
	s_waitcnt vmcnt(10) lgkmcnt(1)
	v_fma_f64 v[117:118], v[133:134], v[117:118], v[125:126]
	s_waitcnt vmcnt(8)
	v_fma_f64 v[117:118], v[135:136], v[119:120], v[117:118]
	ds_read_b64 v[119:120], v116 offset:912
	s_waitcnt vmcnt(6) lgkmcnt(1)
	v_fma_f64 v[117:118], v[137:138], v[121:122], v[117:118]
	s_waitcnt vmcnt(3)
	v_fma_f64 v[117:118], v[139:140], v[123:124], v[117:118]
	s_waitcnt vmcnt(2) lgkmcnt(0)
	v_fma_f64 v[117:118], v[141:142], v[119:120], v[117:118]
	s_waitcnt vmcnt(0)
	v_add_f64 v[117:118], v[143:144], -v[117:118]
	buffer_store_dword v117, off, s[0:3], 0 offset:376
	buffer_store_dword v118, off, s[0:3], 0 offset:380
	s_and_saveexec_b64 s[4:5], vcc
	s_cbranch_execz .LBB120_257
; %bb.256:
	buffer_load_dword v117, off, s[0:3], 0 offset:368
	buffer_load_dword v118, off, s[0:3], 0 offset:372
	s_waitcnt vmcnt(0)
	ds_write_b64 v115, v[117:118]
	buffer_store_dword v116, off, s[0:3], 0 offset:368
	buffer_store_dword v116, off, s[0:3], 0 offset:372
.LBB120_257:
	s_or_b64 exec, exec, s[4:5]
	s_waitcnt lgkmcnt(0)
	; wave barrier
	buffer_load_dword v125, off, s[0:3], 0 offset:376
	buffer_load_dword v126, off, s[0:3], 0 offset:380
	;; [unrolled: 1-line block ×20, first 2 shown]
	ds_read2_b64 v[117:120], v116 offset0:105 offset1:106
	buffer_load_dword v145, off, s[0:3], 0 offset:368
	buffer_load_dword v146, off, s[0:3], 0 offset:372
	ds_read2_b64 v[121:124], v116 offset0:107 offset1:108
	v_cmp_lt_u32_e32 vcc, 45, v0
	s_waitcnt vmcnt(20) lgkmcnt(1)
	v_fma_f64 v[117:118], v[125:126], v[117:118], 0
	s_waitcnt vmcnt(18)
	v_fma_f64 v[117:118], v[127:128], v[119:120], v[117:118]
	s_waitcnt vmcnt(16) lgkmcnt(0)
	v_fma_f64 v[117:118], v[129:130], v[121:122], v[117:118]
	s_waitcnt vmcnt(14)
	v_fma_f64 v[125:126], v[131:132], v[123:124], v[117:118]
	ds_read2_b64 v[117:120], v116 offset0:109 offset1:110
	ds_read2_b64 v[121:124], v116 offset0:111 offset1:112
	s_waitcnt vmcnt(12) lgkmcnt(1)
	v_fma_f64 v[117:118], v[133:134], v[117:118], v[125:126]
	s_waitcnt vmcnt(10)
	v_fma_f64 v[117:118], v[135:136], v[119:120], v[117:118]
	s_waitcnt vmcnt(8) lgkmcnt(0)
	v_fma_f64 v[117:118], v[137:138], v[121:122], v[117:118]
	s_waitcnt vmcnt(4)
	v_fma_f64 v[120:121], v[139:140], v[123:124], v[117:118]
	ds_read2_b64 v[116:119], v116 offset0:113 offset1:114
	s_waitcnt vmcnt(3) lgkmcnt(0)
	v_fma_f64 v[116:117], v[143:144], v[116:117], v[120:121]
	s_waitcnt vmcnt(2)
	v_fma_f64 v[116:117], v[141:142], v[118:119], v[116:117]
	s_waitcnt vmcnt(0)
	v_add_f64 v[116:117], v[145:146], -v[116:117]
	buffer_store_dword v116, off, s[0:3], 0 offset:368
	buffer_store_dword v117, off, s[0:3], 0 offset:372
	s_and_saveexec_b64 s[4:5], vcc
	s_cbranch_execz .LBB120_259
; %bb.258:
	buffer_load_dword v116, off, s[0:3], 0 offset:360
	buffer_load_dword v117, off, s[0:3], 0 offset:364
	v_mov_b32_e32 v118, 0
	buffer_store_dword v118, off, s[0:3], 0 offset:360
	buffer_store_dword v118, off, s[0:3], 0 offset:364
	s_waitcnt vmcnt(2)
	ds_write_b64 v115, v[116:117]
.LBB120_259:
	s_or_b64 exec, exec, s[4:5]
	s_waitcnt lgkmcnt(0)
	; wave barrier
	buffer_load_dword v125, off, s[0:3], 0 offset:368
	buffer_load_dword v126, off, s[0:3], 0 offset:372
	;; [unrolled: 1-line block ×21, first 2 shown]
	v_mov_b32_e32 v116, 0
	ds_read_b128 v[117:120], v116 offset:832
	ds_read_b128 v[121:124], v116 offset:848
	buffer_load_dword v142, off, s[0:3], 0 offset:452
	v_cmp_lt_u32_e32 vcc, 44, v0
	s_waitcnt vmcnt(20) lgkmcnt(1)
	v_fma_f64 v[117:118], v[125:126], v[117:118], 0
	buffer_load_dword v125, off, s[0:3], 0 offset:360
	buffer_load_dword v126, off, s[0:3], 0 offset:364
	s_waitcnt vmcnt(20)
	v_fma_f64 v[117:118], v[127:128], v[119:120], v[117:118]
	s_waitcnt vmcnt(18) lgkmcnt(0)
	v_fma_f64 v[117:118], v[129:130], v[121:122], v[117:118]
	s_waitcnt vmcnt(16)
	v_fma_f64 v[127:128], v[131:132], v[123:124], v[117:118]
	ds_read_b128 v[117:120], v116 offset:864
	ds_read_b128 v[121:124], v116 offset:880
	s_waitcnt vmcnt(14) lgkmcnt(1)
	v_fma_f64 v[117:118], v[133:134], v[117:118], v[127:128]
	s_waitcnt vmcnt(12)
	v_fma_f64 v[117:118], v[135:136], v[119:120], v[117:118]
	s_waitcnt vmcnt(10) lgkmcnt(0)
	v_fma_f64 v[117:118], v[137:138], v[121:122], v[117:118]
	s_waitcnt vmcnt(5)
	v_fma_f64 v[121:122], v[139:140], v[123:124], v[117:118]
	ds_read_b128 v[117:120], v116 offset:896
	ds_read_b64 v[123:124], v116 offset:912
	s_waitcnt vmcnt(4) lgkmcnt(1)
	v_fma_f64 v[117:118], v[145:146], v[117:118], v[121:122]
	s_waitcnt vmcnt(3)
	v_fma_f64 v[117:118], v[143:144], v[119:120], v[117:118]
	s_waitcnt vmcnt(2) lgkmcnt(0)
	v_fma_f64 v[117:118], v[141:142], v[123:124], v[117:118]
	s_waitcnt vmcnt(0)
	v_add_f64 v[117:118], v[125:126], -v[117:118]
	buffer_store_dword v118, off, s[0:3], 0 offset:364
	buffer_store_dword v117, off, s[0:3], 0 offset:360
	s_and_saveexec_b64 s[4:5], vcc
	s_cbranch_execz .LBB120_261
; %bb.260:
	buffer_load_dword v117, off, s[0:3], 0 offset:352
	buffer_load_dword v118, off, s[0:3], 0 offset:356
	s_waitcnt vmcnt(0)
	ds_write_b64 v115, v[117:118]
	buffer_store_dword v116, off, s[0:3], 0 offset:352
	buffer_store_dword v116, off, s[0:3], 0 offset:356
.LBB120_261:
	s_or_b64 exec, exec, s[4:5]
	s_waitcnt lgkmcnt(0)
	; wave barrier
	buffer_load_dword v125, off, s[0:3], 0 offset:360
	buffer_load_dword v126, off, s[0:3], 0 offset:364
	;; [unrolled: 1-line block ×21, first 2 shown]
	ds_read2_b64 v[117:120], v116 offset0:103 offset1:104
	ds_read2_b64 v[121:124], v116 offset0:105 offset1:106
	buffer_load_dword v142, off, s[0:3], 0 offset:444
	v_cmp_lt_u32_e32 vcc, 43, v0
	s_waitcnt vmcnt(20) lgkmcnt(1)
	v_fma_f64 v[117:118], v[125:126], v[117:118], 0
	buffer_load_dword v126, off, s[0:3], 0 offset:452
	buffer_load_dword v125, off, s[0:3], 0 offset:448
	s_waitcnt vmcnt(20)
	v_fma_f64 v[117:118], v[127:128], v[119:120], v[117:118]
	buffer_load_dword v127, off, s[0:3], 0 offset:352
	buffer_load_dword v128, off, s[0:3], 0 offset:356
	s_waitcnt vmcnt(20) lgkmcnt(0)
	v_fma_f64 v[117:118], v[129:130], v[121:122], v[117:118]
	s_waitcnt vmcnt(18)
	v_fma_f64 v[129:130], v[131:132], v[123:124], v[117:118]
	ds_read2_b64 v[117:120], v116 offset0:107 offset1:108
	ds_read2_b64 v[121:124], v116 offset0:109 offset1:110
	s_waitcnt vmcnt(16) lgkmcnt(1)
	v_fma_f64 v[117:118], v[133:134], v[117:118], v[129:130]
	s_waitcnt vmcnt(14)
	v_fma_f64 v[117:118], v[135:136], v[119:120], v[117:118]
	s_waitcnt vmcnt(12) lgkmcnt(0)
	v_fma_f64 v[117:118], v[137:138], v[121:122], v[117:118]
	s_waitcnt vmcnt(7)
	v_fma_f64 v[129:130], v[139:140], v[123:124], v[117:118]
	ds_read2_b64 v[117:120], v116 offset0:111 offset1:112
	ds_read2_b64 v[121:124], v116 offset0:113 offset1:114
	s_waitcnt vmcnt(6) lgkmcnt(1)
	v_fma_f64 v[116:117], v[145:146], v[117:118], v[129:130]
	s_waitcnt vmcnt(5)
	v_fma_f64 v[116:117], v[143:144], v[119:120], v[116:117]
	s_waitcnt vmcnt(4) lgkmcnt(0)
	v_fma_f64 v[116:117], v[141:142], v[121:122], v[116:117]
	s_waitcnt vmcnt(2)
	v_fma_f64 v[116:117], v[125:126], v[123:124], v[116:117]
	s_waitcnt vmcnt(0)
	v_add_f64 v[116:117], v[127:128], -v[116:117]
	buffer_store_dword v117, off, s[0:3], 0 offset:356
	buffer_store_dword v116, off, s[0:3], 0 offset:352
	s_and_saveexec_b64 s[4:5], vcc
	s_cbranch_execz .LBB120_263
; %bb.262:
	buffer_load_dword v116, off, s[0:3], 0 offset:344
	buffer_load_dword v117, off, s[0:3], 0 offset:348
	v_mov_b32_e32 v118, 0
	buffer_store_dword v118, off, s[0:3], 0 offset:344
	buffer_store_dword v118, off, s[0:3], 0 offset:348
	s_waitcnt vmcnt(2)
	ds_write_b64 v115, v[116:117]
.LBB120_263:
	s_or_b64 exec, exec, s[4:5]
	s_waitcnt lgkmcnt(0)
	; wave barrier
	buffer_load_dword v125, off, s[0:3], 0 offset:352
	buffer_load_dword v126, off, s[0:3], 0 offset:356
	;; [unrolled: 1-line block ×21, first 2 shown]
	v_mov_b32_e32 v116, 0
	ds_read_b128 v[117:120], v116 offset:816
	ds_read_b128 v[121:124], v116 offset:832
	buffer_load_dword v142, off, s[0:3], 0 offset:436
	v_cmp_lt_u32_e32 vcc, 42, v0
	s_waitcnt vmcnt(20) lgkmcnt(1)
	v_fma_f64 v[117:118], v[125:126], v[117:118], 0
	s_waitcnt vmcnt(18)
	v_fma_f64 v[117:118], v[127:128], v[119:120], v[117:118]
	buffer_load_dword v126, off, s[0:3], 0 offset:444
	buffer_load_dword v127, off, s[0:3], 0 offset:448
	;; [unrolled: 1-line block ×4, first 2 shown]
	s_waitcnt vmcnt(20) lgkmcnt(0)
	v_fma_f64 v[117:118], v[129:130], v[121:122], v[117:118]
	buffer_load_dword v129, off, s[0:3], 0 offset:344
	buffer_load_dword v130, off, s[0:3], 0 offset:348
	s_waitcnt vmcnt(20)
	v_fma_f64 v[131:132], v[131:132], v[123:124], v[117:118]
	ds_read_b128 v[117:120], v116 offset:848
	ds_read_b128 v[121:124], v116 offset:864
	s_waitcnt vmcnt(18) lgkmcnt(1)
	v_fma_f64 v[117:118], v[133:134], v[117:118], v[131:132]
	s_waitcnt vmcnt(16)
	v_fma_f64 v[117:118], v[135:136], v[119:120], v[117:118]
	s_waitcnt vmcnt(14) lgkmcnt(0)
	v_fma_f64 v[117:118], v[137:138], v[121:122], v[117:118]
	s_waitcnt vmcnt(9)
	v_fma_f64 v[131:132], v[139:140], v[123:124], v[117:118]
	ds_read_b128 v[117:120], v116 offset:880
	ds_read_b128 v[121:124], v116 offset:896
	s_waitcnt vmcnt(8) lgkmcnt(1)
	v_fma_f64 v[117:118], v[145:146], v[117:118], v[131:132]
	s_waitcnt vmcnt(7)
	v_fma_f64 v[117:118], v[143:144], v[119:120], v[117:118]
	ds_read_b64 v[119:120], v116 offset:912
	s_waitcnt vmcnt(6) lgkmcnt(1)
	v_fma_f64 v[117:118], v[141:142], v[121:122], v[117:118]
	s_waitcnt vmcnt(3)
	v_fma_f64 v[117:118], v[125:126], v[123:124], v[117:118]
	s_waitcnt vmcnt(2) lgkmcnt(0)
	v_fma_f64 v[117:118], v[127:128], v[119:120], v[117:118]
	s_waitcnt vmcnt(0)
	v_add_f64 v[117:118], v[129:130], -v[117:118]
	buffer_store_dword v118, off, s[0:3], 0 offset:348
	buffer_store_dword v117, off, s[0:3], 0 offset:344
	s_and_saveexec_b64 s[4:5], vcc
	s_cbranch_execz .LBB120_265
; %bb.264:
	buffer_load_dword v117, off, s[0:3], 0 offset:336
	buffer_load_dword v118, off, s[0:3], 0 offset:340
	s_waitcnt vmcnt(0)
	ds_write_b64 v115, v[117:118]
	buffer_store_dword v116, off, s[0:3], 0 offset:336
	buffer_store_dword v116, off, s[0:3], 0 offset:340
.LBB120_265:
	s_or_b64 exec, exec, s[4:5]
	s_waitcnt lgkmcnt(0)
	; wave barrier
	buffer_load_dword v125, off, s[0:3], 0 offset:344
	buffer_load_dword v126, off, s[0:3], 0 offset:348
	;; [unrolled: 1-line block ×22, first 2 shown]
	ds_read2_b64 v[117:120], v116 offset0:101 offset1:102
	ds_read2_b64 v[121:124], v116 offset0:103 offset1:104
	v_cmp_lt_u32_e32 vcc, 41, v0
	s_waitcnt vmcnt(20) lgkmcnt(1)
	v_fma_f64 v[117:118], v[125:126], v[117:118], 0
	s_waitcnt vmcnt(18)
	v_fma_f64 v[117:118], v[127:128], v[119:120], v[117:118]
	buffer_load_dword v126, off, s[0:3], 0 offset:436
	buffer_load_dword v127, off, s[0:3], 0 offset:448
	;; [unrolled: 1-line block ×6, first 2 shown]
	s_waitcnt vmcnt(22) lgkmcnt(0)
	v_fma_f64 v[117:118], v[129:130], v[121:122], v[117:118]
	s_waitcnt vmcnt(20)
	v_fma_f64 v[129:130], v[131:132], v[123:124], v[117:118]
	ds_read2_b64 v[117:120], v116 offset0:105 offset1:106
	buffer_load_dword v131, off, s[0:3], 0 offset:336
	buffer_load_dword v132, off, s[0:3], 0 offset:340
	ds_read2_b64 v[121:124], v116 offset0:107 offset1:108
	s_waitcnt vmcnt(20) lgkmcnt(1)
	v_fma_f64 v[117:118], v[133:134], v[117:118], v[129:130]
	s_waitcnt vmcnt(18)
	v_fma_f64 v[117:118], v[135:136], v[119:120], v[117:118]
	s_waitcnt vmcnt(16) lgkmcnt(0)
	v_fma_f64 v[117:118], v[137:138], v[121:122], v[117:118]
	s_waitcnt vmcnt(11)
	v_fma_f64 v[129:130], v[139:140], v[123:124], v[117:118]
	ds_read2_b64 v[117:120], v116 offset0:109 offset1:110
	ds_read2_b64 v[121:124], v116 offset0:111 offset1:112
	s_waitcnt vmcnt(10) lgkmcnt(1)
	v_fma_f64 v[117:118], v[145:146], v[117:118], v[129:130]
	s_waitcnt vmcnt(9)
	v_fma_f64 v[117:118], v[143:144], v[119:120], v[117:118]
	s_waitcnt vmcnt(8) lgkmcnt(0)
	v_fma_f64 v[117:118], v[141:142], v[121:122], v[117:118]
	s_waitcnt vmcnt(4)
	v_fma_f64 v[120:121], v[125:126], v[123:124], v[117:118]
	ds_read2_b64 v[116:119], v116 offset0:113 offset1:114
	s_waitcnt vmcnt(3) lgkmcnt(0)
	v_fma_f64 v[116:117], v[147:148], v[116:117], v[120:121]
	s_waitcnt vmcnt(2)
	v_fma_f64 v[116:117], v[127:128], v[118:119], v[116:117]
	s_waitcnt vmcnt(0)
	v_add_f64 v[116:117], v[131:132], -v[116:117]
	buffer_store_dword v117, off, s[0:3], 0 offset:340
	buffer_store_dword v116, off, s[0:3], 0 offset:336
	s_and_saveexec_b64 s[4:5], vcc
	s_cbranch_execz .LBB120_267
; %bb.266:
	buffer_load_dword v116, off, s[0:3], 0 offset:328
	buffer_load_dword v117, off, s[0:3], 0 offset:332
	v_mov_b32_e32 v118, 0
	buffer_store_dword v118, off, s[0:3], 0 offset:328
	buffer_store_dword v118, off, s[0:3], 0 offset:332
	s_waitcnt vmcnt(2)
	ds_write_b64 v115, v[116:117]
.LBB120_267:
	s_or_b64 exec, exec, s[4:5]
	s_waitcnt lgkmcnt(0)
	; wave barrier
	buffer_load_dword v125, off, s[0:3], 0 offset:336
	buffer_load_dword v126, off, s[0:3], 0 offset:340
	;; [unrolled: 1-line block ×22, first 2 shown]
	v_mov_b32_e32 v116, 0
	ds_read_b128 v[117:120], v116 offset:800
	ds_read_b128 v[121:124], v116 offset:816
	v_cmp_lt_u32_e32 vcc, 40, v0
	s_waitcnt vmcnt(20) lgkmcnt(1)
	v_fma_f64 v[117:118], v[125:126], v[117:118], 0
	s_waitcnt vmcnt(18)
	v_fma_f64 v[117:118], v[127:128], v[119:120], v[117:118]
	buffer_load_dword v126, off, s[0:3], 0 offset:428
	buffer_load_dword v127, off, s[0:3], 0 offset:448
	;; [unrolled: 1-line block ×8, first 2 shown]
	s_waitcnt vmcnt(24) lgkmcnt(0)
	v_fma_f64 v[117:118], v[129:130], v[121:122], v[117:118]
	s_waitcnt vmcnt(22)
	v_fma_f64 v[129:130], v[131:132], v[123:124], v[117:118]
	ds_read_b128 v[117:120], v116 offset:832
	ds_read_b128 v[121:124], v116 offset:848
	s_waitcnt vmcnt(20) lgkmcnt(1)
	v_fma_f64 v[117:118], v[133:134], v[117:118], v[129:130]
	buffer_load_dword v129, off, s[0:3], 0 offset:328
	buffer_load_dword v130, off, s[0:3], 0 offset:332
	s_waitcnt vmcnt(20)
	v_fma_f64 v[117:118], v[135:136], v[119:120], v[117:118]
	s_waitcnt vmcnt(18) lgkmcnt(0)
	v_fma_f64 v[117:118], v[137:138], v[121:122], v[117:118]
	s_waitcnt vmcnt(13)
	v_fma_f64 v[131:132], v[139:140], v[123:124], v[117:118]
	ds_read_b128 v[117:120], v116 offset:864
	ds_read_b128 v[121:124], v116 offset:880
	s_waitcnt vmcnt(12) lgkmcnt(1)
	v_fma_f64 v[117:118], v[145:146], v[117:118], v[131:132]
	s_waitcnt vmcnt(11)
	v_fma_f64 v[117:118], v[143:144], v[119:120], v[117:118]
	s_waitcnt vmcnt(10) lgkmcnt(0)
	v_fma_f64 v[117:118], v[141:142], v[121:122], v[117:118]
	s_waitcnt vmcnt(5)
	v_fma_f64 v[121:122], v[125:126], v[123:124], v[117:118]
	ds_read_b128 v[117:120], v116 offset:896
	ds_read_b64 v[123:124], v116 offset:912
	s_waitcnt vmcnt(4) lgkmcnt(1)
	v_fma_f64 v[117:118], v[149:150], v[117:118], v[121:122]
	s_waitcnt vmcnt(3)
	v_fma_f64 v[117:118], v[147:148], v[119:120], v[117:118]
	s_waitcnt vmcnt(2) lgkmcnt(0)
	v_fma_f64 v[117:118], v[127:128], v[123:124], v[117:118]
	s_waitcnt vmcnt(0)
	v_add_f64 v[117:118], v[129:130], -v[117:118]
	buffer_store_dword v118, off, s[0:3], 0 offset:332
	buffer_store_dword v117, off, s[0:3], 0 offset:328
	s_and_saveexec_b64 s[4:5], vcc
	s_cbranch_execz .LBB120_269
; %bb.268:
	buffer_load_dword v117, off, s[0:3], 0 offset:320
	buffer_load_dword v118, off, s[0:3], 0 offset:324
	s_waitcnt vmcnt(0)
	ds_write_b64 v115, v[117:118]
	buffer_store_dword v116, off, s[0:3], 0 offset:320
	buffer_store_dword v116, off, s[0:3], 0 offset:324
.LBB120_269:
	s_or_b64 exec, exec, s[4:5]
	s_waitcnt lgkmcnt(0)
	; wave barrier
	buffer_load_dword v125, off, s[0:3], 0 offset:328
	buffer_load_dword v126, off, s[0:3], 0 offset:332
	;; [unrolled: 1-line block ×22, first 2 shown]
	ds_read2_b64 v[117:120], v116 offset0:99 offset1:100
	ds_read2_b64 v[121:124], v116 offset0:101 offset1:102
	v_cmp_lt_u32_e32 vcc, 39, v0
	s_waitcnt vmcnt(20) lgkmcnt(1)
	v_fma_f64 v[117:118], v[125:126], v[117:118], 0
	s_waitcnt vmcnt(18)
	v_fma_f64 v[117:118], v[127:128], v[119:120], v[117:118]
	buffer_load_dword v126, off, s[0:3], 0 offset:420
	buffer_load_dword v127, off, s[0:3], 0 offset:440
	;; [unrolled: 1-line block ×8, first 2 shown]
	s_waitcnt vmcnt(24) lgkmcnt(0)
	v_fma_f64 v[117:118], v[129:130], v[121:122], v[117:118]
	s_waitcnt vmcnt(22)
	v_fma_f64 v[129:130], v[131:132], v[123:124], v[117:118]
	ds_read2_b64 v[117:120], v116 offset0:103 offset1:104
	ds_read2_b64 v[121:124], v116 offset0:105 offset1:106
	s_waitcnt vmcnt(20) lgkmcnt(1)
	v_fma_f64 v[117:118], v[133:134], v[117:118], v[129:130]
	buffer_load_dword v130, off, s[0:3], 0 offset:452
	buffer_load_dword v129, off, s[0:3], 0 offset:448
	buffer_load_dword v131, off, s[0:3], 0 offset:320
	buffer_load_dword v132, off, s[0:3], 0 offset:324
	s_waitcnt vmcnt(22)
	v_fma_f64 v[117:118], v[135:136], v[119:120], v[117:118]
	s_waitcnt vmcnt(20) lgkmcnt(0)
	v_fma_f64 v[117:118], v[137:138], v[121:122], v[117:118]
	s_waitcnt vmcnt(15)
	v_fma_f64 v[133:134], v[139:140], v[123:124], v[117:118]
	ds_read2_b64 v[117:120], v116 offset0:107 offset1:108
	ds_read2_b64 v[121:124], v116 offset0:109 offset1:110
	s_waitcnt vmcnt(14) lgkmcnt(1)
	v_fma_f64 v[117:118], v[145:146], v[117:118], v[133:134]
	s_waitcnt vmcnt(13)
	v_fma_f64 v[117:118], v[143:144], v[119:120], v[117:118]
	s_waitcnt vmcnt(12) lgkmcnt(0)
	v_fma_f64 v[117:118], v[141:142], v[121:122], v[117:118]
	s_waitcnt vmcnt(7)
	v_fma_f64 v[125:126], v[125:126], v[123:124], v[117:118]
	ds_read2_b64 v[117:120], v116 offset0:111 offset1:112
	ds_read2_b64 v[121:124], v116 offset0:113 offset1:114
	s_waitcnt vmcnt(6) lgkmcnt(1)
	v_fma_f64 v[116:117], v[149:150], v[117:118], v[125:126]
	s_waitcnt vmcnt(5)
	v_fma_f64 v[116:117], v[147:148], v[119:120], v[116:117]
	s_waitcnt vmcnt(4) lgkmcnt(0)
	v_fma_f64 v[116:117], v[127:128], v[121:122], v[116:117]
	s_waitcnt vmcnt(2)
	v_fma_f64 v[116:117], v[129:130], v[123:124], v[116:117]
	s_waitcnt vmcnt(0)
	v_add_f64 v[116:117], v[131:132], -v[116:117]
	buffer_store_dword v117, off, s[0:3], 0 offset:324
	buffer_store_dword v116, off, s[0:3], 0 offset:320
	s_and_saveexec_b64 s[4:5], vcc
	s_cbranch_execz .LBB120_271
; %bb.270:
	buffer_load_dword v116, off, s[0:3], 0 offset:312
	buffer_load_dword v117, off, s[0:3], 0 offset:316
	v_mov_b32_e32 v118, 0
	buffer_store_dword v118, off, s[0:3], 0 offset:312
	buffer_store_dword v118, off, s[0:3], 0 offset:316
	s_waitcnt vmcnt(2)
	ds_write_b64 v115, v[116:117]
.LBB120_271:
	s_or_b64 exec, exec, s[4:5]
	s_waitcnt lgkmcnt(0)
	; wave barrier
	buffer_load_dword v125, off, s[0:3], 0 offset:320
	buffer_load_dword v126, off, s[0:3], 0 offset:324
	;; [unrolled: 1-line block ×22, first 2 shown]
	v_mov_b32_e32 v116, 0
	ds_read_b128 v[117:120], v116 offset:784
	ds_read_b128 v[121:124], v116 offset:800
	v_cmp_lt_u32_e32 vcc, 38, v0
	s_waitcnt vmcnt(20) lgkmcnt(1)
	v_fma_f64 v[117:118], v[125:126], v[117:118], 0
	s_waitcnt vmcnt(18)
	v_fma_f64 v[117:118], v[127:128], v[119:120], v[117:118]
	buffer_load_dword v126, off, s[0:3], 0 offset:412
	buffer_load_dword v127, off, s[0:3], 0 offset:432
	;; [unrolled: 1-line block ×7, first 2 shown]
	s_waitcnt vmcnt(23) lgkmcnt(0)
	v_fma_f64 v[117:118], v[129:130], v[121:122], v[117:118]
	s_waitcnt vmcnt(21)
	v_fma_f64 v[128:129], v[131:132], v[123:124], v[117:118]
	ds_read_b128 v[117:120], v116 offset:816
	ds_read_b128 v[121:124], v116 offset:832
	s_waitcnt vmcnt(19) lgkmcnt(1)
	v_fma_f64 v[117:118], v[133:134], v[117:118], v[128:129]
	buffer_load_dword v128, off, s[0:3], 0 offset:436
	buffer_load_dword v130, off, s[0:3], 0 offset:444
	;; [unrolled: 1-line block ×7, first 2 shown]
	s_waitcnt vmcnt(24)
	v_fma_f64 v[117:118], v[135:136], v[119:120], v[117:118]
	s_waitcnt vmcnt(22) lgkmcnt(0)
	v_fma_f64 v[117:118], v[137:138], v[121:122], v[117:118]
	s_waitcnt vmcnt(17)
	v_fma_f64 v[135:136], v[139:140], v[123:124], v[117:118]
	ds_read_b128 v[117:120], v116 offset:848
	ds_read_b128 v[121:124], v116 offset:864
	s_waitcnt vmcnt(16) lgkmcnt(1)
	v_fma_f64 v[117:118], v[145:146], v[117:118], v[135:136]
	s_waitcnt vmcnt(15)
	v_fma_f64 v[117:118], v[143:144], v[119:120], v[117:118]
	s_waitcnt vmcnt(14) lgkmcnt(0)
	v_fma_f64 v[117:118], v[141:142], v[121:122], v[117:118]
	s_waitcnt vmcnt(9)
	v_fma_f64 v[125:126], v[125:126], v[123:124], v[117:118]
	ds_read_b128 v[117:120], v116 offset:880
	ds_read_b128 v[121:124], v116 offset:896
	s_waitcnt vmcnt(8) lgkmcnt(1)
	v_fma_f64 v[117:118], v[149:150], v[117:118], v[125:126]
	s_waitcnt vmcnt(7)
	v_fma_f64 v[117:118], v[147:148], v[119:120], v[117:118]
	ds_read_b64 v[119:120], v116 offset:912
	s_waitcnt vmcnt(6) lgkmcnt(1)
	v_fma_f64 v[117:118], v[127:128], v[121:122], v[117:118]
	s_waitcnt vmcnt(3)
	v_fma_f64 v[117:118], v[129:130], v[123:124], v[117:118]
	s_waitcnt vmcnt(2) lgkmcnt(0)
	v_fma_f64 v[117:118], v[131:132], v[119:120], v[117:118]
	s_waitcnt vmcnt(0)
	v_add_f64 v[117:118], v[133:134], -v[117:118]
	buffer_store_dword v118, off, s[0:3], 0 offset:316
	buffer_store_dword v117, off, s[0:3], 0 offset:312
	s_and_saveexec_b64 s[4:5], vcc
	s_cbranch_execz .LBB120_273
; %bb.272:
	buffer_load_dword v117, off, s[0:3], 0 offset:304
	buffer_load_dword v118, off, s[0:3], 0 offset:308
	s_waitcnt vmcnt(0)
	ds_write_b64 v115, v[117:118]
	buffer_store_dword v116, off, s[0:3], 0 offset:304
	buffer_store_dword v116, off, s[0:3], 0 offset:308
.LBB120_273:
	s_or_b64 exec, exec, s[4:5]
	s_waitcnt lgkmcnt(0)
	; wave barrier
	buffer_load_dword v125, off, s[0:3], 0 offset:312
	buffer_load_dword v126, off, s[0:3], 0 offset:316
	;; [unrolled: 1-line block ×22, first 2 shown]
	ds_read2_b64 v[117:120], v116 offset0:97 offset1:98
	ds_read2_b64 v[121:124], v116 offset0:99 offset1:100
	v_cmp_lt_u32_e32 vcc, 37, v0
	s_waitcnt vmcnt(20) lgkmcnt(1)
	v_fma_f64 v[117:118], v[125:126], v[117:118], 0
	s_waitcnt vmcnt(18)
	v_fma_f64 v[117:118], v[127:128], v[119:120], v[117:118]
	buffer_load_dword v126, off, s[0:3], 0 offset:404
	buffer_load_dword v127, off, s[0:3], 0 offset:424
	;; [unrolled: 1-line block ×7, first 2 shown]
	s_waitcnt vmcnt(23) lgkmcnt(0)
	v_fma_f64 v[117:118], v[129:130], v[121:122], v[117:118]
	s_waitcnt vmcnt(21)
	v_fma_f64 v[128:129], v[131:132], v[123:124], v[117:118]
	ds_read2_b64 v[117:120], v116 offset0:101 offset1:102
	ds_read2_b64 v[121:124], v116 offset0:103 offset1:104
	s_waitcnt vmcnt(19) lgkmcnt(1)
	v_fma_f64 v[117:118], v[133:134], v[117:118], v[128:129]
	buffer_load_dword v128, off, s[0:3], 0 offset:428
	buffer_load_dword v130, off, s[0:3], 0 offset:436
	;; [unrolled: 1-line block ×7, first 2 shown]
	s_waitcnt vmcnt(24)
	v_fma_f64 v[117:118], v[135:136], v[119:120], v[117:118]
	s_waitcnt vmcnt(22) lgkmcnt(0)
	v_fma_f64 v[117:118], v[137:138], v[121:122], v[117:118]
	s_waitcnt vmcnt(17)
	v_fma_f64 v[135:136], v[139:140], v[123:124], v[117:118]
	ds_read2_b64 v[117:120], v116 offset0:105 offset1:106
	buffer_load_dword v137, off, s[0:3], 0 offset:304
	buffer_load_dword v138, off, s[0:3], 0 offset:308
	ds_read2_b64 v[121:124], v116 offset0:107 offset1:108
	s_waitcnt vmcnt(18) lgkmcnt(1)
	v_fma_f64 v[117:118], v[145:146], v[117:118], v[135:136]
	s_waitcnt vmcnt(17)
	v_fma_f64 v[117:118], v[143:144], v[119:120], v[117:118]
	s_waitcnt vmcnt(16) lgkmcnt(0)
	v_fma_f64 v[117:118], v[141:142], v[121:122], v[117:118]
	s_waitcnt vmcnt(11)
	v_fma_f64 v[125:126], v[125:126], v[123:124], v[117:118]
	ds_read2_b64 v[117:120], v116 offset0:109 offset1:110
	ds_read2_b64 v[121:124], v116 offset0:111 offset1:112
	s_waitcnt vmcnt(10) lgkmcnt(1)
	v_fma_f64 v[117:118], v[149:150], v[117:118], v[125:126]
	s_waitcnt vmcnt(9)
	v_fma_f64 v[117:118], v[147:148], v[119:120], v[117:118]
	s_waitcnt vmcnt(8) lgkmcnt(0)
	v_fma_f64 v[117:118], v[127:128], v[121:122], v[117:118]
	s_waitcnt vmcnt(4)
	v_fma_f64 v[120:121], v[129:130], v[123:124], v[117:118]
	ds_read2_b64 v[116:119], v116 offset0:113 offset1:114
	s_waitcnt vmcnt(3) lgkmcnt(0)
	v_fma_f64 v[116:117], v[133:134], v[116:117], v[120:121]
	s_waitcnt vmcnt(2)
	v_fma_f64 v[116:117], v[131:132], v[118:119], v[116:117]
	s_waitcnt vmcnt(0)
	v_add_f64 v[116:117], v[137:138], -v[116:117]
	buffer_store_dword v117, off, s[0:3], 0 offset:308
	buffer_store_dword v116, off, s[0:3], 0 offset:304
	s_and_saveexec_b64 s[4:5], vcc
	s_cbranch_execz .LBB120_275
; %bb.274:
	buffer_load_dword v116, off, s[0:3], 0 offset:296
	buffer_load_dword v117, off, s[0:3], 0 offset:300
	v_mov_b32_e32 v118, 0
	buffer_store_dword v118, off, s[0:3], 0 offset:296
	buffer_store_dword v118, off, s[0:3], 0 offset:300
	s_waitcnt vmcnt(2)
	ds_write_b64 v115, v[116:117]
.LBB120_275:
	s_or_b64 exec, exec, s[4:5]
	s_waitcnt lgkmcnt(0)
	; wave barrier
	buffer_load_dword v125, off, s[0:3], 0 offset:304
	buffer_load_dword v126, off, s[0:3], 0 offset:308
	;; [unrolled: 1-line block ×22, first 2 shown]
	v_mov_b32_e32 v116, 0
	ds_read_b128 v[117:120], v116 offset:768
	ds_read_b128 v[121:124], v116 offset:784
	v_cmp_lt_u32_e32 vcc, 36, v0
	s_waitcnt vmcnt(20) lgkmcnt(1)
	v_fma_f64 v[117:118], v[125:126], v[117:118], 0
	s_waitcnt vmcnt(18)
	v_fma_f64 v[117:118], v[127:128], v[119:120], v[117:118]
	buffer_load_dword v126, off, s[0:3], 0 offset:396
	buffer_load_dword v127, off, s[0:3], 0 offset:416
	;; [unrolled: 1-line block ×7, first 2 shown]
	s_waitcnt vmcnt(23) lgkmcnt(0)
	v_fma_f64 v[117:118], v[129:130], v[121:122], v[117:118]
	s_waitcnt vmcnt(21)
	v_fma_f64 v[128:129], v[131:132], v[123:124], v[117:118]
	ds_read_b128 v[117:120], v116 offset:800
	ds_read_b128 v[121:124], v116 offset:816
	s_waitcnt vmcnt(19) lgkmcnt(1)
	v_fma_f64 v[117:118], v[133:134], v[117:118], v[128:129]
	buffer_load_dword v128, off, s[0:3], 0 offset:420
	s_waitcnt vmcnt(18)
	v_fma_f64 v[117:118], v[135:136], v[119:120], v[117:118]
	buffer_load_dword v130, off, s[0:3], 0 offset:428
	buffer_load_dword v131, off, s[0:3], 0 offset:448
	;; [unrolled: 1-line block ×8, first 2 shown]
	s_waitcnt vmcnt(24) lgkmcnt(0)
	v_fma_f64 v[117:118], v[137:138], v[121:122], v[117:118]
	s_waitcnt vmcnt(19)
	v_fma_f64 v[137:138], v[139:140], v[123:124], v[117:118]
	ds_read_b128 v[117:120], v116 offset:832
	ds_read_b128 v[121:124], v116 offset:848
	s_waitcnt vmcnt(18) lgkmcnt(1)
	v_fma_f64 v[117:118], v[145:146], v[117:118], v[137:138]
	buffer_load_dword v137, off, s[0:3], 0 offset:296
	buffer_load_dword v138, off, s[0:3], 0 offset:300
	s_waitcnt vmcnt(19)
	v_fma_f64 v[117:118], v[143:144], v[119:120], v[117:118]
	s_waitcnt vmcnt(18) lgkmcnt(0)
	v_fma_f64 v[117:118], v[141:142], v[121:122], v[117:118]
	s_waitcnt vmcnt(13)
	v_fma_f64 v[125:126], v[125:126], v[123:124], v[117:118]
	ds_read_b128 v[117:120], v116 offset:864
	ds_read_b128 v[121:124], v116 offset:880
	s_waitcnt vmcnt(12) lgkmcnt(1)
	v_fma_f64 v[117:118], v[149:150], v[117:118], v[125:126]
	s_waitcnt vmcnt(11)
	v_fma_f64 v[117:118], v[147:148], v[119:120], v[117:118]
	s_waitcnt vmcnt(10) lgkmcnt(0)
	v_fma_f64 v[117:118], v[127:128], v[121:122], v[117:118]
	s_waitcnt vmcnt(5)
	v_fma_f64 v[121:122], v[129:130], v[123:124], v[117:118]
	ds_read_b128 v[117:120], v116 offset:896
	ds_read_b64 v[123:124], v116 offset:912
	s_waitcnt vmcnt(4) lgkmcnt(1)
	v_fma_f64 v[117:118], v[135:136], v[117:118], v[121:122]
	s_waitcnt vmcnt(3)
	v_fma_f64 v[117:118], v[133:134], v[119:120], v[117:118]
	s_waitcnt vmcnt(2) lgkmcnt(0)
	v_fma_f64 v[117:118], v[131:132], v[123:124], v[117:118]
	s_waitcnt vmcnt(0)
	v_add_f64 v[117:118], v[137:138], -v[117:118]
	buffer_store_dword v118, off, s[0:3], 0 offset:300
	buffer_store_dword v117, off, s[0:3], 0 offset:296
	s_and_saveexec_b64 s[4:5], vcc
	s_cbranch_execz .LBB120_277
; %bb.276:
	buffer_load_dword v117, off, s[0:3], 0 offset:288
	buffer_load_dword v118, off, s[0:3], 0 offset:292
	s_waitcnt vmcnt(0)
	ds_write_b64 v115, v[117:118]
	buffer_store_dword v116, off, s[0:3], 0 offset:288
	buffer_store_dword v116, off, s[0:3], 0 offset:292
.LBB120_277:
	s_or_b64 exec, exec, s[4:5]
	s_waitcnt lgkmcnt(0)
	; wave barrier
	buffer_load_dword v125, off, s[0:3], 0 offset:296
	buffer_load_dword v126, off, s[0:3], 0 offset:300
	;; [unrolled: 1-line block ×22, first 2 shown]
	ds_read2_b64 v[117:120], v116 offset0:95 offset1:96
	ds_read2_b64 v[121:124], v116 offset0:97 offset1:98
	v_cmp_lt_u32_e32 vcc, 35, v0
	s_waitcnt vmcnt(20) lgkmcnt(1)
	v_fma_f64 v[117:118], v[125:126], v[117:118], 0
	s_waitcnt vmcnt(18)
	v_fma_f64 v[117:118], v[127:128], v[119:120], v[117:118]
	buffer_load_dword v126, off, s[0:3], 0 offset:388
	buffer_load_dword v127, off, s[0:3], 0 offset:408
	buffer_load_dword v147, off, s[0:3], 0 offset:400
	buffer_load_dword v149, off, s[0:3], 0 offset:392
	buffer_load_dword v125, off, s[0:3], 0 offset:384
	buffer_load_dword v150, off, s[0:3], 0 offset:396
	buffer_load_dword v148, off, s[0:3], 0 offset:404
	s_waitcnt vmcnt(23) lgkmcnt(0)
	v_fma_f64 v[117:118], v[129:130], v[121:122], v[117:118]
	s_waitcnt vmcnt(21)
	v_fma_f64 v[128:129], v[131:132], v[123:124], v[117:118]
	ds_read2_b64 v[117:120], v116 offset0:99 offset1:100
	ds_read2_b64 v[121:124], v116 offset0:101 offset1:102
	s_waitcnt vmcnt(19) lgkmcnt(1)
	v_fma_f64 v[117:118], v[133:134], v[117:118], v[128:129]
	buffer_load_dword v128, off, s[0:3], 0 offset:412
	s_waitcnt vmcnt(18)
	v_fma_f64 v[117:118], v[135:136], v[119:120], v[117:118]
	buffer_load_dword v130, off, s[0:3], 0 offset:420
	buffer_load_dword v131, off, s[0:3], 0 offset:440
	;; [unrolled: 1-line block ×8, first 2 shown]
	s_waitcnt vmcnt(24) lgkmcnt(0)
	v_fma_f64 v[117:118], v[137:138], v[121:122], v[117:118]
	s_waitcnt vmcnt(19)
	v_fma_f64 v[137:138], v[139:140], v[123:124], v[117:118]
	ds_read2_b64 v[117:120], v116 offset0:103 offset1:104
	ds_read2_b64 v[121:124], v116 offset0:105 offset1:106
	s_waitcnt vmcnt(18) lgkmcnt(1)
	v_fma_f64 v[117:118], v[145:146], v[117:118], v[137:138]
	buffer_load_dword v138, off, s[0:3], 0 offset:452
	buffer_load_dword v137, off, s[0:3], 0 offset:448
	;; [unrolled: 1-line block ×4, first 2 shown]
	s_waitcnt vmcnt(21)
	v_fma_f64 v[117:118], v[143:144], v[119:120], v[117:118]
	s_waitcnt vmcnt(20) lgkmcnt(0)
	v_fma_f64 v[117:118], v[141:142], v[121:122], v[117:118]
	s_waitcnt vmcnt(15)
	v_fma_f64 v[125:126], v[125:126], v[123:124], v[117:118]
	ds_read2_b64 v[117:120], v116 offset0:107 offset1:108
	ds_read2_b64 v[121:124], v116 offset0:109 offset1:110
	s_waitcnt vmcnt(14) lgkmcnt(1)
	v_fma_f64 v[117:118], v[149:150], v[117:118], v[125:126]
	s_waitcnt vmcnt(13)
	v_fma_f64 v[117:118], v[147:148], v[119:120], v[117:118]
	s_waitcnt vmcnt(12) lgkmcnt(0)
	v_fma_f64 v[117:118], v[127:128], v[121:122], v[117:118]
	s_waitcnt vmcnt(7)
	v_fma_f64 v[125:126], v[129:130], v[123:124], v[117:118]
	ds_read2_b64 v[117:120], v116 offset0:111 offset1:112
	ds_read2_b64 v[121:124], v116 offset0:113 offset1:114
	s_waitcnt vmcnt(6) lgkmcnt(1)
	v_fma_f64 v[116:117], v[135:136], v[117:118], v[125:126]
	s_waitcnt vmcnt(5)
	v_fma_f64 v[116:117], v[133:134], v[119:120], v[116:117]
	s_waitcnt vmcnt(4) lgkmcnt(0)
	v_fma_f64 v[116:117], v[131:132], v[121:122], v[116:117]
	s_waitcnt vmcnt(2)
	v_fma_f64 v[116:117], v[137:138], v[123:124], v[116:117]
	s_waitcnt vmcnt(0)
	v_add_f64 v[116:117], v[139:140], -v[116:117]
	buffer_store_dword v117, off, s[0:3], 0 offset:292
	buffer_store_dword v116, off, s[0:3], 0 offset:288
	s_and_saveexec_b64 s[4:5], vcc
	s_cbranch_execz .LBB120_279
; %bb.278:
	buffer_load_dword v116, off, s[0:3], 0 offset:280
	buffer_load_dword v117, off, s[0:3], 0 offset:284
	v_mov_b32_e32 v118, 0
	buffer_store_dword v118, off, s[0:3], 0 offset:280
	buffer_store_dword v118, off, s[0:3], 0 offset:284
	s_waitcnt vmcnt(2)
	ds_write_b64 v115, v[116:117]
.LBB120_279:
	s_or_b64 exec, exec, s[4:5]
	s_waitcnt lgkmcnt(0)
	; wave barrier
	buffer_load_dword v125, off, s[0:3], 0 offset:288
	buffer_load_dword v126, off, s[0:3], 0 offset:292
	;; [unrolled: 1-line block ×21, first 2 shown]
	v_mov_b32_e32 v116, 0
	ds_read_b128 v[117:120], v116 offset:752
	ds_read_b128 v[121:124], v116 offset:768
	buffer_load_dword v142, off, s[0:3], 0 offset:372
	v_cmp_lt_u32_e32 vcc, 34, v0
	s_waitcnt vmcnt(20) lgkmcnt(1)
	v_fma_f64 v[117:118], v[125:126], v[117:118], 0
	s_waitcnt vmcnt(18)
	v_fma_f64 v[117:118], v[127:128], v[119:120], v[117:118]
	buffer_load_dword v126, off, s[0:3], 0 offset:380
	buffer_load_dword v127, off, s[0:3], 0 offset:400
	;; [unrolled: 1-line block ×7, first 2 shown]
	s_waitcnt vmcnt(23) lgkmcnt(0)
	v_fma_f64 v[117:118], v[129:130], v[121:122], v[117:118]
	s_waitcnt vmcnt(21)
	v_fma_f64 v[128:129], v[131:132], v[123:124], v[117:118]
	ds_read_b128 v[117:120], v116 offset:784
	ds_read_b128 v[121:124], v116 offset:800
	s_waitcnt vmcnt(19) lgkmcnt(1)
	v_fma_f64 v[117:118], v[133:134], v[117:118], v[128:129]
	buffer_load_dword v128, off, s[0:3], 0 offset:404
	s_waitcnt vmcnt(18)
	v_fma_f64 v[117:118], v[135:136], v[119:120], v[117:118]
	buffer_load_dword v130, off, s[0:3], 0 offset:412
	buffer_load_dword v131, off, s[0:3], 0 offset:432
	buffer_load_dword v133, off, s[0:3], 0 offset:424
	buffer_load_dword v135, off, s[0:3], 0 offset:416
	buffer_load_dword v129, off, s[0:3], 0 offset:408
	buffer_load_dword v136, off, s[0:3], 0 offset:420
	buffer_load_dword v134, off, s[0:3], 0 offset:428
	s_waitcnt vmcnt(23) lgkmcnt(0)
	v_fma_f64 v[117:118], v[137:138], v[121:122], v[117:118]
	s_waitcnt vmcnt(18)
	v_fma_f64 v[137:138], v[139:140], v[123:124], v[117:118]
	ds_read_b128 v[117:120], v116 offset:816
	ds_read_b128 v[121:124], v116 offset:832
	buffer_load_dword v132, off, s[0:3], 0 offset:436
	s_waitcnt vmcnt(18) lgkmcnt(1)
	v_fma_f64 v[117:118], v[145:146], v[117:118], v[137:138]
	buffer_load_dword v138, off, s[0:3], 0 offset:444
	buffer_load_dword v139, off, s[0:3], 0 offset:448
	;; [unrolled: 1-line block ×4, first 2 shown]
	s_waitcnt vmcnt(21)
	v_fma_f64 v[117:118], v[143:144], v[119:120], v[117:118]
	s_waitcnt vmcnt(20) lgkmcnt(0)
	v_fma_f64 v[117:118], v[141:142], v[121:122], v[117:118]
	buffer_load_dword v141, off, s[0:3], 0 offset:280
	buffer_load_dword v142, off, s[0:3], 0 offset:284
	s_waitcnt vmcnt(17)
	v_fma_f64 v[125:126], v[125:126], v[123:124], v[117:118]
	ds_read_b128 v[117:120], v116 offset:848
	ds_read_b128 v[121:124], v116 offset:864
	s_waitcnt vmcnt(16) lgkmcnt(1)
	v_fma_f64 v[117:118], v[149:150], v[117:118], v[125:126]
	s_waitcnt vmcnt(15)
	v_fma_f64 v[117:118], v[147:148], v[119:120], v[117:118]
	s_waitcnt vmcnt(14) lgkmcnt(0)
	v_fma_f64 v[117:118], v[127:128], v[121:122], v[117:118]
	s_waitcnt vmcnt(9)
	v_fma_f64 v[125:126], v[129:130], v[123:124], v[117:118]
	ds_read_b128 v[117:120], v116 offset:880
	ds_read_b128 v[121:124], v116 offset:896
	s_waitcnt vmcnt(8) lgkmcnt(1)
	v_fma_f64 v[117:118], v[135:136], v[117:118], v[125:126]
	s_waitcnt vmcnt(7)
	v_fma_f64 v[117:118], v[133:134], v[119:120], v[117:118]
	ds_read_b64 v[119:120], v116 offset:912
	s_waitcnt vmcnt(6) lgkmcnt(1)
	v_fma_f64 v[117:118], v[131:132], v[121:122], v[117:118]
	s_waitcnt vmcnt(3)
	v_fma_f64 v[117:118], v[137:138], v[123:124], v[117:118]
	s_waitcnt vmcnt(2) lgkmcnt(0)
	v_fma_f64 v[117:118], v[139:140], v[119:120], v[117:118]
	s_waitcnt vmcnt(0)
	v_add_f64 v[117:118], v[141:142], -v[117:118]
	buffer_store_dword v118, off, s[0:3], 0 offset:284
	buffer_store_dword v117, off, s[0:3], 0 offset:280
	s_and_saveexec_b64 s[4:5], vcc
	s_cbranch_execz .LBB120_281
; %bb.280:
	buffer_load_dword v117, off, s[0:3], 0 offset:272
	buffer_load_dword v118, off, s[0:3], 0 offset:276
	s_waitcnt vmcnt(0)
	ds_write_b64 v115, v[117:118]
	buffer_store_dword v116, off, s[0:3], 0 offset:272
	buffer_store_dword v116, off, s[0:3], 0 offset:276
.LBB120_281:
	s_or_b64 exec, exec, s[4:5]
	s_waitcnt lgkmcnt(0)
	; wave barrier
	buffer_load_dword v125, off, s[0:3], 0 offset:280
	buffer_load_dword v126, off, s[0:3], 0 offset:284
	;; [unrolled: 1-line block ×21, first 2 shown]
	ds_read2_b64 v[117:120], v116 offset0:93 offset1:94
	ds_read2_b64 v[121:124], v116 offset0:95 offset1:96
	buffer_load_dword v142, off, s[0:3], 0 offset:364
	v_cmp_lt_u32_e32 vcc, 33, v0
	s_waitcnt vmcnt(20) lgkmcnt(1)
	v_fma_f64 v[117:118], v[125:126], v[117:118], 0
	s_waitcnt vmcnt(18)
	v_fma_f64 v[117:118], v[127:128], v[119:120], v[117:118]
	buffer_load_dword v126, off, s[0:3], 0 offset:372
	buffer_load_dword v127, off, s[0:3], 0 offset:392
	;; [unrolled: 1-line block ×7, first 2 shown]
	s_waitcnt vmcnt(23) lgkmcnt(0)
	v_fma_f64 v[117:118], v[129:130], v[121:122], v[117:118]
	s_waitcnt vmcnt(21)
	v_fma_f64 v[128:129], v[131:132], v[123:124], v[117:118]
	ds_read2_b64 v[117:120], v116 offset0:97 offset1:98
	ds_read2_b64 v[121:124], v116 offset0:99 offset1:100
	s_waitcnt vmcnt(19) lgkmcnt(1)
	v_fma_f64 v[117:118], v[133:134], v[117:118], v[128:129]
	buffer_load_dword v128, off, s[0:3], 0 offset:396
	s_waitcnt vmcnt(18)
	v_fma_f64 v[117:118], v[135:136], v[119:120], v[117:118]
	buffer_load_dword v130, off, s[0:3], 0 offset:404
	buffer_load_dword v131, off, s[0:3], 0 offset:424
	;; [unrolled: 1-line block ×8, first 2 shown]
	s_waitcnt vmcnt(24) lgkmcnt(0)
	v_fma_f64 v[117:118], v[137:138], v[121:122], v[117:118]
	s_waitcnt vmcnt(19)
	v_fma_f64 v[137:138], v[139:140], v[123:124], v[117:118]
	ds_read2_b64 v[117:120], v116 offset0:101 offset1:102
	ds_read2_b64 v[121:124], v116 offset0:103 offset1:104
	s_waitcnt vmcnt(18) lgkmcnt(1)
	v_fma_f64 v[117:118], v[145:146], v[117:118], v[137:138]
	s_waitcnt vmcnt(17)
	v_fma_f64 v[117:118], v[143:144], v[119:120], v[117:118]
	buffer_load_dword v138, off, s[0:3], 0 offset:436
	buffer_load_dword v139, off, s[0:3], 0 offset:448
	;; [unrolled: 1-line block ×6, first 2 shown]
	s_waitcnt vmcnt(22) lgkmcnt(0)
	v_fma_f64 v[117:118], v[141:142], v[121:122], v[117:118]
	s_waitcnt vmcnt(17)
	v_fma_f64 v[125:126], v[125:126], v[123:124], v[117:118]
	ds_read2_b64 v[117:120], v116 offset0:105 offset1:106
	buffer_load_dword v141, off, s[0:3], 0 offset:272
	buffer_load_dword v142, off, s[0:3], 0 offset:276
	ds_read2_b64 v[121:124], v116 offset0:107 offset1:108
	s_waitcnt vmcnt(18) lgkmcnt(1)
	v_fma_f64 v[117:118], v[149:150], v[117:118], v[125:126]
	s_waitcnt vmcnt(17)
	v_fma_f64 v[117:118], v[147:148], v[119:120], v[117:118]
	s_waitcnt vmcnt(16) lgkmcnt(0)
	v_fma_f64 v[117:118], v[127:128], v[121:122], v[117:118]
	s_waitcnt vmcnt(11)
	v_fma_f64 v[125:126], v[129:130], v[123:124], v[117:118]
	ds_read2_b64 v[117:120], v116 offset0:109 offset1:110
	ds_read2_b64 v[121:124], v116 offset0:111 offset1:112
	s_waitcnt vmcnt(10) lgkmcnt(1)
	v_fma_f64 v[117:118], v[135:136], v[117:118], v[125:126]
	s_waitcnt vmcnt(9)
	v_fma_f64 v[117:118], v[133:134], v[119:120], v[117:118]
	s_waitcnt vmcnt(8) lgkmcnt(0)
	v_fma_f64 v[117:118], v[131:132], v[121:122], v[117:118]
	s_waitcnt vmcnt(4)
	v_fma_f64 v[120:121], v[137:138], v[123:124], v[117:118]
	ds_read2_b64 v[116:119], v116 offset0:113 offset1:114
	s_waitcnt vmcnt(3) lgkmcnt(0)
	v_fma_f64 v[116:117], v[143:144], v[116:117], v[120:121]
	s_waitcnt vmcnt(2)
	v_fma_f64 v[116:117], v[139:140], v[118:119], v[116:117]
	s_waitcnt vmcnt(0)
	v_add_f64 v[116:117], v[141:142], -v[116:117]
	buffer_store_dword v117, off, s[0:3], 0 offset:276
	buffer_store_dword v116, off, s[0:3], 0 offset:272
	s_and_saveexec_b64 s[4:5], vcc
	s_cbranch_execz .LBB120_283
; %bb.282:
	buffer_load_dword v116, off, s[0:3], 0 offset:264
	buffer_load_dword v117, off, s[0:3], 0 offset:268
	v_mov_b32_e32 v118, 0
	buffer_store_dword v118, off, s[0:3], 0 offset:264
	buffer_store_dword v118, off, s[0:3], 0 offset:268
	s_waitcnt vmcnt(2)
	ds_write_b64 v115, v[116:117]
.LBB120_283:
	s_or_b64 exec, exec, s[4:5]
	s_waitcnt lgkmcnt(0)
	; wave barrier
	buffer_load_dword v125, off, s[0:3], 0 offset:272
	buffer_load_dword v126, off, s[0:3], 0 offset:276
	;; [unrolled: 1-line block ×21, first 2 shown]
	v_mov_b32_e32 v116, 0
	ds_read_b128 v[117:120], v116 offset:736
	ds_read_b128 v[121:124], v116 offset:752
	buffer_load_dword v142, off, s[0:3], 0 offset:356
	v_cmp_lt_u32_e32 vcc, 32, v0
	s_waitcnt vmcnt(20) lgkmcnt(1)
	v_fma_f64 v[117:118], v[125:126], v[117:118], 0
	s_waitcnt vmcnt(18)
	v_fma_f64 v[117:118], v[127:128], v[119:120], v[117:118]
	buffer_load_dword v126, off, s[0:3], 0 offset:364
	buffer_load_dword v127, off, s[0:3], 0 offset:384
	;; [unrolled: 1-line block ×7, first 2 shown]
	s_waitcnt vmcnt(23) lgkmcnt(0)
	v_fma_f64 v[117:118], v[129:130], v[121:122], v[117:118]
	s_waitcnt vmcnt(21)
	v_fma_f64 v[128:129], v[131:132], v[123:124], v[117:118]
	ds_read_b128 v[117:120], v116 offset:768
	ds_read_b128 v[121:124], v116 offset:784
	s_waitcnt vmcnt(19) lgkmcnt(1)
	v_fma_f64 v[117:118], v[133:134], v[117:118], v[128:129]
	buffer_load_dword v128, off, s[0:3], 0 offset:388
	s_waitcnt vmcnt(18)
	v_fma_f64 v[117:118], v[135:136], v[119:120], v[117:118]
	buffer_load_dword v130, off, s[0:3], 0 offset:396
	buffer_load_dword v131, off, s[0:3], 0 offset:416
	;; [unrolled: 1-line block ×8, first 2 shown]
	s_waitcnt vmcnt(24) lgkmcnt(0)
	v_fma_f64 v[117:118], v[137:138], v[121:122], v[117:118]
	s_waitcnt vmcnt(19)
	v_fma_f64 v[137:138], v[139:140], v[123:124], v[117:118]
	ds_read_b128 v[117:120], v116 offset:800
	ds_read_b128 v[121:124], v116 offset:816
	s_waitcnt vmcnt(18) lgkmcnt(1)
	v_fma_f64 v[117:118], v[145:146], v[117:118], v[137:138]
	s_waitcnt vmcnt(17)
	v_fma_f64 v[117:118], v[143:144], v[119:120], v[117:118]
	buffer_load_dword v138, off, s[0:3], 0 offset:428
	buffer_load_dword v139, off, s[0:3], 0 offset:448
	;; [unrolled: 1-line block ×8, first 2 shown]
	s_waitcnt vmcnt(24) lgkmcnt(0)
	v_fma_f64 v[117:118], v[141:142], v[121:122], v[117:118]
	s_waitcnt vmcnt(19)
	v_fma_f64 v[125:126], v[125:126], v[123:124], v[117:118]
	ds_read_b128 v[117:120], v116 offset:832
	ds_read_b128 v[121:124], v116 offset:848
	s_waitcnt vmcnt(18) lgkmcnt(1)
	v_fma_f64 v[117:118], v[149:150], v[117:118], v[125:126]
	buffer_load_dword v125, off, s[0:3], 0 offset:264
	buffer_load_dword v126, off, s[0:3], 0 offset:268
	s_waitcnt vmcnt(19)
	v_fma_f64 v[117:118], v[147:148], v[119:120], v[117:118]
	s_waitcnt vmcnt(18) lgkmcnt(0)
	v_fma_f64 v[117:118], v[127:128], v[121:122], v[117:118]
	s_waitcnt vmcnt(13)
	v_fma_f64 v[127:128], v[129:130], v[123:124], v[117:118]
	ds_read_b128 v[117:120], v116 offset:864
	ds_read_b128 v[121:124], v116 offset:880
	s_waitcnt vmcnt(12) lgkmcnt(1)
	v_fma_f64 v[117:118], v[135:136], v[117:118], v[127:128]
	s_waitcnt vmcnt(11)
	v_fma_f64 v[117:118], v[133:134], v[119:120], v[117:118]
	s_waitcnt vmcnt(10) lgkmcnt(0)
	v_fma_f64 v[117:118], v[131:132], v[121:122], v[117:118]
	s_waitcnt vmcnt(5)
	v_fma_f64 v[121:122], v[137:138], v[123:124], v[117:118]
	ds_read_b128 v[117:120], v116 offset:896
	ds_read_b64 v[123:124], v116 offset:912
	s_waitcnt vmcnt(4) lgkmcnt(1)
	v_fma_f64 v[117:118], v[145:146], v[117:118], v[121:122]
	s_waitcnt vmcnt(3)
	v_fma_f64 v[117:118], v[143:144], v[119:120], v[117:118]
	s_waitcnt vmcnt(2) lgkmcnt(0)
	v_fma_f64 v[117:118], v[139:140], v[123:124], v[117:118]
	s_waitcnt vmcnt(0)
	v_add_f64 v[117:118], v[125:126], -v[117:118]
	buffer_store_dword v118, off, s[0:3], 0 offset:268
	buffer_store_dword v117, off, s[0:3], 0 offset:264
	s_and_saveexec_b64 s[4:5], vcc
	s_cbranch_execz .LBB120_285
; %bb.284:
	buffer_load_dword v117, off, s[0:3], 0 offset:256
	buffer_load_dword v118, off, s[0:3], 0 offset:260
	s_waitcnt vmcnt(0)
	ds_write_b64 v115, v[117:118]
	buffer_store_dword v116, off, s[0:3], 0 offset:256
	buffer_store_dword v116, off, s[0:3], 0 offset:260
.LBB120_285:
	s_or_b64 exec, exec, s[4:5]
	s_waitcnt lgkmcnt(0)
	; wave barrier
	buffer_load_dword v125, off, s[0:3], 0 offset:264
	buffer_load_dword v126, off, s[0:3], 0 offset:268
	;; [unrolled: 1-line block ×21, first 2 shown]
	ds_read2_b64 v[117:120], v116 offset0:91 offset1:92
	ds_read2_b64 v[121:124], v116 offset0:93 offset1:94
	buffer_load_dword v142, off, s[0:3], 0 offset:348
	v_cmp_lt_u32_e32 vcc, 31, v0
	s_waitcnt vmcnt(20) lgkmcnt(1)
	v_fma_f64 v[117:118], v[125:126], v[117:118], 0
	s_waitcnt vmcnt(18)
	v_fma_f64 v[117:118], v[127:128], v[119:120], v[117:118]
	buffer_load_dword v126, off, s[0:3], 0 offset:356
	buffer_load_dword v127, off, s[0:3], 0 offset:376
	;; [unrolled: 1-line block ×7, first 2 shown]
	s_waitcnt vmcnt(23) lgkmcnt(0)
	v_fma_f64 v[117:118], v[129:130], v[121:122], v[117:118]
	s_waitcnt vmcnt(21)
	v_fma_f64 v[128:129], v[131:132], v[123:124], v[117:118]
	ds_read2_b64 v[117:120], v116 offset0:95 offset1:96
	ds_read2_b64 v[121:124], v116 offset0:97 offset1:98
	s_waitcnt vmcnt(19) lgkmcnt(1)
	v_fma_f64 v[117:118], v[133:134], v[117:118], v[128:129]
	buffer_load_dword v128, off, s[0:3], 0 offset:380
	s_waitcnt vmcnt(18)
	v_fma_f64 v[117:118], v[135:136], v[119:120], v[117:118]
	buffer_load_dword v130, off, s[0:3], 0 offset:388
	buffer_load_dword v131, off, s[0:3], 0 offset:408
	buffer_load_dword v133, off, s[0:3], 0 offset:400
	buffer_load_dword v135, off, s[0:3], 0 offset:392
	buffer_load_dword v129, off, s[0:3], 0 offset:384
	buffer_load_dword v136, off, s[0:3], 0 offset:396
	buffer_load_dword v134, off, s[0:3], 0 offset:404
	buffer_load_dword v132, off, s[0:3], 0 offset:412
	s_waitcnt vmcnt(24) lgkmcnt(0)
	v_fma_f64 v[117:118], v[137:138], v[121:122], v[117:118]
	s_waitcnt vmcnt(19)
	v_fma_f64 v[137:138], v[139:140], v[123:124], v[117:118]
	ds_read2_b64 v[117:120], v116 offset0:99 offset1:100
	ds_read2_b64 v[121:124], v116 offset0:101 offset1:102
	s_waitcnt vmcnt(18) lgkmcnt(1)
	v_fma_f64 v[117:118], v[145:146], v[117:118], v[137:138]
	s_waitcnt vmcnt(17)
	v_fma_f64 v[117:118], v[143:144], v[119:120], v[117:118]
	buffer_load_dword v138, off, s[0:3], 0 offset:420
	buffer_load_dword v139, off, s[0:3], 0 offset:440
	;; [unrolled: 1-line block ×8, first 2 shown]
	s_waitcnt vmcnt(24) lgkmcnt(0)
	v_fma_f64 v[117:118], v[141:142], v[121:122], v[117:118]
	s_waitcnt vmcnt(19)
	v_fma_f64 v[125:126], v[125:126], v[123:124], v[117:118]
	ds_read2_b64 v[117:120], v116 offset0:103 offset1:104
	ds_read2_b64 v[121:124], v116 offset0:105 offset1:106
	s_waitcnt vmcnt(18) lgkmcnt(1)
	v_fma_f64 v[117:118], v[149:150], v[117:118], v[125:126]
	buffer_load_dword v126, off, s[0:3], 0 offset:452
	buffer_load_dword v125, off, s[0:3], 0 offset:448
	;; [unrolled: 1-line block ×4, first 2 shown]
	s_waitcnt vmcnt(21)
	v_fma_f64 v[117:118], v[147:148], v[119:120], v[117:118]
	s_waitcnt vmcnt(20) lgkmcnt(0)
	v_fma_f64 v[117:118], v[127:128], v[121:122], v[117:118]
	s_waitcnt vmcnt(15)
	v_fma_f64 v[127:128], v[129:130], v[123:124], v[117:118]
	ds_read2_b64 v[117:120], v116 offset0:107 offset1:108
	ds_read2_b64 v[121:124], v116 offset0:109 offset1:110
	s_waitcnt vmcnt(14) lgkmcnt(1)
	v_fma_f64 v[117:118], v[135:136], v[117:118], v[127:128]
	s_waitcnt vmcnt(13)
	v_fma_f64 v[117:118], v[133:134], v[119:120], v[117:118]
	s_waitcnt vmcnt(12) lgkmcnt(0)
	v_fma_f64 v[117:118], v[131:132], v[121:122], v[117:118]
	s_waitcnt vmcnt(7)
	v_fma_f64 v[127:128], v[137:138], v[123:124], v[117:118]
	ds_read2_b64 v[117:120], v116 offset0:111 offset1:112
	ds_read2_b64 v[121:124], v116 offset0:113 offset1:114
	s_waitcnt vmcnt(6) lgkmcnt(1)
	v_fma_f64 v[116:117], v[145:146], v[117:118], v[127:128]
	s_waitcnt vmcnt(5)
	v_fma_f64 v[116:117], v[143:144], v[119:120], v[116:117]
	s_waitcnt vmcnt(4) lgkmcnt(0)
	v_fma_f64 v[116:117], v[139:140], v[121:122], v[116:117]
	s_waitcnt vmcnt(2)
	v_fma_f64 v[116:117], v[125:126], v[123:124], v[116:117]
	s_waitcnt vmcnt(0)
	v_add_f64 v[116:117], v[141:142], -v[116:117]
	buffer_store_dword v117, off, s[0:3], 0 offset:260
	buffer_store_dword v116, off, s[0:3], 0 offset:256
	s_and_saveexec_b64 s[4:5], vcc
	s_cbranch_execz .LBB120_287
; %bb.286:
	buffer_load_dword v116, off, s[0:3], 0 offset:248
	buffer_load_dword v117, off, s[0:3], 0 offset:252
	v_mov_b32_e32 v118, 0
	buffer_store_dword v118, off, s[0:3], 0 offset:248
	buffer_store_dword v118, off, s[0:3], 0 offset:252
	s_waitcnt vmcnt(2)
	ds_write_b64 v115, v[116:117]
.LBB120_287:
	s_or_b64 exec, exec, s[4:5]
	s_waitcnt lgkmcnt(0)
	; wave barrier
	buffer_load_dword v125, off, s[0:3], 0 offset:256
	buffer_load_dword v126, off, s[0:3], 0 offset:260
	;; [unrolled: 1-line block ×21, first 2 shown]
	v_mov_b32_e32 v116, 0
	ds_read_b128 v[117:120], v116 offset:720
	ds_read_b128 v[121:124], v116 offset:736
	buffer_load_dword v142, off, s[0:3], 0 offset:340
	v_cmp_lt_u32_e32 vcc, 30, v0
	s_waitcnt vmcnt(20) lgkmcnt(1)
	v_fma_f64 v[117:118], v[125:126], v[117:118], 0
	s_waitcnt vmcnt(18)
	v_fma_f64 v[117:118], v[127:128], v[119:120], v[117:118]
	buffer_load_dword v126, off, s[0:3], 0 offset:348
	buffer_load_dword v127, off, s[0:3], 0 offset:368
	;; [unrolled: 1-line block ×7, first 2 shown]
	s_waitcnt vmcnt(23) lgkmcnt(0)
	v_fma_f64 v[117:118], v[129:130], v[121:122], v[117:118]
	s_waitcnt vmcnt(21)
	v_fma_f64 v[128:129], v[131:132], v[123:124], v[117:118]
	ds_read_b128 v[117:120], v116 offset:752
	ds_read_b128 v[121:124], v116 offset:768
	s_waitcnt vmcnt(19) lgkmcnt(1)
	v_fma_f64 v[117:118], v[133:134], v[117:118], v[128:129]
	buffer_load_dword v128, off, s[0:3], 0 offset:372
	s_waitcnt vmcnt(18)
	v_fma_f64 v[117:118], v[135:136], v[119:120], v[117:118]
	buffer_load_dword v130, off, s[0:3], 0 offset:380
	buffer_load_dword v131, off, s[0:3], 0 offset:400
	buffer_load_dword v133, off, s[0:3], 0 offset:392
	buffer_load_dword v135, off, s[0:3], 0 offset:384
	buffer_load_dword v129, off, s[0:3], 0 offset:376
	buffer_load_dword v136, off, s[0:3], 0 offset:388
	buffer_load_dword v134, off, s[0:3], 0 offset:396
	buffer_load_dword v132, off, s[0:3], 0 offset:404
	s_waitcnt vmcnt(24) lgkmcnt(0)
	v_fma_f64 v[117:118], v[137:138], v[121:122], v[117:118]
	s_waitcnt vmcnt(19)
	v_fma_f64 v[137:138], v[139:140], v[123:124], v[117:118]
	ds_read_b128 v[117:120], v116 offset:784
	ds_read_b128 v[121:124], v116 offset:800
	s_waitcnt vmcnt(18) lgkmcnt(1)
	v_fma_f64 v[117:118], v[145:146], v[117:118], v[137:138]
	s_waitcnt vmcnt(17)
	v_fma_f64 v[117:118], v[143:144], v[119:120], v[117:118]
	buffer_load_dword v138, off, s[0:3], 0 offset:412
	buffer_load_dword v139, off, s[0:3], 0 offset:432
	;; [unrolled: 1-line block ×7, first 2 shown]
	s_waitcnt vmcnt(23) lgkmcnt(0)
	v_fma_f64 v[117:118], v[141:142], v[121:122], v[117:118]
	s_waitcnt vmcnt(18)
	v_fma_f64 v[125:126], v[125:126], v[123:124], v[117:118]
	ds_read_b128 v[117:120], v116 offset:816
	ds_read_b128 v[121:124], v116 offset:832
	buffer_load_dword v140, off, s[0:3], 0 offset:436
	s_waitcnt vmcnt(18) lgkmcnt(1)
	v_fma_f64 v[117:118], v[149:150], v[117:118], v[125:126]
	buffer_load_dword v126, off, s[0:3], 0 offset:444
	buffer_load_dword v141, off, s[0:3], 0 offset:448
	;; [unrolled: 1-line block ×4, first 2 shown]
	s_waitcnt vmcnt(21)
	v_fma_f64 v[117:118], v[147:148], v[119:120], v[117:118]
	s_waitcnt vmcnt(20) lgkmcnt(0)
	v_fma_f64 v[117:118], v[127:128], v[121:122], v[117:118]
	buffer_load_dword v127, off, s[0:3], 0 offset:248
	buffer_load_dword v128, off, s[0:3], 0 offset:252
	s_waitcnt vmcnt(17)
	v_fma_f64 v[129:130], v[129:130], v[123:124], v[117:118]
	ds_read_b128 v[117:120], v116 offset:848
	ds_read_b128 v[121:124], v116 offset:864
	s_waitcnt vmcnt(16) lgkmcnt(1)
	v_fma_f64 v[117:118], v[135:136], v[117:118], v[129:130]
	s_waitcnt vmcnt(15)
	v_fma_f64 v[117:118], v[133:134], v[119:120], v[117:118]
	s_waitcnt vmcnt(14) lgkmcnt(0)
	v_fma_f64 v[117:118], v[131:132], v[121:122], v[117:118]
	s_waitcnt vmcnt(9)
	v_fma_f64 v[129:130], v[137:138], v[123:124], v[117:118]
	ds_read_b128 v[117:120], v116 offset:880
	ds_read_b128 v[121:124], v116 offset:896
	s_waitcnt vmcnt(8) lgkmcnt(1)
	v_fma_f64 v[117:118], v[145:146], v[117:118], v[129:130]
	s_waitcnt vmcnt(7)
	v_fma_f64 v[117:118], v[143:144], v[119:120], v[117:118]
	ds_read_b64 v[119:120], v116 offset:912
	s_waitcnt vmcnt(6) lgkmcnt(1)
	v_fma_f64 v[117:118], v[139:140], v[121:122], v[117:118]
	s_waitcnt vmcnt(3)
	v_fma_f64 v[117:118], v[125:126], v[123:124], v[117:118]
	s_waitcnt vmcnt(2) lgkmcnt(0)
	v_fma_f64 v[117:118], v[141:142], v[119:120], v[117:118]
	s_waitcnt vmcnt(0)
	v_add_f64 v[117:118], v[127:128], -v[117:118]
	buffer_store_dword v118, off, s[0:3], 0 offset:252
	buffer_store_dword v117, off, s[0:3], 0 offset:248
	s_and_saveexec_b64 s[4:5], vcc
	s_cbranch_execz .LBB120_289
; %bb.288:
	buffer_load_dword v117, off, s[0:3], 0 offset:240
	buffer_load_dword v118, off, s[0:3], 0 offset:244
	s_waitcnt vmcnt(0)
	ds_write_b64 v115, v[117:118]
	buffer_store_dword v116, off, s[0:3], 0 offset:240
	buffer_store_dword v116, off, s[0:3], 0 offset:244
.LBB120_289:
	s_or_b64 exec, exec, s[4:5]
	s_waitcnt lgkmcnt(0)
	; wave barrier
	buffer_load_dword v125, off, s[0:3], 0 offset:248
	buffer_load_dword v126, off, s[0:3], 0 offset:252
	;; [unrolled: 1-line block ×22, first 2 shown]
	ds_read2_b64 v[117:120], v116 offset0:89 offset1:90
	ds_read2_b64 v[121:124], v116 offset0:91 offset1:92
	v_cmp_lt_u32_e32 vcc, 29, v0
	s_waitcnt vmcnt(20) lgkmcnt(1)
	v_fma_f64 v[117:118], v[125:126], v[117:118], 0
	s_waitcnt vmcnt(18)
	v_fma_f64 v[117:118], v[127:128], v[119:120], v[117:118]
	buffer_load_dword v126, off, s[0:3], 0 offset:340
	buffer_load_dword v127, off, s[0:3], 0 offset:360
	;; [unrolled: 1-line block ×7, first 2 shown]
	s_waitcnt vmcnt(23) lgkmcnt(0)
	v_fma_f64 v[117:118], v[129:130], v[121:122], v[117:118]
	s_waitcnt vmcnt(21)
	v_fma_f64 v[128:129], v[131:132], v[123:124], v[117:118]
	ds_read2_b64 v[117:120], v116 offset0:93 offset1:94
	ds_read2_b64 v[121:124], v116 offset0:95 offset1:96
	s_waitcnt vmcnt(19) lgkmcnt(1)
	v_fma_f64 v[117:118], v[133:134], v[117:118], v[128:129]
	buffer_load_dword v128, off, s[0:3], 0 offset:364
	s_waitcnt vmcnt(18)
	v_fma_f64 v[117:118], v[135:136], v[119:120], v[117:118]
	buffer_load_dword v130, off, s[0:3], 0 offset:372
	buffer_load_dword v131, off, s[0:3], 0 offset:392
	;; [unrolled: 1-line block ×8, first 2 shown]
	s_waitcnt vmcnt(24) lgkmcnt(0)
	v_fma_f64 v[117:118], v[137:138], v[121:122], v[117:118]
	s_waitcnt vmcnt(19)
	v_fma_f64 v[137:138], v[139:140], v[123:124], v[117:118]
	ds_read2_b64 v[117:120], v116 offset0:97 offset1:98
	ds_read2_b64 v[121:124], v116 offset0:99 offset1:100
	s_waitcnt vmcnt(18) lgkmcnt(1)
	v_fma_f64 v[117:118], v[145:146], v[117:118], v[137:138]
	s_waitcnt vmcnt(17)
	v_fma_f64 v[117:118], v[143:144], v[119:120], v[117:118]
	buffer_load_dword v138, off, s[0:3], 0 offset:404
	buffer_load_dword v139, off, s[0:3], 0 offset:424
	;; [unrolled: 1-line block ×8, first 2 shown]
	s_waitcnt vmcnt(24) lgkmcnt(0)
	v_fma_f64 v[117:118], v[141:142], v[121:122], v[117:118]
	s_waitcnt vmcnt(19)
	v_fma_f64 v[125:126], v[125:126], v[123:124], v[117:118]
	ds_read2_b64 v[117:120], v116 offset0:101 offset1:102
	ds_read2_b64 v[121:124], v116 offset0:103 offset1:104
	s_waitcnt vmcnt(18) lgkmcnt(1)
	v_fma_f64 v[117:118], v[149:150], v[117:118], v[125:126]
	s_waitcnt vmcnt(17)
	v_fma_f64 v[117:118], v[147:148], v[119:120], v[117:118]
	buffer_load_dword v126, off, s[0:3], 0 offset:436
	buffer_load_dword v141, off, s[0:3], 0 offset:448
	;; [unrolled: 1-line block ×6, first 2 shown]
	s_waitcnt vmcnt(22) lgkmcnt(0)
	v_fma_f64 v[117:118], v[127:128], v[121:122], v[117:118]
	s_waitcnt vmcnt(17)
	v_fma_f64 v[127:128], v[129:130], v[123:124], v[117:118]
	ds_read2_b64 v[117:120], v116 offset0:105 offset1:106
	buffer_load_dword v129, off, s[0:3], 0 offset:240
	buffer_load_dword v130, off, s[0:3], 0 offset:244
	ds_read2_b64 v[121:124], v116 offset0:107 offset1:108
	s_waitcnt vmcnt(18) lgkmcnt(1)
	v_fma_f64 v[117:118], v[135:136], v[117:118], v[127:128]
	s_waitcnt vmcnt(17)
	v_fma_f64 v[117:118], v[133:134], v[119:120], v[117:118]
	s_waitcnt vmcnt(16) lgkmcnt(0)
	v_fma_f64 v[117:118], v[131:132], v[121:122], v[117:118]
	s_waitcnt vmcnt(11)
	v_fma_f64 v[127:128], v[137:138], v[123:124], v[117:118]
	ds_read2_b64 v[117:120], v116 offset0:109 offset1:110
	ds_read2_b64 v[121:124], v116 offset0:111 offset1:112
	s_waitcnt vmcnt(10) lgkmcnt(1)
	v_fma_f64 v[117:118], v[145:146], v[117:118], v[127:128]
	s_waitcnt vmcnt(9)
	v_fma_f64 v[117:118], v[143:144], v[119:120], v[117:118]
	s_waitcnt vmcnt(8) lgkmcnt(0)
	v_fma_f64 v[117:118], v[139:140], v[121:122], v[117:118]
	s_waitcnt vmcnt(4)
	v_fma_f64 v[120:121], v[125:126], v[123:124], v[117:118]
	ds_read2_b64 v[116:119], v116 offset0:113 offset1:114
	s_waitcnt vmcnt(3) lgkmcnt(0)
	v_fma_f64 v[116:117], v[147:148], v[116:117], v[120:121]
	s_waitcnt vmcnt(2)
	v_fma_f64 v[116:117], v[141:142], v[118:119], v[116:117]
	s_waitcnt vmcnt(0)
	v_add_f64 v[116:117], v[129:130], -v[116:117]
	buffer_store_dword v117, off, s[0:3], 0 offset:244
	buffer_store_dword v116, off, s[0:3], 0 offset:240
	s_and_saveexec_b64 s[4:5], vcc
	s_cbranch_execz .LBB120_291
; %bb.290:
	buffer_load_dword v116, off, s[0:3], 0 offset:232
	buffer_load_dword v117, off, s[0:3], 0 offset:236
	v_mov_b32_e32 v118, 0
	buffer_store_dword v118, off, s[0:3], 0 offset:232
	buffer_store_dword v118, off, s[0:3], 0 offset:236
	s_waitcnt vmcnt(2)
	ds_write_b64 v115, v[116:117]
.LBB120_291:
	s_or_b64 exec, exec, s[4:5]
	s_waitcnt lgkmcnt(0)
	; wave barrier
	buffer_load_dword v125, off, s[0:3], 0 offset:240
	buffer_load_dword v126, off, s[0:3], 0 offset:244
	;; [unrolled: 1-line block ×22, first 2 shown]
	v_mov_b32_e32 v116, 0
	ds_read_b128 v[117:120], v116 offset:704
	ds_read_b128 v[121:124], v116 offset:720
	v_cmp_lt_u32_e32 vcc, 28, v0
	s_waitcnt vmcnt(20) lgkmcnt(1)
	v_fma_f64 v[117:118], v[125:126], v[117:118], 0
	s_waitcnt vmcnt(18)
	v_fma_f64 v[117:118], v[127:128], v[119:120], v[117:118]
	buffer_load_dword v126, off, s[0:3], 0 offset:332
	buffer_load_dword v127, off, s[0:3], 0 offset:352
	;; [unrolled: 1-line block ×7, first 2 shown]
	s_waitcnt vmcnt(23) lgkmcnt(0)
	v_fma_f64 v[117:118], v[129:130], v[121:122], v[117:118]
	s_waitcnt vmcnt(21)
	v_fma_f64 v[128:129], v[131:132], v[123:124], v[117:118]
	ds_read_b128 v[117:120], v116 offset:736
	ds_read_b128 v[121:124], v116 offset:752
	s_waitcnt vmcnt(19) lgkmcnt(1)
	v_fma_f64 v[117:118], v[133:134], v[117:118], v[128:129]
	buffer_load_dword v128, off, s[0:3], 0 offset:356
	s_waitcnt vmcnt(18)
	v_fma_f64 v[117:118], v[135:136], v[119:120], v[117:118]
	buffer_load_dword v130, off, s[0:3], 0 offset:364
	buffer_load_dword v131, off, s[0:3], 0 offset:384
	buffer_load_dword v133, off, s[0:3], 0 offset:376
	buffer_load_dword v135, off, s[0:3], 0 offset:368
	buffer_load_dword v129, off, s[0:3], 0 offset:360
	buffer_load_dword v136, off, s[0:3], 0 offset:372
	buffer_load_dword v134, off, s[0:3], 0 offset:380
	buffer_load_dword v132, off, s[0:3], 0 offset:388
	s_waitcnt vmcnt(24) lgkmcnt(0)
	v_fma_f64 v[117:118], v[137:138], v[121:122], v[117:118]
	s_waitcnt vmcnt(19)
	v_fma_f64 v[137:138], v[139:140], v[123:124], v[117:118]
	ds_read_b128 v[117:120], v116 offset:768
	ds_read_b128 v[121:124], v116 offset:784
	s_waitcnt vmcnt(18) lgkmcnt(1)
	v_fma_f64 v[117:118], v[145:146], v[117:118], v[137:138]
	s_waitcnt vmcnt(17)
	v_fma_f64 v[117:118], v[143:144], v[119:120], v[117:118]
	buffer_load_dword v138, off, s[0:3], 0 offset:396
	buffer_load_dword v139, off, s[0:3], 0 offset:416
	buffer_load_dword v143, off, s[0:3], 0 offset:408
	buffer_load_dword v145, off, s[0:3], 0 offset:400
	buffer_load_dword v137, off, s[0:3], 0 offset:392
	buffer_load_dword v146, off, s[0:3], 0 offset:404
	buffer_load_dword v144, off, s[0:3], 0 offset:412
	buffer_load_dword v140, off, s[0:3], 0 offset:420
	s_waitcnt vmcnt(24) lgkmcnt(0)
	v_fma_f64 v[117:118], v[141:142], v[121:122], v[117:118]
	s_waitcnt vmcnt(19)
	v_fma_f64 v[125:126], v[125:126], v[123:124], v[117:118]
	ds_read_b128 v[117:120], v116 offset:800
	ds_read_b128 v[121:124], v116 offset:816
	s_waitcnt vmcnt(18) lgkmcnt(1)
	v_fma_f64 v[117:118], v[149:150], v[117:118], v[125:126]
	;; [unrolled: 18-line block ×3, first 2 shown]
	buffer_load_dword v127, off, s[0:3], 0 offset:232
	buffer_load_dword v128, off, s[0:3], 0 offset:236
	s_waitcnt vmcnt(19)
	v_fma_f64 v[117:118], v[133:134], v[119:120], v[117:118]
	s_waitcnt vmcnt(18) lgkmcnt(0)
	v_fma_f64 v[117:118], v[131:132], v[121:122], v[117:118]
	s_waitcnt vmcnt(13)
	v_fma_f64 v[129:130], v[137:138], v[123:124], v[117:118]
	ds_read_b128 v[117:120], v116 offset:864
	ds_read_b128 v[121:124], v116 offset:880
	s_waitcnt vmcnt(12) lgkmcnt(1)
	v_fma_f64 v[117:118], v[145:146], v[117:118], v[129:130]
	s_waitcnt vmcnt(11)
	v_fma_f64 v[117:118], v[143:144], v[119:120], v[117:118]
	s_waitcnt vmcnt(10) lgkmcnt(0)
	v_fma_f64 v[117:118], v[139:140], v[121:122], v[117:118]
	s_waitcnt vmcnt(5)
	v_fma_f64 v[121:122], v[125:126], v[123:124], v[117:118]
	ds_read_b128 v[117:120], v116 offset:896
	ds_read_b64 v[123:124], v116 offset:912
	s_waitcnt vmcnt(4) lgkmcnt(1)
	v_fma_f64 v[117:118], v[149:150], v[117:118], v[121:122]
	s_waitcnt vmcnt(3)
	v_fma_f64 v[117:118], v[147:148], v[119:120], v[117:118]
	s_waitcnt vmcnt(2) lgkmcnt(0)
	v_fma_f64 v[117:118], v[141:142], v[123:124], v[117:118]
	s_waitcnt vmcnt(0)
	v_add_f64 v[117:118], v[127:128], -v[117:118]
	buffer_store_dword v118, off, s[0:3], 0 offset:236
	buffer_store_dword v117, off, s[0:3], 0 offset:232
	s_and_saveexec_b64 s[4:5], vcc
	s_cbranch_execz .LBB120_293
; %bb.292:
	buffer_load_dword v117, off, s[0:3], 0 offset:224
	buffer_load_dword v118, off, s[0:3], 0 offset:228
	s_waitcnt vmcnt(0)
	ds_write_b64 v115, v[117:118]
	buffer_store_dword v116, off, s[0:3], 0 offset:224
	buffer_store_dword v116, off, s[0:3], 0 offset:228
.LBB120_293:
	s_or_b64 exec, exec, s[4:5]
	s_waitcnt lgkmcnt(0)
	; wave barrier
	buffer_load_dword v125, off, s[0:3], 0 offset:232
	buffer_load_dword v126, off, s[0:3], 0 offset:236
	;; [unrolled: 1-line block ×22, first 2 shown]
	ds_read2_b64 v[117:120], v116 offset0:87 offset1:88
	ds_read2_b64 v[121:124], v116 offset0:89 offset1:90
	v_cmp_lt_u32_e32 vcc, 27, v0
	s_waitcnt vmcnt(20) lgkmcnt(1)
	v_fma_f64 v[117:118], v[125:126], v[117:118], 0
	s_waitcnt vmcnt(18)
	v_fma_f64 v[117:118], v[127:128], v[119:120], v[117:118]
	buffer_load_dword v126, off, s[0:3], 0 offset:324
	buffer_load_dword v127, off, s[0:3], 0 offset:344
	;; [unrolled: 1-line block ×7, first 2 shown]
	s_waitcnt vmcnt(23) lgkmcnt(0)
	v_fma_f64 v[117:118], v[129:130], v[121:122], v[117:118]
	s_waitcnt vmcnt(21)
	v_fma_f64 v[128:129], v[131:132], v[123:124], v[117:118]
	ds_read2_b64 v[117:120], v116 offset0:91 offset1:92
	ds_read2_b64 v[121:124], v116 offset0:93 offset1:94
	s_waitcnt vmcnt(19) lgkmcnt(1)
	v_fma_f64 v[117:118], v[133:134], v[117:118], v[128:129]
	buffer_load_dword v128, off, s[0:3], 0 offset:348
	s_waitcnt vmcnt(18)
	v_fma_f64 v[117:118], v[135:136], v[119:120], v[117:118]
	buffer_load_dword v130, off, s[0:3], 0 offset:356
	buffer_load_dword v131, off, s[0:3], 0 offset:376
	buffer_load_dword v133, off, s[0:3], 0 offset:368
	buffer_load_dword v135, off, s[0:3], 0 offset:360
	buffer_load_dword v129, off, s[0:3], 0 offset:352
	buffer_load_dword v136, off, s[0:3], 0 offset:364
	buffer_load_dword v134, off, s[0:3], 0 offset:372
	buffer_load_dword v132, off, s[0:3], 0 offset:380
	s_waitcnt vmcnt(24) lgkmcnt(0)
	v_fma_f64 v[117:118], v[137:138], v[121:122], v[117:118]
	s_waitcnt vmcnt(19)
	v_fma_f64 v[137:138], v[139:140], v[123:124], v[117:118]
	ds_read2_b64 v[117:120], v116 offset0:95 offset1:96
	ds_read2_b64 v[121:124], v116 offset0:97 offset1:98
	s_waitcnt vmcnt(18) lgkmcnt(1)
	v_fma_f64 v[117:118], v[145:146], v[117:118], v[137:138]
	s_waitcnt vmcnt(17)
	v_fma_f64 v[117:118], v[143:144], v[119:120], v[117:118]
	buffer_load_dword v138, off, s[0:3], 0 offset:388
	buffer_load_dword v139, off, s[0:3], 0 offset:408
	buffer_load_dword v143, off, s[0:3], 0 offset:400
	buffer_load_dword v145, off, s[0:3], 0 offset:392
	buffer_load_dword v137, off, s[0:3], 0 offset:384
	buffer_load_dword v146, off, s[0:3], 0 offset:396
	buffer_load_dword v144, off, s[0:3], 0 offset:404
	buffer_load_dword v140, off, s[0:3], 0 offset:412
	s_waitcnt vmcnt(24) lgkmcnt(0)
	v_fma_f64 v[117:118], v[141:142], v[121:122], v[117:118]
	s_waitcnt vmcnt(19)
	v_fma_f64 v[125:126], v[125:126], v[123:124], v[117:118]
	ds_read2_b64 v[117:120], v116 offset0:99 offset1:100
	ds_read2_b64 v[121:124], v116 offset0:101 offset1:102
	s_waitcnt vmcnt(18) lgkmcnt(1)
	v_fma_f64 v[117:118], v[149:150], v[117:118], v[125:126]
	;; [unrolled: 18-line block ×3, first 2 shown]
	buffer_load_dword v128, off, s[0:3], 0 offset:452
	buffer_load_dword v127, off, s[0:3], 0 offset:448
	;; [unrolled: 1-line block ×4, first 2 shown]
	s_waitcnt vmcnt(21)
	v_fma_f64 v[117:118], v[133:134], v[119:120], v[117:118]
	s_waitcnt vmcnt(20) lgkmcnt(0)
	v_fma_f64 v[117:118], v[131:132], v[121:122], v[117:118]
	s_waitcnt vmcnt(15)
	v_fma_f64 v[131:132], v[137:138], v[123:124], v[117:118]
	ds_read2_b64 v[117:120], v116 offset0:107 offset1:108
	ds_read2_b64 v[121:124], v116 offset0:109 offset1:110
	s_waitcnt vmcnt(14) lgkmcnt(1)
	v_fma_f64 v[117:118], v[145:146], v[117:118], v[131:132]
	s_waitcnt vmcnt(13)
	v_fma_f64 v[117:118], v[143:144], v[119:120], v[117:118]
	s_waitcnt vmcnt(12) lgkmcnt(0)
	v_fma_f64 v[117:118], v[139:140], v[121:122], v[117:118]
	s_waitcnt vmcnt(7)
	v_fma_f64 v[125:126], v[125:126], v[123:124], v[117:118]
	ds_read2_b64 v[117:120], v116 offset0:111 offset1:112
	ds_read2_b64 v[121:124], v116 offset0:113 offset1:114
	s_waitcnt vmcnt(6) lgkmcnt(1)
	v_fma_f64 v[116:117], v[149:150], v[117:118], v[125:126]
	s_waitcnt vmcnt(5)
	v_fma_f64 v[116:117], v[147:148], v[119:120], v[116:117]
	s_waitcnt vmcnt(4) lgkmcnt(0)
	v_fma_f64 v[116:117], v[141:142], v[121:122], v[116:117]
	s_waitcnt vmcnt(2)
	v_fma_f64 v[116:117], v[127:128], v[123:124], v[116:117]
	s_waitcnt vmcnt(0)
	v_add_f64 v[116:117], v[129:130], -v[116:117]
	buffer_store_dword v117, off, s[0:3], 0 offset:228
	buffer_store_dword v116, off, s[0:3], 0 offset:224
	s_and_saveexec_b64 s[4:5], vcc
	s_cbranch_execz .LBB120_295
; %bb.294:
	buffer_load_dword v116, off, s[0:3], 0 offset:216
	buffer_load_dword v117, off, s[0:3], 0 offset:220
	v_mov_b32_e32 v118, 0
	buffer_store_dword v118, off, s[0:3], 0 offset:216
	buffer_store_dword v118, off, s[0:3], 0 offset:220
	s_waitcnt vmcnt(2)
	ds_write_b64 v115, v[116:117]
.LBB120_295:
	s_or_b64 exec, exec, s[4:5]
	s_waitcnt lgkmcnt(0)
	; wave barrier
	buffer_load_dword v125, off, s[0:3], 0 offset:224
	buffer_load_dword v126, off, s[0:3], 0 offset:228
	;; [unrolled: 1-line block ×22, first 2 shown]
	v_mov_b32_e32 v116, 0
	ds_read_b128 v[117:120], v116 offset:688
	ds_read_b128 v[121:124], v116 offset:704
	v_cmp_lt_u32_e32 vcc, 26, v0
	s_waitcnt vmcnt(20) lgkmcnt(1)
	v_fma_f64 v[117:118], v[125:126], v[117:118], 0
	s_waitcnt vmcnt(18)
	v_fma_f64 v[117:118], v[127:128], v[119:120], v[117:118]
	buffer_load_dword v126, off, s[0:3], 0 offset:316
	buffer_load_dword v127, off, s[0:3], 0 offset:336
	;; [unrolled: 1-line block ×7, first 2 shown]
	s_waitcnt vmcnt(23) lgkmcnt(0)
	v_fma_f64 v[117:118], v[129:130], v[121:122], v[117:118]
	s_waitcnt vmcnt(21)
	v_fma_f64 v[128:129], v[131:132], v[123:124], v[117:118]
	ds_read_b128 v[117:120], v116 offset:720
	ds_read_b128 v[121:124], v116 offset:736
	s_waitcnt vmcnt(19) lgkmcnt(1)
	v_fma_f64 v[117:118], v[133:134], v[117:118], v[128:129]
	buffer_load_dword v128, off, s[0:3], 0 offset:340
	s_waitcnt vmcnt(18)
	v_fma_f64 v[117:118], v[135:136], v[119:120], v[117:118]
	buffer_load_dword v130, off, s[0:3], 0 offset:348
	buffer_load_dword v131, off, s[0:3], 0 offset:368
	buffer_load_dword v133, off, s[0:3], 0 offset:360
	buffer_load_dword v135, off, s[0:3], 0 offset:352
	buffer_load_dword v129, off, s[0:3], 0 offset:344
	buffer_load_dword v136, off, s[0:3], 0 offset:356
	buffer_load_dword v134, off, s[0:3], 0 offset:364
	s_waitcnt vmcnt(23) lgkmcnt(0)
	v_fma_f64 v[117:118], v[137:138], v[121:122], v[117:118]
	s_waitcnt vmcnt(18)
	v_fma_f64 v[137:138], v[139:140], v[123:124], v[117:118]
	ds_read_b128 v[117:120], v116 offset:752
	ds_read_b128 v[121:124], v116 offset:768
	buffer_load_dword v132, off, s[0:3], 0 offset:372
	s_waitcnt vmcnt(18) lgkmcnt(1)
	v_fma_f64 v[117:118], v[145:146], v[117:118], v[137:138]
	s_waitcnt vmcnt(17)
	v_fma_f64 v[117:118], v[143:144], v[119:120], v[117:118]
	buffer_load_dword v138, off, s[0:3], 0 offset:380
	buffer_load_dword v139, off, s[0:3], 0 offset:400
	;; [unrolled: 1-line block ×8, first 2 shown]
	s_waitcnt vmcnt(24) lgkmcnt(0)
	v_fma_f64 v[117:118], v[141:142], v[121:122], v[117:118]
	s_waitcnt vmcnt(19)
	v_fma_f64 v[125:126], v[125:126], v[123:124], v[117:118]
	ds_read_b128 v[117:120], v116 offset:784
	ds_read_b128 v[121:124], v116 offset:800
	s_waitcnt vmcnt(18) lgkmcnt(1)
	v_fma_f64 v[117:118], v[149:150], v[117:118], v[125:126]
	s_waitcnt vmcnt(17)
	v_fma_f64 v[117:118], v[147:148], v[119:120], v[117:118]
	buffer_load_dword v126, off, s[0:3], 0 offset:412
	buffer_load_dword v141, off, s[0:3], 0 offset:432
	;; [unrolled: 1-line block ×7, first 2 shown]
	s_waitcnt vmcnt(23) lgkmcnt(0)
	v_fma_f64 v[117:118], v[127:128], v[121:122], v[117:118]
	s_waitcnt vmcnt(18)
	v_fma_f64 v[127:128], v[129:130], v[123:124], v[117:118]
	ds_read_b128 v[117:120], v116 offset:816
	ds_read_b128 v[121:124], v116 offset:832
	buffer_load_dword v142, off, s[0:3], 0 offset:436
	s_waitcnt vmcnt(18) lgkmcnt(1)
	v_fma_f64 v[117:118], v[135:136], v[117:118], v[127:128]
	buffer_load_dword v128, off, s[0:3], 0 offset:444
	buffer_load_dword v129, off, s[0:3], 0 offset:448
	;; [unrolled: 1-line block ×4, first 2 shown]
	s_waitcnt vmcnt(21)
	v_fma_f64 v[117:118], v[133:134], v[119:120], v[117:118]
	s_waitcnt vmcnt(20) lgkmcnt(0)
	v_fma_f64 v[117:118], v[131:132], v[121:122], v[117:118]
	buffer_load_dword v131, off, s[0:3], 0 offset:216
	buffer_load_dword v132, off, s[0:3], 0 offset:220
	s_waitcnt vmcnt(17)
	v_fma_f64 v[133:134], v[137:138], v[123:124], v[117:118]
	ds_read_b128 v[117:120], v116 offset:848
	ds_read_b128 v[121:124], v116 offset:864
	s_waitcnt vmcnt(16) lgkmcnt(1)
	v_fma_f64 v[117:118], v[145:146], v[117:118], v[133:134]
	s_waitcnt vmcnt(15)
	v_fma_f64 v[117:118], v[143:144], v[119:120], v[117:118]
	s_waitcnt vmcnt(14) lgkmcnt(0)
	v_fma_f64 v[117:118], v[139:140], v[121:122], v[117:118]
	s_waitcnt vmcnt(9)
	v_fma_f64 v[125:126], v[125:126], v[123:124], v[117:118]
	ds_read_b128 v[117:120], v116 offset:880
	ds_read_b128 v[121:124], v116 offset:896
	s_waitcnt vmcnt(8) lgkmcnt(1)
	v_fma_f64 v[117:118], v[149:150], v[117:118], v[125:126]
	s_waitcnt vmcnt(7)
	v_fma_f64 v[117:118], v[147:148], v[119:120], v[117:118]
	ds_read_b64 v[119:120], v116 offset:912
	s_waitcnt vmcnt(6) lgkmcnt(1)
	v_fma_f64 v[117:118], v[141:142], v[121:122], v[117:118]
	s_waitcnt vmcnt(3)
	v_fma_f64 v[117:118], v[127:128], v[123:124], v[117:118]
	s_waitcnt vmcnt(2) lgkmcnt(0)
	v_fma_f64 v[117:118], v[129:130], v[119:120], v[117:118]
	s_waitcnt vmcnt(0)
	v_add_f64 v[117:118], v[131:132], -v[117:118]
	buffer_store_dword v118, off, s[0:3], 0 offset:220
	buffer_store_dword v117, off, s[0:3], 0 offset:216
	s_and_saveexec_b64 s[4:5], vcc
	s_cbranch_execz .LBB120_297
; %bb.296:
	buffer_load_dword v117, off, s[0:3], 0 offset:208
	buffer_load_dword v118, off, s[0:3], 0 offset:212
	s_waitcnt vmcnt(0)
	ds_write_b64 v115, v[117:118]
	buffer_store_dword v116, off, s[0:3], 0 offset:208
	buffer_store_dword v116, off, s[0:3], 0 offset:212
.LBB120_297:
	s_or_b64 exec, exec, s[4:5]
	s_waitcnt lgkmcnt(0)
	; wave barrier
	buffer_load_dword v125, off, s[0:3], 0 offset:216
	buffer_load_dword v126, off, s[0:3], 0 offset:220
	buffer_load_dword v127, off, s[0:3], 0 offset:224
	buffer_load_dword v128, off, s[0:3], 0 offset:228
	buffer_load_dword v129, off, s[0:3], 0 offset:232
	buffer_load_dword v130, off, s[0:3], 0 offset:236
	buffer_load_dword v131, off, s[0:3], 0 offset:240
	buffer_load_dword v132, off, s[0:3], 0 offset:244
	buffer_load_dword v133, off, s[0:3], 0 offset:248
	buffer_load_dword v134, off, s[0:3], 0 offset:252
	buffer_load_dword v135, off, s[0:3], 0 offset:256
	buffer_load_dword v136, off, s[0:3], 0 offset:260
	buffer_load_dword v137, off, s[0:3], 0 offset:264
	buffer_load_dword v138, off, s[0:3], 0 offset:268
	buffer_load_dword v140, off, s[0:3], 0 offset:276
	buffer_load_dword v141, off, s[0:3], 0 offset:296
	buffer_load_dword v143, off, s[0:3], 0 offset:288
	buffer_load_dword v145, off, s[0:3], 0 offset:280
	buffer_load_dword v139, off, s[0:3], 0 offset:272
	buffer_load_dword v146, off, s[0:3], 0 offset:284
	buffer_load_dword v144, off, s[0:3], 0 offset:292
	buffer_load_dword v142, off, s[0:3], 0 offset:300
	ds_read2_b64 v[117:120], v116 offset0:85 offset1:86
	ds_read2_b64 v[121:124], v116 offset0:87 offset1:88
	v_cmp_lt_u32_e32 vcc, 25, v0
	s_waitcnt vmcnt(20) lgkmcnt(1)
	v_fma_f64 v[117:118], v[125:126], v[117:118], 0
	s_waitcnt vmcnt(18)
	v_fma_f64 v[117:118], v[127:128], v[119:120], v[117:118]
	buffer_load_dword v126, off, s[0:3], 0 offset:308
	buffer_load_dword v127, off, s[0:3], 0 offset:328
	;; [unrolled: 1-line block ×7, first 2 shown]
	s_waitcnt vmcnt(23) lgkmcnt(0)
	v_fma_f64 v[117:118], v[129:130], v[121:122], v[117:118]
	s_waitcnt vmcnt(21)
	v_fma_f64 v[128:129], v[131:132], v[123:124], v[117:118]
	ds_read2_b64 v[117:120], v116 offset0:89 offset1:90
	ds_read2_b64 v[121:124], v116 offset0:91 offset1:92
	s_waitcnt vmcnt(19) lgkmcnt(1)
	v_fma_f64 v[117:118], v[133:134], v[117:118], v[128:129]
	buffer_load_dword v128, off, s[0:3], 0 offset:332
	s_waitcnt vmcnt(18)
	v_fma_f64 v[117:118], v[135:136], v[119:120], v[117:118]
	buffer_load_dword v130, off, s[0:3], 0 offset:340
	buffer_load_dword v131, off, s[0:3], 0 offset:360
	;; [unrolled: 1-line block ×7, first 2 shown]
	s_waitcnt vmcnt(23) lgkmcnt(0)
	v_fma_f64 v[117:118], v[137:138], v[121:122], v[117:118]
	s_waitcnt vmcnt(18)
	v_fma_f64 v[137:138], v[139:140], v[123:124], v[117:118]
	ds_read2_b64 v[117:120], v116 offset0:93 offset1:94
	ds_read2_b64 v[121:124], v116 offset0:95 offset1:96
	buffer_load_dword v132, off, s[0:3], 0 offset:364
	s_waitcnt vmcnt(18) lgkmcnt(1)
	v_fma_f64 v[117:118], v[145:146], v[117:118], v[137:138]
	s_waitcnt vmcnt(17)
	v_fma_f64 v[117:118], v[143:144], v[119:120], v[117:118]
	buffer_load_dword v138, off, s[0:3], 0 offset:372
	buffer_load_dword v139, off, s[0:3], 0 offset:392
	;; [unrolled: 1-line block ×8, first 2 shown]
	s_waitcnt vmcnt(24) lgkmcnt(0)
	v_fma_f64 v[117:118], v[141:142], v[121:122], v[117:118]
	s_waitcnt vmcnt(19)
	v_fma_f64 v[125:126], v[125:126], v[123:124], v[117:118]
	ds_read2_b64 v[117:120], v116 offset0:97 offset1:98
	ds_read2_b64 v[121:124], v116 offset0:99 offset1:100
	s_waitcnt vmcnt(18) lgkmcnt(1)
	v_fma_f64 v[117:118], v[149:150], v[117:118], v[125:126]
	s_waitcnt vmcnt(17)
	v_fma_f64 v[117:118], v[147:148], v[119:120], v[117:118]
	buffer_load_dword v126, off, s[0:3], 0 offset:404
	buffer_load_dword v141, off, s[0:3], 0 offset:424
	;; [unrolled: 1-line block ×8, first 2 shown]
	s_waitcnt vmcnt(24) lgkmcnt(0)
	v_fma_f64 v[117:118], v[127:128], v[121:122], v[117:118]
	s_waitcnt vmcnt(19)
	v_fma_f64 v[127:128], v[129:130], v[123:124], v[117:118]
	ds_read2_b64 v[117:120], v116 offset0:101 offset1:102
	ds_read2_b64 v[121:124], v116 offset0:103 offset1:104
	s_waitcnt vmcnt(18) lgkmcnt(1)
	v_fma_f64 v[117:118], v[135:136], v[117:118], v[127:128]
	s_waitcnt vmcnt(17)
	v_fma_f64 v[117:118], v[133:134], v[119:120], v[117:118]
	buffer_load_dword v128, off, s[0:3], 0 offset:436
	buffer_load_dword v129, off, s[0:3], 0 offset:448
	;; [unrolled: 1-line block ×6, first 2 shown]
	s_waitcnt vmcnt(22) lgkmcnt(0)
	v_fma_f64 v[117:118], v[131:132], v[121:122], v[117:118]
	s_waitcnt vmcnt(17)
	v_fma_f64 v[131:132], v[137:138], v[123:124], v[117:118]
	ds_read2_b64 v[117:120], v116 offset0:105 offset1:106
	buffer_load_dword v135, off, s[0:3], 0 offset:208
	buffer_load_dword v136, off, s[0:3], 0 offset:212
	ds_read2_b64 v[121:124], v116 offset0:107 offset1:108
	s_waitcnt vmcnt(18) lgkmcnt(1)
	v_fma_f64 v[117:118], v[145:146], v[117:118], v[131:132]
	s_waitcnt vmcnt(17)
	v_fma_f64 v[117:118], v[143:144], v[119:120], v[117:118]
	s_waitcnt vmcnt(16) lgkmcnt(0)
	v_fma_f64 v[117:118], v[139:140], v[121:122], v[117:118]
	s_waitcnt vmcnt(11)
	v_fma_f64 v[125:126], v[125:126], v[123:124], v[117:118]
	ds_read2_b64 v[117:120], v116 offset0:109 offset1:110
	ds_read2_b64 v[121:124], v116 offset0:111 offset1:112
	s_waitcnt vmcnt(10) lgkmcnt(1)
	v_fma_f64 v[117:118], v[149:150], v[117:118], v[125:126]
	s_waitcnt vmcnt(9)
	v_fma_f64 v[117:118], v[147:148], v[119:120], v[117:118]
	s_waitcnt vmcnt(8) lgkmcnt(0)
	v_fma_f64 v[117:118], v[141:142], v[121:122], v[117:118]
	s_waitcnt vmcnt(4)
	v_fma_f64 v[120:121], v[127:128], v[123:124], v[117:118]
	ds_read2_b64 v[116:119], v116 offset0:113 offset1:114
	s_waitcnt vmcnt(3) lgkmcnt(0)
	v_fma_f64 v[116:117], v[133:134], v[116:117], v[120:121]
	s_waitcnt vmcnt(2)
	v_fma_f64 v[116:117], v[129:130], v[118:119], v[116:117]
	s_waitcnt vmcnt(0)
	v_add_f64 v[116:117], v[135:136], -v[116:117]
	buffer_store_dword v117, off, s[0:3], 0 offset:212
	buffer_store_dword v116, off, s[0:3], 0 offset:208
	s_and_saveexec_b64 s[4:5], vcc
	s_cbranch_execz .LBB120_299
; %bb.298:
	buffer_load_dword v116, off, s[0:3], 0 offset:200
	buffer_load_dword v117, off, s[0:3], 0 offset:204
	v_mov_b32_e32 v118, 0
	buffer_store_dword v118, off, s[0:3], 0 offset:200
	buffer_store_dword v118, off, s[0:3], 0 offset:204
	s_waitcnt vmcnt(2)
	ds_write_b64 v115, v[116:117]
.LBB120_299:
	s_or_b64 exec, exec, s[4:5]
	s_waitcnt lgkmcnt(0)
	; wave barrier
	buffer_load_dword v125, off, s[0:3], 0 offset:208
	buffer_load_dword v126, off, s[0:3], 0 offset:212
	;; [unrolled: 1-line block ×22, first 2 shown]
	v_mov_b32_e32 v116, 0
	ds_read_b128 v[117:120], v116 offset:672
	ds_read_b128 v[121:124], v116 offset:688
	v_cmp_lt_u32_e32 vcc, 24, v0
	s_waitcnt vmcnt(20) lgkmcnt(1)
	v_fma_f64 v[117:118], v[125:126], v[117:118], 0
	s_waitcnt vmcnt(18)
	v_fma_f64 v[117:118], v[127:128], v[119:120], v[117:118]
	buffer_load_dword v126, off, s[0:3], 0 offset:300
	buffer_load_dword v127, off, s[0:3], 0 offset:320
	;; [unrolled: 1-line block ×7, first 2 shown]
	s_waitcnt vmcnt(23) lgkmcnt(0)
	v_fma_f64 v[117:118], v[129:130], v[121:122], v[117:118]
	s_waitcnt vmcnt(21)
	v_fma_f64 v[128:129], v[131:132], v[123:124], v[117:118]
	ds_read_b128 v[117:120], v116 offset:704
	ds_read_b128 v[121:124], v116 offset:720
	s_waitcnt vmcnt(19) lgkmcnt(1)
	v_fma_f64 v[117:118], v[133:134], v[117:118], v[128:129]
	buffer_load_dword v128, off, s[0:3], 0 offset:324
	s_waitcnt vmcnt(18)
	v_fma_f64 v[117:118], v[135:136], v[119:120], v[117:118]
	buffer_load_dword v130, off, s[0:3], 0 offset:332
	buffer_load_dword v131, off, s[0:3], 0 offset:352
	;; [unrolled: 1-line block ×7, first 2 shown]
	s_waitcnt vmcnt(23) lgkmcnt(0)
	v_fma_f64 v[117:118], v[137:138], v[121:122], v[117:118]
	s_waitcnt vmcnt(18)
	v_fma_f64 v[137:138], v[139:140], v[123:124], v[117:118]
	ds_read_b128 v[117:120], v116 offset:736
	ds_read_b128 v[121:124], v116 offset:752
	buffer_load_dword v132, off, s[0:3], 0 offset:356
	s_waitcnt vmcnt(18) lgkmcnt(1)
	v_fma_f64 v[117:118], v[145:146], v[117:118], v[137:138]
	s_waitcnt vmcnt(17)
	v_fma_f64 v[117:118], v[143:144], v[119:120], v[117:118]
	buffer_load_dword v138, off, s[0:3], 0 offset:364
	buffer_load_dword v139, off, s[0:3], 0 offset:384
	buffer_load_dword v143, off, s[0:3], 0 offset:376
	buffer_load_dword v145, off, s[0:3], 0 offset:368
	buffer_load_dword v137, off, s[0:3], 0 offset:360
	buffer_load_dword v146, off, s[0:3], 0 offset:372
	buffer_load_dword v144, off, s[0:3], 0 offset:380
	buffer_load_dword v140, off, s[0:3], 0 offset:388
	s_waitcnt vmcnt(24) lgkmcnt(0)
	v_fma_f64 v[117:118], v[141:142], v[121:122], v[117:118]
	s_waitcnt vmcnt(19)
	v_fma_f64 v[125:126], v[125:126], v[123:124], v[117:118]
	ds_read_b128 v[117:120], v116 offset:768
	ds_read_b128 v[121:124], v116 offset:784
	s_waitcnt vmcnt(18) lgkmcnt(1)
	v_fma_f64 v[117:118], v[149:150], v[117:118], v[125:126]
	s_waitcnt vmcnt(17)
	v_fma_f64 v[117:118], v[147:148], v[119:120], v[117:118]
	buffer_load_dword v126, off, s[0:3], 0 offset:396
	buffer_load_dword v141, off, s[0:3], 0 offset:416
	buffer_load_dword v147, off, s[0:3], 0 offset:408
	buffer_load_dword v149, off, s[0:3], 0 offset:400
	buffer_load_dword v125, off, s[0:3], 0 offset:392
	buffer_load_dword v150, off, s[0:3], 0 offset:404
	buffer_load_dword v148, off, s[0:3], 0 offset:412
	buffer_load_dword v142, off, s[0:3], 0 offset:420
	s_waitcnt vmcnt(24) lgkmcnt(0)
	v_fma_f64 v[117:118], v[127:128], v[121:122], v[117:118]
	s_waitcnt vmcnt(19)
	v_fma_f64 v[127:128], v[129:130], v[123:124], v[117:118]
	ds_read_b128 v[117:120], v116 offset:800
	ds_read_b128 v[121:124], v116 offset:816
	;; [unrolled: 18-line block ×3, first 2 shown]
	s_waitcnt vmcnt(18) lgkmcnt(1)
	v_fma_f64 v[117:118], v[145:146], v[117:118], v[131:132]
	buffer_load_dword v131, off, s[0:3], 0 offset:200
	buffer_load_dword v132, off, s[0:3], 0 offset:204
	s_waitcnt vmcnt(19)
	v_fma_f64 v[117:118], v[143:144], v[119:120], v[117:118]
	s_waitcnt vmcnt(18) lgkmcnt(0)
	v_fma_f64 v[117:118], v[139:140], v[121:122], v[117:118]
	s_waitcnt vmcnt(13)
	v_fma_f64 v[125:126], v[125:126], v[123:124], v[117:118]
	ds_read_b128 v[117:120], v116 offset:864
	ds_read_b128 v[121:124], v116 offset:880
	s_waitcnt vmcnt(12) lgkmcnt(1)
	v_fma_f64 v[117:118], v[149:150], v[117:118], v[125:126]
	s_waitcnt vmcnt(11)
	v_fma_f64 v[117:118], v[147:148], v[119:120], v[117:118]
	s_waitcnt vmcnt(10) lgkmcnt(0)
	v_fma_f64 v[117:118], v[141:142], v[121:122], v[117:118]
	s_waitcnt vmcnt(5)
	v_fma_f64 v[121:122], v[127:128], v[123:124], v[117:118]
	ds_read_b128 v[117:120], v116 offset:896
	ds_read_b64 v[123:124], v116 offset:912
	s_waitcnt vmcnt(4) lgkmcnt(1)
	v_fma_f64 v[117:118], v[135:136], v[117:118], v[121:122]
	s_waitcnt vmcnt(3)
	v_fma_f64 v[117:118], v[133:134], v[119:120], v[117:118]
	s_waitcnt vmcnt(2) lgkmcnt(0)
	v_fma_f64 v[117:118], v[129:130], v[123:124], v[117:118]
	s_waitcnt vmcnt(0)
	v_add_f64 v[117:118], v[131:132], -v[117:118]
	buffer_store_dword v118, off, s[0:3], 0 offset:204
	buffer_store_dword v117, off, s[0:3], 0 offset:200
	s_and_saveexec_b64 s[4:5], vcc
	s_cbranch_execz .LBB120_301
; %bb.300:
	buffer_load_dword v117, off, s[0:3], 0 offset:192
	buffer_load_dword v118, off, s[0:3], 0 offset:196
	s_waitcnt vmcnt(0)
	ds_write_b64 v115, v[117:118]
	buffer_store_dword v116, off, s[0:3], 0 offset:192
	buffer_store_dword v116, off, s[0:3], 0 offset:196
.LBB120_301:
	s_or_b64 exec, exec, s[4:5]
	s_waitcnt lgkmcnt(0)
	; wave barrier
	buffer_load_dword v125, off, s[0:3], 0 offset:200
	buffer_load_dword v126, off, s[0:3], 0 offset:204
	;; [unrolled: 1-line block ×22, first 2 shown]
	ds_read2_b64 v[117:120], v116 offset0:83 offset1:84
	ds_read2_b64 v[121:124], v116 offset0:85 offset1:86
	v_cmp_lt_u32_e32 vcc, 23, v0
	s_waitcnt vmcnt(20) lgkmcnt(1)
	v_fma_f64 v[117:118], v[125:126], v[117:118], 0
	s_waitcnt vmcnt(18)
	v_fma_f64 v[117:118], v[127:128], v[119:120], v[117:118]
	buffer_load_dword v126, off, s[0:3], 0 offset:292
	buffer_load_dword v127, off, s[0:3], 0 offset:312
	;; [unrolled: 1-line block ×7, first 2 shown]
	s_waitcnt vmcnt(23) lgkmcnt(0)
	v_fma_f64 v[117:118], v[129:130], v[121:122], v[117:118]
	s_waitcnt vmcnt(21)
	v_fma_f64 v[128:129], v[131:132], v[123:124], v[117:118]
	ds_read2_b64 v[117:120], v116 offset0:87 offset1:88
	ds_read2_b64 v[121:124], v116 offset0:89 offset1:90
	s_waitcnt vmcnt(19) lgkmcnt(1)
	v_fma_f64 v[117:118], v[133:134], v[117:118], v[128:129]
	buffer_load_dword v128, off, s[0:3], 0 offset:316
	s_waitcnt vmcnt(18)
	v_fma_f64 v[117:118], v[135:136], v[119:120], v[117:118]
	buffer_load_dword v130, off, s[0:3], 0 offset:324
	buffer_load_dword v131, off, s[0:3], 0 offset:344
	;; [unrolled: 1-line block ×7, first 2 shown]
	s_waitcnt vmcnt(23) lgkmcnt(0)
	v_fma_f64 v[117:118], v[137:138], v[121:122], v[117:118]
	s_waitcnt vmcnt(18)
	v_fma_f64 v[137:138], v[139:140], v[123:124], v[117:118]
	ds_read2_b64 v[117:120], v116 offset0:91 offset1:92
	ds_read2_b64 v[121:124], v116 offset0:93 offset1:94
	buffer_load_dword v132, off, s[0:3], 0 offset:348
	s_waitcnt vmcnt(18) lgkmcnt(1)
	v_fma_f64 v[117:118], v[145:146], v[117:118], v[137:138]
	s_waitcnt vmcnt(17)
	v_fma_f64 v[117:118], v[143:144], v[119:120], v[117:118]
	buffer_load_dword v138, off, s[0:3], 0 offset:356
	buffer_load_dword v139, off, s[0:3], 0 offset:376
	buffer_load_dword v143, off, s[0:3], 0 offset:368
	buffer_load_dword v145, off, s[0:3], 0 offset:360
	buffer_load_dword v137, off, s[0:3], 0 offset:352
	buffer_load_dword v146, off, s[0:3], 0 offset:364
	buffer_load_dword v144, off, s[0:3], 0 offset:372
	buffer_load_dword v140, off, s[0:3], 0 offset:380
	s_waitcnt vmcnt(24) lgkmcnt(0)
	v_fma_f64 v[117:118], v[141:142], v[121:122], v[117:118]
	s_waitcnt vmcnt(19)
	v_fma_f64 v[125:126], v[125:126], v[123:124], v[117:118]
	ds_read2_b64 v[117:120], v116 offset0:95 offset1:96
	ds_read2_b64 v[121:124], v116 offset0:97 offset1:98
	s_waitcnt vmcnt(18) lgkmcnt(1)
	v_fma_f64 v[117:118], v[149:150], v[117:118], v[125:126]
	s_waitcnt vmcnt(17)
	v_fma_f64 v[117:118], v[147:148], v[119:120], v[117:118]
	buffer_load_dword v126, off, s[0:3], 0 offset:388
	buffer_load_dword v141, off, s[0:3], 0 offset:408
	buffer_load_dword v147, off, s[0:3], 0 offset:400
	buffer_load_dword v149, off, s[0:3], 0 offset:392
	buffer_load_dword v125, off, s[0:3], 0 offset:384
	buffer_load_dword v150, off, s[0:3], 0 offset:396
	buffer_load_dword v148, off, s[0:3], 0 offset:404
	buffer_load_dword v142, off, s[0:3], 0 offset:412
	s_waitcnt vmcnt(24) lgkmcnt(0)
	v_fma_f64 v[117:118], v[127:128], v[121:122], v[117:118]
	s_waitcnt vmcnt(19)
	v_fma_f64 v[127:128], v[129:130], v[123:124], v[117:118]
	ds_read2_b64 v[117:120], v116 offset0:99 offset1:100
	ds_read2_b64 v[121:124], v116 offset0:101 offset1:102
	;; [unrolled: 18-line block ×3, first 2 shown]
	s_waitcnt vmcnt(18) lgkmcnt(1)
	v_fma_f64 v[117:118], v[145:146], v[117:118], v[131:132]
	buffer_load_dword v132, off, s[0:3], 0 offset:452
	buffer_load_dword v131, off, s[0:3], 0 offset:448
	;; [unrolled: 1-line block ×4, first 2 shown]
	s_waitcnt vmcnt(21)
	v_fma_f64 v[117:118], v[143:144], v[119:120], v[117:118]
	s_waitcnt vmcnt(20) lgkmcnt(0)
	v_fma_f64 v[117:118], v[139:140], v[121:122], v[117:118]
	s_waitcnt vmcnt(15)
	v_fma_f64 v[125:126], v[125:126], v[123:124], v[117:118]
	ds_read2_b64 v[117:120], v116 offset0:107 offset1:108
	ds_read2_b64 v[121:124], v116 offset0:109 offset1:110
	s_waitcnt vmcnt(14) lgkmcnt(1)
	v_fma_f64 v[117:118], v[149:150], v[117:118], v[125:126]
	s_waitcnt vmcnt(13)
	v_fma_f64 v[117:118], v[147:148], v[119:120], v[117:118]
	s_waitcnt vmcnt(12) lgkmcnt(0)
	v_fma_f64 v[117:118], v[141:142], v[121:122], v[117:118]
	s_waitcnt vmcnt(7)
	v_fma_f64 v[125:126], v[127:128], v[123:124], v[117:118]
	ds_read2_b64 v[117:120], v116 offset0:111 offset1:112
	ds_read2_b64 v[121:124], v116 offset0:113 offset1:114
	s_waitcnt vmcnt(6) lgkmcnt(1)
	v_fma_f64 v[116:117], v[135:136], v[117:118], v[125:126]
	s_waitcnt vmcnt(5)
	v_fma_f64 v[116:117], v[133:134], v[119:120], v[116:117]
	s_waitcnt vmcnt(4) lgkmcnt(0)
	v_fma_f64 v[116:117], v[129:130], v[121:122], v[116:117]
	s_waitcnt vmcnt(2)
	v_fma_f64 v[116:117], v[131:132], v[123:124], v[116:117]
	s_waitcnt vmcnt(0)
	v_add_f64 v[116:117], v[137:138], -v[116:117]
	buffer_store_dword v117, off, s[0:3], 0 offset:196
	buffer_store_dword v116, off, s[0:3], 0 offset:192
	s_and_saveexec_b64 s[4:5], vcc
	s_cbranch_execz .LBB120_303
; %bb.302:
	buffer_load_dword v116, off, s[0:3], 0 offset:184
	buffer_load_dword v117, off, s[0:3], 0 offset:188
	v_mov_b32_e32 v118, 0
	buffer_store_dword v118, off, s[0:3], 0 offset:184
	buffer_store_dword v118, off, s[0:3], 0 offset:188
	s_waitcnt vmcnt(2)
	ds_write_b64 v115, v[116:117]
.LBB120_303:
	s_or_b64 exec, exec, s[4:5]
	s_waitcnt lgkmcnt(0)
	; wave barrier
	buffer_load_dword v125, off, s[0:3], 0 offset:192
	buffer_load_dword v126, off, s[0:3], 0 offset:196
	;; [unrolled: 1-line block ×21, first 2 shown]
	v_mov_b32_e32 v116, 0
	ds_read_b128 v[117:120], v116 offset:656
	ds_read_b128 v[121:124], v116 offset:672
	buffer_load_dword v142, off, s[0:3], 0 offset:276
	v_cmp_lt_u32_e32 vcc, 22, v0
	s_waitcnt vmcnt(20) lgkmcnt(1)
	v_fma_f64 v[117:118], v[125:126], v[117:118], 0
	s_waitcnt vmcnt(18)
	v_fma_f64 v[117:118], v[127:128], v[119:120], v[117:118]
	buffer_load_dword v126, off, s[0:3], 0 offset:284
	buffer_load_dword v127, off, s[0:3], 0 offset:304
	;; [unrolled: 1-line block ×7, first 2 shown]
	s_waitcnt vmcnt(23) lgkmcnt(0)
	v_fma_f64 v[117:118], v[129:130], v[121:122], v[117:118]
	s_waitcnt vmcnt(21)
	v_fma_f64 v[128:129], v[131:132], v[123:124], v[117:118]
	ds_read_b128 v[117:120], v116 offset:688
	ds_read_b128 v[121:124], v116 offset:704
	s_waitcnt vmcnt(19) lgkmcnt(1)
	v_fma_f64 v[117:118], v[133:134], v[117:118], v[128:129]
	buffer_load_dword v128, off, s[0:3], 0 offset:308
	s_waitcnt vmcnt(18)
	v_fma_f64 v[117:118], v[135:136], v[119:120], v[117:118]
	buffer_load_dword v130, off, s[0:3], 0 offset:316
	buffer_load_dword v131, off, s[0:3], 0 offset:336
	;; [unrolled: 1-line block ×7, first 2 shown]
	s_waitcnt vmcnt(23) lgkmcnt(0)
	v_fma_f64 v[117:118], v[137:138], v[121:122], v[117:118]
	s_waitcnt vmcnt(18)
	v_fma_f64 v[137:138], v[139:140], v[123:124], v[117:118]
	ds_read_b128 v[117:120], v116 offset:720
	ds_read_b128 v[121:124], v116 offset:736
	buffer_load_dword v132, off, s[0:3], 0 offset:340
	s_waitcnt vmcnt(18) lgkmcnt(1)
	v_fma_f64 v[117:118], v[145:146], v[117:118], v[137:138]
	s_waitcnt vmcnt(17)
	v_fma_f64 v[117:118], v[143:144], v[119:120], v[117:118]
	buffer_load_dword v138, off, s[0:3], 0 offset:348
	buffer_load_dword v139, off, s[0:3], 0 offset:368
	;; [unrolled: 1-line block ×7, first 2 shown]
	s_waitcnt vmcnt(23) lgkmcnt(0)
	v_fma_f64 v[117:118], v[141:142], v[121:122], v[117:118]
	s_waitcnt vmcnt(18)
	v_fma_f64 v[125:126], v[125:126], v[123:124], v[117:118]
	ds_read_b128 v[117:120], v116 offset:752
	ds_read_b128 v[121:124], v116 offset:768
	buffer_load_dword v140, off, s[0:3], 0 offset:372
	s_waitcnt vmcnt(18) lgkmcnt(1)
	v_fma_f64 v[117:118], v[149:150], v[117:118], v[125:126]
	s_waitcnt vmcnt(17)
	v_fma_f64 v[117:118], v[147:148], v[119:120], v[117:118]
	buffer_load_dword v126, off, s[0:3], 0 offset:380
	buffer_load_dword v141, off, s[0:3], 0 offset:400
	buffer_load_dword v147, off, s[0:3], 0 offset:392
	buffer_load_dword v149, off, s[0:3], 0 offset:384
	buffer_load_dword v125, off, s[0:3], 0 offset:376
	buffer_load_dword v150, off, s[0:3], 0 offset:388
	buffer_load_dword v148, off, s[0:3], 0 offset:396
	buffer_load_dword v142, off, s[0:3], 0 offset:404
	s_waitcnt vmcnt(24) lgkmcnt(0)
	v_fma_f64 v[117:118], v[127:128], v[121:122], v[117:118]
	s_waitcnt vmcnt(19)
	v_fma_f64 v[127:128], v[129:130], v[123:124], v[117:118]
	ds_read_b128 v[117:120], v116 offset:784
	ds_read_b128 v[121:124], v116 offset:800
	s_waitcnt vmcnt(18) lgkmcnt(1)
	v_fma_f64 v[117:118], v[135:136], v[117:118], v[127:128]
	s_waitcnt vmcnt(17)
	v_fma_f64 v[117:118], v[133:134], v[119:120], v[117:118]
	buffer_load_dword v128, off, s[0:3], 0 offset:412
	buffer_load_dword v129, off, s[0:3], 0 offset:432
	;; [unrolled: 1-line block ×7, first 2 shown]
	s_waitcnt vmcnt(23) lgkmcnt(0)
	v_fma_f64 v[117:118], v[131:132], v[121:122], v[117:118]
	s_waitcnt vmcnt(18)
	v_fma_f64 v[130:131], v[137:138], v[123:124], v[117:118]
	ds_read_b128 v[117:120], v116 offset:816
	ds_read_b128 v[121:124], v116 offset:832
	s_waitcnt vmcnt(17) lgkmcnt(1)
	v_fma_f64 v[117:118], v[145:146], v[117:118], v[130:131]
	buffer_load_dword v130, off, s[0:3], 0 offset:436
	buffer_load_dword v132, off, s[0:3], 0 offset:444
	;; [unrolled: 1-line block ×5, first 2 shown]
	s_waitcnt vmcnt(21)
	v_fma_f64 v[117:118], v[143:144], v[119:120], v[117:118]
	s_waitcnt vmcnt(20) lgkmcnt(0)
	v_fma_f64 v[117:118], v[139:140], v[121:122], v[117:118]
	buffer_load_dword v139, off, s[0:3], 0 offset:184
	buffer_load_dword v140, off, s[0:3], 0 offset:188
	s_waitcnt vmcnt(17)
	v_fma_f64 v[125:126], v[125:126], v[123:124], v[117:118]
	ds_read_b128 v[117:120], v116 offset:848
	ds_read_b128 v[121:124], v116 offset:864
	s_waitcnt vmcnt(16) lgkmcnt(1)
	v_fma_f64 v[117:118], v[149:150], v[117:118], v[125:126]
	s_waitcnt vmcnt(15)
	v_fma_f64 v[117:118], v[147:148], v[119:120], v[117:118]
	s_waitcnt vmcnt(14) lgkmcnt(0)
	v_fma_f64 v[117:118], v[141:142], v[121:122], v[117:118]
	s_waitcnt vmcnt(9)
	v_fma_f64 v[125:126], v[127:128], v[123:124], v[117:118]
	ds_read_b128 v[117:120], v116 offset:880
	ds_read_b128 v[121:124], v116 offset:896
	s_waitcnt vmcnt(8) lgkmcnt(1)
	v_fma_f64 v[117:118], v[135:136], v[117:118], v[125:126]
	s_waitcnt vmcnt(7)
	v_fma_f64 v[117:118], v[133:134], v[119:120], v[117:118]
	ds_read_b64 v[119:120], v116 offset:912
	s_waitcnt vmcnt(6) lgkmcnt(1)
	v_fma_f64 v[117:118], v[129:130], v[121:122], v[117:118]
	s_waitcnt vmcnt(3)
	v_fma_f64 v[117:118], v[131:132], v[123:124], v[117:118]
	s_waitcnt vmcnt(2) lgkmcnt(0)
	v_fma_f64 v[117:118], v[137:138], v[119:120], v[117:118]
	s_waitcnt vmcnt(0)
	v_add_f64 v[117:118], v[139:140], -v[117:118]
	buffer_store_dword v118, off, s[0:3], 0 offset:188
	buffer_store_dword v117, off, s[0:3], 0 offset:184
	s_and_saveexec_b64 s[4:5], vcc
	s_cbranch_execz .LBB120_305
; %bb.304:
	buffer_load_dword v117, off, s[0:3], 0 offset:176
	buffer_load_dword v118, off, s[0:3], 0 offset:180
	s_waitcnt vmcnt(0)
	ds_write_b64 v115, v[117:118]
	buffer_store_dword v116, off, s[0:3], 0 offset:176
	buffer_store_dword v116, off, s[0:3], 0 offset:180
.LBB120_305:
	s_or_b64 exec, exec, s[4:5]
	s_waitcnt lgkmcnt(0)
	; wave barrier
	buffer_load_dword v125, off, s[0:3], 0 offset:184
	buffer_load_dword v126, off, s[0:3], 0 offset:188
	;; [unrolled: 1-line block ×21, first 2 shown]
	ds_read2_b64 v[117:120], v116 offset0:81 offset1:82
	ds_read2_b64 v[121:124], v116 offset0:83 offset1:84
	buffer_load_dword v142, off, s[0:3], 0 offset:268
	v_cmp_lt_u32_e32 vcc, 21, v0
	s_waitcnt vmcnt(20) lgkmcnt(1)
	v_fma_f64 v[117:118], v[125:126], v[117:118], 0
	s_waitcnt vmcnt(18)
	v_fma_f64 v[117:118], v[127:128], v[119:120], v[117:118]
	buffer_load_dword v126, off, s[0:3], 0 offset:276
	buffer_load_dword v127, off, s[0:3], 0 offset:296
	;; [unrolled: 1-line block ×7, first 2 shown]
	s_waitcnt vmcnt(23) lgkmcnt(0)
	v_fma_f64 v[117:118], v[129:130], v[121:122], v[117:118]
	s_waitcnt vmcnt(21)
	v_fma_f64 v[128:129], v[131:132], v[123:124], v[117:118]
	ds_read2_b64 v[117:120], v116 offset0:85 offset1:86
	ds_read2_b64 v[121:124], v116 offset0:87 offset1:88
	s_waitcnt vmcnt(19) lgkmcnt(1)
	v_fma_f64 v[117:118], v[133:134], v[117:118], v[128:129]
	buffer_load_dword v128, off, s[0:3], 0 offset:300
	s_waitcnt vmcnt(18)
	v_fma_f64 v[117:118], v[135:136], v[119:120], v[117:118]
	buffer_load_dword v130, off, s[0:3], 0 offset:308
	buffer_load_dword v131, off, s[0:3], 0 offset:328
	;; [unrolled: 1-line block ×8, first 2 shown]
	s_waitcnt vmcnt(24) lgkmcnt(0)
	v_fma_f64 v[117:118], v[137:138], v[121:122], v[117:118]
	s_waitcnt vmcnt(19)
	v_fma_f64 v[137:138], v[139:140], v[123:124], v[117:118]
	ds_read2_b64 v[117:120], v116 offset0:89 offset1:90
	ds_read2_b64 v[121:124], v116 offset0:91 offset1:92
	s_waitcnt vmcnt(18) lgkmcnt(1)
	v_fma_f64 v[117:118], v[145:146], v[117:118], v[137:138]
	s_waitcnt vmcnt(17)
	v_fma_f64 v[117:118], v[143:144], v[119:120], v[117:118]
	buffer_load_dword v138, off, s[0:3], 0 offset:340
	buffer_load_dword v139, off, s[0:3], 0 offset:360
	;; [unrolled: 1-line block ×7, first 2 shown]
	s_waitcnt vmcnt(23) lgkmcnt(0)
	v_fma_f64 v[117:118], v[141:142], v[121:122], v[117:118]
	s_waitcnt vmcnt(18)
	v_fma_f64 v[125:126], v[125:126], v[123:124], v[117:118]
	ds_read2_b64 v[117:120], v116 offset0:93 offset1:94
	ds_read2_b64 v[121:124], v116 offset0:95 offset1:96
	buffer_load_dword v140, off, s[0:3], 0 offset:364
	s_waitcnt vmcnt(18) lgkmcnt(1)
	v_fma_f64 v[117:118], v[149:150], v[117:118], v[125:126]
	s_waitcnt vmcnt(17)
	v_fma_f64 v[117:118], v[147:148], v[119:120], v[117:118]
	buffer_load_dword v126, off, s[0:3], 0 offset:372
	buffer_load_dword v141, off, s[0:3], 0 offset:392
	;; [unrolled: 1-line block ×8, first 2 shown]
	s_waitcnt vmcnt(24) lgkmcnt(0)
	v_fma_f64 v[117:118], v[127:128], v[121:122], v[117:118]
	s_waitcnt vmcnt(19)
	v_fma_f64 v[127:128], v[129:130], v[123:124], v[117:118]
	ds_read2_b64 v[117:120], v116 offset0:97 offset1:98
	ds_read2_b64 v[121:124], v116 offset0:99 offset1:100
	s_waitcnt vmcnt(18) lgkmcnt(1)
	v_fma_f64 v[117:118], v[135:136], v[117:118], v[127:128]
	s_waitcnt vmcnt(17)
	v_fma_f64 v[117:118], v[133:134], v[119:120], v[117:118]
	buffer_load_dword v128, off, s[0:3], 0 offset:404
	buffer_load_dword v129, off, s[0:3], 0 offset:424
	;; [unrolled: 1-line block ×7, first 2 shown]
	s_waitcnt vmcnt(23) lgkmcnt(0)
	v_fma_f64 v[117:118], v[131:132], v[121:122], v[117:118]
	s_waitcnt vmcnt(18)
	v_fma_f64 v[130:131], v[137:138], v[123:124], v[117:118]
	ds_read2_b64 v[117:120], v116 offset0:101 offset1:102
	ds_read2_b64 v[121:124], v116 offset0:103 offset1:104
	s_waitcnt vmcnt(17) lgkmcnt(1)
	v_fma_f64 v[117:118], v[145:146], v[117:118], v[130:131]
	buffer_load_dword v130, off, s[0:3], 0 offset:428
	s_waitcnt vmcnt(17)
	v_fma_f64 v[117:118], v[143:144], v[119:120], v[117:118]
	buffer_load_dword v132, off, s[0:3], 0 offset:436
	buffer_load_dword v137, off, s[0:3], 0 offset:448
	;; [unrolled: 1-line block ×6, first 2 shown]
	s_waitcnt vmcnt(22) lgkmcnt(0)
	v_fma_f64 v[117:118], v[139:140], v[121:122], v[117:118]
	s_waitcnt vmcnt(17)
	v_fma_f64 v[125:126], v[125:126], v[123:124], v[117:118]
	ds_read2_b64 v[117:120], v116 offset0:105 offset1:106
	buffer_load_dword v139, off, s[0:3], 0 offset:176
	buffer_load_dword v140, off, s[0:3], 0 offset:180
	ds_read2_b64 v[121:124], v116 offset0:107 offset1:108
	s_waitcnt vmcnt(18) lgkmcnt(1)
	v_fma_f64 v[117:118], v[149:150], v[117:118], v[125:126]
	s_waitcnt vmcnt(17)
	v_fma_f64 v[117:118], v[147:148], v[119:120], v[117:118]
	s_waitcnt vmcnt(16) lgkmcnt(0)
	v_fma_f64 v[117:118], v[141:142], v[121:122], v[117:118]
	s_waitcnt vmcnt(11)
	v_fma_f64 v[125:126], v[127:128], v[123:124], v[117:118]
	ds_read2_b64 v[117:120], v116 offset0:109 offset1:110
	ds_read2_b64 v[121:124], v116 offset0:111 offset1:112
	s_waitcnt vmcnt(10) lgkmcnt(1)
	v_fma_f64 v[117:118], v[135:136], v[117:118], v[125:126]
	s_waitcnt vmcnt(9)
	v_fma_f64 v[117:118], v[133:134], v[119:120], v[117:118]
	s_waitcnt vmcnt(8) lgkmcnt(0)
	v_fma_f64 v[117:118], v[129:130], v[121:122], v[117:118]
	s_waitcnt vmcnt(4)
	v_fma_f64 v[120:121], v[131:132], v[123:124], v[117:118]
	ds_read2_b64 v[116:119], v116 offset0:113 offset1:114
	s_waitcnt vmcnt(3) lgkmcnt(0)
	v_fma_f64 v[116:117], v[143:144], v[116:117], v[120:121]
	s_waitcnt vmcnt(2)
	v_fma_f64 v[116:117], v[137:138], v[118:119], v[116:117]
	s_waitcnt vmcnt(0)
	v_add_f64 v[116:117], v[139:140], -v[116:117]
	buffer_store_dword v117, off, s[0:3], 0 offset:180
	buffer_store_dword v116, off, s[0:3], 0 offset:176
	s_and_saveexec_b64 s[4:5], vcc
	s_cbranch_execz .LBB120_307
; %bb.306:
	buffer_load_dword v116, off, s[0:3], 0 offset:168
	buffer_load_dword v117, off, s[0:3], 0 offset:172
	v_mov_b32_e32 v118, 0
	buffer_store_dword v118, off, s[0:3], 0 offset:168
	buffer_store_dword v118, off, s[0:3], 0 offset:172
	s_waitcnt vmcnt(2)
	ds_write_b64 v115, v[116:117]
.LBB120_307:
	s_or_b64 exec, exec, s[4:5]
	s_waitcnt lgkmcnt(0)
	; wave barrier
	buffer_load_dword v125, off, s[0:3], 0 offset:176
	buffer_load_dword v126, off, s[0:3], 0 offset:180
	;; [unrolled: 1-line block ×21, first 2 shown]
	v_mov_b32_e32 v116, 0
	ds_read_b128 v[117:120], v116 offset:640
	ds_read_b128 v[121:124], v116 offset:656
	buffer_load_dword v142, off, s[0:3], 0 offset:260
	v_cmp_lt_u32_e32 vcc, 20, v0
	s_waitcnt vmcnt(20) lgkmcnt(1)
	v_fma_f64 v[117:118], v[125:126], v[117:118], 0
	s_waitcnt vmcnt(18)
	v_fma_f64 v[117:118], v[127:128], v[119:120], v[117:118]
	buffer_load_dword v126, off, s[0:3], 0 offset:268
	buffer_load_dword v127, off, s[0:3], 0 offset:288
	;; [unrolled: 1-line block ×7, first 2 shown]
	s_waitcnt vmcnt(23) lgkmcnt(0)
	v_fma_f64 v[117:118], v[129:130], v[121:122], v[117:118]
	s_waitcnt vmcnt(21)
	v_fma_f64 v[128:129], v[131:132], v[123:124], v[117:118]
	ds_read_b128 v[117:120], v116 offset:672
	ds_read_b128 v[121:124], v116 offset:688
	s_waitcnt vmcnt(19) lgkmcnt(1)
	v_fma_f64 v[117:118], v[133:134], v[117:118], v[128:129]
	buffer_load_dword v128, off, s[0:3], 0 offset:292
	s_waitcnt vmcnt(18)
	v_fma_f64 v[117:118], v[135:136], v[119:120], v[117:118]
	buffer_load_dword v130, off, s[0:3], 0 offset:300
	buffer_load_dword v131, off, s[0:3], 0 offset:320
	;; [unrolled: 1-line block ×8, first 2 shown]
	s_waitcnt vmcnt(24) lgkmcnt(0)
	v_fma_f64 v[117:118], v[137:138], v[121:122], v[117:118]
	s_waitcnt vmcnt(19)
	v_fma_f64 v[137:138], v[139:140], v[123:124], v[117:118]
	ds_read_b128 v[117:120], v116 offset:704
	ds_read_b128 v[121:124], v116 offset:720
	s_waitcnt vmcnt(18) lgkmcnt(1)
	v_fma_f64 v[117:118], v[145:146], v[117:118], v[137:138]
	s_waitcnt vmcnt(17)
	v_fma_f64 v[117:118], v[143:144], v[119:120], v[117:118]
	buffer_load_dword v138, off, s[0:3], 0 offset:332
	buffer_load_dword v139, off, s[0:3], 0 offset:352
	;; [unrolled: 1-line block ×7, first 2 shown]
	s_waitcnt vmcnt(23) lgkmcnt(0)
	v_fma_f64 v[117:118], v[141:142], v[121:122], v[117:118]
	s_waitcnt vmcnt(18)
	v_fma_f64 v[125:126], v[125:126], v[123:124], v[117:118]
	ds_read_b128 v[117:120], v116 offset:736
	ds_read_b128 v[121:124], v116 offset:752
	buffer_load_dword v140, off, s[0:3], 0 offset:356
	s_waitcnt vmcnt(18) lgkmcnt(1)
	v_fma_f64 v[117:118], v[149:150], v[117:118], v[125:126]
	s_waitcnt vmcnt(17)
	v_fma_f64 v[117:118], v[147:148], v[119:120], v[117:118]
	buffer_load_dword v126, off, s[0:3], 0 offset:364
	buffer_load_dword v141, off, s[0:3], 0 offset:384
	;; [unrolled: 1-line block ×8, first 2 shown]
	s_waitcnt vmcnt(24) lgkmcnt(0)
	v_fma_f64 v[117:118], v[127:128], v[121:122], v[117:118]
	s_waitcnt vmcnt(19)
	v_fma_f64 v[127:128], v[129:130], v[123:124], v[117:118]
	ds_read_b128 v[117:120], v116 offset:768
	ds_read_b128 v[121:124], v116 offset:784
	s_waitcnt vmcnt(18) lgkmcnt(1)
	v_fma_f64 v[117:118], v[135:136], v[117:118], v[127:128]
	s_waitcnt vmcnt(17)
	v_fma_f64 v[117:118], v[133:134], v[119:120], v[117:118]
	buffer_load_dword v128, off, s[0:3], 0 offset:396
	buffer_load_dword v129, off, s[0:3], 0 offset:416
	;; [unrolled: 1-line block ×7, first 2 shown]
	s_waitcnt vmcnt(23) lgkmcnt(0)
	v_fma_f64 v[117:118], v[131:132], v[121:122], v[117:118]
	s_waitcnt vmcnt(18)
	v_fma_f64 v[130:131], v[137:138], v[123:124], v[117:118]
	ds_read_b128 v[117:120], v116 offset:800
	ds_read_b128 v[121:124], v116 offset:816
	s_waitcnt vmcnt(17) lgkmcnt(1)
	v_fma_f64 v[117:118], v[145:146], v[117:118], v[130:131]
	buffer_load_dword v130, off, s[0:3], 0 offset:420
	s_waitcnt vmcnt(17)
	v_fma_f64 v[117:118], v[143:144], v[119:120], v[117:118]
	buffer_load_dword v132, off, s[0:3], 0 offset:428
	buffer_load_dword v137, off, s[0:3], 0 offset:448
	;; [unrolled: 1-line block ×8, first 2 shown]
	s_waitcnt vmcnt(24) lgkmcnt(0)
	v_fma_f64 v[117:118], v[139:140], v[121:122], v[117:118]
	s_waitcnt vmcnt(19)
	v_fma_f64 v[125:126], v[125:126], v[123:124], v[117:118]
	ds_read_b128 v[117:120], v116 offset:832
	ds_read_b128 v[121:124], v116 offset:848
	s_waitcnt vmcnt(18) lgkmcnt(1)
	v_fma_f64 v[117:118], v[149:150], v[117:118], v[125:126]
	buffer_load_dword v125, off, s[0:3], 0 offset:168
	buffer_load_dword v126, off, s[0:3], 0 offset:172
	s_waitcnt vmcnt(19)
	v_fma_f64 v[117:118], v[147:148], v[119:120], v[117:118]
	s_waitcnt vmcnt(18) lgkmcnt(0)
	v_fma_f64 v[117:118], v[141:142], v[121:122], v[117:118]
	s_waitcnt vmcnt(13)
	v_fma_f64 v[127:128], v[127:128], v[123:124], v[117:118]
	ds_read_b128 v[117:120], v116 offset:864
	ds_read_b128 v[121:124], v116 offset:880
	s_waitcnt vmcnt(12) lgkmcnt(1)
	v_fma_f64 v[117:118], v[135:136], v[117:118], v[127:128]
	s_waitcnt vmcnt(11)
	v_fma_f64 v[117:118], v[133:134], v[119:120], v[117:118]
	s_waitcnt vmcnt(10) lgkmcnt(0)
	v_fma_f64 v[117:118], v[129:130], v[121:122], v[117:118]
	s_waitcnt vmcnt(5)
	v_fma_f64 v[121:122], v[131:132], v[123:124], v[117:118]
	ds_read_b128 v[117:120], v116 offset:896
	ds_read_b64 v[123:124], v116 offset:912
	s_waitcnt vmcnt(4) lgkmcnt(1)
	v_fma_f64 v[117:118], v[145:146], v[117:118], v[121:122]
	s_waitcnt vmcnt(3)
	v_fma_f64 v[117:118], v[143:144], v[119:120], v[117:118]
	s_waitcnt vmcnt(2) lgkmcnt(0)
	v_fma_f64 v[117:118], v[137:138], v[123:124], v[117:118]
	s_waitcnt vmcnt(0)
	v_add_f64 v[117:118], v[125:126], -v[117:118]
	buffer_store_dword v118, off, s[0:3], 0 offset:172
	buffer_store_dword v117, off, s[0:3], 0 offset:168
	s_and_saveexec_b64 s[4:5], vcc
	s_cbranch_execz .LBB120_309
; %bb.308:
	buffer_load_dword v117, off, s[0:3], 0 offset:160
	buffer_load_dword v118, off, s[0:3], 0 offset:164
	s_waitcnt vmcnt(0)
	ds_write_b64 v115, v[117:118]
	buffer_store_dword v116, off, s[0:3], 0 offset:160
	buffer_store_dword v116, off, s[0:3], 0 offset:164
.LBB120_309:
	s_or_b64 exec, exec, s[4:5]
	s_waitcnt lgkmcnt(0)
	; wave barrier
	buffer_load_dword v125, off, s[0:3], 0 offset:168
	buffer_load_dword v126, off, s[0:3], 0 offset:172
	;; [unrolled: 1-line block ×21, first 2 shown]
	ds_read2_b64 v[117:120], v116 offset0:79 offset1:80
	ds_read2_b64 v[121:124], v116 offset0:81 offset1:82
	buffer_load_dword v142, off, s[0:3], 0 offset:252
	v_cmp_lt_u32_e32 vcc, 19, v0
	s_waitcnt vmcnt(20) lgkmcnt(1)
	v_fma_f64 v[117:118], v[125:126], v[117:118], 0
	s_waitcnt vmcnt(18)
	v_fma_f64 v[117:118], v[127:128], v[119:120], v[117:118]
	buffer_load_dword v126, off, s[0:3], 0 offset:260
	buffer_load_dword v127, off, s[0:3], 0 offset:280
	;; [unrolled: 1-line block ×7, first 2 shown]
	s_waitcnt vmcnt(23) lgkmcnt(0)
	v_fma_f64 v[117:118], v[129:130], v[121:122], v[117:118]
	s_waitcnt vmcnt(21)
	v_fma_f64 v[128:129], v[131:132], v[123:124], v[117:118]
	ds_read2_b64 v[117:120], v116 offset0:83 offset1:84
	ds_read2_b64 v[121:124], v116 offset0:85 offset1:86
	s_waitcnt vmcnt(19) lgkmcnt(1)
	v_fma_f64 v[117:118], v[133:134], v[117:118], v[128:129]
	buffer_load_dword v128, off, s[0:3], 0 offset:284
	s_waitcnt vmcnt(18)
	v_fma_f64 v[117:118], v[135:136], v[119:120], v[117:118]
	buffer_load_dword v130, off, s[0:3], 0 offset:292
	buffer_load_dword v131, off, s[0:3], 0 offset:312
	;; [unrolled: 1-line block ×8, first 2 shown]
	s_waitcnt vmcnt(24) lgkmcnt(0)
	v_fma_f64 v[117:118], v[137:138], v[121:122], v[117:118]
	s_waitcnt vmcnt(19)
	v_fma_f64 v[137:138], v[139:140], v[123:124], v[117:118]
	ds_read2_b64 v[117:120], v116 offset0:87 offset1:88
	ds_read2_b64 v[121:124], v116 offset0:89 offset1:90
	s_waitcnt vmcnt(18) lgkmcnt(1)
	v_fma_f64 v[117:118], v[145:146], v[117:118], v[137:138]
	s_waitcnt vmcnt(17)
	v_fma_f64 v[117:118], v[143:144], v[119:120], v[117:118]
	buffer_load_dword v138, off, s[0:3], 0 offset:324
	buffer_load_dword v139, off, s[0:3], 0 offset:344
	;; [unrolled: 1-line block ×7, first 2 shown]
	s_waitcnt vmcnt(23) lgkmcnt(0)
	v_fma_f64 v[117:118], v[141:142], v[121:122], v[117:118]
	s_waitcnt vmcnt(18)
	v_fma_f64 v[125:126], v[125:126], v[123:124], v[117:118]
	ds_read2_b64 v[117:120], v116 offset0:91 offset1:92
	ds_read2_b64 v[121:124], v116 offset0:93 offset1:94
	buffer_load_dword v140, off, s[0:3], 0 offset:348
	s_waitcnt vmcnt(18) lgkmcnt(1)
	v_fma_f64 v[117:118], v[149:150], v[117:118], v[125:126]
	s_waitcnt vmcnt(17)
	v_fma_f64 v[117:118], v[147:148], v[119:120], v[117:118]
	buffer_load_dword v126, off, s[0:3], 0 offset:356
	buffer_load_dword v141, off, s[0:3], 0 offset:376
	;; [unrolled: 1-line block ×8, first 2 shown]
	s_waitcnt vmcnt(24) lgkmcnt(0)
	v_fma_f64 v[117:118], v[127:128], v[121:122], v[117:118]
	s_waitcnt vmcnt(19)
	v_fma_f64 v[127:128], v[129:130], v[123:124], v[117:118]
	ds_read2_b64 v[117:120], v116 offset0:95 offset1:96
	ds_read2_b64 v[121:124], v116 offset0:97 offset1:98
	s_waitcnt vmcnt(18) lgkmcnt(1)
	v_fma_f64 v[117:118], v[135:136], v[117:118], v[127:128]
	s_waitcnt vmcnt(17)
	v_fma_f64 v[117:118], v[133:134], v[119:120], v[117:118]
	buffer_load_dword v128, off, s[0:3], 0 offset:388
	buffer_load_dword v129, off, s[0:3], 0 offset:408
	;; [unrolled: 1-line block ×7, first 2 shown]
	s_waitcnt vmcnt(23) lgkmcnt(0)
	v_fma_f64 v[117:118], v[131:132], v[121:122], v[117:118]
	s_waitcnt vmcnt(18)
	v_fma_f64 v[130:131], v[137:138], v[123:124], v[117:118]
	ds_read2_b64 v[117:120], v116 offset0:99 offset1:100
	ds_read2_b64 v[121:124], v116 offset0:101 offset1:102
	s_waitcnt vmcnt(17) lgkmcnt(1)
	v_fma_f64 v[117:118], v[145:146], v[117:118], v[130:131]
	buffer_load_dword v130, off, s[0:3], 0 offset:412
	s_waitcnt vmcnt(17)
	v_fma_f64 v[117:118], v[143:144], v[119:120], v[117:118]
	buffer_load_dword v132, off, s[0:3], 0 offset:420
	buffer_load_dword v137, off, s[0:3], 0 offset:440
	;; [unrolled: 1-line block ×8, first 2 shown]
	s_waitcnt vmcnt(24) lgkmcnt(0)
	v_fma_f64 v[117:118], v[139:140], v[121:122], v[117:118]
	s_waitcnt vmcnt(19)
	v_fma_f64 v[125:126], v[125:126], v[123:124], v[117:118]
	ds_read2_b64 v[117:120], v116 offset0:103 offset1:104
	ds_read2_b64 v[121:124], v116 offset0:105 offset1:106
	s_waitcnt vmcnt(18) lgkmcnt(1)
	v_fma_f64 v[117:118], v[149:150], v[117:118], v[125:126]
	buffer_load_dword v126, off, s[0:3], 0 offset:452
	buffer_load_dword v125, off, s[0:3], 0 offset:448
	;; [unrolled: 1-line block ×4, first 2 shown]
	s_waitcnt vmcnt(21)
	v_fma_f64 v[117:118], v[147:148], v[119:120], v[117:118]
	s_waitcnt vmcnt(20) lgkmcnt(0)
	v_fma_f64 v[117:118], v[141:142], v[121:122], v[117:118]
	s_waitcnt vmcnt(15)
	v_fma_f64 v[127:128], v[127:128], v[123:124], v[117:118]
	ds_read2_b64 v[117:120], v116 offset0:107 offset1:108
	ds_read2_b64 v[121:124], v116 offset0:109 offset1:110
	s_waitcnt vmcnt(14) lgkmcnt(1)
	v_fma_f64 v[117:118], v[135:136], v[117:118], v[127:128]
	s_waitcnt vmcnt(13)
	v_fma_f64 v[117:118], v[133:134], v[119:120], v[117:118]
	s_waitcnt vmcnt(12) lgkmcnt(0)
	v_fma_f64 v[117:118], v[129:130], v[121:122], v[117:118]
	s_waitcnt vmcnt(7)
	v_fma_f64 v[127:128], v[131:132], v[123:124], v[117:118]
	ds_read2_b64 v[117:120], v116 offset0:111 offset1:112
	ds_read2_b64 v[121:124], v116 offset0:113 offset1:114
	s_waitcnt vmcnt(6) lgkmcnt(1)
	v_fma_f64 v[116:117], v[145:146], v[117:118], v[127:128]
	s_waitcnt vmcnt(5)
	v_fma_f64 v[116:117], v[143:144], v[119:120], v[116:117]
	s_waitcnt vmcnt(4) lgkmcnt(0)
	v_fma_f64 v[116:117], v[137:138], v[121:122], v[116:117]
	s_waitcnt vmcnt(2)
	v_fma_f64 v[116:117], v[125:126], v[123:124], v[116:117]
	s_waitcnt vmcnt(0)
	v_add_f64 v[116:117], v[139:140], -v[116:117]
	buffer_store_dword v117, off, s[0:3], 0 offset:164
	buffer_store_dword v116, off, s[0:3], 0 offset:160
	s_and_saveexec_b64 s[4:5], vcc
	s_cbranch_execz .LBB120_311
; %bb.310:
	buffer_load_dword v116, off, s[0:3], 0 offset:152
	buffer_load_dword v117, off, s[0:3], 0 offset:156
	v_mov_b32_e32 v118, 0
	buffer_store_dword v118, off, s[0:3], 0 offset:152
	buffer_store_dword v118, off, s[0:3], 0 offset:156
	s_waitcnt vmcnt(2)
	ds_write_b64 v115, v[116:117]
.LBB120_311:
	s_or_b64 exec, exec, s[4:5]
	s_waitcnt lgkmcnt(0)
	; wave barrier
	buffer_load_dword v125, off, s[0:3], 0 offset:160
	buffer_load_dword v126, off, s[0:3], 0 offset:164
	;; [unrolled: 1-line block ×21, first 2 shown]
	v_mov_b32_e32 v116, 0
	ds_read_b128 v[117:120], v116 offset:624
	ds_read_b128 v[121:124], v116 offset:640
	buffer_load_dword v142, off, s[0:3], 0 offset:244
	v_cmp_lt_u32_e32 vcc, 18, v0
	s_waitcnt vmcnt(20) lgkmcnt(1)
	v_fma_f64 v[117:118], v[125:126], v[117:118], 0
	s_waitcnt vmcnt(18)
	v_fma_f64 v[117:118], v[127:128], v[119:120], v[117:118]
	buffer_load_dword v126, off, s[0:3], 0 offset:252
	buffer_load_dword v127, off, s[0:3], 0 offset:272
	;; [unrolled: 1-line block ×7, first 2 shown]
	s_waitcnt vmcnt(23) lgkmcnt(0)
	v_fma_f64 v[117:118], v[129:130], v[121:122], v[117:118]
	s_waitcnt vmcnt(21)
	v_fma_f64 v[128:129], v[131:132], v[123:124], v[117:118]
	ds_read_b128 v[117:120], v116 offset:656
	ds_read_b128 v[121:124], v116 offset:672
	s_waitcnt vmcnt(19) lgkmcnt(1)
	v_fma_f64 v[117:118], v[133:134], v[117:118], v[128:129]
	buffer_load_dword v128, off, s[0:3], 0 offset:276
	s_waitcnt vmcnt(18)
	v_fma_f64 v[117:118], v[135:136], v[119:120], v[117:118]
	buffer_load_dword v130, off, s[0:3], 0 offset:284
	buffer_load_dword v131, off, s[0:3], 0 offset:304
	;; [unrolled: 1-line block ×8, first 2 shown]
	s_waitcnt vmcnt(24) lgkmcnt(0)
	v_fma_f64 v[117:118], v[137:138], v[121:122], v[117:118]
	s_waitcnt vmcnt(19)
	v_fma_f64 v[137:138], v[139:140], v[123:124], v[117:118]
	ds_read_b128 v[117:120], v116 offset:688
	ds_read_b128 v[121:124], v116 offset:704
	s_waitcnt vmcnt(18) lgkmcnt(1)
	v_fma_f64 v[117:118], v[145:146], v[117:118], v[137:138]
	s_waitcnt vmcnt(17)
	v_fma_f64 v[117:118], v[143:144], v[119:120], v[117:118]
	buffer_load_dword v138, off, s[0:3], 0 offset:316
	buffer_load_dword v139, off, s[0:3], 0 offset:336
	;; [unrolled: 1-line block ×7, first 2 shown]
	s_waitcnt vmcnt(23) lgkmcnt(0)
	v_fma_f64 v[117:118], v[141:142], v[121:122], v[117:118]
	s_waitcnt vmcnt(18)
	v_fma_f64 v[125:126], v[125:126], v[123:124], v[117:118]
	ds_read_b128 v[117:120], v116 offset:720
	ds_read_b128 v[121:124], v116 offset:736
	buffer_load_dword v140, off, s[0:3], 0 offset:340
	s_waitcnt vmcnt(18) lgkmcnt(1)
	v_fma_f64 v[117:118], v[149:150], v[117:118], v[125:126]
	s_waitcnt vmcnt(17)
	v_fma_f64 v[117:118], v[147:148], v[119:120], v[117:118]
	buffer_load_dword v126, off, s[0:3], 0 offset:348
	buffer_load_dword v141, off, s[0:3], 0 offset:368
	;; [unrolled: 1-line block ×7, first 2 shown]
	s_waitcnt vmcnt(23) lgkmcnt(0)
	v_fma_f64 v[117:118], v[127:128], v[121:122], v[117:118]
	s_waitcnt vmcnt(18)
	v_fma_f64 v[127:128], v[129:130], v[123:124], v[117:118]
	ds_read_b128 v[117:120], v116 offset:752
	ds_read_b128 v[121:124], v116 offset:768
	buffer_load_dword v142, off, s[0:3], 0 offset:372
	s_waitcnt vmcnt(18) lgkmcnt(1)
	v_fma_f64 v[117:118], v[135:136], v[117:118], v[127:128]
	s_waitcnt vmcnt(17)
	v_fma_f64 v[117:118], v[133:134], v[119:120], v[117:118]
	buffer_load_dword v128, off, s[0:3], 0 offset:380
	buffer_load_dword v129, off, s[0:3], 0 offset:400
	;; [unrolled: 1-line block ×7, first 2 shown]
	s_waitcnt vmcnt(23) lgkmcnt(0)
	v_fma_f64 v[117:118], v[131:132], v[121:122], v[117:118]
	s_waitcnt vmcnt(18)
	v_fma_f64 v[130:131], v[137:138], v[123:124], v[117:118]
	ds_read_b128 v[117:120], v116 offset:784
	ds_read_b128 v[121:124], v116 offset:800
	s_waitcnt vmcnt(17) lgkmcnt(1)
	v_fma_f64 v[117:118], v[145:146], v[117:118], v[130:131]
	buffer_load_dword v130, off, s[0:3], 0 offset:404
	s_waitcnt vmcnt(17)
	v_fma_f64 v[117:118], v[143:144], v[119:120], v[117:118]
	buffer_load_dword v132, off, s[0:3], 0 offset:412
	buffer_load_dword v137, off, s[0:3], 0 offset:432
	;; [unrolled: 1-line block ×7, first 2 shown]
	s_waitcnt vmcnt(23) lgkmcnt(0)
	v_fma_f64 v[117:118], v[139:140], v[121:122], v[117:118]
	s_waitcnt vmcnt(18)
	v_fma_f64 v[125:126], v[125:126], v[123:124], v[117:118]
	ds_read_b128 v[117:120], v116 offset:816
	ds_read_b128 v[121:124], v116 offset:832
	buffer_load_dword v138, off, s[0:3], 0 offset:436
	s_waitcnt vmcnt(18) lgkmcnt(1)
	v_fma_f64 v[117:118], v[149:150], v[117:118], v[125:126]
	buffer_load_dword v126, off, s[0:3], 0 offset:444
	buffer_load_dword v139, off, s[0:3], 0 offset:448
	;; [unrolled: 1-line block ×4, first 2 shown]
	s_waitcnt vmcnt(21)
	v_fma_f64 v[117:118], v[147:148], v[119:120], v[117:118]
	s_waitcnt vmcnt(20) lgkmcnt(0)
	v_fma_f64 v[117:118], v[141:142], v[121:122], v[117:118]
	buffer_load_dword v141, off, s[0:3], 0 offset:152
	buffer_load_dword v142, off, s[0:3], 0 offset:156
	s_waitcnt vmcnt(17)
	v_fma_f64 v[127:128], v[127:128], v[123:124], v[117:118]
	ds_read_b128 v[117:120], v116 offset:848
	ds_read_b128 v[121:124], v116 offset:864
	s_waitcnt vmcnt(16) lgkmcnt(1)
	v_fma_f64 v[117:118], v[135:136], v[117:118], v[127:128]
	s_waitcnt vmcnt(15)
	v_fma_f64 v[117:118], v[133:134], v[119:120], v[117:118]
	s_waitcnt vmcnt(14) lgkmcnt(0)
	v_fma_f64 v[117:118], v[129:130], v[121:122], v[117:118]
	s_waitcnt vmcnt(9)
	v_fma_f64 v[127:128], v[131:132], v[123:124], v[117:118]
	ds_read_b128 v[117:120], v116 offset:880
	ds_read_b128 v[121:124], v116 offset:896
	s_waitcnt vmcnt(8) lgkmcnt(1)
	v_fma_f64 v[117:118], v[145:146], v[117:118], v[127:128]
	s_waitcnt vmcnt(7)
	v_fma_f64 v[117:118], v[143:144], v[119:120], v[117:118]
	ds_read_b64 v[119:120], v116 offset:912
	s_waitcnt vmcnt(6) lgkmcnt(1)
	v_fma_f64 v[117:118], v[137:138], v[121:122], v[117:118]
	s_waitcnt vmcnt(3)
	v_fma_f64 v[117:118], v[125:126], v[123:124], v[117:118]
	s_waitcnt vmcnt(2) lgkmcnt(0)
	v_fma_f64 v[117:118], v[139:140], v[119:120], v[117:118]
	s_waitcnt vmcnt(0)
	v_add_f64 v[117:118], v[141:142], -v[117:118]
	buffer_store_dword v118, off, s[0:3], 0 offset:156
	buffer_store_dword v117, off, s[0:3], 0 offset:152
	s_and_saveexec_b64 s[4:5], vcc
	s_cbranch_execz .LBB120_313
; %bb.312:
	buffer_load_dword v117, off, s[0:3], 0 offset:144
	buffer_load_dword v118, off, s[0:3], 0 offset:148
	s_waitcnt vmcnt(0)
	ds_write_b64 v115, v[117:118]
	buffer_store_dword v116, off, s[0:3], 0 offset:144
	buffer_store_dword v116, off, s[0:3], 0 offset:148
.LBB120_313:
	s_or_b64 exec, exec, s[4:5]
	s_waitcnt lgkmcnt(0)
	; wave barrier
	buffer_load_dword v125, off, s[0:3], 0 offset:152
	buffer_load_dword v126, off, s[0:3], 0 offset:156
	;; [unrolled: 1-line block ×22, first 2 shown]
	ds_read2_b64 v[117:120], v116 offset0:77 offset1:78
	ds_read2_b64 v[121:124], v116 offset0:79 offset1:80
	v_cmp_lt_u32_e32 vcc, 17, v0
	s_waitcnt vmcnt(20) lgkmcnt(1)
	v_fma_f64 v[117:118], v[125:126], v[117:118], 0
	s_waitcnt vmcnt(18)
	v_fma_f64 v[117:118], v[127:128], v[119:120], v[117:118]
	buffer_load_dword v126, off, s[0:3], 0 offset:244
	buffer_load_dword v127, off, s[0:3], 0 offset:264
	;; [unrolled: 1-line block ×7, first 2 shown]
	s_waitcnt vmcnt(23) lgkmcnt(0)
	v_fma_f64 v[117:118], v[129:130], v[121:122], v[117:118]
	s_waitcnt vmcnt(21)
	v_fma_f64 v[128:129], v[131:132], v[123:124], v[117:118]
	ds_read2_b64 v[117:120], v116 offset0:81 offset1:82
	ds_read2_b64 v[121:124], v116 offset0:83 offset1:84
	s_waitcnt vmcnt(19) lgkmcnt(1)
	v_fma_f64 v[117:118], v[133:134], v[117:118], v[128:129]
	buffer_load_dword v128, off, s[0:3], 0 offset:268
	s_waitcnt vmcnt(18)
	v_fma_f64 v[117:118], v[135:136], v[119:120], v[117:118]
	buffer_load_dword v130, off, s[0:3], 0 offset:276
	buffer_load_dword v131, off, s[0:3], 0 offset:296
	;; [unrolled: 1-line block ×8, first 2 shown]
	s_waitcnt vmcnt(24) lgkmcnt(0)
	v_fma_f64 v[117:118], v[137:138], v[121:122], v[117:118]
	s_waitcnt vmcnt(19)
	v_fma_f64 v[137:138], v[139:140], v[123:124], v[117:118]
	ds_read2_b64 v[117:120], v116 offset0:85 offset1:86
	ds_read2_b64 v[121:124], v116 offset0:87 offset1:88
	s_waitcnt vmcnt(18) lgkmcnt(1)
	v_fma_f64 v[117:118], v[145:146], v[117:118], v[137:138]
	s_waitcnt vmcnt(17)
	v_fma_f64 v[117:118], v[143:144], v[119:120], v[117:118]
	buffer_load_dword v138, off, s[0:3], 0 offset:308
	buffer_load_dword v139, off, s[0:3], 0 offset:328
	;; [unrolled: 1-line block ×8, first 2 shown]
	s_waitcnt vmcnt(24) lgkmcnt(0)
	v_fma_f64 v[117:118], v[141:142], v[121:122], v[117:118]
	s_waitcnt vmcnt(19)
	v_fma_f64 v[125:126], v[125:126], v[123:124], v[117:118]
	ds_read2_b64 v[117:120], v116 offset0:89 offset1:90
	ds_read2_b64 v[121:124], v116 offset0:91 offset1:92
	s_waitcnt vmcnt(18) lgkmcnt(1)
	v_fma_f64 v[117:118], v[149:150], v[117:118], v[125:126]
	s_waitcnt vmcnt(17)
	v_fma_f64 v[117:118], v[147:148], v[119:120], v[117:118]
	buffer_load_dword v126, off, s[0:3], 0 offset:340
	buffer_load_dword v141, off, s[0:3], 0 offset:360
	;; [unrolled: 1-line block ×7, first 2 shown]
	s_waitcnt vmcnt(23) lgkmcnt(0)
	v_fma_f64 v[117:118], v[127:128], v[121:122], v[117:118]
	s_waitcnt vmcnt(18)
	v_fma_f64 v[127:128], v[129:130], v[123:124], v[117:118]
	ds_read2_b64 v[117:120], v116 offset0:93 offset1:94
	ds_read2_b64 v[121:124], v116 offset0:95 offset1:96
	buffer_load_dword v142, off, s[0:3], 0 offset:364
	s_waitcnt vmcnt(18) lgkmcnt(1)
	v_fma_f64 v[117:118], v[135:136], v[117:118], v[127:128]
	s_waitcnt vmcnt(17)
	v_fma_f64 v[117:118], v[133:134], v[119:120], v[117:118]
	buffer_load_dword v128, off, s[0:3], 0 offset:372
	buffer_load_dword v129, off, s[0:3], 0 offset:392
	;; [unrolled: 1-line block ×7, first 2 shown]
	s_waitcnt vmcnt(23) lgkmcnt(0)
	v_fma_f64 v[117:118], v[131:132], v[121:122], v[117:118]
	s_waitcnt vmcnt(18)
	v_fma_f64 v[130:131], v[137:138], v[123:124], v[117:118]
	ds_read2_b64 v[117:120], v116 offset0:97 offset1:98
	ds_read2_b64 v[121:124], v116 offset0:99 offset1:100
	s_waitcnt vmcnt(17) lgkmcnt(1)
	v_fma_f64 v[117:118], v[145:146], v[117:118], v[130:131]
	buffer_load_dword v130, off, s[0:3], 0 offset:396
	s_waitcnt vmcnt(17)
	v_fma_f64 v[117:118], v[143:144], v[119:120], v[117:118]
	buffer_load_dword v132, off, s[0:3], 0 offset:404
	buffer_load_dword v137, off, s[0:3], 0 offset:424
	;; [unrolled: 1-line block ×8, first 2 shown]
	s_waitcnt vmcnt(24) lgkmcnt(0)
	v_fma_f64 v[117:118], v[139:140], v[121:122], v[117:118]
	s_waitcnt vmcnt(19)
	v_fma_f64 v[125:126], v[125:126], v[123:124], v[117:118]
	ds_read2_b64 v[117:120], v116 offset0:101 offset1:102
	ds_read2_b64 v[121:124], v116 offset0:103 offset1:104
	s_waitcnt vmcnt(18) lgkmcnt(1)
	v_fma_f64 v[117:118], v[149:150], v[117:118], v[125:126]
	s_waitcnt vmcnt(17)
	v_fma_f64 v[117:118], v[147:148], v[119:120], v[117:118]
	buffer_load_dword v126, off, s[0:3], 0 offset:436
	buffer_load_dword v139, off, s[0:3], 0 offset:448
	;; [unrolled: 1-line block ×6, first 2 shown]
	s_waitcnt vmcnt(22) lgkmcnt(0)
	v_fma_f64 v[117:118], v[141:142], v[121:122], v[117:118]
	s_waitcnt vmcnt(17)
	v_fma_f64 v[127:128], v[127:128], v[123:124], v[117:118]
	ds_read2_b64 v[117:120], v116 offset0:105 offset1:106
	buffer_load_dword v141, off, s[0:3], 0 offset:144
	buffer_load_dword v142, off, s[0:3], 0 offset:148
	ds_read2_b64 v[121:124], v116 offset0:107 offset1:108
	s_waitcnt vmcnt(18) lgkmcnt(1)
	v_fma_f64 v[117:118], v[135:136], v[117:118], v[127:128]
	s_waitcnt vmcnt(17)
	v_fma_f64 v[117:118], v[133:134], v[119:120], v[117:118]
	s_waitcnt vmcnt(16) lgkmcnt(0)
	v_fma_f64 v[117:118], v[129:130], v[121:122], v[117:118]
	s_waitcnt vmcnt(11)
	v_fma_f64 v[127:128], v[131:132], v[123:124], v[117:118]
	ds_read2_b64 v[117:120], v116 offset0:109 offset1:110
	ds_read2_b64 v[121:124], v116 offset0:111 offset1:112
	s_waitcnt vmcnt(10) lgkmcnt(1)
	v_fma_f64 v[117:118], v[145:146], v[117:118], v[127:128]
	s_waitcnt vmcnt(9)
	v_fma_f64 v[117:118], v[143:144], v[119:120], v[117:118]
	s_waitcnt vmcnt(8) lgkmcnt(0)
	v_fma_f64 v[117:118], v[137:138], v[121:122], v[117:118]
	s_waitcnt vmcnt(4)
	v_fma_f64 v[120:121], v[125:126], v[123:124], v[117:118]
	ds_read2_b64 v[116:119], v116 offset0:113 offset1:114
	s_waitcnt vmcnt(3) lgkmcnt(0)
	v_fma_f64 v[116:117], v[147:148], v[116:117], v[120:121]
	s_waitcnt vmcnt(2)
	v_fma_f64 v[116:117], v[139:140], v[118:119], v[116:117]
	s_waitcnt vmcnt(0)
	v_add_f64 v[116:117], v[141:142], -v[116:117]
	buffer_store_dword v117, off, s[0:3], 0 offset:148
	buffer_store_dword v116, off, s[0:3], 0 offset:144
	s_and_saveexec_b64 s[4:5], vcc
	s_cbranch_execz .LBB120_315
; %bb.314:
	buffer_load_dword v116, off, s[0:3], 0 offset:136
	buffer_load_dword v117, off, s[0:3], 0 offset:140
	v_mov_b32_e32 v118, 0
	buffer_store_dword v118, off, s[0:3], 0 offset:136
	buffer_store_dword v118, off, s[0:3], 0 offset:140
	s_waitcnt vmcnt(2)
	ds_write_b64 v115, v[116:117]
.LBB120_315:
	s_or_b64 exec, exec, s[4:5]
	s_waitcnt lgkmcnt(0)
	; wave barrier
	buffer_load_dword v125, off, s[0:3], 0 offset:144
	buffer_load_dword v126, off, s[0:3], 0 offset:148
	buffer_load_dword v127, off, s[0:3], 0 offset:152
	buffer_load_dword v128, off, s[0:3], 0 offset:156
	buffer_load_dword v129, off, s[0:3], 0 offset:160
	buffer_load_dword v130, off, s[0:3], 0 offset:164
	buffer_load_dword v131, off, s[0:3], 0 offset:168
	buffer_load_dword v132, off, s[0:3], 0 offset:172
	buffer_load_dword v133, off, s[0:3], 0 offset:176
	buffer_load_dword v134, off, s[0:3], 0 offset:180
	buffer_load_dword v135, off, s[0:3], 0 offset:184
	buffer_load_dword v136, off, s[0:3], 0 offset:188
	buffer_load_dword v137, off, s[0:3], 0 offset:192
	buffer_load_dword v138, off, s[0:3], 0 offset:196
	buffer_load_dword v140, off, s[0:3], 0 offset:204
	buffer_load_dword v141, off, s[0:3], 0 offset:224
	buffer_load_dword v143, off, s[0:3], 0 offset:216
	buffer_load_dword v145, off, s[0:3], 0 offset:208
	buffer_load_dword v139, off, s[0:3], 0 offset:200
	buffer_load_dword v146, off, s[0:3], 0 offset:212
	buffer_load_dword v144, off, s[0:3], 0 offset:220
	buffer_load_dword v142, off, s[0:3], 0 offset:228
	v_mov_b32_e32 v116, 0
	ds_read_b128 v[117:120], v116 offset:608
	ds_read_b128 v[121:124], v116 offset:624
	v_cmp_lt_u32_e32 vcc, 16, v0
	s_waitcnt vmcnt(20) lgkmcnt(1)
	v_fma_f64 v[117:118], v[125:126], v[117:118], 0
	s_waitcnt vmcnt(18)
	v_fma_f64 v[117:118], v[127:128], v[119:120], v[117:118]
	buffer_load_dword v126, off, s[0:3], 0 offset:236
	buffer_load_dword v127, off, s[0:3], 0 offset:256
	;; [unrolled: 1-line block ×7, first 2 shown]
	s_waitcnt vmcnt(23) lgkmcnt(0)
	v_fma_f64 v[117:118], v[129:130], v[121:122], v[117:118]
	s_waitcnt vmcnt(21)
	v_fma_f64 v[128:129], v[131:132], v[123:124], v[117:118]
	ds_read_b128 v[117:120], v116 offset:640
	ds_read_b128 v[121:124], v116 offset:656
	s_waitcnt vmcnt(19) lgkmcnt(1)
	v_fma_f64 v[117:118], v[133:134], v[117:118], v[128:129]
	buffer_load_dword v128, off, s[0:3], 0 offset:260
	s_waitcnt vmcnt(18)
	v_fma_f64 v[117:118], v[135:136], v[119:120], v[117:118]
	buffer_load_dword v130, off, s[0:3], 0 offset:268
	buffer_load_dword v131, off, s[0:3], 0 offset:288
	;; [unrolled: 1-line block ×8, first 2 shown]
	s_waitcnt vmcnt(24) lgkmcnt(0)
	v_fma_f64 v[117:118], v[137:138], v[121:122], v[117:118]
	s_waitcnt vmcnt(19)
	v_fma_f64 v[137:138], v[139:140], v[123:124], v[117:118]
	ds_read_b128 v[117:120], v116 offset:672
	ds_read_b128 v[121:124], v116 offset:688
	s_waitcnt vmcnt(18) lgkmcnt(1)
	v_fma_f64 v[117:118], v[145:146], v[117:118], v[137:138]
	s_waitcnt vmcnt(17)
	v_fma_f64 v[117:118], v[143:144], v[119:120], v[117:118]
	buffer_load_dword v138, off, s[0:3], 0 offset:300
	buffer_load_dword v139, off, s[0:3], 0 offset:320
	;; [unrolled: 1-line block ×8, first 2 shown]
	s_waitcnt vmcnt(24) lgkmcnt(0)
	v_fma_f64 v[117:118], v[141:142], v[121:122], v[117:118]
	s_waitcnt vmcnt(19)
	v_fma_f64 v[125:126], v[125:126], v[123:124], v[117:118]
	ds_read_b128 v[117:120], v116 offset:704
	ds_read_b128 v[121:124], v116 offset:720
	s_waitcnt vmcnt(18) lgkmcnt(1)
	v_fma_f64 v[117:118], v[149:150], v[117:118], v[125:126]
	s_waitcnt vmcnt(17)
	v_fma_f64 v[117:118], v[147:148], v[119:120], v[117:118]
	buffer_load_dword v126, off, s[0:3], 0 offset:332
	buffer_load_dword v141, off, s[0:3], 0 offset:352
	buffer_load_dword v147, off, s[0:3], 0 offset:344
	buffer_load_dword v149, off, s[0:3], 0 offset:336
	buffer_load_dword v125, off, s[0:3], 0 offset:328
	buffer_load_dword v150, off, s[0:3], 0 offset:340
	buffer_load_dword v148, off, s[0:3], 0 offset:348
	s_waitcnt vmcnt(23) lgkmcnt(0)
	v_fma_f64 v[117:118], v[127:128], v[121:122], v[117:118]
	s_waitcnt vmcnt(18)
	v_fma_f64 v[127:128], v[129:130], v[123:124], v[117:118]
	ds_read_b128 v[117:120], v116 offset:736
	ds_read_b128 v[121:124], v116 offset:752
	buffer_load_dword v142, off, s[0:3], 0 offset:356
	s_waitcnt vmcnt(18) lgkmcnt(1)
	v_fma_f64 v[117:118], v[135:136], v[117:118], v[127:128]
	s_waitcnt vmcnt(17)
	v_fma_f64 v[117:118], v[133:134], v[119:120], v[117:118]
	buffer_load_dword v128, off, s[0:3], 0 offset:364
	buffer_load_dword v129, off, s[0:3], 0 offset:384
	;; [unrolled: 1-line block ×7, first 2 shown]
	s_waitcnt vmcnt(23) lgkmcnt(0)
	v_fma_f64 v[117:118], v[131:132], v[121:122], v[117:118]
	s_waitcnt vmcnt(18)
	v_fma_f64 v[130:131], v[137:138], v[123:124], v[117:118]
	ds_read_b128 v[117:120], v116 offset:768
	ds_read_b128 v[121:124], v116 offset:784
	s_waitcnt vmcnt(17) lgkmcnt(1)
	v_fma_f64 v[117:118], v[145:146], v[117:118], v[130:131]
	buffer_load_dword v130, off, s[0:3], 0 offset:388
	s_waitcnt vmcnt(17)
	v_fma_f64 v[117:118], v[143:144], v[119:120], v[117:118]
	buffer_load_dword v132, off, s[0:3], 0 offset:396
	buffer_load_dword v137, off, s[0:3], 0 offset:416
	;; [unrolled: 1-line block ×8, first 2 shown]
	s_waitcnt vmcnt(24) lgkmcnt(0)
	v_fma_f64 v[117:118], v[139:140], v[121:122], v[117:118]
	s_waitcnt vmcnt(19)
	v_fma_f64 v[125:126], v[125:126], v[123:124], v[117:118]
	ds_read_b128 v[117:120], v116 offset:800
	ds_read_b128 v[121:124], v116 offset:816
	s_waitcnt vmcnt(18) lgkmcnt(1)
	v_fma_f64 v[117:118], v[149:150], v[117:118], v[125:126]
	s_waitcnt vmcnt(17)
	v_fma_f64 v[117:118], v[147:148], v[119:120], v[117:118]
	buffer_load_dword v126, off, s[0:3], 0 offset:428
	buffer_load_dword v139, off, s[0:3], 0 offset:448
	;; [unrolled: 1-line block ×8, first 2 shown]
	s_waitcnt vmcnt(24) lgkmcnt(0)
	v_fma_f64 v[117:118], v[141:142], v[121:122], v[117:118]
	s_waitcnt vmcnt(19)
	v_fma_f64 v[127:128], v[127:128], v[123:124], v[117:118]
	ds_read_b128 v[117:120], v116 offset:832
	ds_read_b128 v[121:124], v116 offset:848
	s_waitcnt vmcnt(18) lgkmcnt(1)
	v_fma_f64 v[117:118], v[135:136], v[117:118], v[127:128]
	buffer_load_dword v127, off, s[0:3], 0 offset:136
	buffer_load_dword v128, off, s[0:3], 0 offset:140
	s_waitcnt vmcnt(19)
	v_fma_f64 v[117:118], v[133:134], v[119:120], v[117:118]
	s_waitcnt vmcnt(18) lgkmcnt(0)
	v_fma_f64 v[117:118], v[129:130], v[121:122], v[117:118]
	s_waitcnt vmcnt(13)
	v_fma_f64 v[129:130], v[131:132], v[123:124], v[117:118]
	ds_read_b128 v[117:120], v116 offset:864
	ds_read_b128 v[121:124], v116 offset:880
	s_waitcnt vmcnt(12) lgkmcnt(1)
	v_fma_f64 v[117:118], v[145:146], v[117:118], v[129:130]
	s_waitcnt vmcnt(11)
	v_fma_f64 v[117:118], v[143:144], v[119:120], v[117:118]
	s_waitcnt vmcnt(10) lgkmcnt(0)
	v_fma_f64 v[117:118], v[137:138], v[121:122], v[117:118]
	s_waitcnt vmcnt(5)
	v_fma_f64 v[121:122], v[125:126], v[123:124], v[117:118]
	ds_read_b128 v[117:120], v116 offset:896
	ds_read_b64 v[123:124], v116 offset:912
	s_waitcnt vmcnt(4) lgkmcnt(1)
	v_fma_f64 v[117:118], v[149:150], v[117:118], v[121:122]
	s_waitcnt vmcnt(3)
	v_fma_f64 v[117:118], v[147:148], v[119:120], v[117:118]
	s_waitcnt vmcnt(2) lgkmcnt(0)
	v_fma_f64 v[117:118], v[139:140], v[123:124], v[117:118]
	s_waitcnt vmcnt(0)
	v_add_f64 v[117:118], v[127:128], -v[117:118]
	buffer_store_dword v118, off, s[0:3], 0 offset:140
	buffer_store_dword v117, off, s[0:3], 0 offset:136
	s_and_saveexec_b64 s[4:5], vcc
	s_cbranch_execz .LBB120_317
; %bb.316:
	buffer_load_dword v117, off, s[0:3], 0 offset:128
	buffer_load_dword v118, off, s[0:3], 0 offset:132
	s_waitcnt vmcnt(0)
	ds_write_b64 v115, v[117:118]
	buffer_store_dword v116, off, s[0:3], 0 offset:128
	buffer_store_dword v116, off, s[0:3], 0 offset:132
.LBB120_317:
	s_or_b64 exec, exec, s[4:5]
	s_waitcnt lgkmcnt(0)
	; wave barrier
	buffer_load_dword v125, off, s[0:3], 0 offset:136
	buffer_load_dword v126, off, s[0:3], 0 offset:140
	;; [unrolled: 1-line block ×22, first 2 shown]
	ds_read2_b64 v[117:120], v116 offset0:75 offset1:76
	ds_read2_b64 v[121:124], v116 offset0:77 offset1:78
	v_cmp_lt_u32_e32 vcc, 15, v0
	s_waitcnt vmcnt(20) lgkmcnt(1)
	v_fma_f64 v[117:118], v[125:126], v[117:118], 0
	s_waitcnt vmcnt(18)
	v_fma_f64 v[117:118], v[127:128], v[119:120], v[117:118]
	buffer_load_dword v126, off, s[0:3], 0 offset:228
	buffer_load_dword v127, off, s[0:3], 0 offset:248
	;; [unrolled: 1-line block ×7, first 2 shown]
	s_waitcnt vmcnt(23) lgkmcnt(0)
	v_fma_f64 v[117:118], v[129:130], v[121:122], v[117:118]
	s_waitcnt vmcnt(21)
	v_fma_f64 v[128:129], v[131:132], v[123:124], v[117:118]
	ds_read2_b64 v[117:120], v116 offset0:79 offset1:80
	ds_read2_b64 v[121:124], v116 offset0:81 offset1:82
	s_waitcnt vmcnt(19) lgkmcnt(1)
	v_fma_f64 v[117:118], v[133:134], v[117:118], v[128:129]
	buffer_load_dword v128, off, s[0:3], 0 offset:252
	s_waitcnt vmcnt(18)
	v_fma_f64 v[117:118], v[135:136], v[119:120], v[117:118]
	buffer_load_dword v130, off, s[0:3], 0 offset:260
	buffer_load_dword v131, off, s[0:3], 0 offset:280
	;; [unrolled: 1-line block ×8, first 2 shown]
	s_waitcnt vmcnt(24) lgkmcnt(0)
	v_fma_f64 v[117:118], v[137:138], v[121:122], v[117:118]
	s_waitcnt vmcnt(19)
	v_fma_f64 v[137:138], v[139:140], v[123:124], v[117:118]
	ds_read2_b64 v[117:120], v116 offset0:83 offset1:84
	ds_read2_b64 v[121:124], v116 offset0:85 offset1:86
	s_waitcnt vmcnt(18) lgkmcnt(1)
	v_fma_f64 v[117:118], v[145:146], v[117:118], v[137:138]
	s_waitcnt vmcnt(17)
	v_fma_f64 v[117:118], v[143:144], v[119:120], v[117:118]
	buffer_load_dword v138, off, s[0:3], 0 offset:292
	buffer_load_dword v139, off, s[0:3], 0 offset:312
	;; [unrolled: 1-line block ×8, first 2 shown]
	s_waitcnt vmcnt(24) lgkmcnt(0)
	v_fma_f64 v[117:118], v[141:142], v[121:122], v[117:118]
	s_waitcnt vmcnt(19)
	v_fma_f64 v[125:126], v[125:126], v[123:124], v[117:118]
	ds_read2_b64 v[117:120], v116 offset0:87 offset1:88
	ds_read2_b64 v[121:124], v116 offset0:89 offset1:90
	s_waitcnt vmcnt(18) lgkmcnt(1)
	v_fma_f64 v[117:118], v[149:150], v[117:118], v[125:126]
	s_waitcnt vmcnt(17)
	v_fma_f64 v[117:118], v[147:148], v[119:120], v[117:118]
	buffer_load_dword v126, off, s[0:3], 0 offset:324
	buffer_load_dword v141, off, s[0:3], 0 offset:344
	;; [unrolled: 1-line block ×7, first 2 shown]
	s_waitcnt vmcnt(23) lgkmcnt(0)
	v_fma_f64 v[117:118], v[127:128], v[121:122], v[117:118]
	s_waitcnt vmcnt(18)
	v_fma_f64 v[127:128], v[129:130], v[123:124], v[117:118]
	ds_read2_b64 v[117:120], v116 offset0:91 offset1:92
	ds_read2_b64 v[121:124], v116 offset0:93 offset1:94
	buffer_load_dword v142, off, s[0:3], 0 offset:348
	s_waitcnt vmcnt(18) lgkmcnt(1)
	v_fma_f64 v[117:118], v[135:136], v[117:118], v[127:128]
	s_waitcnt vmcnt(17)
	v_fma_f64 v[117:118], v[133:134], v[119:120], v[117:118]
	buffer_load_dword v128, off, s[0:3], 0 offset:356
	buffer_load_dword v129, off, s[0:3], 0 offset:376
	;; [unrolled: 1-line block ×7, first 2 shown]
	s_waitcnt vmcnt(23) lgkmcnt(0)
	v_fma_f64 v[117:118], v[131:132], v[121:122], v[117:118]
	s_waitcnt vmcnt(18)
	v_fma_f64 v[130:131], v[137:138], v[123:124], v[117:118]
	ds_read2_b64 v[117:120], v116 offset0:95 offset1:96
	ds_read2_b64 v[121:124], v116 offset0:97 offset1:98
	s_waitcnt vmcnt(17) lgkmcnt(1)
	v_fma_f64 v[117:118], v[145:146], v[117:118], v[130:131]
	buffer_load_dword v130, off, s[0:3], 0 offset:380
	s_waitcnt vmcnt(17)
	v_fma_f64 v[117:118], v[143:144], v[119:120], v[117:118]
	buffer_load_dword v132, off, s[0:3], 0 offset:388
	buffer_load_dword v137, off, s[0:3], 0 offset:408
	;; [unrolled: 1-line block ×8, first 2 shown]
	s_waitcnt vmcnt(24) lgkmcnt(0)
	v_fma_f64 v[117:118], v[139:140], v[121:122], v[117:118]
	s_waitcnt vmcnt(19)
	v_fma_f64 v[125:126], v[125:126], v[123:124], v[117:118]
	ds_read2_b64 v[117:120], v116 offset0:99 offset1:100
	ds_read2_b64 v[121:124], v116 offset0:101 offset1:102
	s_waitcnt vmcnt(18) lgkmcnt(1)
	v_fma_f64 v[117:118], v[149:150], v[117:118], v[125:126]
	s_waitcnt vmcnt(17)
	v_fma_f64 v[117:118], v[147:148], v[119:120], v[117:118]
	buffer_load_dword v126, off, s[0:3], 0 offset:420
	buffer_load_dword v139, off, s[0:3], 0 offset:440
	;; [unrolled: 1-line block ×8, first 2 shown]
	s_waitcnt vmcnt(24) lgkmcnt(0)
	v_fma_f64 v[117:118], v[141:142], v[121:122], v[117:118]
	s_waitcnt vmcnt(19)
	v_fma_f64 v[127:128], v[127:128], v[123:124], v[117:118]
	ds_read2_b64 v[117:120], v116 offset0:103 offset1:104
	ds_read2_b64 v[121:124], v116 offset0:105 offset1:106
	s_waitcnt vmcnt(18) lgkmcnt(1)
	v_fma_f64 v[117:118], v[135:136], v[117:118], v[127:128]
	buffer_load_dword v128, off, s[0:3], 0 offset:452
	buffer_load_dword v127, off, s[0:3], 0 offset:448
	s_waitcnt vmcnt(19)
	v_fma_f64 v[117:118], v[133:134], v[119:120], v[117:118]
	buffer_load_dword v133, off, s[0:3], 0 offset:128
	buffer_load_dword v134, off, s[0:3], 0 offset:132
	s_waitcnt vmcnt(20) lgkmcnt(0)
	v_fma_f64 v[117:118], v[129:130], v[121:122], v[117:118]
	s_waitcnt vmcnt(15)
	v_fma_f64 v[129:130], v[131:132], v[123:124], v[117:118]
	ds_read2_b64 v[117:120], v116 offset0:107 offset1:108
	ds_read2_b64 v[121:124], v116 offset0:109 offset1:110
	s_waitcnt vmcnt(14) lgkmcnt(1)
	v_fma_f64 v[117:118], v[145:146], v[117:118], v[129:130]
	s_waitcnt vmcnt(13)
	v_fma_f64 v[117:118], v[143:144], v[119:120], v[117:118]
	s_waitcnt vmcnt(12) lgkmcnt(0)
	v_fma_f64 v[117:118], v[137:138], v[121:122], v[117:118]
	s_waitcnt vmcnt(7)
	v_fma_f64 v[125:126], v[125:126], v[123:124], v[117:118]
	ds_read2_b64 v[117:120], v116 offset0:111 offset1:112
	ds_read2_b64 v[121:124], v116 offset0:113 offset1:114
	s_waitcnt vmcnt(6) lgkmcnt(1)
	v_fma_f64 v[116:117], v[149:150], v[117:118], v[125:126]
	s_waitcnt vmcnt(5)
	v_fma_f64 v[116:117], v[147:148], v[119:120], v[116:117]
	s_waitcnt vmcnt(4) lgkmcnt(0)
	v_fma_f64 v[116:117], v[139:140], v[121:122], v[116:117]
	s_waitcnt vmcnt(2)
	v_fma_f64 v[116:117], v[127:128], v[123:124], v[116:117]
	s_waitcnt vmcnt(0)
	v_add_f64 v[116:117], v[133:134], -v[116:117]
	buffer_store_dword v117, off, s[0:3], 0 offset:132
	buffer_store_dword v116, off, s[0:3], 0 offset:128
	s_and_saveexec_b64 s[4:5], vcc
	s_cbranch_execz .LBB120_319
; %bb.318:
	buffer_load_dword v116, off, s[0:3], 0 offset:120
	buffer_load_dword v117, off, s[0:3], 0 offset:124
	v_mov_b32_e32 v118, 0
	buffer_store_dword v118, off, s[0:3], 0 offset:120
	buffer_store_dword v118, off, s[0:3], 0 offset:124
	s_waitcnt vmcnt(2)
	ds_write_b64 v115, v[116:117]
.LBB120_319:
	s_or_b64 exec, exec, s[4:5]
	s_waitcnt lgkmcnt(0)
	; wave barrier
	buffer_load_dword v125, off, s[0:3], 0 offset:128
	buffer_load_dword v126, off, s[0:3], 0 offset:132
	;; [unrolled: 1-line block ×22, first 2 shown]
	v_mov_b32_e32 v116, 0
	ds_read_b128 v[117:120], v116 offset:592
	ds_read_b128 v[121:124], v116 offset:608
	v_cmp_lt_u32_e32 vcc, 14, v0
	s_waitcnt vmcnt(20) lgkmcnt(1)
	v_fma_f64 v[117:118], v[125:126], v[117:118], 0
	s_waitcnt vmcnt(18)
	v_fma_f64 v[117:118], v[127:128], v[119:120], v[117:118]
	buffer_load_dword v126, off, s[0:3], 0 offset:220
	buffer_load_dword v127, off, s[0:3], 0 offset:240
	;; [unrolled: 1-line block ×7, first 2 shown]
	s_waitcnt vmcnt(23) lgkmcnt(0)
	v_fma_f64 v[117:118], v[129:130], v[121:122], v[117:118]
	s_waitcnt vmcnt(21)
	v_fma_f64 v[128:129], v[131:132], v[123:124], v[117:118]
	ds_read_b128 v[117:120], v116 offset:624
	ds_read_b128 v[121:124], v116 offset:640
	s_waitcnt vmcnt(19) lgkmcnt(1)
	v_fma_f64 v[117:118], v[133:134], v[117:118], v[128:129]
	buffer_load_dword v128, off, s[0:3], 0 offset:244
	s_waitcnt vmcnt(18)
	v_fma_f64 v[117:118], v[135:136], v[119:120], v[117:118]
	buffer_load_dword v130, off, s[0:3], 0 offset:252
	buffer_load_dword v131, off, s[0:3], 0 offset:272
	;; [unrolled: 1-line block ×7, first 2 shown]
	s_waitcnt vmcnt(23) lgkmcnt(0)
	v_fma_f64 v[117:118], v[137:138], v[121:122], v[117:118]
	s_waitcnt vmcnt(18)
	v_fma_f64 v[137:138], v[139:140], v[123:124], v[117:118]
	ds_read_b128 v[117:120], v116 offset:656
	ds_read_b128 v[121:124], v116 offset:672
	buffer_load_dword v132, off, s[0:3], 0 offset:276
	s_waitcnt vmcnt(18) lgkmcnt(1)
	v_fma_f64 v[117:118], v[145:146], v[117:118], v[137:138]
	s_waitcnt vmcnt(17)
	v_fma_f64 v[117:118], v[143:144], v[119:120], v[117:118]
	buffer_load_dword v138, off, s[0:3], 0 offset:284
	buffer_load_dword v139, off, s[0:3], 0 offset:304
	;; [unrolled: 1-line block ×8, first 2 shown]
	s_waitcnt vmcnt(24) lgkmcnt(0)
	v_fma_f64 v[117:118], v[141:142], v[121:122], v[117:118]
	s_waitcnt vmcnt(19)
	v_fma_f64 v[125:126], v[125:126], v[123:124], v[117:118]
	ds_read_b128 v[117:120], v116 offset:688
	ds_read_b128 v[121:124], v116 offset:704
	s_waitcnt vmcnt(18) lgkmcnt(1)
	v_fma_f64 v[117:118], v[149:150], v[117:118], v[125:126]
	s_waitcnt vmcnt(17)
	v_fma_f64 v[117:118], v[147:148], v[119:120], v[117:118]
	buffer_load_dword v126, off, s[0:3], 0 offset:316
	buffer_load_dword v141, off, s[0:3], 0 offset:336
	;; [unrolled: 1-line block ×7, first 2 shown]
	s_waitcnt vmcnt(23) lgkmcnt(0)
	v_fma_f64 v[117:118], v[127:128], v[121:122], v[117:118]
	s_waitcnt vmcnt(18)
	v_fma_f64 v[127:128], v[129:130], v[123:124], v[117:118]
	ds_read_b128 v[117:120], v116 offset:720
	ds_read_b128 v[121:124], v116 offset:736
	buffer_load_dword v142, off, s[0:3], 0 offset:340
	s_waitcnt vmcnt(18) lgkmcnt(1)
	v_fma_f64 v[117:118], v[135:136], v[117:118], v[127:128]
	s_waitcnt vmcnt(17)
	v_fma_f64 v[117:118], v[133:134], v[119:120], v[117:118]
	buffer_load_dword v128, off, s[0:3], 0 offset:348
	buffer_load_dword v129, off, s[0:3], 0 offset:368
	;; [unrolled: 1-line block ×7, first 2 shown]
	s_waitcnt vmcnt(23) lgkmcnt(0)
	v_fma_f64 v[117:118], v[131:132], v[121:122], v[117:118]
	s_waitcnt vmcnt(18)
	v_fma_f64 v[130:131], v[137:138], v[123:124], v[117:118]
	ds_read_b128 v[117:120], v116 offset:752
	ds_read_b128 v[121:124], v116 offset:768
	s_waitcnt vmcnt(17) lgkmcnt(1)
	v_fma_f64 v[117:118], v[145:146], v[117:118], v[130:131]
	buffer_load_dword v130, off, s[0:3], 0 offset:372
	s_waitcnt vmcnt(17)
	v_fma_f64 v[117:118], v[143:144], v[119:120], v[117:118]
	buffer_load_dword v132, off, s[0:3], 0 offset:380
	buffer_load_dword v137, off, s[0:3], 0 offset:400
	;; [unrolled: 1-line block ×8, first 2 shown]
	s_waitcnt vmcnt(24) lgkmcnt(0)
	v_fma_f64 v[117:118], v[139:140], v[121:122], v[117:118]
	s_waitcnt vmcnt(19)
	v_fma_f64 v[125:126], v[125:126], v[123:124], v[117:118]
	ds_read_b128 v[117:120], v116 offset:784
	ds_read_b128 v[121:124], v116 offset:800
	s_waitcnt vmcnt(18) lgkmcnt(1)
	v_fma_f64 v[117:118], v[149:150], v[117:118], v[125:126]
	s_waitcnt vmcnt(17)
	v_fma_f64 v[117:118], v[147:148], v[119:120], v[117:118]
	buffer_load_dword v126, off, s[0:3], 0 offset:412
	buffer_load_dword v139, off, s[0:3], 0 offset:432
	;; [unrolled: 1-line block ×7, first 2 shown]
	s_waitcnt vmcnt(23) lgkmcnt(0)
	v_fma_f64 v[117:118], v[141:142], v[121:122], v[117:118]
	s_waitcnt vmcnt(18)
	v_fma_f64 v[127:128], v[127:128], v[123:124], v[117:118]
	ds_read_b128 v[117:120], v116 offset:816
	ds_read_b128 v[121:124], v116 offset:832
	buffer_load_dword v140, off, s[0:3], 0 offset:436
	s_waitcnt vmcnt(18) lgkmcnt(1)
	v_fma_f64 v[117:118], v[135:136], v[117:118], v[127:128]
	s_waitcnt vmcnt(17)
	v_fma_f64 v[117:118], v[133:134], v[119:120], v[117:118]
	buffer_load_dword v128, off, s[0:3], 0 offset:444
	buffer_load_dword v133, off, s[0:3], 0 offset:448
	;; [unrolled: 1-line block ×4, first 2 shown]
	s_waitcnt vmcnt(20) lgkmcnt(0)
	v_fma_f64 v[117:118], v[129:130], v[121:122], v[117:118]
	buffer_load_dword v129, off, s[0:3], 0 offset:120
	buffer_load_dword v130, off, s[0:3], 0 offset:124
	s_waitcnt vmcnt(17)
	v_fma_f64 v[131:132], v[131:132], v[123:124], v[117:118]
	ds_read_b128 v[117:120], v116 offset:848
	ds_read_b128 v[121:124], v116 offset:864
	s_waitcnt vmcnt(16) lgkmcnt(1)
	v_fma_f64 v[117:118], v[145:146], v[117:118], v[131:132]
	s_waitcnt vmcnt(15)
	v_fma_f64 v[117:118], v[143:144], v[119:120], v[117:118]
	s_waitcnt vmcnt(14) lgkmcnt(0)
	v_fma_f64 v[117:118], v[137:138], v[121:122], v[117:118]
	s_waitcnt vmcnt(9)
	v_fma_f64 v[125:126], v[125:126], v[123:124], v[117:118]
	ds_read_b128 v[117:120], v116 offset:880
	ds_read_b128 v[121:124], v116 offset:896
	s_waitcnt vmcnt(8) lgkmcnt(1)
	v_fma_f64 v[117:118], v[149:150], v[117:118], v[125:126]
	s_waitcnt vmcnt(7)
	v_fma_f64 v[117:118], v[147:148], v[119:120], v[117:118]
	ds_read_b64 v[119:120], v116 offset:912
	s_waitcnt vmcnt(6) lgkmcnt(1)
	v_fma_f64 v[117:118], v[139:140], v[121:122], v[117:118]
	s_waitcnt vmcnt(3)
	v_fma_f64 v[117:118], v[127:128], v[123:124], v[117:118]
	s_waitcnt vmcnt(2) lgkmcnt(0)
	v_fma_f64 v[117:118], v[133:134], v[119:120], v[117:118]
	s_waitcnt vmcnt(0)
	v_add_f64 v[117:118], v[129:130], -v[117:118]
	buffer_store_dword v118, off, s[0:3], 0 offset:124
	buffer_store_dword v117, off, s[0:3], 0 offset:120
	s_and_saveexec_b64 s[4:5], vcc
	s_cbranch_execz .LBB120_321
; %bb.320:
	buffer_load_dword v117, off, s[0:3], 0 offset:112
	buffer_load_dword v118, off, s[0:3], 0 offset:116
	s_waitcnt vmcnt(0)
	ds_write_b64 v115, v[117:118]
	buffer_store_dword v116, off, s[0:3], 0 offset:112
	buffer_store_dword v116, off, s[0:3], 0 offset:116
.LBB120_321:
	s_or_b64 exec, exec, s[4:5]
	s_waitcnt lgkmcnt(0)
	; wave barrier
	buffer_load_dword v125, off, s[0:3], 0 offset:120
	buffer_load_dword v126, off, s[0:3], 0 offset:124
	;; [unrolled: 1-line block ×22, first 2 shown]
	ds_read2_b64 v[117:120], v116 offset0:73 offset1:74
	ds_read2_b64 v[121:124], v116 offset0:75 offset1:76
	v_cmp_lt_u32_e32 vcc, 13, v0
	s_waitcnt vmcnt(20) lgkmcnt(1)
	v_fma_f64 v[117:118], v[125:126], v[117:118], 0
	s_waitcnt vmcnt(18)
	v_fma_f64 v[117:118], v[127:128], v[119:120], v[117:118]
	buffer_load_dword v126, off, s[0:3], 0 offset:212
	buffer_load_dword v127, off, s[0:3], 0 offset:232
	;; [unrolled: 1-line block ×7, first 2 shown]
	s_waitcnt vmcnt(23) lgkmcnt(0)
	v_fma_f64 v[117:118], v[129:130], v[121:122], v[117:118]
	s_waitcnt vmcnt(21)
	v_fma_f64 v[128:129], v[131:132], v[123:124], v[117:118]
	ds_read2_b64 v[117:120], v116 offset0:77 offset1:78
	ds_read2_b64 v[121:124], v116 offset0:79 offset1:80
	s_waitcnt vmcnt(19) lgkmcnt(1)
	v_fma_f64 v[117:118], v[133:134], v[117:118], v[128:129]
	buffer_load_dword v128, off, s[0:3], 0 offset:236
	s_waitcnt vmcnt(18)
	v_fma_f64 v[117:118], v[135:136], v[119:120], v[117:118]
	buffer_load_dword v130, off, s[0:3], 0 offset:244
	buffer_load_dword v131, off, s[0:3], 0 offset:264
	;; [unrolled: 1-line block ×7, first 2 shown]
	s_waitcnt vmcnt(23) lgkmcnt(0)
	v_fma_f64 v[117:118], v[137:138], v[121:122], v[117:118]
	s_waitcnt vmcnt(18)
	v_fma_f64 v[137:138], v[139:140], v[123:124], v[117:118]
	ds_read2_b64 v[117:120], v116 offset0:81 offset1:82
	ds_read2_b64 v[121:124], v116 offset0:83 offset1:84
	buffer_load_dword v132, off, s[0:3], 0 offset:268
	s_waitcnt vmcnt(18) lgkmcnt(1)
	v_fma_f64 v[117:118], v[145:146], v[117:118], v[137:138]
	s_waitcnt vmcnt(17)
	v_fma_f64 v[117:118], v[143:144], v[119:120], v[117:118]
	buffer_load_dword v138, off, s[0:3], 0 offset:276
	buffer_load_dword v139, off, s[0:3], 0 offset:296
	;; [unrolled: 1-line block ×8, first 2 shown]
	s_waitcnt vmcnt(24) lgkmcnt(0)
	v_fma_f64 v[117:118], v[141:142], v[121:122], v[117:118]
	s_waitcnt vmcnt(19)
	v_fma_f64 v[125:126], v[125:126], v[123:124], v[117:118]
	ds_read2_b64 v[117:120], v116 offset0:85 offset1:86
	ds_read2_b64 v[121:124], v116 offset0:87 offset1:88
	s_waitcnt vmcnt(18) lgkmcnt(1)
	v_fma_f64 v[117:118], v[149:150], v[117:118], v[125:126]
	s_waitcnt vmcnt(17)
	v_fma_f64 v[117:118], v[147:148], v[119:120], v[117:118]
	buffer_load_dword v126, off, s[0:3], 0 offset:308
	buffer_load_dword v141, off, s[0:3], 0 offset:328
	;; [unrolled: 1-line block ×8, first 2 shown]
	s_waitcnt vmcnt(24) lgkmcnt(0)
	v_fma_f64 v[117:118], v[127:128], v[121:122], v[117:118]
	s_waitcnt vmcnt(19)
	v_fma_f64 v[127:128], v[129:130], v[123:124], v[117:118]
	ds_read2_b64 v[117:120], v116 offset0:89 offset1:90
	ds_read2_b64 v[121:124], v116 offset0:91 offset1:92
	s_waitcnt vmcnt(18) lgkmcnt(1)
	v_fma_f64 v[117:118], v[135:136], v[117:118], v[127:128]
	s_waitcnt vmcnt(17)
	v_fma_f64 v[117:118], v[133:134], v[119:120], v[117:118]
	buffer_load_dword v128, off, s[0:3], 0 offset:340
	buffer_load_dword v129, off, s[0:3], 0 offset:360
	;; [unrolled: 1-line block ×7, first 2 shown]
	s_waitcnt vmcnt(23) lgkmcnt(0)
	v_fma_f64 v[117:118], v[131:132], v[121:122], v[117:118]
	s_waitcnt vmcnt(18)
	v_fma_f64 v[130:131], v[137:138], v[123:124], v[117:118]
	ds_read2_b64 v[117:120], v116 offset0:93 offset1:94
	ds_read2_b64 v[121:124], v116 offset0:95 offset1:96
	s_waitcnt vmcnt(17) lgkmcnt(1)
	v_fma_f64 v[117:118], v[145:146], v[117:118], v[130:131]
	buffer_load_dword v130, off, s[0:3], 0 offset:364
	s_waitcnt vmcnt(17)
	v_fma_f64 v[117:118], v[143:144], v[119:120], v[117:118]
	buffer_load_dword v132, off, s[0:3], 0 offset:372
	buffer_load_dword v137, off, s[0:3], 0 offset:392
	;; [unrolled: 1-line block ×8, first 2 shown]
	s_waitcnt vmcnt(24) lgkmcnt(0)
	v_fma_f64 v[117:118], v[139:140], v[121:122], v[117:118]
	s_waitcnt vmcnt(19)
	v_fma_f64 v[125:126], v[125:126], v[123:124], v[117:118]
	ds_read2_b64 v[117:120], v116 offset0:97 offset1:98
	ds_read2_b64 v[121:124], v116 offset0:99 offset1:100
	s_waitcnt vmcnt(18) lgkmcnt(1)
	v_fma_f64 v[117:118], v[149:150], v[117:118], v[125:126]
	s_waitcnt vmcnt(17)
	v_fma_f64 v[117:118], v[147:148], v[119:120], v[117:118]
	buffer_load_dword v126, off, s[0:3], 0 offset:404
	buffer_load_dword v139, off, s[0:3], 0 offset:424
	;; [unrolled: 1-line block ×8, first 2 shown]
	s_waitcnt vmcnt(24) lgkmcnt(0)
	v_fma_f64 v[117:118], v[141:142], v[121:122], v[117:118]
	s_waitcnt vmcnt(19)
	v_fma_f64 v[127:128], v[127:128], v[123:124], v[117:118]
	ds_read2_b64 v[117:120], v116 offset0:101 offset1:102
	ds_read2_b64 v[121:124], v116 offset0:103 offset1:104
	s_waitcnt vmcnt(18) lgkmcnt(1)
	v_fma_f64 v[117:118], v[135:136], v[117:118], v[127:128]
	s_waitcnt vmcnt(17)
	v_fma_f64 v[117:118], v[133:134], v[119:120], v[117:118]
	buffer_load_dword v128, off, s[0:3], 0 offset:436
	buffer_load_dword v133, off, s[0:3], 0 offset:448
	;; [unrolled: 1-line block ×6, first 2 shown]
	s_waitcnt vmcnt(22) lgkmcnt(0)
	v_fma_f64 v[117:118], v[129:130], v[121:122], v[117:118]
	s_waitcnt vmcnt(17)
	v_fma_f64 v[129:130], v[131:132], v[123:124], v[117:118]
	ds_read2_b64 v[117:120], v116 offset0:105 offset1:106
	buffer_load_dword v131, off, s[0:3], 0 offset:112
	buffer_load_dword v132, off, s[0:3], 0 offset:116
	ds_read2_b64 v[121:124], v116 offset0:107 offset1:108
	s_waitcnt vmcnt(18) lgkmcnt(1)
	v_fma_f64 v[117:118], v[145:146], v[117:118], v[129:130]
	s_waitcnt vmcnt(17)
	v_fma_f64 v[117:118], v[143:144], v[119:120], v[117:118]
	s_waitcnt vmcnt(16) lgkmcnt(0)
	v_fma_f64 v[117:118], v[137:138], v[121:122], v[117:118]
	s_waitcnt vmcnt(11)
	v_fma_f64 v[125:126], v[125:126], v[123:124], v[117:118]
	ds_read2_b64 v[117:120], v116 offset0:109 offset1:110
	ds_read2_b64 v[121:124], v116 offset0:111 offset1:112
	s_waitcnt vmcnt(10) lgkmcnt(1)
	v_fma_f64 v[117:118], v[149:150], v[117:118], v[125:126]
	s_waitcnt vmcnt(9)
	v_fma_f64 v[117:118], v[147:148], v[119:120], v[117:118]
	s_waitcnt vmcnt(8) lgkmcnt(0)
	v_fma_f64 v[117:118], v[139:140], v[121:122], v[117:118]
	s_waitcnt vmcnt(4)
	v_fma_f64 v[120:121], v[127:128], v[123:124], v[117:118]
	ds_read2_b64 v[116:119], v116 offset0:113 offset1:114
	s_waitcnt vmcnt(3) lgkmcnt(0)
	v_fma_f64 v[116:117], v[135:136], v[116:117], v[120:121]
	s_waitcnt vmcnt(2)
	v_fma_f64 v[116:117], v[133:134], v[118:119], v[116:117]
	s_waitcnt vmcnt(0)
	v_add_f64 v[116:117], v[131:132], -v[116:117]
	buffer_store_dword v117, off, s[0:3], 0 offset:116
	buffer_store_dword v116, off, s[0:3], 0 offset:112
	s_and_saveexec_b64 s[4:5], vcc
	s_cbranch_execz .LBB120_323
; %bb.322:
	buffer_load_dword v116, off, s[0:3], 0 offset:104
	buffer_load_dword v117, off, s[0:3], 0 offset:108
	v_mov_b32_e32 v118, 0
	buffer_store_dword v118, off, s[0:3], 0 offset:104
	buffer_store_dword v118, off, s[0:3], 0 offset:108
	s_waitcnt vmcnt(2)
	ds_write_b64 v115, v[116:117]
.LBB120_323:
	s_or_b64 exec, exec, s[4:5]
	s_waitcnt lgkmcnt(0)
	; wave barrier
	buffer_load_dword v125, off, s[0:3], 0 offset:112
	buffer_load_dword v126, off, s[0:3], 0 offset:116
	;; [unrolled: 1-line block ×22, first 2 shown]
	v_mov_b32_e32 v116, 0
	ds_read_b128 v[117:120], v116 offset:576
	ds_read_b128 v[121:124], v116 offset:592
	v_cmp_lt_u32_e32 vcc, 12, v0
	s_waitcnt vmcnt(20) lgkmcnt(1)
	v_fma_f64 v[117:118], v[125:126], v[117:118], 0
	s_waitcnt vmcnt(18)
	v_fma_f64 v[117:118], v[127:128], v[119:120], v[117:118]
	buffer_load_dword v126, off, s[0:3], 0 offset:204
	buffer_load_dword v127, off, s[0:3], 0 offset:224
	;; [unrolled: 1-line block ×7, first 2 shown]
	s_waitcnt vmcnt(23) lgkmcnt(0)
	v_fma_f64 v[117:118], v[129:130], v[121:122], v[117:118]
	s_waitcnt vmcnt(21)
	v_fma_f64 v[128:129], v[131:132], v[123:124], v[117:118]
	ds_read_b128 v[117:120], v116 offset:608
	ds_read_b128 v[121:124], v116 offset:624
	s_waitcnt vmcnt(19) lgkmcnt(1)
	v_fma_f64 v[117:118], v[133:134], v[117:118], v[128:129]
	buffer_load_dword v128, off, s[0:3], 0 offset:228
	s_waitcnt vmcnt(18)
	v_fma_f64 v[117:118], v[135:136], v[119:120], v[117:118]
	buffer_load_dword v130, off, s[0:3], 0 offset:236
	buffer_load_dword v131, off, s[0:3], 0 offset:256
	;; [unrolled: 1-line block ×7, first 2 shown]
	s_waitcnt vmcnt(23) lgkmcnt(0)
	v_fma_f64 v[117:118], v[137:138], v[121:122], v[117:118]
	s_waitcnt vmcnt(18)
	v_fma_f64 v[137:138], v[139:140], v[123:124], v[117:118]
	ds_read_b128 v[117:120], v116 offset:640
	ds_read_b128 v[121:124], v116 offset:656
	buffer_load_dword v132, off, s[0:3], 0 offset:260
	s_waitcnt vmcnt(18) lgkmcnt(1)
	v_fma_f64 v[117:118], v[145:146], v[117:118], v[137:138]
	s_waitcnt vmcnt(17)
	v_fma_f64 v[117:118], v[143:144], v[119:120], v[117:118]
	buffer_load_dword v138, off, s[0:3], 0 offset:268
	buffer_load_dword v139, off, s[0:3], 0 offset:288
	;; [unrolled: 1-line block ×8, first 2 shown]
	s_waitcnt vmcnt(24) lgkmcnt(0)
	v_fma_f64 v[117:118], v[141:142], v[121:122], v[117:118]
	s_waitcnt vmcnt(19)
	v_fma_f64 v[125:126], v[125:126], v[123:124], v[117:118]
	ds_read_b128 v[117:120], v116 offset:672
	ds_read_b128 v[121:124], v116 offset:688
	s_waitcnt vmcnt(18) lgkmcnt(1)
	v_fma_f64 v[117:118], v[149:150], v[117:118], v[125:126]
	s_waitcnt vmcnt(17)
	v_fma_f64 v[117:118], v[147:148], v[119:120], v[117:118]
	buffer_load_dword v126, off, s[0:3], 0 offset:300
	buffer_load_dword v141, off, s[0:3], 0 offset:320
	;; [unrolled: 1-line block ×8, first 2 shown]
	s_waitcnt vmcnt(24) lgkmcnt(0)
	v_fma_f64 v[117:118], v[127:128], v[121:122], v[117:118]
	s_waitcnt vmcnt(19)
	v_fma_f64 v[127:128], v[129:130], v[123:124], v[117:118]
	ds_read_b128 v[117:120], v116 offset:704
	ds_read_b128 v[121:124], v116 offset:720
	s_waitcnt vmcnt(18) lgkmcnt(1)
	v_fma_f64 v[117:118], v[135:136], v[117:118], v[127:128]
	s_waitcnt vmcnt(17)
	v_fma_f64 v[117:118], v[133:134], v[119:120], v[117:118]
	buffer_load_dword v128, off, s[0:3], 0 offset:332
	buffer_load_dword v129, off, s[0:3], 0 offset:352
	;; [unrolled: 1-line block ×7, first 2 shown]
	s_waitcnt vmcnt(23) lgkmcnt(0)
	v_fma_f64 v[117:118], v[131:132], v[121:122], v[117:118]
	s_waitcnt vmcnt(18)
	v_fma_f64 v[130:131], v[137:138], v[123:124], v[117:118]
	ds_read_b128 v[117:120], v116 offset:736
	ds_read_b128 v[121:124], v116 offset:752
	s_waitcnt vmcnt(17) lgkmcnt(1)
	v_fma_f64 v[117:118], v[145:146], v[117:118], v[130:131]
	buffer_load_dword v130, off, s[0:3], 0 offset:356
	s_waitcnt vmcnt(17)
	v_fma_f64 v[117:118], v[143:144], v[119:120], v[117:118]
	buffer_load_dword v132, off, s[0:3], 0 offset:364
	buffer_load_dword v137, off, s[0:3], 0 offset:384
	buffer_load_dword v143, off, s[0:3], 0 offset:376
	buffer_load_dword v145, off, s[0:3], 0 offset:368
	buffer_load_dword v131, off, s[0:3], 0 offset:360
	buffer_load_dword v146, off, s[0:3], 0 offset:372
	buffer_load_dword v144, off, s[0:3], 0 offset:380
	buffer_load_dword v138, off, s[0:3], 0 offset:388
	s_waitcnt vmcnt(24) lgkmcnt(0)
	v_fma_f64 v[117:118], v[139:140], v[121:122], v[117:118]
	s_waitcnt vmcnt(19)
	v_fma_f64 v[125:126], v[125:126], v[123:124], v[117:118]
	ds_read_b128 v[117:120], v116 offset:768
	ds_read_b128 v[121:124], v116 offset:784
	s_waitcnt vmcnt(18) lgkmcnt(1)
	v_fma_f64 v[117:118], v[149:150], v[117:118], v[125:126]
	s_waitcnt vmcnt(17)
	v_fma_f64 v[117:118], v[147:148], v[119:120], v[117:118]
	buffer_load_dword v126, off, s[0:3], 0 offset:396
	buffer_load_dword v139, off, s[0:3], 0 offset:416
	buffer_load_dword v147, off, s[0:3], 0 offset:408
	buffer_load_dword v149, off, s[0:3], 0 offset:400
	buffer_load_dword v125, off, s[0:3], 0 offset:392
	buffer_load_dword v150, off, s[0:3], 0 offset:404
	buffer_load_dword v148, off, s[0:3], 0 offset:412
	buffer_load_dword v140, off, s[0:3], 0 offset:420
	s_waitcnt vmcnt(24) lgkmcnt(0)
	v_fma_f64 v[117:118], v[141:142], v[121:122], v[117:118]
	s_waitcnt vmcnt(19)
	v_fma_f64 v[127:128], v[127:128], v[123:124], v[117:118]
	ds_read_b128 v[117:120], v116 offset:800
	ds_read_b128 v[121:124], v116 offset:816
	s_waitcnt vmcnt(18) lgkmcnt(1)
	v_fma_f64 v[117:118], v[135:136], v[117:118], v[127:128]
	;; [unrolled: 18-line block ×3, first 2 shown]
	buffer_load_dword v129, off, s[0:3], 0 offset:104
	buffer_load_dword v130, off, s[0:3], 0 offset:108
	s_waitcnt vmcnt(19)
	v_fma_f64 v[117:118], v[143:144], v[119:120], v[117:118]
	s_waitcnt vmcnt(18) lgkmcnt(0)
	v_fma_f64 v[117:118], v[137:138], v[121:122], v[117:118]
	s_waitcnt vmcnt(13)
	v_fma_f64 v[125:126], v[125:126], v[123:124], v[117:118]
	ds_read_b128 v[117:120], v116 offset:864
	ds_read_b128 v[121:124], v116 offset:880
	s_waitcnt vmcnt(12) lgkmcnt(1)
	v_fma_f64 v[117:118], v[149:150], v[117:118], v[125:126]
	s_waitcnt vmcnt(11)
	v_fma_f64 v[117:118], v[147:148], v[119:120], v[117:118]
	s_waitcnt vmcnt(10) lgkmcnt(0)
	v_fma_f64 v[117:118], v[139:140], v[121:122], v[117:118]
	s_waitcnt vmcnt(5)
	v_fma_f64 v[121:122], v[127:128], v[123:124], v[117:118]
	ds_read_b128 v[117:120], v116 offset:896
	ds_read_b64 v[123:124], v116 offset:912
	s_waitcnt vmcnt(4) lgkmcnt(1)
	v_fma_f64 v[117:118], v[141:142], v[117:118], v[121:122]
	s_waitcnt vmcnt(3)
	v_fma_f64 v[117:118], v[135:136], v[119:120], v[117:118]
	s_waitcnt vmcnt(2) lgkmcnt(0)
	v_fma_f64 v[117:118], v[133:134], v[123:124], v[117:118]
	s_waitcnt vmcnt(0)
	v_add_f64 v[117:118], v[129:130], -v[117:118]
	buffer_store_dword v118, off, s[0:3], 0 offset:108
	buffer_store_dword v117, off, s[0:3], 0 offset:104
	s_and_saveexec_b64 s[4:5], vcc
	s_cbranch_execz .LBB120_325
; %bb.324:
	buffer_load_dword v117, off, s[0:3], 0 offset:96
	buffer_load_dword v118, off, s[0:3], 0 offset:100
	s_waitcnt vmcnt(0)
	ds_write_b64 v115, v[117:118]
	buffer_store_dword v116, off, s[0:3], 0 offset:96
	buffer_store_dword v116, off, s[0:3], 0 offset:100
.LBB120_325:
	s_or_b64 exec, exec, s[4:5]
	s_waitcnt lgkmcnt(0)
	; wave barrier
	buffer_load_dword v125, off, s[0:3], 0 offset:104
	buffer_load_dword v126, off, s[0:3], 0 offset:108
	;; [unrolled: 1-line block ×22, first 2 shown]
	ds_read2_b64 v[117:120], v116 offset0:71 offset1:72
	ds_read2_b64 v[121:124], v116 offset0:73 offset1:74
	v_cmp_lt_u32_e32 vcc, 11, v0
	s_waitcnt vmcnt(20) lgkmcnt(1)
	v_fma_f64 v[117:118], v[125:126], v[117:118], 0
	s_waitcnt vmcnt(18)
	v_fma_f64 v[117:118], v[127:128], v[119:120], v[117:118]
	buffer_load_dword v126, off, s[0:3], 0 offset:196
	buffer_load_dword v127, off, s[0:3], 0 offset:216
	;; [unrolled: 1-line block ×7, first 2 shown]
	s_waitcnt vmcnt(23) lgkmcnt(0)
	v_fma_f64 v[117:118], v[129:130], v[121:122], v[117:118]
	s_waitcnt vmcnt(21)
	v_fma_f64 v[128:129], v[131:132], v[123:124], v[117:118]
	ds_read2_b64 v[117:120], v116 offset0:75 offset1:76
	ds_read2_b64 v[121:124], v116 offset0:77 offset1:78
	s_waitcnt vmcnt(19) lgkmcnt(1)
	v_fma_f64 v[117:118], v[133:134], v[117:118], v[128:129]
	buffer_load_dword v128, off, s[0:3], 0 offset:220
	s_waitcnt vmcnt(18)
	v_fma_f64 v[117:118], v[135:136], v[119:120], v[117:118]
	buffer_load_dword v130, off, s[0:3], 0 offset:228
	buffer_load_dword v131, off, s[0:3], 0 offset:248
	;; [unrolled: 1-line block ×7, first 2 shown]
	s_waitcnt vmcnt(23) lgkmcnt(0)
	v_fma_f64 v[117:118], v[137:138], v[121:122], v[117:118]
	s_waitcnt vmcnt(18)
	v_fma_f64 v[137:138], v[139:140], v[123:124], v[117:118]
	ds_read2_b64 v[117:120], v116 offset0:79 offset1:80
	ds_read2_b64 v[121:124], v116 offset0:81 offset1:82
	buffer_load_dword v132, off, s[0:3], 0 offset:252
	s_waitcnt vmcnt(18) lgkmcnt(1)
	v_fma_f64 v[117:118], v[145:146], v[117:118], v[137:138]
	s_waitcnt vmcnt(17)
	v_fma_f64 v[117:118], v[143:144], v[119:120], v[117:118]
	buffer_load_dword v138, off, s[0:3], 0 offset:260
	buffer_load_dword v139, off, s[0:3], 0 offset:280
	;; [unrolled: 1-line block ×8, first 2 shown]
	s_waitcnt vmcnt(24) lgkmcnt(0)
	v_fma_f64 v[117:118], v[141:142], v[121:122], v[117:118]
	s_waitcnt vmcnt(19)
	v_fma_f64 v[125:126], v[125:126], v[123:124], v[117:118]
	ds_read2_b64 v[117:120], v116 offset0:83 offset1:84
	ds_read2_b64 v[121:124], v116 offset0:85 offset1:86
	s_waitcnt vmcnt(18) lgkmcnt(1)
	v_fma_f64 v[117:118], v[149:150], v[117:118], v[125:126]
	s_waitcnt vmcnt(17)
	v_fma_f64 v[117:118], v[147:148], v[119:120], v[117:118]
	buffer_load_dword v126, off, s[0:3], 0 offset:292
	buffer_load_dword v141, off, s[0:3], 0 offset:312
	buffer_load_dword v147, off, s[0:3], 0 offset:304
	buffer_load_dword v149, off, s[0:3], 0 offset:296
	buffer_load_dword v125, off, s[0:3], 0 offset:288
	buffer_load_dword v150, off, s[0:3], 0 offset:300
	buffer_load_dword v148, off, s[0:3], 0 offset:308
	buffer_load_dword v142, off, s[0:3], 0 offset:316
	s_waitcnt vmcnt(24) lgkmcnt(0)
	v_fma_f64 v[117:118], v[127:128], v[121:122], v[117:118]
	s_waitcnt vmcnt(19)
	v_fma_f64 v[127:128], v[129:130], v[123:124], v[117:118]
	ds_read2_b64 v[117:120], v116 offset0:87 offset1:88
	ds_read2_b64 v[121:124], v116 offset0:89 offset1:90
	s_waitcnt vmcnt(18) lgkmcnt(1)
	v_fma_f64 v[117:118], v[135:136], v[117:118], v[127:128]
	s_waitcnt vmcnt(17)
	v_fma_f64 v[117:118], v[133:134], v[119:120], v[117:118]
	buffer_load_dword v128, off, s[0:3], 0 offset:324
	buffer_load_dword v129, off, s[0:3], 0 offset:344
	;; [unrolled: 1-line block ×7, first 2 shown]
	s_waitcnt vmcnt(23) lgkmcnt(0)
	v_fma_f64 v[117:118], v[131:132], v[121:122], v[117:118]
	s_waitcnt vmcnt(18)
	v_fma_f64 v[130:131], v[137:138], v[123:124], v[117:118]
	ds_read2_b64 v[117:120], v116 offset0:91 offset1:92
	ds_read2_b64 v[121:124], v116 offset0:93 offset1:94
	s_waitcnt vmcnt(17) lgkmcnt(1)
	v_fma_f64 v[117:118], v[145:146], v[117:118], v[130:131]
	buffer_load_dword v130, off, s[0:3], 0 offset:348
	s_waitcnt vmcnt(17)
	v_fma_f64 v[117:118], v[143:144], v[119:120], v[117:118]
	buffer_load_dword v132, off, s[0:3], 0 offset:356
	buffer_load_dword v137, off, s[0:3], 0 offset:376
	buffer_load_dword v143, off, s[0:3], 0 offset:368
	buffer_load_dword v145, off, s[0:3], 0 offset:360
	buffer_load_dword v131, off, s[0:3], 0 offset:352
	buffer_load_dword v146, off, s[0:3], 0 offset:364
	buffer_load_dword v144, off, s[0:3], 0 offset:372
	buffer_load_dword v138, off, s[0:3], 0 offset:380
	s_waitcnt vmcnt(24) lgkmcnt(0)
	v_fma_f64 v[117:118], v[139:140], v[121:122], v[117:118]
	s_waitcnt vmcnt(19)
	v_fma_f64 v[125:126], v[125:126], v[123:124], v[117:118]
	ds_read2_b64 v[117:120], v116 offset0:95 offset1:96
	ds_read2_b64 v[121:124], v116 offset0:97 offset1:98
	s_waitcnt vmcnt(18) lgkmcnt(1)
	v_fma_f64 v[117:118], v[149:150], v[117:118], v[125:126]
	s_waitcnt vmcnt(17)
	v_fma_f64 v[117:118], v[147:148], v[119:120], v[117:118]
	buffer_load_dword v126, off, s[0:3], 0 offset:388
	buffer_load_dword v139, off, s[0:3], 0 offset:408
	buffer_load_dword v147, off, s[0:3], 0 offset:400
	buffer_load_dword v149, off, s[0:3], 0 offset:392
	buffer_load_dword v125, off, s[0:3], 0 offset:384
	buffer_load_dword v150, off, s[0:3], 0 offset:396
	buffer_load_dword v148, off, s[0:3], 0 offset:404
	buffer_load_dword v140, off, s[0:3], 0 offset:412
	s_waitcnt vmcnt(24) lgkmcnt(0)
	v_fma_f64 v[117:118], v[141:142], v[121:122], v[117:118]
	s_waitcnt vmcnt(19)
	v_fma_f64 v[127:128], v[127:128], v[123:124], v[117:118]
	ds_read2_b64 v[117:120], v116 offset0:99 offset1:100
	ds_read2_b64 v[121:124], v116 offset0:101 offset1:102
	s_waitcnt vmcnt(18) lgkmcnt(1)
	v_fma_f64 v[117:118], v[135:136], v[117:118], v[127:128]
	;; [unrolled: 18-line block ×3, first 2 shown]
	buffer_load_dword v130, off, s[0:3], 0 offset:452
	buffer_load_dword v129, off, s[0:3], 0 offset:448
	;; [unrolled: 1-line block ×4, first 2 shown]
	s_waitcnt vmcnt(21)
	v_fma_f64 v[117:118], v[143:144], v[119:120], v[117:118]
	s_waitcnt vmcnt(20) lgkmcnt(0)
	v_fma_f64 v[117:118], v[137:138], v[121:122], v[117:118]
	s_waitcnt vmcnt(15)
	v_fma_f64 v[125:126], v[125:126], v[123:124], v[117:118]
	ds_read2_b64 v[117:120], v116 offset0:107 offset1:108
	ds_read2_b64 v[121:124], v116 offset0:109 offset1:110
	s_waitcnt vmcnt(14) lgkmcnt(1)
	v_fma_f64 v[117:118], v[149:150], v[117:118], v[125:126]
	s_waitcnt vmcnt(13)
	v_fma_f64 v[117:118], v[147:148], v[119:120], v[117:118]
	s_waitcnt vmcnt(12) lgkmcnt(0)
	v_fma_f64 v[117:118], v[139:140], v[121:122], v[117:118]
	s_waitcnt vmcnt(7)
	v_fma_f64 v[125:126], v[127:128], v[123:124], v[117:118]
	ds_read2_b64 v[117:120], v116 offset0:111 offset1:112
	ds_read2_b64 v[121:124], v116 offset0:113 offset1:114
	s_waitcnt vmcnt(6) lgkmcnt(1)
	v_fma_f64 v[116:117], v[141:142], v[117:118], v[125:126]
	s_waitcnt vmcnt(5)
	v_fma_f64 v[116:117], v[135:136], v[119:120], v[116:117]
	s_waitcnt vmcnt(4) lgkmcnt(0)
	v_fma_f64 v[116:117], v[133:134], v[121:122], v[116:117]
	s_waitcnt vmcnt(2)
	v_fma_f64 v[116:117], v[129:130], v[123:124], v[116:117]
	s_waitcnt vmcnt(0)
	v_add_f64 v[116:117], v[131:132], -v[116:117]
	buffer_store_dword v117, off, s[0:3], 0 offset:100
	buffer_store_dword v116, off, s[0:3], 0 offset:96
	s_and_saveexec_b64 s[4:5], vcc
	s_cbranch_execz .LBB120_327
; %bb.326:
	buffer_load_dword v116, off, s[0:3], 0 offset:88
	buffer_load_dword v117, off, s[0:3], 0 offset:92
	v_mov_b32_e32 v118, 0
	buffer_store_dword v118, off, s[0:3], 0 offset:88
	buffer_store_dword v118, off, s[0:3], 0 offset:92
	s_waitcnt vmcnt(2)
	ds_write_b64 v115, v[116:117]
.LBB120_327:
	s_or_b64 exec, exec, s[4:5]
	s_waitcnt lgkmcnt(0)
	; wave barrier
	buffer_load_dword v125, off, s[0:3], 0 offset:96
	buffer_load_dword v126, off, s[0:3], 0 offset:100
	;; [unrolled: 1-line block ×21, first 2 shown]
	v_mov_b32_e32 v116, 0
	ds_read_b128 v[117:120], v116 offset:560
	ds_read_b128 v[121:124], v116 offset:576
	buffer_load_dword v142, off, s[0:3], 0 offset:180
	v_cmp_lt_u32_e32 vcc, 10, v0
	s_waitcnt vmcnt(20) lgkmcnt(1)
	v_fma_f64 v[117:118], v[125:126], v[117:118], 0
	s_waitcnt vmcnt(18)
	v_fma_f64 v[117:118], v[127:128], v[119:120], v[117:118]
	buffer_load_dword v126, off, s[0:3], 0 offset:188
	buffer_load_dword v127, off, s[0:3], 0 offset:208
	;; [unrolled: 1-line block ×7, first 2 shown]
	s_waitcnt vmcnt(23) lgkmcnt(0)
	v_fma_f64 v[117:118], v[129:130], v[121:122], v[117:118]
	s_waitcnt vmcnt(21)
	v_fma_f64 v[128:129], v[131:132], v[123:124], v[117:118]
	ds_read_b128 v[117:120], v116 offset:592
	ds_read_b128 v[121:124], v116 offset:608
	s_waitcnt vmcnt(19) lgkmcnt(1)
	v_fma_f64 v[117:118], v[133:134], v[117:118], v[128:129]
	buffer_load_dword v128, off, s[0:3], 0 offset:212
	s_waitcnt vmcnt(18)
	v_fma_f64 v[117:118], v[135:136], v[119:120], v[117:118]
	buffer_load_dword v130, off, s[0:3], 0 offset:220
	buffer_load_dword v131, off, s[0:3], 0 offset:240
	;; [unrolled: 1-line block ×7, first 2 shown]
	s_waitcnt vmcnt(23) lgkmcnt(0)
	v_fma_f64 v[117:118], v[137:138], v[121:122], v[117:118]
	s_waitcnt vmcnt(18)
	v_fma_f64 v[137:138], v[139:140], v[123:124], v[117:118]
	ds_read_b128 v[117:120], v116 offset:624
	ds_read_b128 v[121:124], v116 offset:640
	buffer_load_dword v132, off, s[0:3], 0 offset:244
	s_waitcnt vmcnt(18) lgkmcnt(1)
	v_fma_f64 v[117:118], v[145:146], v[117:118], v[137:138]
	s_waitcnt vmcnt(17)
	v_fma_f64 v[117:118], v[143:144], v[119:120], v[117:118]
	buffer_load_dword v138, off, s[0:3], 0 offset:252
	buffer_load_dword v139, off, s[0:3], 0 offset:272
	;; [unrolled: 1-line block ×7, first 2 shown]
	s_waitcnt vmcnt(23) lgkmcnt(0)
	v_fma_f64 v[117:118], v[141:142], v[121:122], v[117:118]
	s_waitcnt vmcnt(18)
	v_fma_f64 v[125:126], v[125:126], v[123:124], v[117:118]
	ds_read_b128 v[117:120], v116 offset:656
	ds_read_b128 v[121:124], v116 offset:672
	buffer_load_dword v140, off, s[0:3], 0 offset:276
	s_waitcnt vmcnt(18) lgkmcnt(1)
	v_fma_f64 v[117:118], v[149:150], v[117:118], v[125:126]
	s_waitcnt vmcnt(17)
	v_fma_f64 v[117:118], v[147:148], v[119:120], v[117:118]
	buffer_load_dword v126, off, s[0:3], 0 offset:284
	buffer_load_dword v141, off, s[0:3], 0 offset:304
	;; [unrolled: 1-line block ×8, first 2 shown]
	s_waitcnt vmcnt(24) lgkmcnt(0)
	v_fma_f64 v[117:118], v[127:128], v[121:122], v[117:118]
	s_waitcnt vmcnt(19)
	v_fma_f64 v[127:128], v[129:130], v[123:124], v[117:118]
	ds_read_b128 v[117:120], v116 offset:688
	ds_read_b128 v[121:124], v116 offset:704
	s_waitcnt vmcnt(18) lgkmcnt(1)
	v_fma_f64 v[117:118], v[135:136], v[117:118], v[127:128]
	s_waitcnt vmcnt(17)
	v_fma_f64 v[117:118], v[133:134], v[119:120], v[117:118]
	buffer_load_dword v128, off, s[0:3], 0 offset:316
	buffer_load_dword v129, off, s[0:3], 0 offset:336
	;; [unrolled: 1-line block ×7, first 2 shown]
	s_waitcnt vmcnt(23) lgkmcnt(0)
	v_fma_f64 v[117:118], v[131:132], v[121:122], v[117:118]
	s_waitcnt vmcnt(18)
	v_fma_f64 v[130:131], v[137:138], v[123:124], v[117:118]
	ds_read_b128 v[117:120], v116 offset:720
	ds_read_b128 v[121:124], v116 offset:736
	s_waitcnt vmcnt(17) lgkmcnt(1)
	v_fma_f64 v[117:118], v[145:146], v[117:118], v[130:131]
	buffer_load_dword v130, off, s[0:3], 0 offset:340
	s_waitcnt vmcnt(17)
	v_fma_f64 v[117:118], v[143:144], v[119:120], v[117:118]
	buffer_load_dword v132, off, s[0:3], 0 offset:348
	buffer_load_dword v137, off, s[0:3], 0 offset:368
	;; [unrolled: 1-line block ×7, first 2 shown]
	s_waitcnt vmcnt(23) lgkmcnt(0)
	v_fma_f64 v[117:118], v[139:140], v[121:122], v[117:118]
	s_waitcnt vmcnt(18)
	v_fma_f64 v[125:126], v[125:126], v[123:124], v[117:118]
	ds_read_b128 v[117:120], v116 offset:752
	ds_read_b128 v[121:124], v116 offset:768
	buffer_load_dword v138, off, s[0:3], 0 offset:372
	s_waitcnt vmcnt(18) lgkmcnt(1)
	v_fma_f64 v[117:118], v[149:150], v[117:118], v[125:126]
	s_waitcnt vmcnt(17)
	v_fma_f64 v[117:118], v[147:148], v[119:120], v[117:118]
	buffer_load_dword v126, off, s[0:3], 0 offset:380
	buffer_load_dword v139, off, s[0:3], 0 offset:400
	;; [unrolled: 1-line block ×8, first 2 shown]
	s_waitcnt vmcnt(24) lgkmcnt(0)
	v_fma_f64 v[117:118], v[141:142], v[121:122], v[117:118]
	s_waitcnt vmcnt(19)
	v_fma_f64 v[127:128], v[127:128], v[123:124], v[117:118]
	ds_read_b128 v[117:120], v116 offset:784
	ds_read_b128 v[121:124], v116 offset:800
	s_waitcnt vmcnt(18) lgkmcnt(1)
	v_fma_f64 v[117:118], v[135:136], v[117:118], v[127:128]
	s_waitcnt vmcnt(17)
	v_fma_f64 v[117:118], v[133:134], v[119:120], v[117:118]
	buffer_load_dword v128, off, s[0:3], 0 offset:412
	buffer_load_dword v133, off, s[0:3], 0 offset:432
	;; [unrolled: 1-line block ×7, first 2 shown]
	s_waitcnt vmcnt(23) lgkmcnt(0)
	v_fma_f64 v[117:118], v[129:130], v[121:122], v[117:118]
	s_waitcnt vmcnt(18)
	v_fma_f64 v[129:130], v[131:132], v[123:124], v[117:118]
	ds_read_b128 v[117:120], v116 offset:816
	ds_read_b128 v[121:124], v116 offset:832
	buffer_load_dword v134, off, s[0:3], 0 offset:436
	s_waitcnt vmcnt(18) lgkmcnt(1)
	v_fma_f64 v[117:118], v[145:146], v[117:118], v[129:130]
	buffer_load_dword v130, off, s[0:3], 0 offset:444
	buffer_load_dword v131, off, s[0:3], 0 offset:448
	;; [unrolled: 1-line block ×4, first 2 shown]
	s_waitcnt vmcnt(21)
	v_fma_f64 v[117:118], v[143:144], v[119:120], v[117:118]
	s_waitcnt vmcnt(20) lgkmcnt(0)
	v_fma_f64 v[117:118], v[137:138], v[121:122], v[117:118]
	buffer_load_dword v137, off, s[0:3], 0 offset:88
	buffer_load_dword v138, off, s[0:3], 0 offset:92
	s_waitcnt vmcnt(17)
	v_fma_f64 v[125:126], v[125:126], v[123:124], v[117:118]
	ds_read_b128 v[117:120], v116 offset:848
	ds_read_b128 v[121:124], v116 offset:864
	s_waitcnt vmcnt(16) lgkmcnt(1)
	v_fma_f64 v[117:118], v[149:150], v[117:118], v[125:126]
	s_waitcnt vmcnt(15)
	v_fma_f64 v[117:118], v[147:148], v[119:120], v[117:118]
	s_waitcnt vmcnt(14) lgkmcnt(0)
	v_fma_f64 v[117:118], v[139:140], v[121:122], v[117:118]
	s_waitcnt vmcnt(9)
	v_fma_f64 v[125:126], v[127:128], v[123:124], v[117:118]
	ds_read_b128 v[117:120], v116 offset:880
	ds_read_b128 v[121:124], v116 offset:896
	s_waitcnt vmcnt(8) lgkmcnt(1)
	v_fma_f64 v[117:118], v[141:142], v[117:118], v[125:126]
	s_waitcnt vmcnt(7)
	v_fma_f64 v[117:118], v[135:136], v[119:120], v[117:118]
	ds_read_b64 v[119:120], v116 offset:912
	s_waitcnt vmcnt(6) lgkmcnt(1)
	v_fma_f64 v[117:118], v[133:134], v[121:122], v[117:118]
	s_waitcnt vmcnt(3)
	v_fma_f64 v[117:118], v[129:130], v[123:124], v[117:118]
	s_waitcnt vmcnt(2) lgkmcnt(0)
	v_fma_f64 v[117:118], v[131:132], v[119:120], v[117:118]
	s_waitcnt vmcnt(0)
	v_add_f64 v[117:118], v[137:138], -v[117:118]
	buffer_store_dword v118, off, s[0:3], 0 offset:92
	buffer_store_dword v117, off, s[0:3], 0 offset:88
	s_and_saveexec_b64 s[4:5], vcc
	s_cbranch_execz .LBB120_329
; %bb.328:
	buffer_load_dword v117, off, s[0:3], 0 offset:80
	buffer_load_dword v118, off, s[0:3], 0 offset:84
	s_waitcnt vmcnt(0)
	ds_write_b64 v115, v[117:118]
	buffer_store_dword v116, off, s[0:3], 0 offset:80
	buffer_store_dword v116, off, s[0:3], 0 offset:84
.LBB120_329:
	s_or_b64 exec, exec, s[4:5]
	s_waitcnt lgkmcnt(0)
	; wave barrier
	buffer_load_dword v125, off, s[0:3], 0 offset:88
	buffer_load_dword v126, off, s[0:3], 0 offset:92
	;; [unrolled: 1-line block ×21, first 2 shown]
	ds_read2_b64 v[117:120], v116 offset0:69 offset1:70
	ds_read2_b64 v[121:124], v116 offset0:71 offset1:72
	buffer_load_dword v142, off, s[0:3], 0 offset:172
	v_cmp_lt_u32_e32 vcc, 9, v0
	s_waitcnt vmcnt(20) lgkmcnt(1)
	v_fma_f64 v[117:118], v[125:126], v[117:118], 0
	s_waitcnt vmcnt(18)
	v_fma_f64 v[117:118], v[127:128], v[119:120], v[117:118]
	buffer_load_dword v126, off, s[0:3], 0 offset:180
	buffer_load_dword v127, off, s[0:3], 0 offset:200
	;; [unrolled: 1-line block ×7, first 2 shown]
	s_waitcnt vmcnt(23) lgkmcnt(0)
	v_fma_f64 v[117:118], v[129:130], v[121:122], v[117:118]
	s_waitcnt vmcnt(21)
	v_fma_f64 v[128:129], v[131:132], v[123:124], v[117:118]
	ds_read2_b64 v[117:120], v116 offset0:73 offset1:74
	ds_read2_b64 v[121:124], v116 offset0:75 offset1:76
	s_waitcnt vmcnt(19) lgkmcnt(1)
	v_fma_f64 v[117:118], v[133:134], v[117:118], v[128:129]
	buffer_load_dword v128, off, s[0:3], 0 offset:204
	s_waitcnt vmcnt(18)
	v_fma_f64 v[117:118], v[135:136], v[119:120], v[117:118]
	buffer_load_dword v130, off, s[0:3], 0 offset:212
	buffer_load_dword v131, off, s[0:3], 0 offset:232
	;; [unrolled: 1-line block ×8, first 2 shown]
	s_waitcnt vmcnt(24) lgkmcnt(0)
	v_fma_f64 v[117:118], v[137:138], v[121:122], v[117:118]
	s_waitcnt vmcnt(19)
	v_fma_f64 v[137:138], v[139:140], v[123:124], v[117:118]
	ds_read2_b64 v[117:120], v116 offset0:77 offset1:78
	ds_read2_b64 v[121:124], v116 offset0:79 offset1:80
	s_waitcnt vmcnt(18) lgkmcnt(1)
	v_fma_f64 v[117:118], v[145:146], v[117:118], v[137:138]
	s_waitcnt vmcnt(17)
	v_fma_f64 v[117:118], v[143:144], v[119:120], v[117:118]
	buffer_load_dword v138, off, s[0:3], 0 offset:244
	buffer_load_dword v139, off, s[0:3], 0 offset:264
	;; [unrolled: 1-line block ×7, first 2 shown]
	s_waitcnt vmcnt(23) lgkmcnt(0)
	v_fma_f64 v[117:118], v[141:142], v[121:122], v[117:118]
	s_waitcnt vmcnt(18)
	v_fma_f64 v[125:126], v[125:126], v[123:124], v[117:118]
	ds_read2_b64 v[117:120], v116 offset0:81 offset1:82
	ds_read2_b64 v[121:124], v116 offset0:83 offset1:84
	buffer_load_dword v140, off, s[0:3], 0 offset:268
	s_waitcnt vmcnt(18) lgkmcnt(1)
	v_fma_f64 v[117:118], v[149:150], v[117:118], v[125:126]
	s_waitcnt vmcnt(17)
	v_fma_f64 v[117:118], v[147:148], v[119:120], v[117:118]
	buffer_load_dword v126, off, s[0:3], 0 offset:276
	buffer_load_dword v141, off, s[0:3], 0 offset:296
	;; [unrolled: 1-line block ×8, first 2 shown]
	s_waitcnt vmcnt(24) lgkmcnt(0)
	v_fma_f64 v[117:118], v[127:128], v[121:122], v[117:118]
	s_waitcnt vmcnt(19)
	v_fma_f64 v[127:128], v[129:130], v[123:124], v[117:118]
	ds_read2_b64 v[117:120], v116 offset0:85 offset1:86
	ds_read2_b64 v[121:124], v116 offset0:87 offset1:88
	s_waitcnt vmcnt(18) lgkmcnt(1)
	v_fma_f64 v[117:118], v[135:136], v[117:118], v[127:128]
	s_waitcnt vmcnt(17)
	v_fma_f64 v[117:118], v[133:134], v[119:120], v[117:118]
	buffer_load_dword v128, off, s[0:3], 0 offset:308
	buffer_load_dword v129, off, s[0:3], 0 offset:328
	;; [unrolled: 1-line block ×7, first 2 shown]
	s_waitcnt vmcnt(23) lgkmcnt(0)
	v_fma_f64 v[117:118], v[131:132], v[121:122], v[117:118]
	s_waitcnt vmcnt(18)
	v_fma_f64 v[130:131], v[137:138], v[123:124], v[117:118]
	ds_read2_b64 v[117:120], v116 offset0:89 offset1:90
	ds_read2_b64 v[121:124], v116 offset0:91 offset1:92
	s_waitcnt vmcnt(17) lgkmcnt(1)
	v_fma_f64 v[117:118], v[145:146], v[117:118], v[130:131]
	buffer_load_dword v130, off, s[0:3], 0 offset:332
	s_waitcnt vmcnt(17)
	v_fma_f64 v[117:118], v[143:144], v[119:120], v[117:118]
	buffer_load_dword v132, off, s[0:3], 0 offset:340
	buffer_load_dword v137, off, s[0:3], 0 offset:360
	;; [unrolled: 1-line block ×7, first 2 shown]
	s_waitcnt vmcnt(23) lgkmcnt(0)
	v_fma_f64 v[117:118], v[139:140], v[121:122], v[117:118]
	s_waitcnt vmcnt(18)
	v_fma_f64 v[125:126], v[125:126], v[123:124], v[117:118]
	ds_read2_b64 v[117:120], v116 offset0:93 offset1:94
	ds_read2_b64 v[121:124], v116 offset0:95 offset1:96
	buffer_load_dword v138, off, s[0:3], 0 offset:364
	s_waitcnt vmcnt(18) lgkmcnt(1)
	v_fma_f64 v[117:118], v[149:150], v[117:118], v[125:126]
	s_waitcnt vmcnt(17)
	v_fma_f64 v[117:118], v[147:148], v[119:120], v[117:118]
	buffer_load_dword v126, off, s[0:3], 0 offset:372
	buffer_load_dword v139, off, s[0:3], 0 offset:392
	;; [unrolled: 1-line block ×8, first 2 shown]
	s_waitcnt vmcnt(24) lgkmcnt(0)
	v_fma_f64 v[117:118], v[141:142], v[121:122], v[117:118]
	s_waitcnt vmcnt(19)
	v_fma_f64 v[127:128], v[127:128], v[123:124], v[117:118]
	ds_read2_b64 v[117:120], v116 offset0:97 offset1:98
	ds_read2_b64 v[121:124], v116 offset0:99 offset1:100
	s_waitcnt vmcnt(18) lgkmcnt(1)
	v_fma_f64 v[117:118], v[135:136], v[117:118], v[127:128]
	s_waitcnt vmcnt(17)
	v_fma_f64 v[117:118], v[133:134], v[119:120], v[117:118]
	buffer_load_dword v128, off, s[0:3], 0 offset:404
	buffer_load_dword v133, off, s[0:3], 0 offset:424
	;; [unrolled: 1-line block ×8, first 2 shown]
	s_waitcnt vmcnt(24) lgkmcnt(0)
	v_fma_f64 v[117:118], v[129:130], v[121:122], v[117:118]
	s_waitcnt vmcnt(19)
	v_fma_f64 v[129:130], v[131:132], v[123:124], v[117:118]
	ds_read2_b64 v[117:120], v116 offset0:101 offset1:102
	ds_read2_b64 v[121:124], v116 offset0:103 offset1:104
	s_waitcnt vmcnt(18) lgkmcnt(1)
	v_fma_f64 v[117:118], v[145:146], v[117:118], v[129:130]
	s_waitcnt vmcnt(17)
	v_fma_f64 v[117:118], v[143:144], v[119:120], v[117:118]
	buffer_load_dword v130, off, s[0:3], 0 offset:436
	buffer_load_dword v131, off, s[0:3], 0 offset:448
	;; [unrolled: 1-line block ×6, first 2 shown]
	s_waitcnt vmcnt(22) lgkmcnt(0)
	v_fma_f64 v[117:118], v[137:138], v[121:122], v[117:118]
	s_waitcnt vmcnt(17)
	v_fma_f64 v[125:126], v[125:126], v[123:124], v[117:118]
	ds_read2_b64 v[117:120], v116 offset0:105 offset1:106
	buffer_load_dword v137, off, s[0:3], 0 offset:80
	buffer_load_dword v138, off, s[0:3], 0 offset:84
	ds_read2_b64 v[121:124], v116 offset0:107 offset1:108
	s_waitcnt vmcnt(18) lgkmcnt(1)
	v_fma_f64 v[117:118], v[149:150], v[117:118], v[125:126]
	s_waitcnt vmcnt(17)
	v_fma_f64 v[117:118], v[147:148], v[119:120], v[117:118]
	s_waitcnt vmcnt(16) lgkmcnt(0)
	v_fma_f64 v[117:118], v[139:140], v[121:122], v[117:118]
	s_waitcnt vmcnt(11)
	v_fma_f64 v[125:126], v[127:128], v[123:124], v[117:118]
	ds_read2_b64 v[117:120], v116 offset0:109 offset1:110
	ds_read2_b64 v[121:124], v116 offset0:111 offset1:112
	s_waitcnt vmcnt(10) lgkmcnt(1)
	v_fma_f64 v[117:118], v[141:142], v[117:118], v[125:126]
	s_waitcnt vmcnt(9)
	v_fma_f64 v[117:118], v[135:136], v[119:120], v[117:118]
	s_waitcnt vmcnt(8) lgkmcnt(0)
	v_fma_f64 v[117:118], v[133:134], v[121:122], v[117:118]
	s_waitcnt vmcnt(4)
	v_fma_f64 v[120:121], v[129:130], v[123:124], v[117:118]
	ds_read2_b64 v[116:119], v116 offset0:113 offset1:114
	s_waitcnt vmcnt(3) lgkmcnt(0)
	v_fma_f64 v[116:117], v[143:144], v[116:117], v[120:121]
	s_waitcnt vmcnt(2)
	v_fma_f64 v[116:117], v[131:132], v[118:119], v[116:117]
	s_waitcnt vmcnt(0)
	v_add_f64 v[116:117], v[137:138], -v[116:117]
	buffer_store_dword v117, off, s[0:3], 0 offset:84
	buffer_store_dword v116, off, s[0:3], 0 offset:80
	s_and_saveexec_b64 s[4:5], vcc
	s_cbranch_execz .LBB120_331
; %bb.330:
	buffer_load_dword v116, off, s[0:3], 0 offset:72
	buffer_load_dword v117, off, s[0:3], 0 offset:76
	v_mov_b32_e32 v118, 0
	buffer_store_dword v118, off, s[0:3], 0 offset:72
	buffer_store_dword v118, off, s[0:3], 0 offset:76
	s_waitcnt vmcnt(2)
	ds_write_b64 v115, v[116:117]
.LBB120_331:
	s_or_b64 exec, exec, s[4:5]
	s_waitcnt lgkmcnt(0)
	; wave barrier
	buffer_load_dword v125, off, s[0:3], 0 offset:80
	buffer_load_dword v126, off, s[0:3], 0 offset:84
	;; [unrolled: 1-line block ×21, first 2 shown]
	v_mov_b32_e32 v116, 0
	ds_read_b128 v[117:120], v116 offset:544
	ds_read_b128 v[121:124], v116 offset:560
	buffer_load_dword v142, off, s[0:3], 0 offset:164
	v_cmp_lt_u32_e32 vcc, 8, v0
	s_waitcnt vmcnt(20) lgkmcnt(1)
	v_fma_f64 v[117:118], v[125:126], v[117:118], 0
	s_waitcnt vmcnt(18)
	v_fma_f64 v[117:118], v[127:128], v[119:120], v[117:118]
	buffer_load_dword v126, off, s[0:3], 0 offset:172
	buffer_load_dword v127, off, s[0:3], 0 offset:192
	;; [unrolled: 1-line block ×7, first 2 shown]
	s_waitcnt vmcnt(23) lgkmcnt(0)
	v_fma_f64 v[117:118], v[129:130], v[121:122], v[117:118]
	s_waitcnt vmcnt(21)
	v_fma_f64 v[128:129], v[131:132], v[123:124], v[117:118]
	ds_read_b128 v[117:120], v116 offset:576
	ds_read_b128 v[121:124], v116 offset:592
	s_waitcnt vmcnt(19) lgkmcnt(1)
	v_fma_f64 v[117:118], v[133:134], v[117:118], v[128:129]
	buffer_load_dword v128, off, s[0:3], 0 offset:196
	s_waitcnt vmcnt(18)
	v_fma_f64 v[117:118], v[135:136], v[119:120], v[117:118]
	buffer_load_dword v130, off, s[0:3], 0 offset:204
	buffer_load_dword v131, off, s[0:3], 0 offset:224
	;; [unrolled: 1-line block ×8, first 2 shown]
	s_waitcnt vmcnt(24) lgkmcnt(0)
	v_fma_f64 v[117:118], v[137:138], v[121:122], v[117:118]
	s_waitcnt vmcnt(19)
	v_fma_f64 v[137:138], v[139:140], v[123:124], v[117:118]
	ds_read_b128 v[117:120], v116 offset:608
	ds_read_b128 v[121:124], v116 offset:624
	s_waitcnt vmcnt(18) lgkmcnt(1)
	v_fma_f64 v[117:118], v[145:146], v[117:118], v[137:138]
	s_waitcnt vmcnt(17)
	v_fma_f64 v[117:118], v[143:144], v[119:120], v[117:118]
	buffer_load_dword v138, off, s[0:3], 0 offset:236
	buffer_load_dword v139, off, s[0:3], 0 offset:256
	;; [unrolled: 1-line block ×7, first 2 shown]
	s_waitcnt vmcnt(23) lgkmcnt(0)
	v_fma_f64 v[117:118], v[141:142], v[121:122], v[117:118]
	s_waitcnt vmcnt(18)
	v_fma_f64 v[125:126], v[125:126], v[123:124], v[117:118]
	ds_read_b128 v[117:120], v116 offset:640
	ds_read_b128 v[121:124], v116 offset:656
	buffer_load_dword v140, off, s[0:3], 0 offset:260
	s_waitcnt vmcnt(18) lgkmcnt(1)
	v_fma_f64 v[117:118], v[149:150], v[117:118], v[125:126]
	s_waitcnt vmcnt(17)
	v_fma_f64 v[117:118], v[147:148], v[119:120], v[117:118]
	buffer_load_dword v126, off, s[0:3], 0 offset:268
	buffer_load_dword v141, off, s[0:3], 0 offset:288
	;; [unrolled: 1-line block ×8, first 2 shown]
	s_waitcnt vmcnt(24) lgkmcnt(0)
	v_fma_f64 v[117:118], v[127:128], v[121:122], v[117:118]
	s_waitcnt vmcnt(19)
	v_fma_f64 v[127:128], v[129:130], v[123:124], v[117:118]
	ds_read_b128 v[117:120], v116 offset:672
	ds_read_b128 v[121:124], v116 offset:688
	s_waitcnt vmcnt(18) lgkmcnt(1)
	v_fma_f64 v[117:118], v[135:136], v[117:118], v[127:128]
	s_waitcnt vmcnt(17)
	v_fma_f64 v[117:118], v[133:134], v[119:120], v[117:118]
	buffer_load_dword v128, off, s[0:3], 0 offset:300
	buffer_load_dword v129, off, s[0:3], 0 offset:320
	;; [unrolled: 1-line block ×7, first 2 shown]
	s_waitcnt vmcnt(23) lgkmcnt(0)
	v_fma_f64 v[117:118], v[131:132], v[121:122], v[117:118]
	s_waitcnt vmcnt(18)
	v_fma_f64 v[130:131], v[137:138], v[123:124], v[117:118]
	ds_read_b128 v[117:120], v116 offset:704
	ds_read_b128 v[121:124], v116 offset:720
	s_waitcnt vmcnt(17) lgkmcnt(1)
	v_fma_f64 v[117:118], v[145:146], v[117:118], v[130:131]
	buffer_load_dword v130, off, s[0:3], 0 offset:324
	s_waitcnt vmcnt(17)
	v_fma_f64 v[117:118], v[143:144], v[119:120], v[117:118]
	buffer_load_dword v132, off, s[0:3], 0 offset:332
	buffer_load_dword v137, off, s[0:3], 0 offset:352
	;; [unrolled: 1-line block ×7, first 2 shown]
	s_waitcnt vmcnt(23) lgkmcnt(0)
	v_fma_f64 v[117:118], v[139:140], v[121:122], v[117:118]
	s_waitcnt vmcnt(18)
	v_fma_f64 v[125:126], v[125:126], v[123:124], v[117:118]
	ds_read_b128 v[117:120], v116 offset:736
	ds_read_b128 v[121:124], v116 offset:752
	buffer_load_dword v138, off, s[0:3], 0 offset:356
	s_waitcnt vmcnt(18) lgkmcnt(1)
	v_fma_f64 v[117:118], v[149:150], v[117:118], v[125:126]
	s_waitcnt vmcnt(17)
	v_fma_f64 v[117:118], v[147:148], v[119:120], v[117:118]
	buffer_load_dword v126, off, s[0:3], 0 offset:364
	buffer_load_dword v139, off, s[0:3], 0 offset:384
	buffer_load_dword v147, off, s[0:3], 0 offset:376
	buffer_load_dword v149, off, s[0:3], 0 offset:368
	buffer_load_dword v125, off, s[0:3], 0 offset:360
	buffer_load_dword v150, off, s[0:3], 0 offset:372
	buffer_load_dword v148, off, s[0:3], 0 offset:380
	buffer_load_dword v140, off, s[0:3], 0 offset:388
	s_waitcnt vmcnt(24) lgkmcnt(0)
	v_fma_f64 v[117:118], v[141:142], v[121:122], v[117:118]
	s_waitcnt vmcnt(19)
	v_fma_f64 v[127:128], v[127:128], v[123:124], v[117:118]
	ds_read_b128 v[117:120], v116 offset:768
	ds_read_b128 v[121:124], v116 offset:784
	s_waitcnt vmcnt(18) lgkmcnt(1)
	v_fma_f64 v[117:118], v[135:136], v[117:118], v[127:128]
	s_waitcnt vmcnt(17)
	v_fma_f64 v[117:118], v[133:134], v[119:120], v[117:118]
	buffer_load_dword v128, off, s[0:3], 0 offset:396
	buffer_load_dword v133, off, s[0:3], 0 offset:416
	buffer_load_dword v135, off, s[0:3], 0 offset:408
	buffer_load_dword v141, off, s[0:3], 0 offset:400
	buffer_load_dword v127, off, s[0:3], 0 offset:392
	buffer_load_dword v142, off, s[0:3], 0 offset:404
	buffer_load_dword v136, off, s[0:3], 0 offset:412
	buffer_load_dword v134, off, s[0:3], 0 offset:420
	s_waitcnt vmcnt(24) lgkmcnt(0)
	v_fma_f64 v[117:118], v[129:130], v[121:122], v[117:118]
	s_waitcnt vmcnt(19)
	v_fma_f64 v[129:130], v[131:132], v[123:124], v[117:118]
	ds_read_b128 v[117:120], v116 offset:800
	ds_read_b128 v[121:124], v116 offset:816
	;; [unrolled: 18-line block ×3, first 2 shown]
	s_waitcnt vmcnt(18) lgkmcnt(1)
	v_fma_f64 v[117:118], v[149:150], v[117:118], v[125:126]
	buffer_load_dword v125, off, s[0:3], 0 offset:72
	buffer_load_dword v126, off, s[0:3], 0 offset:76
	s_waitcnt vmcnt(19)
	v_fma_f64 v[117:118], v[147:148], v[119:120], v[117:118]
	s_waitcnt vmcnt(18) lgkmcnt(0)
	v_fma_f64 v[117:118], v[139:140], v[121:122], v[117:118]
	s_waitcnt vmcnt(13)
	v_fma_f64 v[127:128], v[127:128], v[123:124], v[117:118]
	ds_read_b128 v[117:120], v116 offset:864
	ds_read_b128 v[121:124], v116 offset:880
	s_waitcnt vmcnt(12) lgkmcnt(1)
	v_fma_f64 v[117:118], v[141:142], v[117:118], v[127:128]
	s_waitcnt vmcnt(11)
	v_fma_f64 v[117:118], v[135:136], v[119:120], v[117:118]
	s_waitcnt vmcnt(10) lgkmcnt(0)
	v_fma_f64 v[117:118], v[133:134], v[121:122], v[117:118]
	s_waitcnt vmcnt(5)
	v_fma_f64 v[121:122], v[129:130], v[123:124], v[117:118]
	ds_read_b128 v[117:120], v116 offset:896
	ds_read_b64 v[123:124], v116 offset:912
	s_waitcnt vmcnt(4) lgkmcnt(1)
	v_fma_f64 v[117:118], v[145:146], v[117:118], v[121:122]
	s_waitcnt vmcnt(3)
	v_fma_f64 v[117:118], v[143:144], v[119:120], v[117:118]
	s_waitcnt vmcnt(2) lgkmcnt(0)
	v_fma_f64 v[117:118], v[131:132], v[123:124], v[117:118]
	s_waitcnt vmcnt(0)
	v_add_f64 v[117:118], v[125:126], -v[117:118]
	buffer_store_dword v118, off, s[0:3], 0 offset:76
	buffer_store_dword v117, off, s[0:3], 0 offset:72
	s_and_saveexec_b64 s[4:5], vcc
	s_cbranch_execz .LBB120_333
; %bb.332:
	buffer_load_dword v117, off, s[0:3], 0 offset:64
	buffer_load_dword v118, off, s[0:3], 0 offset:68
	s_waitcnt vmcnt(0)
	ds_write_b64 v115, v[117:118]
	buffer_store_dword v116, off, s[0:3], 0 offset:64
	buffer_store_dword v116, off, s[0:3], 0 offset:68
.LBB120_333:
	s_or_b64 exec, exec, s[4:5]
	s_waitcnt lgkmcnt(0)
	; wave barrier
	buffer_load_dword v125, off, s[0:3], 0 offset:72
	buffer_load_dword v126, off, s[0:3], 0 offset:76
	;; [unrolled: 1-line block ×21, first 2 shown]
	ds_read2_b64 v[117:120], v116 offset0:67 offset1:68
	ds_read2_b64 v[121:124], v116 offset0:69 offset1:70
	buffer_load_dword v142, off, s[0:3], 0 offset:156
	v_cmp_lt_u32_e32 vcc, 7, v0
	s_waitcnt vmcnt(20) lgkmcnt(1)
	v_fma_f64 v[117:118], v[125:126], v[117:118], 0
	s_waitcnt vmcnt(18)
	v_fma_f64 v[117:118], v[127:128], v[119:120], v[117:118]
	buffer_load_dword v126, off, s[0:3], 0 offset:164
	buffer_load_dword v127, off, s[0:3], 0 offset:184
	;; [unrolled: 1-line block ×7, first 2 shown]
	s_waitcnt vmcnt(23) lgkmcnt(0)
	v_fma_f64 v[117:118], v[129:130], v[121:122], v[117:118]
	s_waitcnt vmcnt(21)
	v_fma_f64 v[128:129], v[131:132], v[123:124], v[117:118]
	ds_read2_b64 v[117:120], v116 offset0:71 offset1:72
	ds_read2_b64 v[121:124], v116 offset0:73 offset1:74
	s_waitcnt vmcnt(19) lgkmcnt(1)
	v_fma_f64 v[117:118], v[133:134], v[117:118], v[128:129]
	buffer_load_dword v128, off, s[0:3], 0 offset:188
	s_waitcnt vmcnt(18)
	v_fma_f64 v[117:118], v[135:136], v[119:120], v[117:118]
	buffer_load_dword v130, off, s[0:3], 0 offset:196
	buffer_load_dword v131, off, s[0:3], 0 offset:216
	;; [unrolled: 1-line block ×8, first 2 shown]
	s_waitcnt vmcnt(24) lgkmcnt(0)
	v_fma_f64 v[117:118], v[137:138], v[121:122], v[117:118]
	s_waitcnt vmcnt(19)
	v_fma_f64 v[137:138], v[139:140], v[123:124], v[117:118]
	ds_read2_b64 v[117:120], v116 offset0:75 offset1:76
	ds_read2_b64 v[121:124], v116 offset0:77 offset1:78
	s_waitcnt vmcnt(18) lgkmcnt(1)
	v_fma_f64 v[117:118], v[145:146], v[117:118], v[137:138]
	s_waitcnt vmcnt(17)
	v_fma_f64 v[117:118], v[143:144], v[119:120], v[117:118]
	buffer_load_dword v138, off, s[0:3], 0 offset:228
	buffer_load_dword v139, off, s[0:3], 0 offset:248
	buffer_load_dword v143, off, s[0:3], 0 offset:240
	buffer_load_dword v145, off, s[0:3], 0 offset:232
	buffer_load_dword v137, off, s[0:3], 0 offset:224
	buffer_load_dword v146, off, s[0:3], 0 offset:236
	buffer_load_dword v144, off, s[0:3], 0 offset:244
	s_waitcnt vmcnt(23) lgkmcnt(0)
	v_fma_f64 v[117:118], v[141:142], v[121:122], v[117:118]
	s_waitcnt vmcnt(18)
	v_fma_f64 v[125:126], v[125:126], v[123:124], v[117:118]
	ds_read2_b64 v[117:120], v116 offset0:79 offset1:80
	ds_read2_b64 v[121:124], v116 offset0:81 offset1:82
	buffer_load_dword v140, off, s[0:3], 0 offset:252
	s_waitcnt vmcnt(18) lgkmcnt(1)
	v_fma_f64 v[117:118], v[149:150], v[117:118], v[125:126]
	s_waitcnt vmcnt(17)
	v_fma_f64 v[117:118], v[147:148], v[119:120], v[117:118]
	buffer_load_dword v126, off, s[0:3], 0 offset:260
	buffer_load_dword v141, off, s[0:3], 0 offset:280
	;; [unrolled: 1-line block ×8, first 2 shown]
	s_waitcnt vmcnt(24) lgkmcnt(0)
	v_fma_f64 v[117:118], v[127:128], v[121:122], v[117:118]
	s_waitcnt vmcnt(19)
	v_fma_f64 v[127:128], v[129:130], v[123:124], v[117:118]
	ds_read2_b64 v[117:120], v116 offset0:83 offset1:84
	ds_read2_b64 v[121:124], v116 offset0:85 offset1:86
	s_waitcnt vmcnt(18) lgkmcnt(1)
	v_fma_f64 v[117:118], v[135:136], v[117:118], v[127:128]
	s_waitcnt vmcnt(17)
	v_fma_f64 v[117:118], v[133:134], v[119:120], v[117:118]
	buffer_load_dword v128, off, s[0:3], 0 offset:292
	buffer_load_dword v129, off, s[0:3], 0 offset:312
	;; [unrolled: 1-line block ×7, first 2 shown]
	s_waitcnt vmcnt(23) lgkmcnt(0)
	v_fma_f64 v[117:118], v[131:132], v[121:122], v[117:118]
	s_waitcnt vmcnt(18)
	v_fma_f64 v[130:131], v[137:138], v[123:124], v[117:118]
	ds_read2_b64 v[117:120], v116 offset0:87 offset1:88
	ds_read2_b64 v[121:124], v116 offset0:89 offset1:90
	s_waitcnt vmcnt(17) lgkmcnt(1)
	v_fma_f64 v[117:118], v[145:146], v[117:118], v[130:131]
	buffer_load_dword v130, off, s[0:3], 0 offset:316
	s_waitcnt vmcnt(17)
	v_fma_f64 v[117:118], v[143:144], v[119:120], v[117:118]
	buffer_load_dword v132, off, s[0:3], 0 offset:324
	buffer_load_dword v137, off, s[0:3], 0 offset:344
	;; [unrolled: 1-line block ×7, first 2 shown]
	s_waitcnt vmcnt(23) lgkmcnt(0)
	v_fma_f64 v[117:118], v[139:140], v[121:122], v[117:118]
	s_waitcnt vmcnt(18)
	v_fma_f64 v[125:126], v[125:126], v[123:124], v[117:118]
	ds_read2_b64 v[117:120], v116 offset0:91 offset1:92
	ds_read2_b64 v[121:124], v116 offset0:93 offset1:94
	buffer_load_dword v138, off, s[0:3], 0 offset:348
	s_waitcnt vmcnt(18) lgkmcnt(1)
	v_fma_f64 v[117:118], v[149:150], v[117:118], v[125:126]
	s_waitcnt vmcnt(17)
	v_fma_f64 v[117:118], v[147:148], v[119:120], v[117:118]
	buffer_load_dword v126, off, s[0:3], 0 offset:356
	buffer_load_dword v139, off, s[0:3], 0 offset:376
	buffer_load_dword v147, off, s[0:3], 0 offset:368
	buffer_load_dword v149, off, s[0:3], 0 offset:360
	buffer_load_dword v125, off, s[0:3], 0 offset:352
	buffer_load_dword v150, off, s[0:3], 0 offset:364
	buffer_load_dword v148, off, s[0:3], 0 offset:372
	buffer_load_dword v140, off, s[0:3], 0 offset:380
	s_waitcnt vmcnt(24) lgkmcnt(0)
	v_fma_f64 v[117:118], v[141:142], v[121:122], v[117:118]
	s_waitcnt vmcnt(19)
	v_fma_f64 v[127:128], v[127:128], v[123:124], v[117:118]
	ds_read2_b64 v[117:120], v116 offset0:95 offset1:96
	ds_read2_b64 v[121:124], v116 offset0:97 offset1:98
	s_waitcnt vmcnt(18) lgkmcnt(1)
	v_fma_f64 v[117:118], v[135:136], v[117:118], v[127:128]
	s_waitcnt vmcnt(17)
	v_fma_f64 v[117:118], v[133:134], v[119:120], v[117:118]
	buffer_load_dword v128, off, s[0:3], 0 offset:388
	buffer_load_dword v133, off, s[0:3], 0 offset:408
	buffer_load_dword v135, off, s[0:3], 0 offset:400
	buffer_load_dword v141, off, s[0:3], 0 offset:392
	buffer_load_dword v127, off, s[0:3], 0 offset:384
	buffer_load_dword v142, off, s[0:3], 0 offset:396
	buffer_load_dword v136, off, s[0:3], 0 offset:404
	buffer_load_dword v134, off, s[0:3], 0 offset:412
	s_waitcnt vmcnt(24) lgkmcnt(0)
	v_fma_f64 v[117:118], v[129:130], v[121:122], v[117:118]
	s_waitcnt vmcnt(19)
	v_fma_f64 v[129:130], v[131:132], v[123:124], v[117:118]
	ds_read2_b64 v[117:120], v116 offset0:99 offset1:100
	ds_read2_b64 v[121:124], v116 offset0:101 offset1:102
	s_waitcnt vmcnt(18) lgkmcnt(1)
	v_fma_f64 v[117:118], v[145:146], v[117:118], v[129:130]
	s_waitcnt vmcnt(17)
	v_fma_f64 v[117:118], v[143:144], v[119:120], v[117:118]
	buffer_load_dword v130, off, s[0:3], 0 offset:420
	buffer_load_dword v131, off, s[0:3], 0 offset:440
	buffer_load_dword v143, off, s[0:3], 0 offset:432
	buffer_load_dword v145, off, s[0:3], 0 offset:424
	buffer_load_dword v129, off, s[0:3], 0 offset:416
	buffer_load_dword v146, off, s[0:3], 0 offset:428
	buffer_load_dword v144, off, s[0:3], 0 offset:436
	buffer_load_dword v132, off, s[0:3], 0 offset:444
	s_waitcnt vmcnt(24) lgkmcnt(0)
	v_fma_f64 v[117:118], v[137:138], v[121:122], v[117:118]
	s_waitcnt vmcnt(19)
	v_fma_f64 v[125:126], v[125:126], v[123:124], v[117:118]
	ds_read2_b64 v[117:120], v116 offset0:103 offset1:104
	ds_read2_b64 v[121:124], v116 offset0:105 offset1:106
	s_waitcnt vmcnt(18) lgkmcnt(1)
	v_fma_f64 v[117:118], v[149:150], v[117:118], v[125:126]
	buffer_load_dword v126, off, s[0:3], 0 offset:452
	buffer_load_dword v125, off, s[0:3], 0 offset:448
	buffer_load_dword v137, off, s[0:3], 0 offset:64
	buffer_load_dword v138, off, s[0:3], 0 offset:68
	s_waitcnt vmcnt(21)
	v_fma_f64 v[117:118], v[147:148], v[119:120], v[117:118]
	s_waitcnt vmcnt(20) lgkmcnt(0)
	v_fma_f64 v[117:118], v[139:140], v[121:122], v[117:118]
	s_waitcnt vmcnt(15)
	v_fma_f64 v[127:128], v[127:128], v[123:124], v[117:118]
	ds_read2_b64 v[117:120], v116 offset0:107 offset1:108
	ds_read2_b64 v[121:124], v116 offset0:109 offset1:110
	s_waitcnt vmcnt(14) lgkmcnt(1)
	v_fma_f64 v[117:118], v[141:142], v[117:118], v[127:128]
	s_waitcnt vmcnt(13)
	v_fma_f64 v[117:118], v[135:136], v[119:120], v[117:118]
	s_waitcnt vmcnt(12) lgkmcnt(0)
	v_fma_f64 v[117:118], v[133:134], v[121:122], v[117:118]
	s_waitcnt vmcnt(7)
	v_fma_f64 v[127:128], v[129:130], v[123:124], v[117:118]
	ds_read2_b64 v[117:120], v116 offset0:111 offset1:112
	ds_read2_b64 v[121:124], v116 offset0:113 offset1:114
	s_waitcnt vmcnt(6) lgkmcnt(1)
	v_fma_f64 v[116:117], v[145:146], v[117:118], v[127:128]
	s_waitcnt vmcnt(5)
	v_fma_f64 v[116:117], v[143:144], v[119:120], v[116:117]
	s_waitcnt vmcnt(4) lgkmcnt(0)
	v_fma_f64 v[116:117], v[131:132], v[121:122], v[116:117]
	s_waitcnt vmcnt(2)
	v_fma_f64 v[116:117], v[125:126], v[123:124], v[116:117]
	s_waitcnt vmcnt(0)
	v_add_f64 v[116:117], v[137:138], -v[116:117]
	buffer_store_dword v117, off, s[0:3], 0 offset:68
	buffer_store_dword v116, off, s[0:3], 0 offset:64
	s_and_saveexec_b64 s[4:5], vcc
	s_cbranch_execz .LBB120_335
; %bb.334:
	buffer_load_dword v116, off, s[0:3], 0 offset:56
	buffer_load_dword v117, off, s[0:3], 0 offset:60
	v_mov_b32_e32 v118, 0
	buffer_store_dword v118, off, s[0:3], 0 offset:56
	buffer_store_dword v118, off, s[0:3], 0 offset:60
	s_waitcnt vmcnt(2)
	ds_write_b64 v115, v[116:117]
.LBB120_335:
	s_or_b64 exec, exec, s[4:5]
	s_waitcnt lgkmcnt(0)
	; wave barrier
	buffer_load_dword v125, off, s[0:3], 0 offset:64
	buffer_load_dword v126, off, s[0:3], 0 offset:68
	;; [unrolled: 1-line block ×21, first 2 shown]
	v_mov_b32_e32 v116, 0
	ds_read_b128 v[117:120], v116 offset:528
	ds_read_b128 v[121:124], v116 offset:544
	buffer_load_dword v142, off, s[0:3], 0 offset:148
	v_cmp_lt_u32_e32 vcc, 6, v0
	s_waitcnt vmcnt(20) lgkmcnt(1)
	v_fma_f64 v[117:118], v[125:126], v[117:118], 0
	s_waitcnt vmcnt(18)
	v_fma_f64 v[117:118], v[127:128], v[119:120], v[117:118]
	buffer_load_dword v126, off, s[0:3], 0 offset:156
	buffer_load_dword v127, off, s[0:3], 0 offset:176
	;; [unrolled: 1-line block ×7, first 2 shown]
	s_waitcnt vmcnt(23) lgkmcnt(0)
	v_fma_f64 v[117:118], v[129:130], v[121:122], v[117:118]
	s_waitcnt vmcnt(21)
	v_fma_f64 v[128:129], v[131:132], v[123:124], v[117:118]
	ds_read_b128 v[117:120], v116 offset:560
	ds_read_b128 v[121:124], v116 offset:576
	s_waitcnt vmcnt(19) lgkmcnt(1)
	v_fma_f64 v[117:118], v[133:134], v[117:118], v[128:129]
	buffer_load_dword v128, off, s[0:3], 0 offset:180
	s_waitcnt vmcnt(18)
	v_fma_f64 v[117:118], v[135:136], v[119:120], v[117:118]
	buffer_load_dword v130, off, s[0:3], 0 offset:188
	buffer_load_dword v131, off, s[0:3], 0 offset:208
	;; [unrolled: 1-line block ×8, first 2 shown]
	s_waitcnt vmcnt(24) lgkmcnt(0)
	v_fma_f64 v[117:118], v[137:138], v[121:122], v[117:118]
	s_waitcnt vmcnt(19)
	v_fma_f64 v[137:138], v[139:140], v[123:124], v[117:118]
	ds_read_b128 v[117:120], v116 offset:592
	ds_read_b128 v[121:124], v116 offset:608
	s_waitcnt vmcnt(18) lgkmcnt(1)
	v_fma_f64 v[117:118], v[145:146], v[117:118], v[137:138]
	s_waitcnt vmcnt(17)
	v_fma_f64 v[117:118], v[143:144], v[119:120], v[117:118]
	buffer_load_dword v138, off, s[0:3], 0 offset:220
	buffer_load_dword v139, off, s[0:3], 0 offset:240
	;; [unrolled: 1-line block ×7, first 2 shown]
	s_waitcnt vmcnt(23) lgkmcnt(0)
	v_fma_f64 v[117:118], v[141:142], v[121:122], v[117:118]
	s_waitcnt vmcnt(18)
	v_fma_f64 v[125:126], v[125:126], v[123:124], v[117:118]
	ds_read_b128 v[117:120], v116 offset:624
	ds_read_b128 v[121:124], v116 offset:640
	buffer_load_dword v140, off, s[0:3], 0 offset:244
	s_waitcnt vmcnt(18) lgkmcnt(1)
	v_fma_f64 v[117:118], v[149:150], v[117:118], v[125:126]
	s_waitcnt vmcnt(17)
	v_fma_f64 v[117:118], v[147:148], v[119:120], v[117:118]
	buffer_load_dword v126, off, s[0:3], 0 offset:252
	buffer_load_dword v141, off, s[0:3], 0 offset:272
	;; [unrolled: 1-line block ×7, first 2 shown]
	s_waitcnt vmcnt(23) lgkmcnt(0)
	v_fma_f64 v[117:118], v[127:128], v[121:122], v[117:118]
	s_waitcnt vmcnt(18)
	v_fma_f64 v[127:128], v[129:130], v[123:124], v[117:118]
	ds_read_b128 v[117:120], v116 offset:656
	ds_read_b128 v[121:124], v116 offset:672
	buffer_load_dword v142, off, s[0:3], 0 offset:276
	s_waitcnt vmcnt(18) lgkmcnt(1)
	v_fma_f64 v[117:118], v[135:136], v[117:118], v[127:128]
	s_waitcnt vmcnt(17)
	v_fma_f64 v[117:118], v[133:134], v[119:120], v[117:118]
	buffer_load_dword v128, off, s[0:3], 0 offset:284
	buffer_load_dword v129, off, s[0:3], 0 offset:304
	;; [unrolled: 1-line block ×7, first 2 shown]
	s_waitcnt vmcnt(23) lgkmcnt(0)
	v_fma_f64 v[117:118], v[131:132], v[121:122], v[117:118]
	s_waitcnt vmcnt(18)
	v_fma_f64 v[130:131], v[137:138], v[123:124], v[117:118]
	ds_read_b128 v[117:120], v116 offset:688
	ds_read_b128 v[121:124], v116 offset:704
	s_waitcnt vmcnt(17) lgkmcnt(1)
	v_fma_f64 v[117:118], v[145:146], v[117:118], v[130:131]
	buffer_load_dword v130, off, s[0:3], 0 offset:308
	s_waitcnt vmcnt(17)
	v_fma_f64 v[117:118], v[143:144], v[119:120], v[117:118]
	buffer_load_dword v132, off, s[0:3], 0 offset:316
	buffer_load_dword v137, off, s[0:3], 0 offset:336
	;; [unrolled: 1-line block ×7, first 2 shown]
	s_waitcnt vmcnt(23) lgkmcnt(0)
	v_fma_f64 v[117:118], v[139:140], v[121:122], v[117:118]
	s_waitcnt vmcnt(18)
	v_fma_f64 v[125:126], v[125:126], v[123:124], v[117:118]
	ds_read_b128 v[117:120], v116 offset:720
	ds_read_b128 v[121:124], v116 offset:736
	buffer_load_dword v138, off, s[0:3], 0 offset:340
	s_waitcnt vmcnt(18) lgkmcnt(1)
	v_fma_f64 v[117:118], v[149:150], v[117:118], v[125:126]
	s_waitcnt vmcnt(17)
	v_fma_f64 v[117:118], v[147:148], v[119:120], v[117:118]
	buffer_load_dword v126, off, s[0:3], 0 offset:348
	buffer_load_dword v139, off, s[0:3], 0 offset:368
	;; [unrolled: 1-line block ×7, first 2 shown]
	s_waitcnt vmcnt(23) lgkmcnt(0)
	v_fma_f64 v[117:118], v[141:142], v[121:122], v[117:118]
	s_waitcnt vmcnt(18)
	v_fma_f64 v[127:128], v[127:128], v[123:124], v[117:118]
	ds_read_b128 v[117:120], v116 offset:752
	ds_read_b128 v[121:124], v116 offset:768
	buffer_load_dword v140, off, s[0:3], 0 offset:372
	s_waitcnt vmcnt(18) lgkmcnt(1)
	v_fma_f64 v[117:118], v[135:136], v[117:118], v[127:128]
	s_waitcnt vmcnt(17)
	v_fma_f64 v[117:118], v[133:134], v[119:120], v[117:118]
	buffer_load_dword v128, off, s[0:3], 0 offset:380
	buffer_load_dword v133, off, s[0:3], 0 offset:400
	;; [unrolled: 1-line block ×8, first 2 shown]
	s_waitcnt vmcnt(24) lgkmcnt(0)
	v_fma_f64 v[117:118], v[129:130], v[121:122], v[117:118]
	s_waitcnt vmcnt(19)
	v_fma_f64 v[129:130], v[131:132], v[123:124], v[117:118]
	ds_read_b128 v[117:120], v116 offset:784
	ds_read_b128 v[121:124], v116 offset:800
	s_waitcnt vmcnt(18) lgkmcnt(1)
	v_fma_f64 v[117:118], v[145:146], v[117:118], v[129:130]
	s_waitcnt vmcnt(17)
	v_fma_f64 v[117:118], v[143:144], v[119:120], v[117:118]
	buffer_load_dword v130, off, s[0:3], 0 offset:412
	buffer_load_dword v131, off, s[0:3], 0 offset:432
	;; [unrolled: 1-line block ×7, first 2 shown]
	s_waitcnt vmcnt(23) lgkmcnt(0)
	v_fma_f64 v[117:118], v[137:138], v[121:122], v[117:118]
	s_waitcnt vmcnt(18)
	v_fma_f64 v[125:126], v[125:126], v[123:124], v[117:118]
	ds_read_b128 v[117:120], v116 offset:816
	ds_read_b128 v[121:124], v116 offset:832
	buffer_load_dword v132, off, s[0:3], 0 offset:436
	s_waitcnt vmcnt(18) lgkmcnt(1)
	v_fma_f64 v[117:118], v[149:150], v[117:118], v[125:126]
	buffer_load_dword v126, off, s[0:3], 0 offset:444
	buffer_load_dword v137, off, s[0:3], 0 offset:448
	;; [unrolled: 1-line block ×4, first 2 shown]
	s_waitcnt vmcnt(21)
	v_fma_f64 v[117:118], v[147:148], v[119:120], v[117:118]
	s_waitcnt vmcnt(20) lgkmcnt(0)
	v_fma_f64 v[117:118], v[139:140], v[121:122], v[117:118]
	buffer_load_dword v139, off, s[0:3], 0 offset:56
	buffer_load_dword v140, off, s[0:3], 0 offset:60
	s_waitcnt vmcnt(17)
	v_fma_f64 v[127:128], v[127:128], v[123:124], v[117:118]
	ds_read_b128 v[117:120], v116 offset:848
	ds_read_b128 v[121:124], v116 offset:864
	s_waitcnt vmcnt(16) lgkmcnt(1)
	v_fma_f64 v[117:118], v[141:142], v[117:118], v[127:128]
	s_waitcnt vmcnt(15)
	v_fma_f64 v[117:118], v[135:136], v[119:120], v[117:118]
	s_waitcnt vmcnt(14) lgkmcnt(0)
	v_fma_f64 v[117:118], v[133:134], v[121:122], v[117:118]
	s_waitcnt vmcnt(9)
	v_fma_f64 v[127:128], v[129:130], v[123:124], v[117:118]
	ds_read_b128 v[117:120], v116 offset:880
	ds_read_b128 v[121:124], v116 offset:896
	s_waitcnt vmcnt(8) lgkmcnt(1)
	v_fma_f64 v[117:118], v[145:146], v[117:118], v[127:128]
	s_waitcnt vmcnt(7)
	v_fma_f64 v[117:118], v[143:144], v[119:120], v[117:118]
	ds_read_b64 v[119:120], v116 offset:912
	s_waitcnt vmcnt(6) lgkmcnt(1)
	v_fma_f64 v[117:118], v[131:132], v[121:122], v[117:118]
	s_waitcnt vmcnt(3)
	v_fma_f64 v[117:118], v[125:126], v[123:124], v[117:118]
	s_waitcnt vmcnt(2) lgkmcnt(0)
	v_fma_f64 v[117:118], v[137:138], v[119:120], v[117:118]
	s_waitcnt vmcnt(0)
	v_add_f64 v[117:118], v[139:140], -v[117:118]
	buffer_store_dword v118, off, s[0:3], 0 offset:60
	buffer_store_dword v117, off, s[0:3], 0 offset:56
	s_and_saveexec_b64 s[4:5], vcc
	s_cbranch_execz .LBB120_337
; %bb.336:
	buffer_load_dword v117, off, s[0:3], 0 offset:48
	buffer_load_dword v118, off, s[0:3], 0 offset:52
	s_waitcnt vmcnt(0)
	ds_write_b64 v115, v[117:118]
	buffer_store_dword v116, off, s[0:3], 0 offset:48
	buffer_store_dword v116, off, s[0:3], 0 offset:52
.LBB120_337:
	s_or_b64 exec, exec, s[4:5]
	s_waitcnt lgkmcnt(0)
	; wave barrier
	buffer_load_dword v125, off, s[0:3], 0 offset:56
	buffer_load_dword v126, off, s[0:3], 0 offset:60
	;; [unrolled: 1-line block ×22, first 2 shown]
	ds_read2_b64 v[117:120], v116 offset0:65 offset1:66
	ds_read2_b64 v[121:124], v116 offset0:67 offset1:68
	v_cmp_lt_u32_e32 vcc, 5, v0
	s_waitcnt vmcnt(20) lgkmcnt(1)
	v_fma_f64 v[117:118], v[125:126], v[117:118], 0
	s_waitcnt vmcnt(18)
	v_fma_f64 v[117:118], v[127:128], v[119:120], v[117:118]
	buffer_load_dword v126, off, s[0:3], 0 offset:148
	buffer_load_dword v127, off, s[0:3], 0 offset:168
	;; [unrolled: 1-line block ×7, first 2 shown]
	s_waitcnt vmcnt(23) lgkmcnt(0)
	v_fma_f64 v[117:118], v[129:130], v[121:122], v[117:118]
	s_waitcnt vmcnt(21)
	v_fma_f64 v[128:129], v[131:132], v[123:124], v[117:118]
	ds_read2_b64 v[117:120], v116 offset0:69 offset1:70
	ds_read2_b64 v[121:124], v116 offset0:71 offset1:72
	s_waitcnt vmcnt(19) lgkmcnt(1)
	v_fma_f64 v[117:118], v[133:134], v[117:118], v[128:129]
	buffer_load_dword v128, off, s[0:3], 0 offset:172
	s_waitcnt vmcnt(18)
	v_fma_f64 v[117:118], v[135:136], v[119:120], v[117:118]
	buffer_load_dword v130, off, s[0:3], 0 offset:180
	buffer_load_dword v131, off, s[0:3], 0 offset:200
	;; [unrolled: 1-line block ×8, first 2 shown]
	s_waitcnt vmcnt(24) lgkmcnt(0)
	v_fma_f64 v[117:118], v[137:138], v[121:122], v[117:118]
	s_waitcnt vmcnt(19)
	v_fma_f64 v[137:138], v[139:140], v[123:124], v[117:118]
	ds_read2_b64 v[117:120], v116 offset0:73 offset1:74
	ds_read2_b64 v[121:124], v116 offset0:75 offset1:76
	s_waitcnt vmcnt(18) lgkmcnt(1)
	v_fma_f64 v[117:118], v[145:146], v[117:118], v[137:138]
	s_waitcnt vmcnt(17)
	v_fma_f64 v[117:118], v[143:144], v[119:120], v[117:118]
	buffer_load_dword v138, off, s[0:3], 0 offset:212
	buffer_load_dword v139, off, s[0:3], 0 offset:232
	;; [unrolled: 1-line block ×8, first 2 shown]
	s_waitcnt vmcnt(24) lgkmcnt(0)
	v_fma_f64 v[117:118], v[141:142], v[121:122], v[117:118]
	s_waitcnt vmcnt(19)
	v_fma_f64 v[125:126], v[125:126], v[123:124], v[117:118]
	ds_read2_b64 v[117:120], v116 offset0:77 offset1:78
	ds_read2_b64 v[121:124], v116 offset0:79 offset1:80
	s_waitcnt vmcnt(18) lgkmcnt(1)
	v_fma_f64 v[117:118], v[149:150], v[117:118], v[125:126]
	s_waitcnt vmcnt(17)
	v_fma_f64 v[117:118], v[147:148], v[119:120], v[117:118]
	buffer_load_dword v126, off, s[0:3], 0 offset:244
	buffer_load_dword v141, off, s[0:3], 0 offset:264
	;; [unrolled: 1-line block ×7, first 2 shown]
	s_waitcnt vmcnt(23) lgkmcnt(0)
	v_fma_f64 v[117:118], v[127:128], v[121:122], v[117:118]
	s_waitcnt vmcnt(18)
	v_fma_f64 v[127:128], v[129:130], v[123:124], v[117:118]
	ds_read2_b64 v[117:120], v116 offset0:81 offset1:82
	ds_read2_b64 v[121:124], v116 offset0:83 offset1:84
	buffer_load_dword v142, off, s[0:3], 0 offset:268
	s_waitcnt vmcnt(18) lgkmcnt(1)
	v_fma_f64 v[117:118], v[135:136], v[117:118], v[127:128]
	s_waitcnt vmcnt(17)
	v_fma_f64 v[117:118], v[133:134], v[119:120], v[117:118]
	buffer_load_dword v128, off, s[0:3], 0 offset:276
	buffer_load_dword v129, off, s[0:3], 0 offset:296
	buffer_load_dword v133, off, s[0:3], 0 offset:288
	buffer_load_dword v135, off, s[0:3], 0 offset:280
	buffer_load_dword v127, off, s[0:3], 0 offset:272
	buffer_load_dword v136, off, s[0:3], 0 offset:284
	buffer_load_dword v134, off, s[0:3], 0 offset:292
	s_waitcnt vmcnt(23) lgkmcnt(0)
	v_fma_f64 v[117:118], v[131:132], v[121:122], v[117:118]
	s_waitcnt vmcnt(18)
	v_fma_f64 v[130:131], v[137:138], v[123:124], v[117:118]
	ds_read2_b64 v[117:120], v116 offset0:85 offset1:86
	ds_read2_b64 v[121:124], v116 offset0:87 offset1:88
	s_waitcnt vmcnt(17) lgkmcnt(1)
	v_fma_f64 v[117:118], v[145:146], v[117:118], v[130:131]
	buffer_load_dword v130, off, s[0:3], 0 offset:300
	s_waitcnt vmcnt(17)
	v_fma_f64 v[117:118], v[143:144], v[119:120], v[117:118]
	buffer_load_dword v132, off, s[0:3], 0 offset:308
	buffer_load_dword v137, off, s[0:3], 0 offset:328
	;; [unrolled: 1-line block ×8, first 2 shown]
	s_waitcnt vmcnt(24) lgkmcnt(0)
	v_fma_f64 v[117:118], v[139:140], v[121:122], v[117:118]
	s_waitcnt vmcnt(19)
	v_fma_f64 v[125:126], v[125:126], v[123:124], v[117:118]
	ds_read2_b64 v[117:120], v116 offset0:89 offset1:90
	ds_read2_b64 v[121:124], v116 offset0:91 offset1:92
	s_waitcnt vmcnt(18) lgkmcnt(1)
	v_fma_f64 v[117:118], v[149:150], v[117:118], v[125:126]
	s_waitcnt vmcnt(17)
	v_fma_f64 v[117:118], v[147:148], v[119:120], v[117:118]
	buffer_load_dword v126, off, s[0:3], 0 offset:340
	buffer_load_dword v139, off, s[0:3], 0 offset:360
	;; [unrolled: 1-line block ×7, first 2 shown]
	s_waitcnt vmcnt(23) lgkmcnt(0)
	v_fma_f64 v[117:118], v[141:142], v[121:122], v[117:118]
	s_waitcnt vmcnt(18)
	v_fma_f64 v[127:128], v[127:128], v[123:124], v[117:118]
	ds_read2_b64 v[117:120], v116 offset0:93 offset1:94
	ds_read2_b64 v[121:124], v116 offset0:95 offset1:96
	buffer_load_dword v140, off, s[0:3], 0 offset:364
	s_waitcnt vmcnt(18) lgkmcnt(1)
	v_fma_f64 v[117:118], v[135:136], v[117:118], v[127:128]
	s_waitcnt vmcnt(17)
	v_fma_f64 v[117:118], v[133:134], v[119:120], v[117:118]
	buffer_load_dword v128, off, s[0:3], 0 offset:372
	buffer_load_dword v133, off, s[0:3], 0 offset:392
	;; [unrolled: 1-line block ×8, first 2 shown]
	s_waitcnt vmcnt(24) lgkmcnt(0)
	v_fma_f64 v[117:118], v[129:130], v[121:122], v[117:118]
	s_waitcnt vmcnt(19)
	v_fma_f64 v[129:130], v[131:132], v[123:124], v[117:118]
	ds_read2_b64 v[117:120], v116 offset0:97 offset1:98
	ds_read2_b64 v[121:124], v116 offset0:99 offset1:100
	s_waitcnt vmcnt(18) lgkmcnt(1)
	v_fma_f64 v[117:118], v[145:146], v[117:118], v[129:130]
	s_waitcnt vmcnt(17)
	v_fma_f64 v[117:118], v[143:144], v[119:120], v[117:118]
	buffer_load_dword v130, off, s[0:3], 0 offset:404
	buffer_load_dword v131, off, s[0:3], 0 offset:424
	;; [unrolled: 1-line block ×8, first 2 shown]
	s_waitcnt vmcnt(24) lgkmcnt(0)
	v_fma_f64 v[117:118], v[137:138], v[121:122], v[117:118]
	s_waitcnt vmcnt(19)
	v_fma_f64 v[125:126], v[125:126], v[123:124], v[117:118]
	ds_read2_b64 v[117:120], v116 offset0:101 offset1:102
	ds_read2_b64 v[121:124], v116 offset0:103 offset1:104
	s_waitcnt vmcnt(18) lgkmcnt(1)
	v_fma_f64 v[117:118], v[149:150], v[117:118], v[125:126]
	s_waitcnt vmcnt(17)
	v_fma_f64 v[117:118], v[147:148], v[119:120], v[117:118]
	buffer_load_dword v126, off, s[0:3], 0 offset:436
	buffer_load_dword v137, off, s[0:3], 0 offset:448
	;; [unrolled: 1-line block ×6, first 2 shown]
	s_waitcnt vmcnt(22) lgkmcnt(0)
	v_fma_f64 v[117:118], v[139:140], v[121:122], v[117:118]
	s_waitcnt vmcnt(17)
	v_fma_f64 v[127:128], v[127:128], v[123:124], v[117:118]
	ds_read2_b64 v[117:120], v116 offset0:105 offset1:106
	buffer_load_dword v139, off, s[0:3], 0 offset:48
	buffer_load_dword v140, off, s[0:3], 0 offset:52
	ds_read2_b64 v[121:124], v116 offset0:107 offset1:108
	s_waitcnt vmcnt(18) lgkmcnt(1)
	v_fma_f64 v[117:118], v[141:142], v[117:118], v[127:128]
	s_waitcnt vmcnt(17)
	v_fma_f64 v[117:118], v[135:136], v[119:120], v[117:118]
	s_waitcnt vmcnt(16) lgkmcnt(0)
	v_fma_f64 v[117:118], v[133:134], v[121:122], v[117:118]
	s_waitcnt vmcnt(11)
	v_fma_f64 v[127:128], v[129:130], v[123:124], v[117:118]
	ds_read2_b64 v[117:120], v116 offset0:109 offset1:110
	ds_read2_b64 v[121:124], v116 offset0:111 offset1:112
	s_waitcnt vmcnt(10) lgkmcnt(1)
	v_fma_f64 v[117:118], v[145:146], v[117:118], v[127:128]
	s_waitcnt vmcnt(9)
	v_fma_f64 v[117:118], v[143:144], v[119:120], v[117:118]
	s_waitcnt vmcnt(8) lgkmcnt(0)
	v_fma_f64 v[117:118], v[131:132], v[121:122], v[117:118]
	s_waitcnt vmcnt(4)
	v_fma_f64 v[120:121], v[125:126], v[123:124], v[117:118]
	ds_read2_b64 v[116:119], v116 offset0:113 offset1:114
	s_waitcnt vmcnt(3) lgkmcnt(0)
	v_fma_f64 v[116:117], v[147:148], v[116:117], v[120:121]
	s_waitcnt vmcnt(2)
	v_fma_f64 v[116:117], v[137:138], v[118:119], v[116:117]
	s_waitcnt vmcnt(0)
	v_add_f64 v[116:117], v[139:140], -v[116:117]
	buffer_store_dword v117, off, s[0:3], 0 offset:52
	buffer_store_dword v116, off, s[0:3], 0 offset:48
	s_and_saveexec_b64 s[4:5], vcc
	s_cbranch_execz .LBB120_339
; %bb.338:
	buffer_load_dword v116, off, s[0:3], 0 offset:40
	buffer_load_dword v117, off, s[0:3], 0 offset:44
	v_mov_b32_e32 v118, 0
	buffer_store_dword v118, off, s[0:3], 0 offset:40
	buffer_store_dword v118, off, s[0:3], 0 offset:44
	s_waitcnt vmcnt(2)
	ds_write_b64 v115, v[116:117]
.LBB120_339:
	s_or_b64 exec, exec, s[4:5]
	s_waitcnt lgkmcnt(0)
	; wave barrier
	buffer_load_dword v125, off, s[0:3], 0 offset:48
	buffer_load_dword v126, off, s[0:3], 0 offset:52
	;; [unrolled: 1-line block ×22, first 2 shown]
	v_mov_b32_e32 v116, 0
	ds_read_b128 v[117:120], v116 offset:512
	ds_read_b128 v[121:124], v116 offset:528
	v_cmp_lt_u32_e32 vcc, 4, v0
	s_waitcnt vmcnt(20) lgkmcnt(1)
	v_fma_f64 v[117:118], v[125:126], v[117:118], 0
	s_waitcnt vmcnt(18)
	v_fma_f64 v[117:118], v[127:128], v[119:120], v[117:118]
	buffer_load_dword v126, off, s[0:3], 0 offset:140
	buffer_load_dword v127, off, s[0:3], 0 offset:160
	;; [unrolled: 1-line block ×7, first 2 shown]
	s_waitcnt vmcnt(23) lgkmcnt(0)
	v_fma_f64 v[117:118], v[129:130], v[121:122], v[117:118]
	s_waitcnt vmcnt(21)
	v_fma_f64 v[128:129], v[131:132], v[123:124], v[117:118]
	ds_read_b128 v[117:120], v116 offset:544
	ds_read_b128 v[121:124], v116 offset:560
	s_waitcnt vmcnt(19) lgkmcnt(1)
	v_fma_f64 v[117:118], v[133:134], v[117:118], v[128:129]
	buffer_load_dword v128, off, s[0:3], 0 offset:164
	s_waitcnt vmcnt(18)
	v_fma_f64 v[117:118], v[135:136], v[119:120], v[117:118]
	buffer_load_dword v130, off, s[0:3], 0 offset:172
	buffer_load_dword v131, off, s[0:3], 0 offset:192
	buffer_load_dword v133, off, s[0:3], 0 offset:184
	buffer_load_dword v135, off, s[0:3], 0 offset:176
	buffer_load_dword v129, off, s[0:3], 0 offset:168
	buffer_load_dword v136, off, s[0:3], 0 offset:180
	buffer_load_dword v134, off, s[0:3], 0 offset:188
	buffer_load_dword v132, off, s[0:3], 0 offset:196
	s_waitcnt vmcnt(24) lgkmcnt(0)
	v_fma_f64 v[117:118], v[137:138], v[121:122], v[117:118]
	s_waitcnt vmcnt(19)
	v_fma_f64 v[137:138], v[139:140], v[123:124], v[117:118]
	ds_read_b128 v[117:120], v116 offset:576
	ds_read_b128 v[121:124], v116 offset:592
	s_waitcnt vmcnt(18) lgkmcnt(1)
	v_fma_f64 v[117:118], v[145:146], v[117:118], v[137:138]
	s_waitcnt vmcnt(17)
	v_fma_f64 v[117:118], v[143:144], v[119:120], v[117:118]
	buffer_load_dword v138, off, s[0:3], 0 offset:204
	buffer_load_dword v139, off, s[0:3], 0 offset:224
	;; [unrolled: 1-line block ×8, first 2 shown]
	s_waitcnt vmcnt(24) lgkmcnt(0)
	v_fma_f64 v[117:118], v[141:142], v[121:122], v[117:118]
	s_waitcnt vmcnt(19)
	v_fma_f64 v[125:126], v[125:126], v[123:124], v[117:118]
	ds_read_b128 v[117:120], v116 offset:608
	ds_read_b128 v[121:124], v116 offset:624
	s_waitcnt vmcnt(18) lgkmcnt(1)
	v_fma_f64 v[117:118], v[149:150], v[117:118], v[125:126]
	s_waitcnt vmcnt(17)
	v_fma_f64 v[117:118], v[147:148], v[119:120], v[117:118]
	buffer_load_dword v126, off, s[0:3], 0 offset:236
	buffer_load_dword v141, off, s[0:3], 0 offset:256
	;; [unrolled: 1-line block ×7, first 2 shown]
	s_waitcnt vmcnt(23) lgkmcnt(0)
	v_fma_f64 v[117:118], v[127:128], v[121:122], v[117:118]
	s_waitcnt vmcnt(18)
	v_fma_f64 v[127:128], v[129:130], v[123:124], v[117:118]
	ds_read_b128 v[117:120], v116 offset:640
	ds_read_b128 v[121:124], v116 offset:656
	buffer_load_dword v142, off, s[0:3], 0 offset:260
	s_waitcnt vmcnt(18) lgkmcnt(1)
	v_fma_f64 v[117:118], v[135:136], v[117:118], v[127:128]
	s_waitcnt vmcnt(17)
	v_fma_f64 v[117:118], v[133:134], v[119:120], v[117:118]
	buffer_load_dword v128, off, s[0:3], 0 offset:268
	buffer_load_dword v129, off, s[0:3], 0 offset:288
	;; [unrolled: 1-line block ×7, first 2 shown]
	s_waitcnt vmcnt(23) lgkmcnt(0)
	v_fma_f64 v[117:118], v[131:132], v[121:122], v[117:118]
	s_waitcnt vmcnt(18)
	v_fma_f64 v[130:131], v[137:138], v[123:124], v[117:118]
	ds_read_b128 v[117:120], v116 offset:672
	ds_read_b128 v[121:124], v116 offset:688
	s_waitcnt vmcnt(17) lgkmcnt(1)
	v_fma_f64 v[117:118], v[145:146], v[117:118], v[130:131]
	buffer_load_dword v130, off, s[0:3], 0 offset:292
	s_waitcnt vmcnt(17)
	v_fma_f64 v[117:118], v[143:144], v[119:120], v[117:118]
	buffer_load_dword v132, off, s[0:3], 0 offset:300
	buffer_load_dword v137, off, s[0:3], 0 offset:320
	;; [unrolled: 1-line block ×8, first 2 shown]
	s_waitcnt vmcnt(24) lgkmcnt(0)
	v_fma_f64 v[117:118], v[139:140], v[121:122], v[117:118]
	s_waitcnt vmcnt(19)
	v_fma_f64 v[125:126], v[125:126], v[123:124], v[117:118]
	ds_read_b128 v[117:120], v116 offset:704
	ds_read_b128 v[121:124], v116 offset:720
	s_waitcnt vmcnt(18) lgkmcnt(1)
	v_fma_f64 v[117:118], v[149:150], v[117:118], v[125:126]
	s_waitcnt vmcnt(17)
	v_fma_f64 v[117:118], v[147:148], v[119:120], v[117:118]
	buffer_load_dword v126, off, s[0:3], 0 offset:332
	buffer_load_dword v139, off, s[0:3], 0 offset:352
	;; [unrolled: 1-line block ×7, first 2 shown]
	s_waitcnt vmcnt(23) lgkmcnt(0)
	v_fma_f64 v[117:118], v[141:142], v[121:122], v[117:118]
	s_waitcnt vmcnt(18)
	v_fma_f64 v[127:128], v[127:128], v[123:124], v[117:118]
	ds_read_b128 v[117:120], v116 offset:736
	ds_read_b128 v[121:124], v116 offset:752
	buffer_load_dword v140, off, s[0:3], 0 offset:356
	s_waitcnt vmcnt(18) lgkmcnt(1)
	v_fma_f64 v[117:118], v[135:136], v[117:118], v[127:128]
	s_waitcnt vmcnt(17)
	v_fma_f64 v[117:118], v[133:134], v[119:120], v[117:118]
	buffer_load_dword v128, off, s[0:3], 0 offset:364
	buffer_load_dword v133, off, s[0:3], 0 offset:384
	buffer_load_dword v135, off, s[0:3], 0 offset:376
	buffer_load_dword v141, off, s[0:3], 0 offset:368
	buffer_load_dword v127, off, s[0:3], 0 offset:360
	buffer_load_dword v142, off, s[0:3], 0 offset:372
	buffer_load_dword v136, off, s[0:3], 0 offset:380
	buffer_load_dword v134, off, s[0:3], 0 offset:388
	s_waitcnt vmcnt(24) lgkmcnt(0)
	v_fma_f64 v[117:118], v[129:130], v[121:122], v[117:118]
	s_waitcnt vmcnt(19)
	v_fma_f64 v[129:130], v[131:132], v[123:124], v[117:118]
	ds_read_b128 v[117:120], v116 offset:768
	ds_read_b128 v[121:124], v116 offset:784
	s_waitcnt vmcnt(18) lgkmcnt(1)
	v_fma_f64 v[117:118], v[145:146], v[117:118], v[129:130]
	s_waitcnt vmcnt(17)
	v_fma_f64 v[117:118], v[143:144], v[119:120], v[117:118]
	buffer_load_dword v130, off, s[0:3], 0 offset:396
	buffer_load_dword v131, off, s[0:3], 0 offset:416
	buffer_load_dword v143, off, s[0:3], 0 offset:408
	buffer_load_dword v145, off, s[0:3], 0 offset:400
	buffer_load_dword v129, off, s[0:3], 0 offset:392
	buffer_load_dword v146, off, s[0:3], 0 offset:404
	buffer_load_dword v144, off, s[0:3], 0 offset:412
	buffer_load_dword v132, off, s[0:3], 0 offset:420
	s_waitcnt vmcnt(24) lgkmcnt(0)
	v_fma_f64 v[117:118], v[137:138], v[121:122], v[117:118]
	s_waitcnt vmcnt(19)
	v_fma_f64 v[125:126], v[125:126], v[123:124], v[117:118]
	ds_read_b128 v[117:120], v116 offset:800
	ds_read_b128 v[121:124], v116 offset:816
	;; [unrolled: 18-line block ×3, first 2 shown]
	s_waitcnt vmcnt(18) lgkmcnt(1)
	v_fma_f64 v[117:118], v[141:142], v[117:118], v[127:128]
	buffer_load_dword v127, off, s[0:3], 0 offset:40
	buffer_load_dword v128, off, s[0:3], 0 offset:44
	s_waitcnt vmcnt(19)
	v_fma_f64 v[117:118], v[135:136], v[119:120], v[117:118]
	s_waitcnt vmcnt(18) lgkmcnt(0)
	v_fma_f64 v[117:118], v[133:134], v[121:122], v[117:118]
	s_waitcnt vmcnt(13)
	v_fma_f64 v[129:130], v[129:130], v[123:124], v[117:118]
	ds_read_b128 v[117:120], v116 offset:864
	ds_read_b128 v[121:124], v116 offset:880
	s_waitcnt vmcnt(12) lgkmcnt(1)
	v_fma_f64 v[117:118], v[145:146], v[117:118], v[129:130]
	s_waitcnt vmcnt(11)
	v_fma_f64 v[117:118], v[143:144], v[119:120], v[117:118]
	s_waitcnt vmcnt(10) lgkmcnt(0)
	v_fma_f64 v[117:118], v[131:132], v[121:122], v[117:118]
	s_waitcnt vmcnt(5)
	v_fma_f64 v[121:122], v[125:126], v[123:124], v[117:118]
	ds_read_b128 v[117:120], v116 offset:896
	ds_read_b64 v[123:124], v116 offset:912
	s_waitcnt vmcnt(4) lgkmcnt(1)
	v_fma_f64 v[117:118], v[149:150], v[117:118], v[121:122]
	s_waitcnt vmcnt(3)
	v_fma_f64 v[117:118], v[147:148], v[119:120], v[117:118]
	s_waitcnt vmcnt(2) lgkmcnt(0)
	v_fma_f64 v[117:118], v[137:138], v[123:124], v[117:118]
	s_waitcnt vmcnt(0)
	v_add_f64 v[117:118], v[127:128], -v[117:118]
	buffer_store_dword v118, off, s[0:3], 0 offset:44
	buffer_store_dword v117, off, s[0:3], 0 offset:40
	s_and_saveexec_b64 s[4:5], vcc
	s_cbranch_execz .LBB120_341
; %bb.340:
	buffer_load_dword v117, off, s[0:3], 0 offset:32
	buffer_load_dword v118, off, s[0:3], 0 offset:36
	s_waitcnt vmcnt(0)
	ds_write_b64 v115, v[117:118]
	buffer_store_dword v116, off, s[0:3], 0 offset:32
	buffer_store_dword v116, off, s[0:3], 0 offset:36
.LBB120_341:
	s_or_b64 exec, exec, s[4:5]
	s_waitcnt lgkmcnt(0)
	; wave barrier
	buffer_load_dword v125, off, s[0:3], 0 offset:40
	buffer_load_dword v126, off, s[0:3], 0 offset:44
	;; [unrolled: 1-line block ×22, first 2 shown]
	ds_read2_b64 v[117:120], v116 offset0:63 offset1:64
	ds_read2_b64 v[121:124], v116 offset0:65 offset1:66
	v_cmp_lt_u32_e32 vcc, 3, v0
	s_waitcnt vmcnt(20) lgkmcnt(1)
	v_fma_f64 v[117:118], v[125:126], v[117:118], 0
	s_waitcnt vmcnt(18)
	v_fma_f64 v[117:118], v[127:128], v[119:120], v[117:118]
	buffer_load_dword v126, off, s[0:3], 0 offset:132
	buffer_load_dword v127, off, s[0:3], 0 offset:152
	;; [unrolled: 1-line block ×7, first 2 shown]
	s_waitcnt vmcnt(23) lgkmcnt(0)
	v_fma_f64 v[117:118], v[129:130], v[121:122], v[117:118]
	s_waitcnt vmcnt(21)
	v_fma_f64 v[128:129], v[131:132], v[123:124], v[117:118]
	ds_read2_b64 v[117:120], v116 offset0:67 offset1:68
	ds_read2_b64 v[121:124], v116 offset0:69 offset1:70
	s_waitcnt vmcnt(19) lgkmcnt(1)
	v_fma_f64 v[117:118], v[133:134], v[117:118], v[128:129]
	buffer_load_dword v128, off, s[0:3], 0 offset:156
	s_waitcnt vmcnt(18)
	v_fma_f64 v[117:118], v[135:136], v[119:120], v[117:118]
	buffer_load_dword v130, off, s[0:3], 0 offset:164
	buffer_load_dword v131, off, s[0:3], 0 offset:184
	;; [unrolled: 1-line block ×8, first 2 shown]
	s_waitcnt vmcnt(24) lgkmcnt(0)
	v_fma_f64 v[117:118], v[137:138], v[121:122], v[117:118]
	s_waitcnt vmcnt(19)
	v_fma_f64 v[137:138], v[139:140], v[123:124], v[117:118]
	ds_read2_b64 v[117:120], v116 offset0:71 offset1:72
	ds_read2_b64 v[121:124], v116 offset0:73 offset1:74
	s_waitcnt vmcnt(18) lgkmcnt(1)
	v_fma_f64 v[117:118], v[145:146], v[117:118], v[137:138]
	s_waitcnt vmcnt(17)
	v_fma_f64 v[117:118], v[143:144], v[119:120], v[117:118]
	buffer_load_dword v138, off, s[0:3], 0 offset:196
	buffer_load_dword v139, off, s[0:3], 0 offset:216
	;; [unrolled: 1-line block ×8, first 2 shown]
	s_waitcnt vmcnt(24) lgkmcnt(0)
	v_fma_f64 v[117:118], v[141:142], v[121:122], v[117:118]
	s_waitcnt vmcnt(19)
	v_fma_f64 v[125:126], v[125:126], v[123:124], v[117:118]
	ds_read2_b64 v[117:120], v116 offset0:75 offset1:76
	ds_read2_b64 v[121:124], v116 offset0:77 offset1:78
	s_waitcnt vmcnt(18) lgkmcnt(1)
	v_fma_f64 v[117:118], v[149:150], v[117:118], v[125:126]
	s_waitcnt vmcnt(17)
	v_fma_f64 v[117:118], v[147:148], v[119:120], v[117:118]
	buffer_load_dword v126, off, s[0:3], 0 offset:228
	buffer_load_dword v141, off, s[0:3], 0 offset:248
	;; [unrolled: 1-line block ×7, first 2 shown]
	s_waitcnt vmcnt(23) lgkmcnt(0)
	v_fma_f64 v[117:118], v[127:128], v[121:122], v[117:118]
	s_waitcnt vmcnt(18)
	v_fma_f64 v[127:128], v[129:130], v[123:124], v[117:118]
	ds_read2_b64 v[117:120], v116 offset0:79 offset1:80
	ds_read2_b64 v[121:124], v116 offset0:81 offset1:82
	buffer_load_dword v142, off, s[0:3], 0 offset:252
	s_waitcnt vmcnt(18) lgkmcnt(1)
	v_fma_f64 v[117:118], v[135:136], v[117:118], v[127:128]
	s_waitcnt vmcnt(17)
	v_fma_f64 v[117:118], v[133:134], v[119:120], v[117:118]
	buffer_load_dword v128, off, s[0:3], 0 offset:260
	buffer_load_dword v129, off, s[0:3], 0 offset:280
	;; [unrolled: 1-line block ×7, first 2 shown]
	s_waitcnt vmcnt(23) lgkmcnt(0)
	v_fma_f64 v[117:118], v[131:132], v[121:122], v[117:118]
	s_waitcnt vmcnt(18)
	v_fma_f64 v[130:131], v[137:138], v[123:124], v[117:118]
	ds_read2_b64 v[117:120], v116 offset0:83 offset1:84
	ds_read2_b64 v[121:124], v116 offset0:85 offset1:86
	s_waitcnt vmcnt(17) lgkmcnt(1)
	v_fma_f64 v[117:118], v[145:146], v[117:118], v[130:131]
	buffer_load_dword v130, off, s[0:3], 0 offset:284
	s_waitcnt vmcnt(17)
	v_fma_f64 v[117:118], v[143:144], v[119:120], v[117:118]
	buffer_load_dword v132, off, s[0:3], 0 offset:292
	buffer_load_dword v137, off, s[0:3], 0 offset:312
	;; [unrolled: 1-line block ×8, first 2 shown]
	s_waitcnt vmcnt(24) lgkmcnt(0)
	v_fma_f64 v[117:118], v[139:140], v[121:122], v[117:118]
	s_waitcnt vmcnt(19)
	v_fma_f64 v[125:126], v[125:126], v[123:124], v[117:118]
	ds_read2_b64 v[117:120], v116 offset0:87 offset1:88
	ds_read2_b64 v[121:124], v116 offset0:89 offset1:90
	s_waitcnt vmcnt(18) lgkmcnt(1)
	v_fma_f64 v[117:118], v[149:150], v[117:118], v[125:126]
	s_waitcnt vmcnt(17)
	v_fma_f64 v[117:118], v[147:148], v[119:120], v[117:118]
	buffer_load_dword v126, off, s[0:3], 0 offset:324
	buffer_load_dword v139, off, s[0:3], 0 offset:344
	buffer_load_dword v147, off, s[0:3], 0 offset:336
	buffer_load_dword v149, off, s[0:3], 0 offset:328
	buffer_load_dword v125, off, s[0:3], 0 offset:320
	buffer_load_dword v150, off, s[0:3], 0 offset:332
	buffer_load_dword v148, off, s[0:3], 0 offset:340
	s_waitcnt vmcnt(23) lgkmcnt(0)
	v_fma_f64 v[117:118], v[141:142], v[121:122], v[117:118]
	s_waitcnt vmcnt(18)
	v_fma_f64 v[127:128], v[127:128], v[123:124], v[117:118]
	ds_read2_b64 v[117:120], v116 offset0:91 offset1:92
	ds_read2_b64 v[121:124], v116 offset0:93 offset1:94
	buffer_load_dword v140, off, s[0:3], 0 offset:348
	s_waitcnt vmcnt(18) lgkmcnt(1)
	v_fma_f64 v[117:118], v[135:136], v[117:118], v[127:128]
	s_waitcnt vmcnt(17)
	v_fma_f64 v[117:118], v[133:134], v[119:120], v[117:118]
	buffer_load_dword v128, off, s[0:3], 0 offset:356
	buffer_load_dword v133, off, s[0:3], 0 offset:376
	buffer_load_dword v135, off, s[0:3], 0 offset:368
	buffer_load_dword v141, off, s[0:3], 0 offset:360
	buffer_load_dword v127, off, s[0:3], 0 offset:352
	buffer_load_dword v142, off, s[0:3], 0 offset:364
	buffer_load_dword v136, off, s[0:3], 0 offset:372
	buffer_load_dword v134, off, s[0:3], 0 offset:380
	s_waitcnt vmcnt(24) lgkmcnt(0)
	v_fma_f64 v[117:118], v[129:130], v[121:122], v[117:118]
	s_waitcnt vmcnt(19)
	v_fma_f64 v[129:130], v[131:132], v[123:124], v[117:118]
	ds_read2_b64 v[117:120], v116 offset0:95 offset1:96
	ds_read2_b64 v[121:124], v116 offset0:97 offset1:98
	s_waitcnt vmcnt(18) lgkmcnt(1)
	v_fma_f64 v[117:118], v[145:146], v[117:118], v[129:130]
	s_waitcnt vmcnt(17)
	v_fma_f64 v[117:118], v[143:144], v[119:120], v[117:118]
	buffer_load_dword v130, off, s[0:3], 0 offset:388
	buffer_load_dword v131, off, s[0:3], 0 offset:408
	buffer_load_dword v143, off, s[0:3], 0 offset:400
	buffer_load_dword v145, off, s[0:3], 0 offset:392
	buffer_load_dword v129, off, s[0:3], 0 offset:384
	buffer_load_dword v146, off, s[0:3], 0 offset:396
	buffer_load_dword v144, off, s[0:3], 0 offset:404
	buffer_load_dword v132, off, s[0:3], 0 offset:412
	s_waitcnt vmcnt(24) lgkmcnt(0)
	v_fma_f64 v[117:118], v[137:138], v[121:122], v[117:118]
	s_waitcnt vmcnt(19)
	v_fma_f64 v[125:126], v[125:126], v[123:124], v[117:118]
	ds_read2_b64 v[117:120], v116 offset0:99 offset1:100
	ds_read2_b64 v[121:124], v116 offset0:101 offset1:102
	;; [unrolled: 18-line block ×3, first 2 shown]
	s_waitcnt vmcnt(18) lgkmcnt(1)
	v_fma_f64 v[117:118], v[141:142], v[117:118], v[127:128]
	buffer_load_dword v128, off, s[0:3], 0 offset:452
	buffer_load_dword v127, off, s[0:3], 0 offset:448
	s_waitcnt vmcnt(19)
	v_fma_f64 v[117:118], v[135:136], v[119:120], v[117:118]
	buffer_load_dword v135, off, s[0:3], 0 offset:32
	buffer_load_dword v136, off, s[0:3], 0 offset:36
	s_waitcnt vmcnt(20) lgkmcnt(0)
	v_fma_f64 v[117:118], v[133:134], v[121:122], v[117:118]
	s_waitcnt vmcnt(15)
	v_fma_f64 v[129:130], v[129:130], v[123:124], v[117:118]
	ds_read2_b64 v[117:120], v116 offset0:107 offset1:108
	ds_read2_b64 v[121:124], v116 offset0:109 offset1:110
	s_waitcnt vmcnt(14) lgkmcnt(1)
	v_fma_f64 v[117:118], v[145:146], v[117:118], v[129:130]
	s_waitcnt vmcnt(13)
	v_fma_f64 v[117:118], v[143:144], v[119:120], v[117:118]
	s_waitcnt vmcnt(12) lgkmcnt(0)
	v_fma_f64 v[117:118], v[131:132], v[121:122], v[117:118]
	s_waitcnt vmcnt(7)
	v_fma_f64 v[125:126], v[125:126], v[123:124], v[117:118]
	ds_read2_b64 v[117:120], v116 offset0:111 offset1:112
	ds_read2_b64 v[121:124], v116 offset0:113 offset1:114
	s_waitcnt vmcnt(6) lgkmcnt(1)
	v_fma_f64 v[116:117], v[149:150], v[117:118], v[125:126]
	s_waitcnt vmcnt(5)
	v_fma_f64 v[116:117], v[147:148], v[119:120], v[116:117]
	s_waitcnt vmcnt(4) lgkmcnt(0)
	v_fma_f64 v[116:117], v[137:138], v[121:122], v[116:117]
	s_waitcnt vmcnt(2)
	v_fma_f64 v[116:117], v[127:128], v[123:124], v[116:117]
	s_waitcnt vmcnt(0)
	v_add_f64 v[116:117], v[135:136], -v[116:117]
	buffer_store_dword v117, off, s[0:3], 0 offset:36
	buffer_store_dword v116, off, s[0:3], 0 offset:32
	s_and_saveexec_b64 s[4:5], vcc
	s_cbranch_execz .LBB120_343
; %bb.342:
	buffer_load_dword v116, off, s[0:3], 0 offset:24
	buffer_load_dword v117, off, s[0:3], 0 offset:28
	v_mov_b32_e32 v118, 0
	buffer_store_dword v118, off, s[0:3], 0 offset:24
	buffer_store_dword v118, off, s[0:3], 0 offset:28
	s_waitcnt vmcnt(2)
	ds_write_b64 v115, v[116:117]
.LBB120_343:
	s_or_b64 exec, exec, s[4:5]
	s_waitcnt lgkmcnt(0)
	; wave barrier
	buffer_load_dword v125, off, s[0:3], 0 offset:32
	buffer_load_dword v126, off, s[0:3], 0 offset:36
	;; [unrolled: 1-line block ×22, first 2 shown]
	v_mov_b32_e32 v116, 0
	ds_read_b128 v[117:120], v116 offset:496
	ds_read_b128 v[121:124], v116 offset:512
	v_cmp_lt_u32_e32 vcc, 2, v0
	s_waitcnt vmcnt(20) lgkmcnt(1)
	v_fma_f64 v[117:118], v[125:126], v[117:118], 0
	s_waitcnt vmcnt(18)
	v_fma_f64 v[117:118], v[127:128], v[119:120], v[117:118]
	buffer_load_dword v126, off, s[0:3], 0 offset:124
	buffer_load_dword v127, off, s[0:3], 0 offset:144
	;; [unrolled: 1-line block ×7, first 2 shown]
	s_waitcnt vmcnt(23) lgkmcnt(0)
	v_fma_f64 v[117:118], v[129:130], v[121:122], v[117:118]
	s_waitcnt vmcnt(21)
	v_fma_f64 v[128:129], v[131:132], v[123:124], v[117:118]
	ds_read_b128 v[117:120], v116 offset:528
	ds_read_b128 v[121:124], v116 offset:544
	s_waitcnt vmcnt(19) lgkmcnt(1)
	v_fma_f64 v[117:118], v[133:134], v[117:118], v[128:129]
	buffer_load_dword v128, off, s[0:3], 0 offset:148
	s_waitcnt vmcnt(18)
	v_fma_f64 v[117:118], v[135:136], v[119:120], v[117:118]
	buffer_load_dword v130, off, s[0:3], 0 offset:156
	buffer_load_dword v131, off, s[0:3], 0 offset:176
	;; [unrolled: 1-line block ×7, first 2 shown]
	s_waitcnt vmcnt(23) lgkmcnt(0)
	v_fma_f64 v[117:118], v[137:138], v[121:122], v[117:118]
	s_waitcnt vmcnt(18)
	v_fma_f64 v[137:138], v[139:140], v[123:124], v[117:118]
	ds_read_b128 v[117:120], v116 offset:560
	ds_read_b128 v[121:124], v116 offset:576
	buffer_load_dword v132, off, s[0:3], 0 offset:180
	s_waitcnt vmcnt(18) lgkmcnt(1)
	v_fma_f64 v[117:118], v[145:146], v[117:118], v[137:138]
	s_waitcnt vmcnt(17)
	v_fma_f64 v[117:118], v[143:144], v[119:120], v[117:118]
	buffer_load_dword v138, off, s[0:3], 0 offset:188
	buffer_load_dword v139, off, s[0:3], 0 offset:208
	buffer_load_dword v143, off, s[0:3], 0 offset:200
	buffer_load_dword v145, off, s[0:3], 0 offset:192
	buffer_load_dword v137, off, s[0:3], 0 offset:184
	buffer_load_dword v146, off, s[0:3], 0 offset:196
	buffer_load_dword v144, off, s[0:3], 0 offset:204
	buffer_load_dword v140, off, s[0:3], 0 offset:212
	s_waitcnt vmcnt(24) lgkmcnt(0)
	v_fma_f64 v[117:118], v[141:142], v[121:122], v[117:118]
	s_waitcnt vmcnt(19)
	v_fma_f64 v[125:126], v[125:126], v[123:124], v[117:118]
	ds_read_b128 v[117:120], v116 offset:592
	ds_read_b128 v[121:124], v116 offset:608
	s_waitcnt vmcnt(18) lgkmcnt(1)
	v_fma_f64 v[117:118], v[149:150], v[117:118], v[125:126]
	s_waitcnt vmcnt(17)
	v_fma_f64 v[117:118], v[147:148], v[119:120], v[117:118]
	buffer_load_dword v126, off, s[0:3], 0 offset:220
	buffer_load_dword v141, off, s[0:3], 0 offset:240
	;; [unrolled: 1-line block ×7, first 2 shown]
	s_waitcnt vmcnt(23) lgkmcnt(0)
	v_fma_f64 v[117:118], v[127:128], v[121:122], v[117:118]
	s_waitcnt vmcnt(18)
	v_fma_f64 v[127:128], v[129:130], v[123:124], v[117:118]
	ds_read_b128 v[117:120], v116 offset:624
	ds_read_b128 v[121:124], v116 offset:640
	buffer_load_dword v142, off, s[0:3], 0 offset:244
	s_waitcnt vmcnt(18) lgkmcnt(1)
	v_fma_f64 v[117:118], v[135:136], v[117:118], v[127:128]
	s_waitcnt vmcnt(17)
	v_fma_f64 v[117:118], v[133:134], v[119:120], v[117:118]
	buffer_load_dword v128, off, s[0:3], 0 offset:252
	buffer_load_dword v129, off, s[0:3], 0 offset:272
	;; [unrolled: 1-line block ×7, first 2 shown]
	s_waitcnt vmcnt(23) lgkmcnt(0)
	v_fma_f64 v[117:118], v[131:132], v[121:122], v[117:118]
	s_waitcnt vmcnt(18)
	v_fma_f64 v[130:131], v[137:138], v[123:124], v[117:118]
	ds_read_b128 v[117:120], v116 offset:656
	ds_read_b128 v[121:124], v116 offset:672
	s_waitcnt vmcnt(17) lgkmcnt(1)
	v_fma_f64 v[117:118], v[145:146], v[117:118], v[130:131]
	buffer_load_dword v130, off, s[0:3], 0 offset:276
	s_waitcnt vmcnt(17)
	v_fma_f64 v[117:118], v[143:144], v[119:120], v[117:118]
	buffer_load_dword v132, off, s[0:3], 0 offset:284
	buffer_load_dword v137, off, s[0:3], 0 offset:304
	;; [unrolled: 1-line block ×8, first 2 shown]
	s_waitcnt vmcnt(24) lgkmcnt(0)
	v_fma_f64 v[117:118], v[139:140], v[121:122], v[117:118]
	s_waitcnt vmcnt(19)
	v_fma_f64 v[125:126], v[125:126], v[123:124], v[117:118]
	ds_read_b128 v[117:120], v116 offset:688
	ds_read_b128 v[121:124], v116 offset:704
	s_waitcnt vmcnt(18) lgkmcnt(1)
	v_fma_f64 v[117:118], v[149:150], v[117:118], v[125:126]
	s_waitcnt vmcnt(17)
	v_fma_f64 v[117:118], v[147:148], v[119:120], v[117:118]
	buffer_load_dword v126, off, s[0:3], 0 offset:316
	buffer_load_dword v139, off, s[0:3], 0 offset:336
	;; [unrolled: 1-line block ×7, first 2 shown]
	s_waitcnt vmcnt(23) lgkmcnt(0)
	v_fma_f64 v[117:118], v[141:142], v[121:122], v[117:118]
	s_waitcnt vmcnt(18)
	v_fma_f64 v[127:128], v[127:128], v[123:124], v[117:118]
	ds_read_b128 v[117:120], v116 offset:720
	ds_read_b128 v[121:124], v116 offset:736
	buffer_load_dword v140, off, s[0:3], 0 offset:340
	s_waitcnt vmcnt(18) lgkmcnt(1)
	v_fma_f64 v[117:118], v[135:136], v[117:118], v[127:128]
	s_waitcnt vmcnt(17)
	v_fma_f64 v[117:118], v[133:134], v[119:120], v[117:118]
	buffer_load_dword v128, off, s[0:3], 0 offset:348
	buffer_load_dword v133, off, s[0:3], 0 offset:368
	buffer_load_dword v135, off, s[0:3], 0 offset:360
	buffer_load_dword v141, off, s[0:3], 0 offset:352
	buffer_load_dword v127, off, s[0:3], 0 offset:344
	buffer_load_dword v142, off, s[0:3], 0 offset:356
	buffer_load_dword v136, off, s[0:3], 0 offset:364
	s_waitcnt vmcnt(23) lgkmcnt(0)
	v_fma_f64 v[117:118], v[129:130], v[121:122], v[117:118]
	s_waitcnt vmcnt(18)
	v_fma_f64 v[129:130], v[131:132], v[123:124], v[117:118]
	ds_read_b128 v[117:120], v116 offset:752
	ds_read_b128 v[121:124], v116 offset:768
	buffer_load_dword v134, off, s[0:3], 0 offset:372
	s_waitcnt vmcnt(18) lgkmcnt(1)
	v_fma_f64 v[117:118], v[145:146], v[117:118], v[129:130]
	s_waitcnt vmcnt(17)
	v_fma_f64 v[117:118], v[143:144], v[119:120], v[117:118]
	buffer_load_dword v130, off, s[0:3], 0 offset:380
	buffer_load_dword v131, off, s[0:3], 0 offset:400
	;; [unrolled: 1-line block ×8, first 2 shown]
	s_waitcnt vmcnt(24) lgkmcnt(0)
	v_fma_f64 v[117:118], v[137:138], v[121:122], v[117:118]
	s_waitcnt vmcnt(19)
	v_fma_f64 v[125:126], v[125:126], v[123:124], v[117:118]
	ds_read_b128 v[117:120], v116 offset:784
	ds_read_b128 v[121:124], v116 offset:800
	s_waitcnt vmcnt(18) lgkmcnt(1)
	v_fma_f64 v[117:118], v[149:150], v[117:118], v[125:126]
	s_waitcnt vmcnt(17)
	v_fma_f64 v[117:118], v[147:148], v[119:120], v[117:118]
	buffer_load_dword v126, off, s[0:3], 0 offset:412
	buffer_load_dword v137, off, s[0:3], 0 offset:432
	;; [unrolled: 1-line block ×7, first 2 shown]
	s_waitcnt vmcnt(23) lgkmcnt(0)
	v_fma_f64 v[117:118], v[139:140], v[121:122], v[117:118]
	s_waitcnt vmcnt(18)
	v_fma_f64 v[127:128], v[127:128], v[123:124], v[117:118]
	ds_read_b128 v[117:120], v116 offset:816
	ds_read_b128 v[121:124], v116 offset:832
	buffer_load_dword v138, off, s[0:3], 0 offset:436
	s_waitcnt vmcnt(18) lgkmcnt(1)
	v_fma_f64 v[117:118], v[141:142], v[117:118], v[127:128]
	s_waitcnt vmcnt(17)
	v_fma_f64 v[117:118], v[135:136], v[119:120], v[117:118]
	buffer_load_dword v128, off, s[0:3], 0 offset:444
	buffer_load_dword v135, off, s[0:3], 0 offset:448
	;; [unrolled: 1-line block ×4, first 2 shown]
	s_waitcnt vmcnt(20) lgkmcnt(0)
	v_fma_f64 v[117:118], v[133:134], v[121:122], v[117:118]
	buffer_load_dword v133, off, s[0:3], 0 offset:24
	buffer_load_dword v134, off, s[0:3], 0 offset:28
	s_waitcnt vmcnt(17)
	v_fma_f64 v[129:130], v[129:130], v[123:124], v[117:118]
	ds_read_b128 v[117:120], v116 offset:848
	ds_read_b128 v[121:124], v116 offset:864
	s_waitcnt vmcnt(16) lgkmcnt(1)
	v_fma_f64 v[117:118], v[145:146], v[117:118], v[129:130]
	s_waitcnt vmcnt(15)
	v_fma_f64 v[117:118], v[143:144], v[119:120], v[117:118]
	s_waitcnt vmcnt(14) lgkmcnt(0)
	v_fma_f64 v[117:118], v[131:132], v[121:122], v[117:118]
	s_waitcnt vmcnt(9)
	v_fma_f64 v[125:126], v[125:126], v[123:124], v[117:118]
	ds_read_b128 v[117:120], v116 offset:880
	ds_read_b128 v[121:124], v116 offset:896
	s_waitcnt vmcnt(8) lgkmcnt(1)
	v_fma_f64 v[117:118], v[149:150], v[117:118], v[125:126]
	s_waitcnt vmcnt(7)
	v_fma_f64 v[117:118], v[147:148], v[119:120], v[117:118]
	ds_read_b64 v[119:120], v116 offset:912
	s_waitcnt vmcnt(6) lgkmcnt(1)
	v_fma_f64 v[117:118], v[137:138], v[121:122], v[117:118]
	s_waitcnt vmcnt(3)
	v_fma_f64 v[117:118], v[127:128], v[123:124], v[117:118]
	s_waitcnt vmcnt(2) lgkmcnt(0)
	v_fma_f64 v[117:118], v[135:136], v[119:120], v[117:118]
	s_waitcnt vmcnt(0)
	v_add_f64 v[117:118], v[133:134], -v[117:118]
	buffer_store_dword v118, off, s[0:3], 0 offset:28
	buffer_store_dword v117, off, s[0:3], 0 offset:24
	s_and_saveexec_b64 s[4:5], vcc
	s_cbranch_execz .LBB120_345
; %bb.344:
	buffer_load_dword v117, off, s[0:3], 0 offset:16
	buffer_load_dword v118, off, s[0:3], 0 offset:20
	s_waitcnt vmcnt(0)
	ds_write_b64 v115, v[117:118]
	buffer_store_dword v116, off, s[0:3], 0 offset:16
	buffer_store_dword v116, off, s[0:3], 0 offset:20
.LBB120_345:
	s_or_b64 exec, exec, s[4:5]
	s_waitcnt lgkmcnt(0)
	; wave barrier
	buffer_load_dword v125, off, s[0:3], 0 offset:24
	buffer_load_dword v126, off, s[0:3], 0 offset:28
	buffer_load_dword v127, off, s[0:3], 0 offset:32
	buffer_load_dword v128, off, s[0:3], 0 offset:36
	buffer_load_dword v129, off, s[0:3], 0 offset:40
	buffer_load_dword v130, off, s[0:3], 0 offset:44
	buffer_load_dword v131, off, s[0:3], 0 offset:48
	buffer_load_dword v132, off, s[0:3], 0 offset:52
	buffer_load_dword v133, off, s[0:3], 0 offset:56
	buffer_load_dword v134, off, s[0:3], 0 offset:60
	buffer_load_dword v135, off, s[0:3], 0 offset:64
	buffer_load_dword v136, off, s[0:3], 0 offset:68
	buffer_load_dword v137, off, s[0:3], 0 offset:72
	buffer_load_dword v138, off, s[0:3], 0 offset:76
	buffer_load_dword v140, off, s[0:3], 0 offset:84
	buffer_load_dword v141, off, s[0:3], 0 offset:104
	buffer_load_dword v143, off, s[0:3], 0 offset:96
	buffer_load_dword v145, off, s[0:3], 0 offset:88
	buffer_load_dword v139, off, s[0:3], 0 offset:80
	buffer_load_dword v146, off, s[0:3], 0 offset:92
	buffer_load_dword v144, off, s[0:3], 0 offset:100
	buffer_load_dword v142, off, s[0:3], 0 offset:108
	ds_read2_b64 v[117:120], v116 offset0:61 offset1:62
	ds_read2_b64 v[121:124], v116 offset0:63 offset1:64
	v_cmp_lt_u32_e32 vcc, 1, v0
	s_waitcnt vmcnt(20) lgkmcnt(1)
	v_fma_f64 v[117:118], v[125:126], v[117:118], 0
	s_waitcnt vmcnt(18)
	v_fma_f64 v[117:118], v[127:128], v[119:120], v[117:118]
	buffer_load_dword v126, off, s[0:3], 0 offset:116
	buffer_load_dword v127, off, s[0:3], 0 offset:136
	;; [unrolled: 1-line block ×7, first 2 shown]
	s_waitcnt vmcnt(23) lgkmcnt(0)
	v_fma_f64 v[117:118], v[129:130], v[121:122], v[117:118]
	s_waitcnt vmcnt(21)
	v_fma_f64 v[128:129], v[131:132], v[123:124], v[117:118]
	ds_read2_b64 v[117:120], v116 offset0:65 offset1:66
	ds_read2_b64 v[121:124], v116 offset0:67 offset1:68
	s_waitcnt vmcnt(19) lgkmcnt(1)
	v_fma_f64 v[117:118], v[133:134], v[117:118], v[128:129]
	buffer_load_dword v128, off, s[0:3], 0 offset:140
	s_waitcnt vmcnt(18)
	v_fma_f64 v[117:118], v[135:136], v[119:120], v[117:118]
	buffer_load_dword v130, off, s[0:3], 0 offset:148
	buffer_load_dword v131, off, s[0:3], 0 offset:168
	;; [unrolled: 1-line block ×7, first 2 shown]
	s_waitcnt vmcnt(23) lgkmcnt(0)
	v_fma_f64 v[117:118], v[137:138], v[121:122], v[117:118]
	s_waitcnt vmcnt(18)
	v_fma_f64 v[137:138], v[139:140], v[123:124], v[117:118]
	ds_read2_b64 v[117:120], v116 offset0:69 offset1:70
	ds_read2_b64 v[121:124], v116 offset0:71 offset1:72
	buffer_load_dword v132, off, s[0:3], 0 offset:172
	s_waitcnt vmcnt(18) lgkmcnt(1)
	v_fma_f64 v[117:118], v[145:146], v[117:118], v[137:138]
	s_waitcnt vmcnt(17)
	v_fma_f64 v[117:118], v[143:144], v[119:120], v[117:118]
	buffer_load_dword v138, off, s[0:3], 0 offset:180
	buffer_load_dword v139, off, s[0:3], 0 offset:200
	;; [unrolled: 1-line block ×8, first 2 shown]
	s_waitcnt vmcnt(24) lgkmcnt(0)
	v_fma_f64 v[117:118], v[141:142], v[121:122], v[117:118]
	s_waitcnt vmcnt(19)
	v_fma_f64 v[125:126], v[125:126], v[123:124], v[117:118]
	ds_read2_b64 v[117:120], v116 offset0:73 offset1:74
	ds_read2_b64 v[121:124], v116 offset0:75 offset1:76
	s_waitcnt vmcnt(18) lgkmcnt(1)
	v_fma_f64 v[117:118], v[149:150], v[117:118], v[125:126]
	s_waitcnt vmcnt(17)
	v_fma_f64 v[117:118], v[147:148], v[119:120], v[117:118]
	buffer_load_dword v126, off, s[0:3], 0 offset:212
	buffer_load_dword v141, off, s[0:3], 0 offset:232
	;; [unrolled: 1-line block ×8, first 2 shown]
	s_waitcnt vmcnt(24) lgkmcnt(0)
	v_fma_f64 v[117:118], v[127:128], v[121:122], v[117:118]
	s_waitcnt vmcnt(19)
	v_fma_f64 v[127:128], v[129:130], v[123:124], v[117:118]
	ds_read2_b64 v[117:120], v116 offset0:77 offset1:78
	ds_read2_b64 v[121:124], v116 offset0:79 offset1:80
	s_waitcnt vmcnt(18) lgkmcnt(1)
	v_fma_f64 v[117:118], v[135:136], v[117:118], v[127:128]
	s_waitcnt vmcnt(17)
	v_fma_f64 v[117:118], v[133:134], v[119:120], v[117:118]
	buffer_load_dword v128, off, s[0:3], 0 offset:244
	buffer_load_dword v129, off, s[0:3], 0 offset:264
	;; [unrolled: 1-line block ×7, first 2 shown]
	s_waitcnt vmcnt(23) lgkmcnt(0)
	v_fma_f64 v[117:118], v[131:132], v[121:122], v[117:118]
	s_waitcnt vmcnt(18)
	v_fma_f64 v[130:131], v[137:138], v[123:124], v[117:118]
	ds_read2_b64 v[117:120], v116 offset0:81 offset1:82
	ds_read2_b64 v[121:124], v116 offset0:83 offset1:84
	s_waitcnt vmcnt(17) lgkmcnt(1)
	v_fma_f64 v[117:118], v[145:146], v[117:118], v[130:131]
	buffer_load_dword v130, off, s[0:3], 0 offset:268
	s_waitcnt vmcnt(17)
	v_fma_f64 v[117:118], v[143:144], v[119:120], v[117:118]
	buffer_load_dword v132, off, s[0:3], 0 offset:276
	buffer_load_dword v137, off, s[0:3], 0 offset:296
	;; [unrolled: 1-line block ×8, first 2 shown]
	s_waitcnt vmcnt(24) lgkmcnt(0)
	v_fma_f64 v[117:118], v[139:140], v[121:122], v[117:118]
	s_waitcnt vmcnt(19)
	v_fma_f64 v[125:126], v[125:126], v[123:124], v[117:118]
	ds_read2_b64 v[117:120], v116 offset0:85 offset1:86
	ds_read2_b64 v[121:124], v116 offset0:87 offset1:88
	s_waitcnt vmcnt(18) lgkmcnt(1)
	v_fma_f64 v[117:118], v[149:150], v[117:118], v[125:126]
	s_waitcnt vmcnt(17)
	v_fma_f64 v[117:118], v[147:148], v[119:120], v[117:118]
	buffer_load_dword v126, off, s[0:3], 0 offset:308
	buffer_load_dword v139, off, s[0:3], 0 offset:328
	;; [unrolled: 1-line block ×8, first 2 shown]
	s_waitcnt vmcnt(24) lgkmcnt(0)
	v_fma_f64 v[117:118], v[141:142], v[121:122], v[117:118]
	s_waitcnt vmcnt(19)
	v_fma_f64 v[127:128], v[127:128], v[123:124], v[117:118]
	ds_read2_b64 v[117:120], v116 offset0:89 offset1:90
	ds_read2_b64 v[121:124], v116 offset0:91 offset1:92
	s_waitcnt vmcnt(18) lgkmcnt(1)
	v_fma_f64 v[117:118], v[135:136], v[117:118], v[127:128]
	s_waitcnt vmcnt(17)
	v_fma_f64 v[117:118], v[133:134], v[119:120], v[117:118]
	buffer_load_dword v128, off, s[0:3], 0 offset:340
	buffer_load_dword v133, off, s[0:3], 0 offset:360
	;; [unrolled: 1-line block ×7, first 2 shown]
	s_waitcnt vmcnt(23) lgkmcnt(0)
	v_fma_f64 v[117:118], v[129:130], v[121:122], v[117:118]
	s_waitcnt vmcnt(18)
	v_fma_f64 v[129:130], v[131:132], v[123:124], v[117:118]
	ds_read2_b64 v[117:120], v116 offset0:93 offset1:94
	ds_read2_b64 v[121:124], v116 offset0:95 offset1:96
	buffer_load_dword v134, off, s[0:3], 0 offset:364
	s_waitcnt vmcnt(18) lgkmcnt(1)
	v_fma_f64 v[117:118], v[145:146], v[117:118], v[129:130]
	s_waitcnt vmcnt(17)
	v_fma_f64 v[117:118], v[143:144], v[119:120], v[117:118]
	buffer_load_dword v130, off, s[0:3], 0 offset:372
	buffer_load_dword v131, off, s[0:3], 0 offset:392
	;; [unrolled: 1-line block ×8, first 2 shown]
	s_waitcnt vmcnt(24) lgkmcnt(0)
	v_fma_f64 v[117:118], v[137:138], v[121:122], v[117:118]
	s_waitcnt vmcnt(19)
	v_fma_f64 v[125:126], v[125:126], v[123:124], v[117:118]
	ds_read2_b64 v[117:120], v116 offset0:97 offset1:98
	ds_read2_b64 v[121:124], v116 offset0:99 offset1:100
	s_waitcnt vmcnt(18) lgkmcnt(1)
	v_fma_f64 v[117:118], v[149:150], v[117:118], v[125:126]
	s_waitcnt vmcnt(17)
	v_fma_f64 v[117:118], v[147:148], v[119:120], v[117:118]
	buffer_load_dword v126, off, s[0:3], 0 offset:404
	buffer_load_dword v137, off, s[0:3], 0 offset:424
	;; [unrolled: 1-line block ×8, first 2 shown]
	s_waitcnt vmcnt(24) lgkmcnt(0)
	v_fma_f64 v[117:118], v[139:140], v[121:122], v[117:118]
	s_waitcnt vmcnt(19)
	v_fma_f64 v[127:128], v[127:128], v[123:124], v[117:118]
	ds_read2_b64 v[117:120], v116 offset0:101 offset1:102
	ds_read2_b64 v[121:124], v116 offset0:103 offset1:104
	s_waitcnt vmcnt(18) lgkmcnt(1)
	v_fma_f64 v[117:118], v[141:142], v[117:118], v[127:128]
	s_waitcnt vmcnt(17)
	v_fma_f64 v[117:118], v[135:136], v[119:120], v[117:118]
	buffer_load_dword v128, off, s[0:3], 0 offset:436
	buffer_load_dword v135, off, s[0:3], 0 offset:448
	;; [unrolled: 1-line block ×6, first 2 shown]
	s_waitcnt vmcnt(22) lgkmcnt(0)
	v_fma_f64 v[117:118], v[133:134], v[121:122], v[117:118]
	s_waitcnt vmcnt(17)
	v_fma_f64 v[129:130], v[129:130], v[123:124], v[117:118]
	ds_read2_b64 v[117:120], v116 offset0:105 offset1:106
	buffer_load_dword v133, off, s[0:3], 0 offset:16
	buffer_load_dword v134, off, s[0:3], 0 offset:20
	ds_read2_b64 v[121:124], v116 offset0:107 offset1:108
	s_waitcnt vmcnt(18) lgkmcnt(1)
	v_fma_f64 v[117:118], v[145:146], v[117:118], v[129:130]
	s_waitcnt vmcnt(17)
	v_fma_f64 v[117:118], v[143:144], v[119:120], v[117:118]
	s_waitcnt vmcnt(16) lgkmcnt(0)
	v_fma_f64 v[117:118], v[131:132], v[121:122], v[117:118]
	s_waitcnt vmcnt(11)
	v_fma_f64 v[125:126], v[125:126], v[123:124], v[117:118]
	ds_read2_b64 v[117:120], v116 offset0:109 offset1:110
	ds_read2_b64 v[121:124], v116 offset0:111 offset1:112
	s_waitcnt vmcnt(10) lgkmcnt(1)
	v_fma_f64 v[117:118], v[149:150], v[117:118], v[125:126]
	s_waitcnt vmcnt(9)
	v_fma_f64 v[117:118], v[147:148], v[119:120], v[117:118]
	s_waitcnt vmcnt(8) lgkmcnt(0)
	v_fma_f64 v[117:118], v[137:138], v[121:122], v[117:118]
	s_waitcnt vmcnt(4)
	v_fma_f64 v[120:121], v[127:128], v[123:124], v[117:118]
	ds_read2_b64 v[116:119], v116 offset0:113 offset1:114
	s_waitcnt vmcnt(3) lgkmcnt(0)
	v_fma_f64 v[116:117], v[139:140], v[116:117], v[120:121]
	s_waitcnt vmcnt(2)
	v_fma_f64 v[116:117], v[135:136], v[118:119], v[116:117]
	s_waitcnt vmcnt(0)
	v_add_f64 v[116:117], v[133:134], -v[116:117]
	buffer_store_dword v117, off, s[0:3], 0 offset:20
	buffer_store_dword v116, off, s[0:3], 0 offset:16
	s_and_saveexec_b64 s[4:5], vcc
	s_cbranch_execz .LBB120_347
; %bb.346:
	buffer_load_dword v116, off, s[0:3], 0 offset:8
	buffer_load_dword v117, off, s[0:3], 0 offset:12
	v_mov_b32_e32 v118, 0
	buffer_store_dword v118, off, s[0:3], 0 offset:8
	buffer_store_dword v118, off, s[0:3], 0 offset:12
	s_waitcnt vmcnt(2)
	ds_write_b64 v115, v[116:117]
.LBB120_347:
	s_or_b64 exec, exec, s[4:5]
	s_waitcnt lgkmcnt(0)
	; wave barrier
	buffer_load_dword v126, off, s[0:3], 0 offset:16
	buffer_load_dword v127, off, s[0:3], 0 offset:20
	;; [unrolled: 1-line block ×22, first 2 shown]
	v_mov_b32_e32 v117, 0
	ds_read_b128 v[118:121], v117 offset:480
	ds_read_b128 v[122:125], v117 offset:496
	v_cmp_ne_u32_e32 vcc, 0, v0
	s_waitcnt vmcnt(20) lgkmcnt(1)
	v_fma_f64 v[118:119], v[126:127], v[118:119], 0
	s_waitcnt vmcnt(18)
	v_fma_f64 v[118:119], v[128:129], v[120:121], v[118:119]
	buffer_load_dword v127, off, s[0:3], 0 offset:108
	buffer_load_dword v128, off, s[0:3], 0 offset:128
	;; [unrolled: 1-line block ×7, first 2 shown]
	s_waitcnt vmcnt(23) lgkmcnt(0)
	v_fma_f64 v[118:119], v[130:131], v[122:123], v[118:119]
	s_waitcnt vmcnt(21)
	v_fma_f64 v[129:130], v[132:133], v[124:125], v[118:119]
	ds_read_b128 v[118:121], v117 offset:512
	ds_read_b128 v[122:125], v117 offset:528
	s_waitcnt vmcnt(19) lgkmcnt(1)
	v_fma_f64 v[118:119], v[134:135], v[118:119], v[129:130]
	buffer_load_dword v129, off, s[0:3], 0 offset:132
	s_waitcnt vmcnt(18)
	v_fma_f64 v[118:119], v[136:137], v[120:121], v[118:119]
	buffer_load_dword v131, off, s[0:3], 0 offset:140
	buffer_load_dword v132, off, s[0:3], 0 offset:160
	;; [unrolled: 1-line block ×7, first 2 shown]
	s_waitcnt vmcnt(23) lgkmcnt(0)
	v_fma_f64 v[118:119], v[138:139], v[122:123], v[118:119]
	s_waitcnt vmcnt(18)
	v_fma_f64 v[138:139], v[140:141], v[124:125], v[118:119]
	ds_read_b128 v[118:121], v117 offset:544
	ds_read_b128 v[122:125], v117 offset:560
	buffer_load_dword v133, off, s[0:3], 0 offset:164
	s_waitcnt vmcnt(18) lgkmcnt(1)
	v_fma_f64 v[118:119], v[146:147], v[118:119], v[138:139]
	s_waitcnt vmcnt(17)
	v_fma_f64 v[118:119], v[144:145], v[120:121], v[118:119]
	buffer_load_dword v139, off, s[0:3], 0 offset:172
	buffer_load_dword v140, off, s[0:3], 0 offset:192
	;; [unrolled: 1-line block ×8, first 2 shown]
	s_waitcnt vmcnt(24) lgkmcnt(0)
	v_fma_f64 v[118:119], v[142:143], v[122:123], v[118:119]
	s_waitcnt vmcnt(19)
	v_fma_f64 v[126:127], v[126:127], v[124:125], v[118:119]
	ds_read_b128 v[118:121], v117 offset:576
	ds_read_b128 v[122:125], v117 offset:592
	s_waitcnt vmcnt(18) lgkmcnt(1)
	v_fma_f64 v[118:119], v[150:151], v[118:119], v[126:127]
	s_waitcnt vmcnt(17)
	v_fma_f64 v[118:119], v[148:149], v[120:121], v[118:119]
	buffer_load_dword v127, off, s[0:3], 0 offset:204
	buffer_load_dword v142, off, s[0:3], 0 offset:224
	;; [unrolled: 1-line block ×8, first 2 shown]
	s_waitcnt vmcnt(24) lgkmcnt(0)
	v_fma_f64 v[118:119], v[128:129], v[122:123], v[118:119]
	s_waitcnt vmcnt(19)
	v_fma_f64 v[128:129], v[130:131], v[124:125], v[118:119]
	ds_read_b128 v[118:121], v117 offset:608
	ds_read_b128 v[122:125], v117 offset:624
	s_waitcnt vmcnt(18) lgkmcnt(1)
	v_fma_f64 v[118:119], v[136:137], v[118:119], v[128:129]
	s_waitcnt vmcnt(17)
	v_fma_f64 v[118:119], v[134:135], v[120:121], v[118:119]
	buffer_load_dword v129, off, s[0:3], 0 offset:236
	buffer_load_dword v130, off, s[0:3], 0 offset:256
	;; [unrolled: 1-line block ×7, first 2 shown]
	s_waitcnt vmcnt(23) lgkmcnt(0)
	v_fma_f64 v[118:119], v[132:133], v[122:123], v[118:119]
	s_waitcnt vmcnt(18)
	v_fma_f64 v[131:132], v[138:139], v[124:125], v[118:119]
	ds_read_b128 v[118:121], v117 offset:640
	ds_read_b128 v[122:125], v117 offset:656
	s_waitcnt vmcnt(17) lgkmcnt(1)
	v_fma_f64 v[118:119], v[146:147], v[118:119], v[131:132]
	buffer_load_dword v131, off, s[0:3], 0 offset:260
	s_waitcnt vmcnt(17)
	v_fma_f64 v[118:119], v[144:145], v[120:121], v[118:119]
	buffer_load_dword v133, off, s[0:3], 0 offset:268
	buffer_load_dword v138, off, s[0:3], 0 offset:288
	;; [unrolled: 1-line block ×8, first 2 shown]
	s_waitcnt vmcnt(24) lgkmcnt(0)
	v_fma_f64 v[118:119], v[140:141], v[122:123], v[118:119]
	s_waitcnt vmcnt(19)
	v_fma_f64 v[126:127], v[126:127], v[124:125], v[118:119]
	ds_read_b128 v[118:121], v117 offset:672
	ds_read_b128 v[122:125], v117 offset:688
	s_waitcnt vmcnt(18) lgkmcnt(1)
	v_fma_f64 v[118:119], v[150:151], v[118:119], v[126:127]
	s_waitcnt vmcnt(17)
	v_fma_f64 v[118:119], v[148:149], v[120:121], v[118:119]
	buffer_load_dword v127, off, s[0:3], 0 offset:300
	buffer_load_dword v140, off, s[0:3], 0 offset:320
	;; [unrolled: 1-line block ×8, first 2 shown]
	s_waitcnt vmcnt(24) lgkmcnt(0)
	v_fma_f64 v[118:119], v[142:143], v[122:123], v[118:119]
	s_waitcnt vmcnt(19)
	v_fma_f64 v[128:129], v[128:129], v[124:125], v[118:119]
	ds_read_b128 v[118:121], v117 offset:704
	ds_read_b128 v[122:125], v117 offset:720
	s_waitcnt vmcnt(18) lgkmcnt(1)
	v_fma_f64 v[118:119], v[136:137], v[118:119], v[128:129]
	s_waitcnt vmcnt(17)
	v_fma_f64 v[118:119], v[134:135], v[120:121], v[118:119]
	buffer_load_dword v129, off, s[0:3], 0 offset:332
	buffer_load_dword v134, off, s[0:3], 0 offset:352
	;; [unrolled: 1-line block ×7, first 2 shown]
	s_waitcnt vmcnt(23) lgkmcnt(0)
	v_fma_f64 v[118:119], v[130:131], v[122:123], v[118:119]
	s_waitcnt vmcnt(18)
	v_fma_f64 v[130:131], v[132:133], v[124:125], v[118:119]
	ds_read_b128 v[118:121], v117 offset:736
	ds_read_b128 v[122:125], v117 offset:752
	buffer_load_dword v135, off, s[0:3], 0 offset:356
	s_waitcnt vmcnt(18) lgkmcnt(1)
	v_fma_f64 v[118:119], v[146:147], v[118:119], v[130:131]
	s_waitcnt vmcnt(17)
	v_fma_f64 v[118:119], v[144:145], v[120:121], v[118:119]
	buffer_load_dword v131, off, s[0:3], 0 offset:364
	buffer_load_dword v132, off, s[0:3], 0 offset:384
	buffer_load_dword v144, off, s[0:3], 0 offset:376
	buffer_load_dword v146, off, s[0:3], 0 offset:368
	buffer_load_dword v130, off, s[0:3], 0 offset:360
	buffer_load_dword v147, off, s[0:3], 0 offset:372
	buffer_load_dword v145, off, s[0:3], 0 offset:380
	buffer_load_dword v133, off, s[0:3], 0 offset:388
	s_waitcnt vmcnt(24) lgkmcnt(0)
	v_fma_f64 v[118:119], v[138:139], v[122:123], v[118:119]
	s_waitcnt vmcnt(19)
	v_fma_f64 v[126:127], v[126:127], v[124:125], v[118:119]
	ds_read_b128 v[118:121], v117 offset:768
	ds_read_b128 v[122:125], v117 offset:784
	s_waitcnt vmcnt(18) lgkmcnt(1)
	v_fma_f64 v[118:119], v[150:151], v[118:119], v[126:127]
	s_waitcnt vmcnt(17)
	v_fma_f64 v[118:119], v[148:149], v[120:121], v[118:119]
	buffer_load_dword v127, off, s[0:3], 0 offset:396
	buffer_load_dword v138, off, s[0:3], 0 offset:416
	buffer_load_dword v148, off, s[0:3], 0 offset:408
	buffer_load_dword v150, off, s[0:3], 0 offset:400
	buffer_load_dword v126, off, s[0:3], 0 offset:392
	buffer_load_dword v151, off, s[0:3], 0 offset:404
	buffer_load_dword v149, off, s[0:3], 0 offset:412
	buffer_load_dword v139, off, s[0:3], 0 offset:420
	s_waitcnt vmcnt(24) lgkmcnt(0)
	v_fma_f64 v[118:119], v[140:141], v[122:123], v[118:119]
	s_waitcnt vmcnt(19)
	v_fma_f64 v[128:129], v[128:129], v[124:125], v[118:119]
	ds_read_b128 v[118:121], v117 offset:800
	ds_read_b128 v[122:125], v117 offset:816
	;; [unrolled: 18-line block ×3, first 2 shown]
	s_waitcnt vmcnt(18) lgkmcnt(1)
	v_fma_f64 v[118:119], v[146:147], v[118:119], v[130:131]
	buffer_load_dword v130, off, s[0:3], 0 offset:8
	buffer_load_dword v131, off, s[0:3], 0 offset:12
	s_waitcnt vmcnt(19)
	v_fma_f64 v[118:119], v[144:145], v[120:121], v[118:119]
	s_waitcnt vmcnt(18) lgkmcnt(0)
	v_fma_f64 v[118:119], v[132:133], v[122:123], v[118:119]
	s_waitcnt vmcnt(13)
	v_fma_f64 v[126:127], v[126:127], v[124:125], v[118:119]
	ds_read_b128 v[118:121], v117 offset:864
	ds_read_b128 v[122:125], v117 offset:880
	s_waitcnt vmcnt(12) lgkmcnt(1)
	v_fma_f64 v[118:119], v[150:151], v[118:119], v[126:127]
	s_waitcnt vmcnt(11)
	v_fma_f64 v[118:119], v[148:149], v[120:121], v[118:119]
	s_waitcnt vmcnt(10) lgkmcnt(0)
	v_fma_f64 v[118:119], v[138:139], v[122:123], v[118:119]
	s_waitcnt vmcnt(5)
	v_fma_f64 v[122:123], v[128:129], v[124:125], v[118:119]
	ds_read_b128 v[118:121], v117 offset:896
	ds_read_b64 v[124:125], v117 offset:912
	s_waitcnt vmcnt(4) lgkmcnt(1)
	v_fma_f64 v[118:119], v[142:143], v[118:119], v[122:123]
	s_waitcnt vmcnt(3)
	v_fma_f64 v[118:119], v[140:141], v[120:121], v[118:119]
	s_waitcnt vmcnt(2) lgkmcnt(0)
	v_fma_f64 v[118:119], v[136:137], v[124:125], v[118:119]
	s_waitcnt vmcnt(0)
	v_add_f64 v[118:119], v[130:131], -v[118:119]
	buffer_store_dword v119, off, s[0:3], 0 offset:12
	buffer_store_dword v118, off, s[0:3], 0 offset:8
	s_and_saveexec_b64 s[4:5], vcc
	s_cbranch_execz .LBB120_349
; %bb.348:
	buffer_load_dword v118, off, s[0:3], 0
	buffer_load_dword v119, off, s[0:3], 0 offset:4
	s_waitcnt vmcnt(0)
	ds_write_b64 v115, v[118:119]
	buffer_store_dword v117, off, s[0:3], 0
	buffer_store_dword v117, off, s[0:3], 0 offset:4
.LBB120_349:
	s_or_b64 exec, exec, s[4:5]
	s_waitcnt lgkmcnt(0)
	; wave barrier
	buffer_load_dword v115, off, s[0:3], 0 offset:8
	buffer_load_dword v116, off, s[0:3], 0 offset:12
	;; [unrolled: 1-line block ×22, first 2 shown]
	ds_read2_b64 v[118:121], v117 offset0:59 offset1:60
	ds_read2_b64 v[122:125], v117 offset0:61 offset1:62
	s_and_b64 vcc, exec, s[14:15]
	s_waitcnt vmcnt(20) lgkmcnt(1)
	v_fma_f64 v[115:116], v[115:116], v[118:119], 0
	s_waitcnt vmcnt(18)
	v_fma_f64 v[115:116], v[126:127], v[120:121], v[115:116]
	buffer_load_dword v127, off, s[0:3], 0 offset:100
	buffer_load_dword v146, off, s[0:3], 0 offset:120
	buffer_load_dword v148, off, s[0:3], 0 offset:112
	buffer_load_dword v150, off, s[0:3], 0 offset:104
	buffer_load_dword v126, off, s[0:3], 0 offset:96
	buffer_load_dword v151, off, s[0:3], 0 offset:108
	buffer_load_dword v149, off, s[0:3], 0 offset:116
	buffer_load_dword v147, off, s[0:3], 0 offset:124
	ds_read2_b64 v[118:121], v117 offset0:63 offset1:64
	s_waitcnt vmcnt(24) lgkmcnt(1)
	v_fma_f64 v[115:116], v[128:129], v[122:123], v[115:116]
	s_waitcnt vmcnt(22)
	v_fma_f64 v[115:116], v[130:131], v[124:125], v[115:116]
	ds_read2_b64 v[122:125], v117 offset0:65 offset1:66
	s_waitcnt vmcnt(20) lgkmcnt(1)
	v_fma_f64 v[115:116], v[132:133], v[118:119], v[115:116]
	s_waitcnt vmcnt(18)
	v_fma_f64 v[115:116], v[134:135], v[120:121], v[115:116]
	buffer_load_dword v129, off, s[0:3], 0 offset:132
	buffer_load_dword v130, off, s[0:3], 0 offset:152
	buffer_load_dword v132, off, s[0:3], 0 offset:144
	buffer_load_dword v134, off, s[0:3], 0 offset:136
	buffer_load_dword v128, off, s[0:3], 0 offset:128
	buffer_load_dword v135, off, s[0:3], 0 offset:140
	buffer_load_dword v133, off, s[0:3], 0 offset:148
	s_waitcnt vmcnt(23) lgkmcnt(0)
	v_fma_f64 v[115:116], v[136:137], v[122:123], v[115:116]
	s_waitcnt vmcnt(18)
	v_fma_f64 v[115:116], v[138:139], v[124:125], v[115:116]
	ds_read2_b64 v[118:121], v117 offset0:67 offset1:68
	ds_read2_b64 v[122:125], v117 offset0:69 offset1:70
	buffer_load_dword v131, off, s[0:3], 0 offset:156
	s_waitcnt vmcnt(18) lgkmcnt(1)
	v_fma_f64 v[115:116], v[144:145], v[118:119], v[115:116]
	s_waitcnt vmcnt(17)
	v_fma_f64 v[115:116], v[142:143], v[120:121], v[115:116]
	buffer_load_dword v137, off, s[0:3], 0 offset:164
	buffer_load_dword v138, off, s[0:3], 0 offset:184
	buffer_load_dword v142, off, s[0:3], 0 offset:176
	buffer_load_dword v144, off, s[0:3], 0 offset:168
	buffer_load_dword v136, off, s[0:3], 0 offset:160
	buffer_load_dword v145, off, s[0:3], 0 offset:172
	buffer_load_dword v143, off, s[0:3], 0 offset:180
	buffer_load_dword v139, off, s[0:3], 0 offset:188
	ds_read2_b64 v[118:121], v117 offset0:71 offset1:72
	s_waitcnt vmcnt(24) lgkmcnt(1)
	v_fma_f64 v[115:116], v[140:141], v[122:123], v[115:116]
	s_waitcnt vmcnt(19)
	v_fma_f64 v[115:116], v[126:127], v[124:125], v[115:116]
	ds_read2_b64 v[122:125], v117 offset0:73 offset1:74
	s_waitcnt vmcnt(18) lgkmcnt(1)
	v_fma_f64 v[115:116], v[150:151], v[118:119], v[115:116]
	s_waitcnt vmcnt(17)
	v_fma_f64 v[115:116], v[148:149], v[120:121], v[115:116]
	buffer_load_dword v127, off, s[0:3], 0 offset:196
	buffer_load_dword v140, off, s[0:3], 0 offset:216
	buffer_load_dword v148, off, s[0:3], 0 offset:208
	buffer_load_dword v150, off, s[0:3], 0 offset:200
	buffer_load_dword v126, off, s[0:3], 0 offset:192
	buffer_load_dword v151, off, s[0:3], 0 offset:204
	buffer_load_dword v149, off, s[0:3], 0 offset:212
	buffer_load_dword v141, off, s[0:3], 0 offset:220
	ds_read2_b64 v[118:121], v117 offset0:75 offset1:76
	s_waitcnt vmcnt(24) lgkmcnt(1)
	v_fma_f64 v[115:116], v[146:147], v[122:123], v[115:116]
	s_waitcnt vmcnt(19)
	v_fma_f64 v[115:116], v[128:129], v[124:125], v[115:116]
	ds_read2_b64 v[122:125], v117 offset0:77 offset1:78
	s_waitcnt vmcnt(18) lgkmcnt(1)
	v_fma_f64 v[115:116], v[134:135], v[118:119], v[115:116]
	s_waitcnt vmcnt(17)
	v_fma_f64 v[115:116], v[132:133], v[120:121], v[115:116]
	buffer_load_dword v129, off, s[0:3], 0 offset:228
	buffer_load_dword v132, off, s[0:3], 0 offset:248
	buffer_load_dword v134, off, s[0:3], 0 offset:240
	buffer_load_dword v146, off, s[0:3], 0 offset:232
	buffer_load_dword v128, off, s[0:3], 0 offset:224
	buffer_load_dword v147, off, s[0:3], 0 offset:236
	buffer_load_dword v135, off, s[0:3], 0 offset:244
	s_waitcnt vmcnt(23) lgkmcnt(0)
	v_fma_f64 v[115:116], v[130:131], v[122:123], v[115:116]
	s_waitcnt vmcnt(18)
	v_fma_f64 v[115:116], v[136:137], v[124:125], v[115:116]
	ds_read2_b64 v[118:121], v117 offset0:79 offset1:80
	ds_read2_b64 v[122:125], v117 offset0:81 offset1:82
	buffer_load_dword v133, off, s[0:3], 0 offset:252
	s_waitcnt vmcnt(18) lgkmcnt(1)
	v_fma_f64 v[115:116], v[144:145], v[118:119], v[115:116]
	s_waitcnt vmcnt(17)
	v_fma_f64 v[115:116], v[142:143], v[120:121], v[115:116]
	buffer_load_dword v131, off, s[0:3], 0 offset:260
	buffer_load_dword v136, off, s[0:3], 0 offset:280
	buffer_load_dword v142, off, s[0:3], 0 offset:272
	buffer_load_dword v144, off, s[0:3], 0 offset:264
	buffer_load_dword v130, off, s[0:3], 0 offset:256
	buffer_load_dword v145, off, s[0:3], 0 offset:268
	buffer_load_dword v143, off, s[0:3], 0 offset:276
	buffer_load_dword v137, off, s[0:3], 0 offset:284
	ds_read2_b64 v[118:121], v117 offset0:83 offset1:84
	s_waitcnt vmcnt(24) lgkmcnt(1)
	v_fma_f64 v[115:116], v[138:139], v[122:123], v[115:116]
	s_waitcnt vmcnt(19)
	v_fma_f64 v[115:116], v[126:127], v[124:125], v[115:116]
	ds_read2_b64 v[122:125], v117 offset0:85 offset1:86
	s_waitcnt vmcnt(18) lgkmcnt(1)
	v_fma_f64 v[115:116], v[150:151], v[118:119], v[115:116]
	s_waitcnt vmcnt(17)
	v_fma_f64 v[115:116], v[148:149], v[120:121], v[115:116]
	buffer_load_dword v127, off, s[0:3], 0 offset:292
	buffer_load_dword v138, off, s[0:3], 0 offset:312
	buffer_load_dword v148, off, s[0:3], 0 offset:304
	buffer_load_dword v150, off, s[0:3], 0 offset:296
	buffer_load_dword v126, off, s[0:3], 0 offset:288
	buffer_load_dword v151, off, s[0:3], 0 offset:300
	buffer_load_dword v149, off, s[0:3], 0 offset:308
	buffer_load_dword v139, off, s[0:3], 0 offset:316
	ds_read2_b64 v[118:121], v117 offset0:87 offset1:88
	s_waitcnt vmcnt(24) lgkmcnt(1)
	v_fma_f64 v[115:116], v[140:141], v[122:123], v[115:116]
	s_waitcnt vmcnt(19)
	v_fma_f64 v[115:116], v[128:129], v[124:125], v[115:116]
	ds_read2_b64 v[122:125], v117 offset0:89 offset1:90
	s_waitcnt vmcnt(18) lgkmcnt(1)
	v_fma_f64 v[115:116], v[146:147], v[118:119], v[115:116]
	s_waitcnt vmcnt(17)
	v_fma_f64 v[115:116], v[134:135], v[120:121], v[115:116]
	buffer_load_dword v129, off, s[0:3], 0 offset:324
	buffer_load_dword v134, off, s[0:3], 0 offset:344
	buffer_load_dword v140, off, s[0:3], 0 offset:336
	buffer_load_dword v146, off, s[0:3], 0 offset:328
	buffer_load_dword v128, off, s[0:3], 0 offset:320
	buffer_load_dword v147, off, s[0:3], 0 offset:332
	buffer_load_dword v141, off, s[0:3], 0 offset:340
	s_waitcnt vmcnt(23) lgkmcnt(0)
	v_fma_f64 v[115:116], v[132:133], v[122:123], v[115:116]
	s_waitcnt vmcnt(18)
	v_fma_f64 v[115:116], v[130:131], v[124:125], v[115:116]
	ds_read2_b64 v[118:121], v117 offset0:91 offset1:92
	ds_read2_b64 v[122:125], v117 offset0:93 offset1:94
	buffer_load_dword v135, off, s[0:3], 0 offset:348
	s_waitcnt vmcnt(18) lgkmcnt(1)
	v_fma_f64 v[115:116], v[144:145], v[118:119], v[115:116]
	s_waitcnt vmcnt(17)
	v_fma_f64 v[115:116], v[142:143], v[120:121], v[115:116]
	buffer_load_dword v131, off, s[0:3], 0 offset:356
	buffer_load_dword v132, off, s[0:3], 0 offset:376
	buffer_load_dword v142, off, s[0:3], 0 offset:368
	buffer_load_dword v144, off, s[0:3], 0 offset:360
	buffer_load_dword v130, off, s[0:3], 0 offset:352
	buffer_load_dword v145, off, s[0:3], 0 offset:364
	buffer_load_dword v143, off, s[0:3], 0 offset:372
	buffer_load_dword v133, off, s[0:3], 0 offset:380
	ds_read2_b64 v[118:121], v117 offset0:95 offset1:96
	s_waitcnt vmcnt(24) lgkmcnt(1)
	v_fma_f64 v[115:116], v[136:137], v[122:123], v[115:116]
	s_waitcnt vmcnt(19)
	v_fma_f64 v[115:116], v[126:127], v[124:125], v[115:116]
	ds_read2_b64 v[122:125], v117 offset0:97 offset1:98
	s_waitcnt vmcnt(18) lgkmcnt(1)
	v_fma_f64 v[115:116], v[150:151], v[118:119], v[115:116]
	s_waitcnt vmcnt(17)
	v_fma_f64 v[115:116], v[148:149], v[120:121], v[115:116]
	buffer_load_dword v127, off, s[0:3], 0 offset:388
	buffer_load_dword v136, off, s[0:3], 0 offset:408
	;; [unrolled: 1-line block ×8, first 2 shown]
	ds_read2_b64 v[118:121], v117 offset0:99 offset1:100
	s_waitcnt vmcnt(24) lgkmcnt(1)
	v_fma_f64 v[115:116], v[138:139], v[122:123], v[115:116]
	s_waitcnt vmcnt(19)
	v_fma_f64 v[115:116], v[128:129], v[124:125], v[115:116]
	ds_read2_b64 v[122:125], v117 offset0:101 offset1:102
	s_waitcnt vmcnt(18) lgkmcnt(1)
	v_fma_f64 v[115:116], v[146:147], v[118:119], v[115:116]
	s_waitcnt vmcnt(17)
	v_fma_f64 v[118:119], v[140:141], v[120:121], v[115:116]
	buffer_load_dword v129, off, s[0:3], 0 offset:420
	buffer_load_dword v115, off, s[0:3], 0 offset:440
	;; [unrolled: 1-line block ×8, first 2 shown]
	s_waitcnt vmcnt(24) lgkmcnt(0)
	v_fma_f64 v[118:119], v[134:135], v[122:123], v[118:119]
	s_waitcnt vmcnt(19)
	v_fma_f64 v[130:131], v[130:131], v[124:125], v[118:119]
	ds_read2_b64 v[118:121], v117 offset0:103 offset1:104
	ds_read2_b64 v[122:125], v117 offset0:105 offset1:106
	s_waitcnt vmcnt(18) lgkmcnt(1)
	v_fma_f64 v[118:119], v[144:145], v[118:119], v[130:131]
	buffer_load_dword v131, off, s[0:3], 0 offset:452
	buffer_load_dword v130, off, s[0:3], 0 offset:448
	buffer_load_dword v134, off, s[0:3], 0
	buffer_load_dword v135, off, s[0:3], 0 offset:4
	s_waitcnt vmcnt(21)
	v_fma_f64 v[118:119], v[142:143], v[120:121], v[118:119]
	s_waitcnt vmcnt(20) lgkmcnt(0)
	v_fma_f64 v[118:119], v[132:133], v[122:123], v[118:119]
	s_waitcnt vmcnt(15)
	v_fma_f64 v[126:127], v[126:127], v[124:125], v[118:119]
	ds_read2_b64 v[118:121], v117 offset0:107 offset1:108
	ds_read2_b64 v[122:125], v117 offset0:109 offset1:110
	s_waitcnt vmcnt(14) lgkmcnt(1)
	v_fma_f64 v[118:119], v[150:151], v[118:119], v[126:127]
	s_waitcnt vmcnt(13)
	v_fma_f64 v[118:119], v[148:149], v[120:121], v[118:119]
	s_waitcnt vmcnt(12) lgkmcnt(0)
	v_fma_f64 v[118:119], v[136:137], v[122:123], v[118:119]
	s_waitcnt vmcnt(7)
	v_fma_f64 v[126:127], v[128:129], v[124:125], v[118:119]
	ds_read2_b64 v[118:121], v117 offset0:111 offset1:112
	ds_read2_b64 v[122:125], v117 offset0:113 offset1:114
	s_waitcnt vmcnt(6) lgkmcnt(1)
	v_fma_f64 v[117:118], v[140:141], v[118:119], v[126:127]
	s_waitcnt vmcnt(5)
	v_fma_f64 v[117:118], v[138:139], v[120:121], v[117:118]
	s_waitcnt vmcnt(4) lgkmcnt(0)
	v_fma_f64 v[117:118], v[115:116], v[122:123], v[117:118]
	s_waitcnt vmcnt(2)
	v_fma_f64 v[117:118], v[130:131], v[124:125], v[117:118]
	s_waitcnt vmcnt(0)
	v_add_f64 v[117:118], v[134:135], -v[117:118]
	buffer_store_dword v118, off, s[0:3], 0 offset:4
	buffer_store_dword v117, off, s[0:3], 0
	s_cbranch_vccz .LBB120_462
; %bb.350:
	v_mov_b32_e32 v0, 0
	global_load_dword v117, v0, s[12:13] offset:220
	s_waitcnt vmcnt(0)
	v_add_u32_e32 v117, -1, v117
	v_cmp_ne_u32_e32 vcc, 55, v117
	s_cbranch_vccz .LBB120_352
; %bb.351:
	v_lshlrev_b32_e32 v117, 3, v117
	buffer_load_dword v118, v117, s[0:3], 0 offen
	buffer_load_dword v119, v117, s[0:3], 0 offen offset:4
	s_waitcnt vmcnt(1)
	buffer_store_dword v118, off, s[0:3], 0 offset:440
	s_waitcnt vmcnt(1)
	buffer_store_dword v119, off, s[0:3], 0 offset:444
	buffer_store_dword v115, v117, s[0:3], 0 offen
	buffer_store_dword v116, v117, s[0:3], 0 offen offset:4
.LBB120_352:
	global_load_dword v0, v0, s[12:13] offset:216
	s_waitcnt vmcnt(0)
	v_add_u32_e32 v0, -1, v0
	v_cmp_eq_u32_e32 vcc, 54, v0
	s_cbranch_vccnz .LBB120_354
; %bb.353:
	v_lshlrev_b32_e32 v0, 3, v0
	buffer_load_dword v115, v0, s[0:3], 0 offen
	buffer_load_dword v116, v0, s[0:3], 0 offen offset:4
	buffer_load_dword v117, off, s[0:3], 0 offset:436
	buffer_load_dword v118, off, s[0:3], 0 offset:432
	s_waitcnt vmcnt(3)
	buffer_store_dword v115, off, s[0:3], 0 offset:432
	s_waitcnt vmcnt(3)
	buffer_store_dword v116, off, s[0:3], 0 offset:436
	s_waitcnt vmcnt(3)
	buffer_store_dword v117, v0, s[0:3], 0 offen offset:4
	s_waitcnt vmcnt(3)
	buffer_store_dword v118, v0, s[0:3], 0 offen
.LBB120_354:
	v_mov_b32_e32 v0, 0
	global_load_dword v115, v0, s[12:13] offset:212
	s_waitcnt vmcnt(0)
	v_add_u32_e32 v115, -1, v115
	v_cmp_eq_u32_e32 vcc, 53, v115
	s_cbranch_vccnz .LBB120_356
; %bb.355:
	v_lshlrev_b32_e32 v115, 3, v115
	buffer_load_dword v116, v115, s[0:3], 0 offen
	buffer_load_dword v117, v115, s[0:3], 0 offen offset:4
	buffer_load_dword v118, off, s[0:3], 0 offset:424
	buffer_load_dword v119, off, s[0:3], 0 offset:428
	s_waitcnt vmcnt(3)
	buffer_store_dword v116, off, s[0:3], 0 offset:424
	s_waitcnt vmcnt(3)
	buffer_store_dword v117, off, s[0:3], 0 offset:428
	s_waitcnt vmcnt(3)
	buffer_store_dword v118, v115, s[0:3], 0 offen
	s_waitcnt vmcnt(3)
	buffer_store_dword v119, v115, s[0:3], 0 offen offset:4
.LBB120_356:
	global_load_dword v0, v0, s[12:13] offset:208
	s_waitcnt vmcnt(0)
	v_add_u32_e32 v0, -1, v0
	v_cmp_eq_u32_e32 vcc, 52, v0
	s_cbranch_vccnz .LBB120_358
; %bb.357:
	v_lshlrev_b32_e32 v0, 3, v0
	buffer_load_dword v115, v0, s[0:3], 0 offen
	buffer_load_dword v116, v0, s[0:3], 0 offen offset:4
	buffer_load_dword v117, off, s[0:3], 0 offset:420
	buffer_load_dword v118, off, s[0:3], 0 offset:416
	s_waitcnt vmcnt(3)
	buffer_store_dword v115, off, s[0:3], 0 offset:416
	s_waitcnt vmcnt(3)
	buffer_store_dword v116, off, s[0:3], 0 offset:420
	s_waitcnt vmcnt(3)
	buffer_store_dword v117, v0, s[0:3], 0 offen offset:4
	s_waitcnt vmcnt(3)
	buffer_store_dword v118, v0, s[0:3], 0 offen
.LBB120_358:
	v_mov_b32_e32 v0, 0
	global_load_dword v115, v0, s[12:13] offset:204
	s_waitcnt vmcnt(0)
	v_add_u32_e32 v115, -1, v115
	v_cmp_eq_u32_e32 vcc, 51, v115
	s_cbranch_vccnz .LBB120_360
; %bb.359:
	v_lshlrev_b32_e32 v115, 3, v115
	buffer_load_dword v116, v115, s[0:3], 0 offen
	buffer_load_dword v117, v115, s[0:3], 0 offen offset:4
	buffer_load_dword v118, off, s[0:3], 0 offset:408
	buffer_load_dword v119, off, s[0:3], 0 offset:412
	s_waitcnt vmcnt(3)
	buffer_store_dword v116, off, s[0:3], 0 offset:408
	s_waitcnt vmcnt(3)
	buffer_store_dword v117, off, s[0:3], 0 offset:412
	s_waitcnt vmcnt(3)
	buffer_store_dword v118, v115, s[0:3], 0 offen
	s_waitcnt vmcnt(3)
	buffer_store_dword v119, v115, s[0:3], 0 offen offset:4
.LBB120_360:
	;; [unrolled: 41-line block ×27, first 2 shown]
	global_load_dword v0, v0, s[12:13]
	s_nop 0
	buffer_load_dword v117, off, s[0:3], 0
	buffer_load_dword v118, off, s[0:3], 0 offset:4
	s_waitcnt vmcnt(2)
	v_add_u32_e32 v0, -1, v0
	v_cmp_eq_u32_e32 vcc, 0, v0
	s_cbranch_vccnz .LBB120_462
; %bb.461:
	v_lshlrev_b32_e32 v0, 3, v0
	buffer_load_dword v115, v0, s[0:3], 0 offen offset:4
	buffer_load_dword v116, v0, s[0:3], 0 offen
	s_waitcnt vmcnt(1)
	buffer_store_dword v115, off, s[0:3], 0 offset:4
	s_waitcnt vmcnt(1)
	buffer_store_dword v116, off, s[0:3], 0
	buffer_store_dword v118, v0, s[0:3], 0 offen offset:4
	buffer_store_dword v117, v0, s[0:3], 0 offen
	buffer_load_dword v117, off, s[0:3], 0
	s_nop 0
	buffer_load_dword v118, off, s[0:3], 0 offset:4
.LBB120_462:
	s_waitcnt vmcnt(0)
	flat_store_dwordx2 v[1:2], v[117:118]
	buffer_load_dword v0, off, s[0:3], 0 offset:8
	s_nop 0
	buffer_load_dword v1, off, s[0:3], 0 offset:12
	s_waitcnt vmcnt(0)
	flat_store_dwordx2 v[3:4], v[0:1]
	buffer_load_dword v0, off, s[0:3], 0 offset:16
	s_nop 0
	buffer_load_dword v1, off, s[0:3], 0 offset:20
	;; [unrolled: 5-line block ×56, first 2 shown]
	s_waitcnt vmcnt(0)
	flat_store_dwordx2 v[113:114], v[0:1]
	s_endpgm
	.section	.rodata,"a",@progbits
	.p2align	6, 0x0
	.amdhsa_kernel _ZN9rocsolver6v33100L18getri_kernel_smallILi57EdPKPdEEvT1_iilPiilS6_bb
		.amdhsa_group_segment_fixed_size 920
		.amdhsa_private_segment_fixed_size 464
		.amdhsa_kernarg_size 60
		.amdhsa_user_sgpr_count 6
		.amdhsa_user_sgpr_private_segment_buffer 1
		.amdhsa_user_sgpr_dispatch_ptr 0
		.amdhsa_user_sgpr_queue_ptr 0
		.amdhsa_user_sgpr_kernarg_segment_ptr 1
		.amdhsa_user_sgpr_dispatch_id 0
		.amdhsa_user_sgpr_flat_scratch_init 0
		.amdhsa_user_sgpr_private_segment_size 0
		.amdhsa_uses_dynamic_stack 0
		.amdhsa_system_sgpr_private_segment_wavefront_offset 1
		.amdhsa_system_sgpr_workgroup_id_x 1
		.amdhsa_system_sgpr_workgroup_id_y 0
		.amdhsa_system_sgpr_workgroup_id_z 0
		.amdhsa_system_sgpr_workgroup_info 0
		.amdhsa_system_vgpr_workitem_id 0
		.amdhsa_next_free_vgpr 152
		.amdhsa_next_free_sgpr 21
		.amdhsa_reserve_vcc 1
		.amdhsa_reserve_flat_scratch 0
		.amdhsa_float_round_mode_32 0
		.amdhsa_float_round_mode_16_64 0
		.amdhsa_float_denorm_mode_32 3
		.amdhsa_float_denorm_mode_16_64 3
		.amdhsa_dx10_clamp 1
		.amdhsa_ieee_mode 1
		.amdhsa_fp16_overflow 0
		.amdhsa_exception_fp_ieee_invalid_op 0
		.amdhsa_exception_fp_denorm_src 0
		.amdhsa_exception_fp_ieee_div_zero 0
		.amdhsa_exception_fp_ieee_overflow 0
		.amdhsa_exception_fp_ieee_underflow 0
		.amdhsa_exception_fp_ieee_inexact 0
		.amdhsa_exception_int_div_zero 0
	.end_amdhsa_kernel
	.section	.text._ZN9rocsolver6v33100L18getri_kernel_smallILi57EdPKPdEEvT1_iilPiilS6_bb,"axG",@progbits,_ZN9rocsolver6v33100L18getri_kernel_smallILi57EdPKPdEEvT1_iilPiilS6_bb,comdat
.Lfunc_end120:
	.size	_ZN9rocsolver6v33100L18getri_kernel_smallILi57EdPKPdEEvT1_iilPiilS6_bb, .Lfunc_end120-_ZN9rocsolver6v33100L18getri_kernel_smallILi57EdPKPdEEvT1_iilPiilS6_bb
                                        ; -- End function
	.set _ZN9rocsolver6v33100L18getri_kernel_smallILi57EdPKPdEEvT1_iilPiilS6_bb.num_vgpr, 152
	.set _ZN9rocsolver6v33100L18getri_kernel_smallILi57EdPKPdEEvT1_iilPiilS6_bb.num_agpr, 0
	.set _ZN9rocsolver6v33100L18getri_kernel_smallILi57EdPKPdEEvT1_iilPiilS6_bb.numbered_sgpr, 21
	.set _ZN9rocsolver6v33100L18getri_kernel_smallILi57EdPKPdEEvT1_iilPiilS6_bb.num_named_barrier, 0
	.set _ZN9rocsolver6v33100L18getri_kernel_smallILi57EdPKPdEEvT1_iilPiilS6_bb.private_seg_size, 464
	.set _ZN9rocsolver6v33100L18getri_kernel_smallILi57EdPKPdEEvT1_iilPiilS6_bb.uses_vcc, 1
	.set _ZN9rocsolver6v33100L18getri_kernel_smallILi57EdPKPdEEvT1_iilPiilS6_bb.uses_flat_scratch, 0
	.set _ZN9rocsolver6v33100L18getri_kernel_smallILi57EdPKPdEEvT1_iilPiilS6_bb.has_dyn_sized_stack, 0
	.set _ZN9rocsolver6v33100L18getri_kernel_smallILi57EdPKPdEEvT1_iilPiilS6_bb.has_recursion, 0
	.set _ZN9rocsolver6v33100L18getri_kernel_smallILi57EdPKPdEEvT1_iilPiilS6_bb.has_indirect_call, 0
	.section	.AMDGPU.csdata,"",@progbits
; Kernel info:
; codeLenInByte = 79488
; TotalNumSgprs: 25
; NumVgprs: 152
; ScratchSize: 464
; MemoryBound: 1
; FloatMode: 240
; IeeeMode: 1
; LDSByteSize: 920 bytes/workgroup (compile time only)
; SGPRBlocks: 3
; VGPRBlocks: 37
; NumSGPRsForWavesPerEU: 25
; NumVGPRsForWavesPerEU: 152
; Occupancy: 1
; WaveLimiterHint : 1
; COMPUTE_PGM_RSRC2:SCRATCH_EN: 1
; COMPUTE_PGM_RSRC2:USER_SGPR: 6
; COMPUTE_PGM_RSRC2:TRAP_HANDLER: 0
; COMPUTE_PGM_RSRC2:TGID_X_EN: 1
; COMPUTE_PGM_RSRC2:TGID_Y_EN: 0
; COMPUTE_PGM_RSRC2:TGID_Z_EN: 0
; COMPUTE_PGM_RSRC2:TIDIG_COMP_CNT: 0
	.section	.text._ZN9rocsolver6v33100L18getri_kernel_smallILi58EdPKPdEEvT1_iilPiilS6_bb,"axG",@progbits,_ZN9rocsolver6v33100L18getri_kernel_smallILi58EdPKPdEEvT1_iilPiilS6_bb,comdat
	.globl	_ZN9rocsolver6v33100L18getri_kernel_smallILi58EdPKPdEEvT1_iilPiilS6_bb ; -- Begin function _ZN9rocsolver6v33100L18getri_kernel_smallILi58EdPKPdEEvT1_iilPiilS6_bb
	.p2align	8
	.type	_ZN9rocsolver6v33100L18getri_kernel_smallILi58EdPKPdEEvT1_iilPiilS6_bb,@function
_ZN9rocsolver6v33100L18getri_kernel_smallILi58EdPKPdEEvT1_iilPiilS6_bb: ; @_ZN9rocsolver6v33100L18getri_kernel_smallILi58EdPKPdEEvT1_iilPiilS6_bb
; %bb.0:
	s_add_u32 s0, s0, s7
	s_addc_u32 s1, s1, 0
	v_cmp_gt_u32_e32 vcc, 58, v0
	s_and_saveexec_b64 s[8:9], vcc
	s_cbranch_execz .LBB121_240
; %bb.1:
	s_load_dword s18, s[4:5], 0x38
	s_load_dwordx2 s[12:13], s[4:5], 0x0
	s_load_dwordx4 s[8:11], s[4:5], 0x28
	s_waitcnt lgkmcnt(0)
	s_bitcmp1_b32 s18, 8
	s_cselect_b64 s[14:15], -1, 0
	s_ashr_i32 s7, s6, 31
	s_lshl_b64 s[16:17], s[6:7], 3
	s_add_u32 s12, s12, s16
	s_addc_u32 s13, s13, s17
	s_load_dwordx2 s[16:17], s[12:13], 0x0
	s_bfe_u32 s12, s18, 0x10008
	s_cmp_eq_u32 s12, 0
                                        ; implicit-def: $sgpr12_sgpr13
	s_cbranch_scc1 .LBB121_3
; %bb.2:
	s_load_dword s12, s[4:5], 0x20
	s_load_dwordx2 s[18:19], s[4:5], 0x18
	s_mul_i32 s13, s8, s7
	s_mul_hi_u32 s20, s8, s6
	s_add_i32 s20, s20, s13
	s_mul_i32 s9, s9, s6
	s_add_i32 s9, s20, s9
	s_mul_i32 s8, s8, s6
	s_waitcnt lgkmcnt(0)
	s_ashr_i32 s13, s12, 31
	s_lshl_b64 s[8:9], s[8:9], 2
	s_add_u32 s18, s18, s8
	s_addc_u32 s19, s19, s9
	s_lshl_b64 s[8:9], s[12:13], 2
	s_add_u32 s12, s18, s8
	s_addc_u32 s13, s19, s9
.LBB121_3:
	s_load_dwordx2 s[8:9], s[4:5], 0x8
	s_load_dword s18, s[4:5], 0x38
	v_lshlrev_b32_e32 v119, 3, v0
	s_waitcnt lgkmcnt(0)
	s_ashr_i32 s5, s8, 31
	s_mov_b32 s4, s8
	s_lshl_b64 s[4:5], s[4:5], 3
	s_add_u32 s4, s16, s4
	s_addc_u32 s5, s17, s5
	v_mov_b32_e32 v2, s5
	v_add_co_u32_e32 v1, vcc, s4, v119
	v_addc_co_u32_e32 v2, vcc, 0, v2, vcc
	flat_load_dwordx2 v[5:6], v[1:2]
	s_mov_b32 s16, s9
	s_ashr_i32 s17, s9, 31
	s_lshl_b64 s[16:17], s[16:17], 3
	v_mov_b32_e32 v4, s17
	v_add_co_u32_e32 v3, vcc, s16, v1
	v_addc_co_u32_e32 v4, vcc, v2, v4, vcc
	s_add_i32 s8, s9, s9
	v_add_u32_e32 v9, s8, v0
	v_ashrrev_i32_e32 v10, 31, v9
	v_mov_b32_e32 v11, s5
	v_add_u32_e32 v12, s9, v9
	v_ashrrev_i32_e32 v13, 31, v12
	v_mov_b32_e32 v14, s5
	v_mov_b32_e32 v15, s5
	;; [unrolled: 1-line block ×54, first 2 shown]
	s_bitcmp0_b32 s18, 0
	s_waitcnt vmcnt(0) lgkmcnt(0)
	buffer_store_dword v6, off, s[0:3], 0 offset:4
	buffer_store_dword v5, off, s[0:3], 0
	flat_load_dwordx2 v[7:8], v[3:4]
	v_lshlrev_b64 v[5:6], 3, v[9:10]
	s_waitcnt vmcnt(0) lgkmcnt(0)
	buffer_store_dword v8, off, s[0:3], 0 offset:12
	buffer_store_dword v7, off, s[0:3], 0 offset:8
	v_add_co_u32_e32 v5, vcc, s4, v5
	v_addc_co_u32_e32 v6, vcc, v11, v6, vcc
	flat_load_dwordx2 v[10:11], v[5:6]
	v_lshlrev_b64 v[7:8], 3, v[12:13]
	s_waitcnt vmcnt(0) lgkmcnt(0)
	buffer_store_dword v11, off, s[0:3], 0 offset:20
	buffer_store_dword v10, off, s[0:3], 0 offset:16
	v_add_co_u32_e32 v7, vcc, s4, v7
	v_addc_co_u32_e32 v8, vcc, v14, v8, vcc
	flat_load_dwordx2 v[13:14], v[7:8]
	v_add_u32_e32 v11, s9, v12
	v_ashrrev_i32_e32 v12, 31, v11
	v_lshlrev_b64 v[9:10], 3, v[11:12]
	s_waitcnt vmcnt(0) lgkmcnt(0)
	buffer_store_dword v14, off, s[0:3], 0 offset:28
	buffer_store_dword v13, off, s[0:3], 0 offset:24
	v_add_co_u32_e32 v9, vcc, s4, v9
	v_addc_co_u32_e32 v10, vcc, v15, v10, vcc
	flat_load_dwordx2 v[13:14], v[9:10]
	v_add_u32_e32 v15, s9, v11
	v_ashrrev_i32_e32 v16, 31, v15
	v_lshlrev_b64 v[11:12], 3, v[15:16]
	v_add_u32_e32 v18, s9, v15
	v_add_co_u32_e32 v11, vcc, s4, v11
	v_addc_co_u32_e32 v12, vcc, v17, v12, vcc
	v_ashrrev_i32_e32 v19, 31, v18
	s_waitcnt vmcnt(0) lgkmcnt(0)
	buffer_store_dword v14, off, s[0:3], 0 offset:36
	buffer_store_dword v13, off, s[0:3], 0 offset:32
	flat_load_dwordx2 v[16:17], v[11:12]
	v_lshlrev_b64 v[13:14], 3, v[18:19]
	s_waitcnt vmcnt(0) lgkmcnt(0)
	buffer_store_dword v17, off, s[0:3], 0 offset:44
	buffer_store_dword v16, off, s[0:3], 0 offset:40
	v_add_co_u32_e32 v13, vcc, s4, v13
	v_addc_co_u32_e32 v14, vcc, v20, v14, vcc
	flat_load_dwordx2 v[19:20], v[13:14]
	v_add_u32_e32 v17, s9, v18
	v_ashrrev_i32_e32 v18, 31, v17
	v_lshlrev_b64 v[15:16], 3, v[17:18]
	s_waitcnt vmcnt(0) lgkmcnt(0)
	buffer_store_dword v20, off, s[0:3], 0 offset:52
	buffer_store_dword v19, off, s[0:3], 0 offset:48
	v_add_co_u32_e32 v15, vcc, s4, v15
	v_addc_co_u32_e32 v16, vcc, v21, v16, vcc
	flat_load_dwordx2 v[19:20], v[15:16]
	v_add_u32_e32 v21, s9, v17
	v_ashrrev_i32_e32 v22, 31, v21
	v_lshlrev_b64 v[17:18], 3, v[21:22]
	v_add_u32_e32 v24, s9, v21
	v_add_co_u32_e32 v17, vcc, s4, v17
	v_addc_co_u32_e32 v18, vcc, v23, v18, vcc
	v_ashrrev_i32_e32 v25, 31, v24
	s_waitcnt vmcnt(0) lgkmcnt(0)
	buffer_store_dword v20, off, s[0:3], 0 offset:60
	buffer_store_dword v19, off, s[0:3], 0 offset:56
	;; [unrolled: 27-line block ×7, first 2 shown]
	flat_load_dwordx2 v[52:53], v[47:48]
	v_lshlrev_b64 v[49:50], 3, v[54:55]
	s_waitcnt vmcnt(0) lgkmcnt(0)
	buffer_store_dword v53, off, s[0:3], 0 offset:188
	buffer_store_dword v52, off, s[0:3], 0 offset:184
	v_add_co_u32_e32 v49, vcc, s4, v49
	v_addc_co_u32_e32 v50, vcc, v56, v50, vcc
	flat_load_dwordx2 v[55:56], v[49:50]
	v_add_u32_e32 v53, s9, v54
	v_ashrrev_i32_e32 v54, 31, v53
	v_lshlrev_b64 v[51:52], 3, v[53:54]
	s_waitcnt vmcnt(0) lgkmcnt(0)
	buffer_store_dword v56, off, s[0:3], 0 offset:196
	buffer_store_dword v55, off, s[0:3], 0 offset:192
	v_add_co_u32_e32 v51, vcc, s4, v51
	v_addc_co_u32_e32 v52, vcc, v57, v52, vcc
	flat_load_dwordx2 v[55:56], v[51:52]
	v_add_u32_e32 v57, s9, v53
	v_ashrrev_i32_e32 v58, 31, v57
	v_lshlrev_b64 v[53:54], 3, v[57:58]
	v_add_u32_e32 v60, s9, v57
	v_add_co_u32_e32 v53, vcc, s4, v53
	v_addc_co_u32_e32 v54, vcc, v59, v54, vcc
	s_waitcnt vmcnt(0) lgkmcnt(0)
	buffer_store_dword v56, off, s[0:3], 0 offset:204
	buffer_store_dword v55, off, s[0:3], 0 offset:200
	flat_load_dwordx2 v[58:59], v[53:54]
	v_ashrrev_i32_e32 v61, 31, v60
	v_lshlrev_b64 v[55:56], 3, v[60:61]
	s_waitcnt vmcnt(0) lgkmcnt(0)
	buffer_store_dword v59, off, s[0:3], 0 offset:212
	buffer_store_dword v58, off, s[0:3], 0 offset:208
	v_add_co_u32_e32 v55, vcc, s4, v55
	v_addc_co_u32_e32 v56, vcc, v62, v56, vcc
	flat_load_dwordx2 v[61:62], v[55:56]
	v_add_u32_e32 v59, s9, v60
	v_ashrrev_i32_e32 v60, 31, v59
	v_lshlrev_b64 v[57:58], 3, v[59:60]
	s_waitcnt vmcnt(0) lgkmcnt(0)
	buffer_store_dword v62, off, s[0:3], 0 offset:220
	buffer_store_dword v61, off, s[0:3], 0 offset:216
	v_add_co_u32_e32 v57, vcc, s4, v57
	v_addc_co_u32_e32 v58, vcc, v63, v58, vcc
	flat_load_dwordx2 v[61:62], v[57:58]
	v_add_u32_e32 v63, s9, v59
	;; [unrolled: 9-line block ×30, first 2 shown]
	v_ashrrev_i32_e32 v116, 31, v115
	v_lshlrev_b64 v[115:116], 3, v[115:116]
	v_mov_b32_e32 v118, s5
	v_add_co_u32_e32 v115, vcc, s4, v115
	v_addc_co_u32_e32 v116, vcc, v118, v116, vcc
	s_waitcnt vmcnt(0) lgkmcnt(0)
	buffer_store_dword v121, off, s[0:3], 0 offset:452
	buffer_store_dword v120, off, s[0:3], 0 offset:448
	flat_load_dwordx2 v[117:118], v[115:116]
	s_mov_b64 s[8:9], -1
	s_waitcnt vmcnt(0) lgkmcnt(0)
	buffer_store_dword v118, off, s[0:3], 0 offset:460
	buffer_store_dword v117, off, s[0:3], 0 offset:456
	s_cbranch_scc1 .LBB121_238
; %bb.4:
	v_cmp_eq_u32_e64 s[4:5], 0, v0
	s_and_saveexec_b64 s[8:9], s[4:5]
; %bb.5:
	v_mov_b32_e32 v117, 0
	ds_write_b32 v117, v117 offset:928
; %bb.6:
	s_or_b64 exec, exec, s[8:9]
	v_mov_b32_e32 v117, 0
	v_lshl_add_u32 v117, v0, 3, v117
	s_waitcnt lgkmcnt(0)
	; wave barrier
	buffer_load_dword v120, v117, s[0:3], 0 offen
	buffer_load_dword v121, v117, s[0:3], 0 offen offset:4
	s_waitcnt vmcnt(0)
	v_cmp_eq_f64_e32 vcc, 0, v[120:121]
	s_and_saveexec_b64 s[16:17], vcc
	s_cbranch_execz .LBB121_10
; %bb.7:
	v_mov_b32_e32 v118, 0
	ds_read_b32 v121, v118 offset:928
	v_add_u32_e32 v120, 1, v0
	s_waitcnt lgkmcnt(0)
	v_readfirstlane_b32 s8, v121
	s_cmp_eq_u32 s8, 0
	s_cselect_b64 s[18:19], -1, 0
	v_cmp_gt_i32_e32 vcc, s8, v120
	s_or_b64 s[18:19], s[18:19], vcc
	s_and_b64 exec, exec, s[18:19]
	s_cbranch_execz .LBB121_10
; %bb.8:
	s_mov_b64 s[18:19], 0
	v_mov_b32_e32 v121, s8
.LBB121_9:                              ; =>This Inner Loop Header: Depth=1
	ds_cmpst_rtn_b32 v121, v118, v121, v120 offset:928
	s_waitcnt lgkmcnt(0)
	v_cmp_ne_u32_e32 vcc, 0, v121
	v_cmp_le_i32_e64 s[8:9], v121, v120
	s_and_b64 s[8:9], vcc, s[8:9]
	s_and_b64 s[8:9], exec, s[8:9]
	s_or_b64 s[18:19], s[8:9], s[18:19]
	s_andn2_b64 exec, exec, s[18:19]
	s_cbranch_execnz .LBB121_9
.LBB121_10:
	s_or_b64 exec, exec, s[16:17]
	v_mov_b32_e32 v120, 0
	; wave barrier
	ds_read_b32 v118, v120 offset:928
	s_and_saveexec_b64 s[8:9], s[4:5]
	s_cbranch_execz .LBB121_12
; %bb.11:
	s_lshl_b64 s[16:17], s[6:7], 2
	s_add_u32 s16, s10, s16
	s_addc_u32 s17, s11, s17
	s_waitcnt lgkmcnt(0)
	global_store_dword v120, v118, s[16:17]
.LBB121_12:
	s_or_b64 exec, exec, s[8:9]
	s_waitcnt lgkmcnt(0)
	v_cmp_ne_u32_e32 vcc, 0, v118
	s_mov_b64 s[8:9], 0
	s_cbranch_vccnz .LBB121_238
; %bb.13:
	buffer_load_dword v120, v117, s[0:3], 0 offen
	buffer_load_dword v121, v117, s[0:3], 0 offen offset:4
	s_waitcnt vmcnt(0)
	v_div_scale_f64 v[122:123], s[8:9], v[120:121], v[120:121], 1.0
	v_rcp_f64_e32 v[124:125], v[122:123]
	v_fma_f64 v[126:127], -v[122:123], v[124:125], 1.0
	v_fma_f64 v[124:125], v[124:125], v[126:127], v[124:125]
	v_div_scale_f64 v[126:127], vcc, 1.0, v[120:121], 1.0
	v_fma_f64 v[128:129], -v[122:123], v[124:125], 1.0
	v_fma_f64 v[124:125], v[124:125], v[128:129], v[124:125]
	v_mul_f64 v[128:129], v[126:127], v[124:125]
	v_fma_f64 v[122:123], -v[122:123], v[128:129], v[126:127]
	v_div_fmas_f64 v[122:123], v[122:123], v[124:125], v[128:129]
	v_div_fixup_f64 v[121:122], v[122:123], v[120:121], 1.0
	v_add_u32_e32 v120, 0x1d0, v119
	buffer_store_dword v122, v117, s[0:3], 0 offen offset:4
	buffer_store_dword v121, v117, s[0:3], 0 offen
	buffer_load_dword v124, off, s[0:3], 0 offset:12
	buffer_load_dword v123, off, s[0:3], 0 offset:8
	v_xor_b32_e32 v122, 0x80000000, v122
	s_waitcnt vmcnt(0)
	ds_write2_b64 v119, v[121:122], v[123:124] offset1:58
	s_waitcnt lgkmcnt(0)
	; wave barrier
	s_and_saveexec_b64 s[8:9], s[4:5]
	s_cbranch_execz .LBB121_15
; %bb.14:
	buffer_load_dword v121, v117, s[0:3], 0 offen
	buffer_load_dword v122, v117, s[0:3], 0 offen offset:4
	ds_read_b64 v[123:124], v120
	v_mov_b32_e32 v118, 0
	ds_read_b64 v[125:126], v118 offset:8
	s_waitcnt vmcnt(0) lgkmcnt(1)
	v_fma_f64 v[121:122], v[121:122], v[123:124], 0
	s_waitcnt lgkmcnt(0)
	v_mul_f64 v[121:122], v[121:122], v[125:126]
	buffer_store_dword v121, off, s[0:3], 0 offset:8
	buffer_store_dword v122, off, s[0:3], 0 offset:12
.LBB121_15:
	s_or_b64 exec, exec, s[8:9]
	; wave barrier
	buffer_load_dword v121, off, s[0:3], 0 offset:16
	buffer_load_dword v122, off, s[0:3], 0 offset:20
	v_cmp_gt_u32_e32 vcc, 2, v0
	s_waitcnt vmcnt(0)
	ds_write_b64 v120, v[121:122]
	s_waitcnt lgkmcnt(0)
	; wave barrier
	s_and_saveexec_b64 s[8:9], vcc
	s_cbranch_execz .LBB121_17
; %bb.16:
	buffer_load_dword v121, v117, s[0:3], 0 offen
	buffer_load_dword v122, v117, s[0:3], 0 offen offset:4
                                        ; kill: killed $vgpr117
	s_nop 0
	buffer_load_dword v117, off, s[0:3], 0 offset:8
	buffer_load_dword v118, off, s[0:3], 0 offset:12
	ds_read_b64 v[123:124], v120
	s_waitcnt vmcnt(2) lgkmcnt(0)
	v_fma_f64 v[125:126], v[121:122], v[123:124], 0
	v_mov_b32_e32 v121, 0
	ds_read2_b64 v[121:124], v121 offset0:2 offset1:59
	s_waitcnt vmcnt(0) lgkmcnt(0)
	v_fma_f64 v[117:118], v[117:118], v[123:124], v[125:126]
	v_cndmask_b32_e64 v118, v126, v118, s[4:5]
	v_cndmask_b32_e64 v117, v125, v117, s[4:5]
	v_mul_f64 v[117:118], v[117:118], v[121:122]
	buffer_store_dword v118, off, s[0:3], 0 offset:20
	buffer_store_dword v117, off, s[0:3], 0 offset:16
.LBB121_17:
	s_or_b64 exec, exec, s[8:9]
	; wave barrier
	buffer_load_dword v117, off, s[0:3], 0 offset:24
	buffer_load_dword v118, off, s[0:3], 0 offset:28
	v_cmp_gt_u32_e32 vcc, 3, v0
	v_add_u32_e32 v121, -1, v0
	s_waitcnt vmcnt(0)
	ds_write_b64 v120, v[117:118]
	s_waitcnt lgkmcnt(0)
	; wave barrier
	s_and_saveexec_b64 s[4:5], vcc
	s_cbranch_execz .LBB121_21
; %bb.18:
	v_mov_b32_e32 v117, 0
	v_add_u32_e32 v122, -1, v0
	v_add_u32_e32 v123, 0x1d0, v119
	v_mov_b32_e32 v124, v119
	v_mov_b32_e32 v118, 0
	s_mov_b64 s[8:9], 0
.LBB121_19:                             ; =>This Inner Loop Header: Depth=1
	buffer_load_dword v125, v124, s[0:3], 0 offen
	buffer_load_dword v126, v124, s[0:3], 0 offen offset:4
	ds_read_b64 v[127:128], v123
	v_add_u32_e32 v122, 1, v122
	v_cmp_lt_u32_e32 vcc, 1, v122
	v_add_u32_e32 v123, 8, v123
	s_or_b64 s[8:9], vcc, s[8:9]
	v_add_u32_e32 v124, 8, v124
	s_waitcnt vmcnt(0) lgkmcnt(0)
	v_fma_f64 v[117:118], v[125:126], v[127:128], v[117:118]
	s_andn2_b64 exec, exec, s[8:9]
	s_cbranch_execnz .LBB121_19
; %bb.20:
	s_or_b64 exec, exec, s[8:9]
	v_mov_b32_e32 v122, 0
	ds_read_b64 v[122:123], v122 offset:24
	s_waitcnt lgkmcnt(0)
	v_mul_f64 v[117:118], v[117:118], v[122:123]
	buffer_store_dword v118, off, s[0:3], 0 offset:28
	buffer_store_dword v117, off, s[0:3], 0 offset:24
.LBB121_21:
	s_or_b64 exec, exec, s[4:5]
	; wave barrier
	buffer_load_dword v117, off, s[0:3], 0 offset:32
	buffer_load_dword v118, off, s[0:3], 0 offset:36
	v_cmp_gt_u32_e32 vcc, 4, v0
	s_waitcnt vmcnt(0)
	ds_write_b64 v120, v[117:118]
	s_waitcnt lgkmcnt(0)
	; wave barrier
	s_and_saveexec_b64 s[4:5], vcc
	s_cbranch_execz .LBB121_25
; %bb.22:
	v_mov_b32_e32 v117, 0
	v_add_u32_e32 v122, -1, v0
	v_add_u32_e32 v123, 0x1d0, v119
	v_mov_b32_e32 v124, v119
	v_mov_b32_e32 v118, 0
	s_mov_b64 s[8:9], 0
.LBB121_23:                             ; =>This Inner Loop Header: Depth=1
	buffer_load_dword v125, v124, s[0:3], 0 offen
	buffer_load_dword v126, v124, s[0:3], 0 offen offset:4
	ds_read_b64 v[127:128], v123
	v_add_u32_e32 v122, 1, v122
	v_cmp_lt_u32_e32 vcc, 2, v122
	v_add_u32_e32 v123, 8, v123
	s_or_b64 s[8:9], vcc, s[8:9]
	v_add_u32_e32 v124, 8, v124
	s_waitcnt vmcnt(0) lgkmcnt(0)
	v_fma_f64 v[117:118], v[125:126], v[127:128], v[117:118]
	s_andn2_b64 exec, exec, s[8:9]
	s_cbranch_execnz .LBB121_23
; %bb.24:
	s_or_b64 exec, exec, s[8:9]
	v_mov_b32_e32 v122, 0
	ds_read_b64 v[122:123], v122 offset:32
	s_waitcnt lgkmcnt(0)
	v_mul_f64 v[117:118], v[117:118], v[122:123]
	buffer_store_dword v118, off, s[0:3], 0 offset:36
	buffer_store_dword v117, off, s[0:3], 0 offset:32
.LBB121_25:
	s_or_b64 exec, exec, s[4:5]
	; wave barrier
	buffer_load_dword v117, off, s[0:3], 0 offset:40
	buffer_load_dword v118, off, s[0:3], 0 offset:44
	v_cmp_gt_u32_e32 vcc, 5, v0
	;; [unrolled: 40-line block ×21, first 2 shown]
	s_waitcnt vmcnt(0)
	ds_write_b64 v120, v[117:118]
	s_waitcnt lgkmcnt(0)
	; wave barrier
	s_and_saveexec_b64 s[4:5], vcc
	s_cbranch_execz .LBB121_105
; %bb.102:
	v_mov_b32_e32 v117, 0
	v_add_u32_e32 v122, -1, v0
	v_add_u32_e32 v123, 0x1d0, v119
	v_mov_b32_e32 v124, v119
	v_mov_b32_e32 v118, 0
	s_mov_b64 s[8:9], 0
.LBB121_103:                            ; =>This Inner Loop Header: Depth=1
	buffer_load_dword v125, v124, s[0:3], 0 offen
	buffer_load_dword v126, v124, s[0:3], 0 offen offset:4
	ds_read_b64 v[127:128], v123
	v_add_u32_e32 v122, 1, v122
	v_cmp_lt_u32_e32 vcc, 22, v122
	v_add_u32_e32 v123, 8, v123
	s_or_b64 s[8:9], vcc, s[8:9]
	v_add_u32_e32 v124, 8, v124
	s_waitcnt vmcnt(0) lgkmcnt(0)
	v_fma_f64 v[117:118], v[125:126], v[127:128], v[117:118]
	s_andn2_b64 exec, exec, s[8:9]
	s_cbranch_execnz .LBB121_103
; %bb.104:
	s_or_b64 exec, exec, s[8:9]
	v_mov_b32_e32 v122, 0
	ds_read_b64 v[122:123], v122 offset:192
	s_waitcnt lgkmcnt(0)
	v_mul_f64 v[117:118], v[117:118], v[122:123]
	buffer_store_dword v118, off, s[0:3], 0 offset:196
	buffer_store_dword v117, off, s[0:3], 0 offset:192
.LBB121_105:
	s_or_b64 exec, exec, s[4:5]
	; wave barrier
	buffer_load_dword v117, off, s[0:3], 0 offset:200
	buffer_load_dword v118, off, s[0:3], 0 offset:204
	v_cmp_gt_u32_e32 vcc, 25, v0
	s_waitcnt vmcnt(0)
	ds_write_b64 v120, v[117:118]
	s_waitcnt lgkmcnt(0)
	; wave barrier
	s_and_saveexec_b64 s[4:5], vcc
	s_cbranch_execz .LBB121_109
; %bb.106:
	v_mov_b32_e32 v117, 0
	v_add_u32_e32 v122, -1, v0
	v_add_u32_e32 v123, 0x1d0, v119
	v_mov_b32_e32 v124, v119
	v_mov_b32_e32 v118, 0
	s_mov_b64 s[8:9], 0
.LBB121_107:                            ; =>This Inner Loop Header: Depth=1
	buffer_load_dword v125, v124, s[0:3], 0 offen
	buffer_load_dword v126, v124, s[0:3], 0 offen offset:4
	ds_read_b64 v[127:128], v123
	v_add_u32_e32 v122, 1, v122
	v_cmp_lt_u32_e32 vcc, 23, v122
	v_add_u32_e32 v123, 8, v123
	s_or_b64 s[8:9], vcc, s[8:9]
	v_add_u32_e32 v124, 8, v124
	s_waitcnt vmcnt(0) lgkmcnt(0)
	v_fma_f64 v[117:118], v[125:126], v[127:128], v[117:118]
	s_andn2_b64 exec, exec, s[8:9]
	s_cbranch_execnz .LBB121_107
; %bb.108:
	s_or_b64 exec, exec, s[8:9]
	v_mov_b32_e32 v122, 0
	ds_read_b64 v[122:123], v122 offset:200
	s_waitcnt lgkmcnt(0)
	v_mul_f64 v[117:118], v[117:118], v[122:123]
	buffer_store_dword v118, off, s[0:3], 0 offset:204
	buffer_store_dword v117, off, s[0:3], 0 offset:200
.LBB121_109:
	s_or_b64 exec, exec, s[4:5]
	; wave barrier
	buffer_load_dword v117, off, s[0:3], 0 offset:208
	buffer_load_dword v118, off, s[0:3], 0 offset:212
	v_cmp_gt_u32_e32 vcc, 26, v0
	;; [unrolled: 40-line block ×32, first 2 shown]
	s_waitcnt vmcnt(0)
	ds_write_b64 v120, v[117:118]
	s_waitcnt lgkmcnt(0)
	; wave barrier
	s_and_saveexec_b64 s[4:5], vcc
	s_cbranch_execz .LBB121_233
; %bb.230:
	v_mov_b32_e32 v117, 0
	v_add_u32_e32 v122, -1, v0
	v_add_u32_e32 v123, 0x1d0, v119
	v_mov_b32_e32 v124, v119
	v_mov_b32_e32 v118, 0
	s_mov_b64 s[8:9], 0
.LBB121_231:                            ; =>This Inner Loop Header: Depth=1
	buffer_load_dword v125, v124, s[0:3], 0 offen
	buffer_load_dword v126, v124, s[0:3], 0 offen offset:4
	ds_read_b64 v[127:128], v123
	v_add_u32_e32 v122, 1, v122
	v_cmp_lt_u32_e32 vcc, 54, v122
	v_add_u32_e32 v123, 8, v123
	s_or_b64 s[8:9], vcc, s[8:9]
	v_add_u32_e32 v124, 8, v124
	s_waitcnt vmcnt(0) lgkmcnt(0)
	v_fma_f64 v[117:118], v[125:126], v[127:128], v[117:118]
	s_andn2_b64 exec, exec, s[8:9]
	s_cbranch_execnz .LBB121_231
; %bb.232:
	s_or_b64 exec, exec, s[8:9]
	v_mov_b32_e32 v122, 0
	ds_read_b64 v[122:123], v122 offset:448
	s_waitcnt lgkmcnt(0)
	v_mul_f64 v[117:118], v[117:118], v[122:123]
	buffer_store_dword v118, off, s[0:3], 0 offset:452
	buffer_store_dword v117, off, s[0:3], 0 offset:448
.LBB121_233:
	s_or_b64 exec, exec, s[4:5]
	; wave barrier
	buffer_load_dword v117, off, s[0:3], 0 offset:456
	buffer_load_dword v118, off, s[0:3], 0 offset:460
	v_cmp_ne_u32_e32 vcc, 57, v0
	s_waitcnt vmcnt(0)
	ds_write_b64 v120, v[117:118]
	s_waitcnt lgkmcnt(0)
	; wave barrier
	s_and_saveexec_b64 s[4:5], vcc
	s_cbranch_execz .LBB121_237
; %bb.234:
	v_mov_b32_e32 v117, 0
	v_add_u32_e32 v120, 0x1d0, v119
	v_mov_b32_e32 v118, 0
	s_mov_b64 s[8:9], 0
.LBB121_235:                            ; =>This Inner Loop Header: Depth=1
	buffer_load_dword v122, v119, s[0:3], 0 offen
	buffer_load_dword v123, v119, s[0:3], 0 offen offset:4
	ds_read_b64 v[124:125], v120
	v_add_u32_e32 v121, 1, v121
	v_cmp_lt_u32_e32 vcc, 55, v121
	v_add_u32_e32 v120, 8, v120
	s_or_b64 s[8:9], vcc, s[8:9]
	v_add_u32_e32 v119, 8, v119
	s_waitcnt vmcnt(0) lgkmcnt(0)
	v_fma_f64 v[117:118], v[122:123], v[124:125], v[117:118]
	s_andn2_b64 exec, exec, s[8:9]
	s_cbranch_execnz .LBB121_235
; %bb.236:
	s_or_b64 exec, exec, s[8:9]
	v_mov_b32_e32 v119, 0
	ds_read_b64 v[119:120], v119 offset:456
	s_waitcnt lgkmcnt(0)
	v_mul_f64 v[117:118], v[117:118], v[119:120]
	buffer_store_dword v118, off, s[0:3], 0 offset:460
	buffer_store_dword v117, off, s[0:3], 0 offset:456
.LBB121_237:
	s_or_b64 exec, exec, s[4:5]
	s_mov_b64 s[8:9], -1
	; wave barrier
.LBB121_238:
	s_and_b64 vcc, exec, s[8:9]
	s_cbranch_vccz .LBB121_240
; %bb.239:
	s_lshl_b64 s[4:5], s[6:7], 2
	s_add_u32 s4, s10, s4
	s_addc_u32 s5, s11, s5
	v_mov_b32_e32 v117, 0
	global_load_dword v117, v117, s[4:5]
	s_waitcnt vmcnt(0)
	v_cmp_ne_u32_e32 vcc, 0, v117
	s_cbranch_vccz .LBB121_241
.LBB121_240:
	s_endpgm
.LBB121_241:
	v_mov_b32_e32 v117, 0x1d0
	v_lshl_add_u32 v117, v0, 3, v117
	v_cmp_eq_u32_e32 vcc, 57, v0
	s_and_saveexec_b64 s[4:5], vcc
	s_cbranch_execz .LBB121_243
; %bb.242:
	buffer_load_dword v118, off, s[0:3], 0 offset:448
	buffer_load_dword v119, off, s[0:3], 0 offset:452
	v_mov_b32_e32 v120, 0
	buffer_store_dword v120, off, s[0:3], 0 offset:448
	buffer_store_dword v120, off, s[0:3], 0 offset:452
	s_waitcnt vmcnt(2)
	ds_write_b64 v117, v[118:119]
.LBB121_243:
	s_or_b64 exec, exec, s[4:5]
	s_waitcnt lgkmcnt(0)
	; wave barrier
	buffer_load_dword v119, off, s[0:3], 0 offset:456
	buffer_load_dword v120, off, s[0:3], 0 offset:460
	;; [unrolled: 1-line block ×4, first 2 shown]
	v_mov_b32_e32 v118, 0
	ds_read_b64 v[123:124], v118 offset:920
	v_cmp_lt_u32_e32 vcc, 55, v0
	s_waitcnt vmcnt(2) lgkmcnt(0)
	v_fma_f64 v[119:120], v[119:120], v[123:124], 0
	s_waitcnt vmcnt(0)
	v_add_f64 v[119:120], v[121:122], -v[119:120]
	buffer_store_dword v119, off, s[0:3], 0 offset:448
	buffer_store_dword v120, off, s[0:3], 0 offset:452
	s_and_saveexec_b64 s[4:5], vcc
	s_cbranch_execz .LBB121_245
; %bb.244:
	buffer_load_dword v119, off, s[0:3], 0 offset:440
	buffer_load_dword v120, off, s[0:3], 0 offset:444
	s_waitcnt vmcnt(0)
	ds_write_b64 v117, v[119:120]
	buffer_store_dword v118, off, s[0:3], 0 offset:440
	buffer_store_dword v118, off, s[0:3], 0 offset:444
.LBB121_245:
	s_or_b64 exec, exec, s[4:5]
	s_waitcnt lgkmcnt(0)
	; wave barrier
	buffer_load_dword v122, off, s[0:3], 0 offset:448
	buffer_load_dword v123, off, s[0:3], 0 offset:452
	;; [unrolled: 1-line block ×6, first 2 shown]
	ds_read_b128 v[118:121], v118 offset:912
	v_cmp_lt_u32_e32 vcc, 54, v0
	s_waitcnt vmcnt(4) lgkmcnt(0)
	v_fma_f64 v[118:119], v[122:123], v[118:119], 0
	s_waitcnt vmcnt(2)
	v_fma_f64 v[118:119], v[124:125], v[120:121], v[118:119]
	s_waitcnt vmcnt(0)
	v_add_f64 v[118:119], v[126:127], -v[118:119]
	buffer_store_dword v118, off, s[0:3], 0 offset:440
	buffer_store_dword v119, off, s[0:3], 0 offset:444
	s_and_saveexec_b64 s[4:5], vcc
	s_cbranch_execz .LBB121_247
; %bb.246:
	buffer_load_dword v118, off, s[0:3], 0 offset:432
	buffer_load_dword v119, off, s[0:3], 0 offset:436
	v_mov_b32_e32 v120, 0
	buffer_store_dword v120, off, s[0:3], 0 offset:432
	buffer_store_dword v120, off, s[0:3], 0 offset:436
	s_waitcnt vmcnt(2)
	ds_write_b64 v117, v[118:119]
.LBB121_247:
	s_or_b64 exec, exec, s[4:5]
	s_waitcnt lgkmcnt(0)
	; wave barrier
	buffer_load_dword v123, off, s[0:3], 0 offset:440
	buffer_load_dword v124, off, s[0:3], 0 offset:444
	;; [unrolled: 1-line block ×8, first 2 shown]
	v_mov_b32_e32 v118, 0
	ds_read2_b64 v[119:122], v118 offset0:113 offset1:114
	ds_read_b64 v[131:132], v118 offset:920
	v_cmp_lt_u32_e32 vcc, 53, v0
	s_waitcnt vmcnt(6) lgkmcnt(1)
	v_fma_f64 v[119:120], v[123:124], v[119:120], 0
	s_waitcnt vmcnt(4)
	v_fma_f64 v[119:120], v[125:126], v[121:122], v[119:120]
	s_waitcnt vmcnt(2) lgkmcnt(0)
	v_fma_f64 v[119:120], v[127:128], v[131:132], v[119:120]
	s_waitcnt vmcnt(0)
	v_add_f64 v[119:120], v[129:130], -v[119:120]
	buffer_store_dword v119, off, s[0:3], 0 offset:432
	buffer_store_dword v120, off, s[0:3], 0 offset:436
	s_and_saveexec_b64 s[4:5], vcc
	s_cbranch_execz .LBB121_249
; %bb.248:
	buffer_load_dword v119, off, s[0:3], 0 offset:424
	buffer_load_dword v120, off, s[0:3], 0 offset:428
	s_waitcnt vmcnt(0)
	ds_write_b64 v117, v[119:120]
	buffer_store_dword v118, off, s[0:3], 0 offset:424
	buffer_store_dword v118, off, s[0:3], 0 offset:428
.LBB121_249:
	s_or_b64 exec, exec, s[4:5]
	s_waitcnt lgkmcnt(0)
	; wave barrier
	buffer_load_dword v127, off, s[0:3], 0 offset:432
	buffer_load_dword v128, off, s[0:3], 0 offset:436
	;; [unrolled: 1-line block ×10, first 2 shown]
	ds_read_b128 v[119:122], v118 offset:896
	ds_read_b128 v[123:126], v118 offset:912
	v_cmp_lt_u32_e32 vcc, 52, v0
	s_waitcnt vmcnt(8) lgkmcnt(1)
	v_fma_f64 v[118:119], v[127:128], v[119:120], 0
	s_waitcnt vmcnt(6)
	v_fma_f64 v[118:119], v[129:130], v[121:122], v[118:119]
	s_waitcnt vmcnt(4) lgkmcnt(0)
	v_fma_f64 v[118:119], v[131:132], v[123:124], v[118:119]
	s_waitcnt vmcnt(2)
	v_fma_f64 v[118:119], v[133:134], v[125:126], v[118:119]
	s_waitcnt vmcnt(0)
	v_add_f64 v[118:119], v[135:136], -v[118:119]
	buffer_store_dword v118, off, s[0:3], 0 offset:424
	buffer_store_dword v119, off, s[0:3], 0 offset:428
	s_and_saveexec_b64 s[4:5], vcc
	s_cbranch_execz .LBB121_251
; %bb.250:
	buffer_load_dword v118, off, s[0:3], 0 offset:416
	buffer_load_dword v119, off, s[0:3], 0 offset:420
	v_mov_b32_e32 v120, 0
	buffer_store_dword v120, off, s[0:3], 0 offset:416
	buffer_store_dword v120, off, s[0:3], 0 offset:420
	s_waitcnt vmcnt(2)
	ds_write_b64 v117, v[118:119]
.LBB121_251:
	s_or_b64 exec, exec, s[4:5]
	s_waitcnt lgkmcnt(0)
	; wave barrier
	buffer_load_dword v127, off, s[0:3], 0 offset:424
	buffer_load_dword v128, off, s[0:3], 0 offset:428
	;; [unrolled: 1-line block ×12, first 2 shown]
	v_mov_b32_e32 v118, 0
	ds_read2_b64 v[119:122], v118 offset0:111 offset1:112
	ds_read2_b64 v[123:126], v118 offset0:113 offset1:114
	v_cmp_lt_u32_e32 vcc, 51, v0
	s_waitcnt vmcnt(10) lgkmcnt(1)
	v_fma_f64 v[119:120], v[127:128], v[119:120], 0
	s_waitcnt vmcnt(8)
	v_fma_f64 v[119:120], v[129:130], v[121:122], v[119:120]
	ds_read_b64 v[121:122], v118 offset:920
	s_waitcnt vmcnt(6) lgkmcnt(1)
	v_fma_f64 v[119:120], v[131:132], v[123:124], v[119:120]
	s_waitcnt vmcnt(4)
	v_fma_f64 v[119:120], v[133:134], v[125:126], v[119:120]
	s_waitcnt vmcnt(2) lgkmcnt(0)
	v_fma_f64 v[119:120], v[135:136], v[121:122], v[119:120]
	s_waitcnt vmcnt(0)
	v_add_f64 v[119:120], v[137:138], -v[119:120]
	buffer_store_dword v119, off, s[0:3], 0 offset:416
	buffer_store_dword v120, off, s[0:3], 0 offset:420
	s_and_saveexec_b64 s[4:5], vcc
	s_cbranch_execz .LBB121_253
; %bb.252:
	buffer_load_dword v119, off, s[0:3], 0 offset:408
	buffer_load_dword v120, off, s[0:3], 0 offset:412
	s_waitcnt vmcnt(0)
	ds_write_b64 v117, v[119:120]
	buffer_store_dword v118, off, s[0:3], 0 offset:408
	buffer_store_dword v118, off, s[0:3], 0 offset:412
.LBB121_253:
	s_or_b64 exec, exec, s[4:5]
	s_waitcnt lgkmcnt(0)
	; wave barrier
	buffer_load_dword v127, off, s[0:3], 0 offset:416
	buffer_load_dword v128, off, s[0:3], 0 offset:420
	;; [unrolled: 1-line block ×14, first 2 shown]
	ds_read_b128 v[119:122], v118 offset:880
	ds_read_b128 v[123:126], v118 offset:896
	v_cmp_lt_u32_e32 vcc, 50, v0
	s_waitcnt vmcnt(12) lgkmcnt(1)
	v_fma_f64 v[119:120], v[127:128], v[119:120], 0
	s_waitcnt vmcnt(10)
	v_fma_f64 v[119:120], v[129:130], v[121:122], v[119:120]
	s_waitcnt vmcnt(8) lgkmcnt(0)
	v_fma_f64 v[119:120], v[131:132], v[123:124], v[119:120]
	s_waitcnt vmcnt(6)
	v_fma_f64 v[122:123], v[133:134], v[125:126], v[119:120]
	ds_read_b128 v[118:121], v118 offset:912
	s_waitcnt vmcnt(4) lgkmcnt(0)
	v_fma_f64 v[118:119], v[135:136], v[118:119], v[122:123]
	s_waitcnt vmcnt(2)
	v_fma_f64 v[118:119], v[137:138], v[120:121], v[118:119]
	s_waitcnt vmcnt(0)
	v_add_f64 v[118:119], v[139:140], -v[118:119]
	buffer_store_dword v118, off, s[0:3], 0 offset:408
	buffer_store_dword v119, off, s[0:3], 0 offset:412
	s_and_saveexec_b64 s[4:5], vcc
	s_cbranch_execz .LBB121_255
; %bb.254:
	buffer_load_dword v118, off, s[0:3], 0 offset:400
	buffer_load_dword v119, off, s[0:3], 0 offset:404
	v_mov_b32_e32 v120, 0
	buffer_store_dword v120, off, s[0:3], 0 offset:400
	buffer_store_dword v120, off, s[0:3], 0 offset:404
	s_waitcnt vmcnt(2)
	ds_write_b64 v117, v[118:119]
.LBB121_255:
	s_or_b64 exec, exec, s[4:5]
	s_waitcnt lgkmcnt(0)
	; wave barrier
	buffer_load_dword v127, off, s[0:3], 0 offset:408
	buffer_load_dword v128, off, s[0:3], 0 offset:412
	;; [unrolled: 1-line block ×16, first 2 shown]
	v_mov_b32_e32 v118, 0
	ds_read2_b64 v[119:122], v118 offset0:109 offset1:110
	ds_read2_b64 v[123:126], v118 offset0:111 offset1:112
	v_cmp_lt_u32_e32 vcc, 49, v0
	s_waitcnt vmcnt(14) lgkmcnt(1)
	v_fma_f64 v[119:120], v[127:128], v[119:120], 0
	s_waitcnt vmcnt(12)
	v_fma_f64 v[119:120], v[129:130], v[121:122], v[119:120]
	s_waitcnt vmcnt(10) lgkmcnt(0)
	v_fma_f64 v[119:120], v[131:132], v[123:124], v[119:120]
	s_waitcnt vmcnt(8)
	v_fma_f64 v[123:124], v[133:134], v[125:126], v[119:120]
	ds_read2_b64 v[119:122], v118 offset0:113 offset1:114
	ds_read_b64 v[125:126], v118 offset:920
	s_waitcnt vmcnt(6) lgkmcnt(1)
	v_fma_f64 v[119:120], v[135:136], v[119:120], v[123:124]
	s_waitcnt vmcnt(4)
	v_fma_f64 v[119:120], v[137:138], v[121:122], v[119:120]
	s_waitcnt vmcnt(2) lgkmcnt(0)
	v_fma_f64 v[119:120], v[139:140], v[125:126], v[119:120]
	s_waitcnt vmcnt(0)
	v_add_f64 v[119:120], v[141:142], -v[119:120]
	buffer_store_dword v119, off, s[0:3], 0 offset:400
	buffer_store_dword v120, off, s[0:3], 0 offset:404
	s_and_saveexec_b64 s[4:5], vcc
	s_cbranch_execz .LBB121_257
; %bb.256:
	buffer_load_dword v119, off, s[0:3], 0 offset:392
	buffer_load_dword v120, off, s[0:3], 0 offset:396
	s_waitcnt vmcnt(0)
	ds_write_b64 v117, v[119:120]
	buffer_store_dword v118, off, s[0:3], 0 offset:392
	buffer_store_dword v118, off, s[0:3], 0 offset:396
.LBB121_257:
	s_or_b64 exec, exec, s[4:5]
	s_waitcnt lgkmcnt(0)
	; wave barrier
	buffer_load_dword v127, off, s[0:3], 0 offset:400
	buffer_load_dword v128, off, s[0:3], 0 offset:404
	;; [unrolled: 1-line block ×18, first 2 shown]
	ds_read_b128 v[119:122], v118 offset:864
	ds_read_b128 v[123:126], v118 offset:880
	v_cmp_lt_u32_e32 vcc, 48, v0
	s_waitcnt vmcnt(16) lgkmcnt(1)
	v_fma_f64 v[119:120], v[127:128], v[119:120], 0
	s_waitcnt vmcnt(14)
	v_fma_f64 v[119:120], v[129:130], v[121:122], v[119:120]
	s_waitcnt vmcnt(12) lgkmcnt(0)
	v_fma_f64 v[119:120], v[131:132], v[123:124], v[119:120]
	s_waitcnt vmcnt(10)
	v_fma_f64 v[127:128], v[133:134], v[125:126], v[119:120]
	ds_read_b128 v[119:122], v118 offset:896
	ds_read_b128 v[123:126], v118 offset:912
	s_waitcnt vmcnt(8) lgkmcnt(1)
	v_fma_f64 v[118:119], v[135:136], v[119:120], v[127:128]
	s_waitcnt vmcnt(6)
	v_fma_f64 v[118:119], v[137:138], v[121:122], v[118:119]
	s_waitcnt vmcnt(4) lgkmcnt(0)
	v_fma_f64 v[118:119], v[139:140], v[123:124], v[118:119]
	s_waitcnt vmcnt(2)
	v_fma_f64 v[118:119], v[141:142], v[125:126], v[118:119]
	s_waitcnt vmcnt(0)
	v_add_f64 v[118:119], v[143:144], -v[118:119]
	buffer_store_dword v118, off, s[0:3], 0 offset:392
	buffer_store_dword v119, off, s[0:3], 0 offset:396
	s_and_saveexec_b64 s[4:5], vcc
	s_cbranch_execz .LBB121_259
; %bb.258:
	buffer_load_dword v118, off, s[0:3], 0 offset:384
	buffer_load_dword v119, off, s[0:3], 0 offset:388
	v_mov_b32_e32 v120, 0
	buffer_store_dword v120, off, s[0:3], 0 offset:384
	buffer_store_dword v120, off, s[0:3], 0 offset:388
	s_waitcnt vmcnt(2)
	ds_write_b64 v117, v[118:119]
.LBB121_259:
	s_or_b64 exec, exec, s[4:5]
	s_waitcnt lgkmcnt(0)
	; wave barrier
	buffer_load_dword v127, off, s[0:3], 0 offset:392
	buffer_load_dword v128, off, s[0:3], 0 offset:396
	;; [unrolled: 1-line block ×20, first 2 shown]
	v_mov_b32_e32 v118, 0
	ds_read2_b64 v[119:122], v118 offset0:107 offset1:108
	ds_read2_b64 v[123:126], v118 offset0:109 offset1:110
	v_cmp_lt_u32_e32 vcc, 47, v0
	s_waitcnt vmcnt(18) lgkmcnt(1)
	v_fma_f64 v[119:120], v[127:128], v[119:120], 0
	s_waitcnt vmcnt(16)
	v_fma_f64 v[119:120], v[129:130], v[121:122], v[119:120]
	s_waitcnt vmcnt(14) lgkmcnt(0)
	v_fma_f64 v[119:120], v[131:132], v[123:124], v[119:120]
	s_waitcnt vmcnt(12)
	v_fma_f64 v[127:128], v[133:134], v[125:126], v[119:120]
	ds_read2_b64 v[119:122], v118 offset0:111 offset1:112
	ds_read2_b64 v[123:126], v118 offset0:113 offset1:114
	s_waitcnt vmcnt(10) lgkmcnt(1)
	v_fma_f64 v[119:120], v[135:136], v[119:120], v[127:128]
	s_waitcnt vmcnt(8)
	v_fma_f64 v[119:120], v[137:138], v[121:122], v[119:120]
	ds_read_b64 v[121:122], v118 offset:920
	s_waitcnt vmcnt(6) lgkmcnt(1)
	v_fma_f64 v[119:120], v[139:140], v[123:124], v[119:120]
	s_waitcnt vmcnt(3)
	v_fma_f64 v[119:120], v[141:142], v[125:126], v[119:120]
	s_waitcnt vmcnt(2) lgkmcnt(0)
	v_fma_f64 v[119:120], v[143:144], v[121:122], v[119:120]
	s_waitcnt vmcnt(0)
	v_add_f64 v[119:120], v[145:146], -v[119:120]
	buffer_store_dword v119, off, s[0:3], 0 offset:384
	buffer_store_dword v120, off, s[0:3], 0 offset:388
	s_and_saveexec_b64 s[4:5], vcc
	s_cbranch_execz .LBB121_261
; %bb.260:
	buffer_load_dword v119, off, s[0:3], 0 offset:376
	buffer_load_dword v120, off, s[0:3], 0 offset:380
	s_waitcnt vmcnt(0)
	ds_write_b64 v117, v[119:120]
	buffer_store_dword v118, off, s[0:3], 0 offset:376
	buffer_store_dword v118, off, s[0:3], 0 offset:380
.LBB121_261:
	s_or_b64 exec, exec, s[4:5]
	s_waitcnt lgkmcnt(0)
	; wave barrier
	buffer_load_dword v127, off, s[0:3], 0 offset:384
	buffer_load_dword v128, off, s[0:3], 0 offset:388
	;; [unrolled: 1-line block ×20, first 2 shown]
	ds_read_b128 v[119:122], v118 offset:848
	buffer_load_dword v147, off, s[0:3], 0 offset:376
	buffer_load_dword v148, off, s[0:3], 0 offset:380
	ds_read_b128 v[123:126], v118 offset:864
	v_cmp_lt_u32_e32 vcc, 46, v0
	s_waitcnt vmcnt(20) lgkmcnt(1)
	v_fma_f64 v[119:120], v[127:128], v[119:120], 0
	s_waitcnt vmcnt(18)
	v_fma_f64 v[119:120], v[129:130], v[121:122], v[119:120]
	s_waitcnt vmcnt(16) lgkmcnt(0)
	v_fma_f64 v[119:120], v[131:132], v[123:124], v[119:120]
	s_waitcnt vmcnt(14)
	v_fma_f64 v[127:128], v[133:134], v[125:126], v[119:120]
	ds_read_b128 v[119:122], v118 offset:880
	ds_read_b128 v[123:126], v118 offset:896
	s_waitcnt vmcnt(12) lgkmcnt(1)
	v_fma_f64 v[119:120], v[135:136], v[119:120], v[127:128]
	s_waitcnt vmcnt(10)
	v_fma_f64 v[119:120], v[137:138], v[121:122], v[119:120]
	s_waitcnt vmcnt(8) lgkmcnt(0)
	v_fma_f64 v[119:120], v[139:140], v[123:124], v[119:120]
	s_waitcnt vmcnt(4)
	v_fma_f64 v[122:123], v[141:142], v[125:126], v[119:120]
	ds_read_b128 v[118:121], v118 offset:912
	s_waitcnt vmcnt(3) lgkmcnt(0)
	v_fma_f64 v[118:119], v[145:146], v[118:119], v[122:123]
	s_waitcnt vmcnt(2)
	v_fma_f64 v[118:119], v[143:144], v[120:121], v[118:119]
	s_waitcnt vmcnt(0)
	v_add_f64 v[118:119], v[147:148], -v[118:119]
	buffer_store_dword v118, off, s[0:3], 0 offset:376
	buffer_store_dword v119, off, s[0:3], 0 offset:380
	s_and_saveexec_b64 s[4:5], vcc
	s_cbranch_execz .LBB121_263
; %bb.262:
	buffer_load_dword v118, off, s[0:3], 0 offset:368
	buffer_load_dword v119, off, s[0:3], 0 offset:372
	v_mov_b32_e32 v120, 0
	buffer_store_dword v120, off, s[0:3], 0 offset:368
	buffer_store_dword v120, off, s[0:3], 0 offset:372
	s_waitcnt vmcnt(2)
	ds_write_b64 v117, v[118:119]
.LBB121_263:
	s_or_b64 exec, exec, s[4:5]
	s_waitcnt lgkmcnt(0)
	; wave barrier
	buffer_load_dword v127, off, s[0:3], 0 offset:376
	buffer_load_dword v128, off, s[0:3], 0 offset:380
	;; [unrolled: 1-line block ×21, first 2 shown]
	v_mov_b32_e32 v118, 0
	ds_read2_b64 v[119:122], v118 offset0:105 offset1:106
	ds_read2_b64 v[123:126], v118 offset0:107 offset1:108
	buffer_load_dword v144, off, s[0:3], 0 offset:460
	v_cmp_lt_u32_e32 vcc, 45, v0
	s_waitcnt vmcnt(20) lgkmcnt(1)
	v_fma_f64 v[119:120], v[127:128], v[119:120], 0
	buffer_load_dword v127, off, s[0:3], 0 offset:368
	buffer_load_dword v128, off, s[0:3], 0 offset:372
	s_waitcnt vmcnt(20)
	v_fma_f64 v[119:120], v[129:130], v[121:122], v[119:120]
	s_waitcnt vmcnt(18) lgkmcnt(0)
	v_fma_f64 v[119:120], v[131:132], v[123:124], v[119:120]
	s_waitcnt vmcnt(16)
	v_fma_f64 v[129:130], v[133:134], v[125:126], v[119:120]
	ds_read2_b64 v[119:122], v118 offset0:109 offset1:110
	ds_read2_b64 v[123:126], v118 offset0:111 offset1:112
	s_waitcnt vmcnt(14) lgkmcnt(1)
	v_fma_f64 v[119:120], v[135:136], v[119:120], v[129:130]
	s_waitcnt vmcnt(12)
	v_fma_f64 v[119:120], v[137:138], v[121:122], v[119:120]
	s_waitcnt vmcnt(10) lgkmcnt(0)
	v_fma_f64 v[119:120], v[139:140], v[123:124], v[119:120]
	s_waitcnt vmcnt(5)
	v_fma_f64 v[123:124], v[141:142], v[125:126], v[119:120]
	ds_read2_b64 v[119:122], v118 offset0:113 offset1:114
	ds_read_b64 v[125:126], v118 offset:920
	s_waitcnt vmcnt(4) lgkmcnt(1)
	v_fma_f64 v[119:120], v[147:148], v[119:120], v[123:124]
	s_waitcnt vmcnt(3)
	v_fma_f64 v[119:120], v[145:146], v[121:122], v[119:120]
	s_waitcnt vmcnt(2) lgkmcnt(0)
	v_fma_f64 v[119:120], v[143:144], v[125:126], v[119:120]
	s_waitcnt vmcnt(0)
	v_add_f64 v[119:120], v[127:128], -v[119:120]
	buffer_store_dword v120, off, s[0:3], 0 offset:372
	buffer_store_dword v119, off, s[0:3], 0 offset:368
	s_and_saveexec_b64 s[4:5], vcc
	s_cbranch_execz .LBB121_265
; %bb.264:
	buffer_load_dword v119, off, s[0:3], 0 offset:360
	buffer_load_dword v120, off, s[0:3], 0 offset:364
	s_waitcnt vmcnt(0)
	ds_write_b64 v117, v[119:120]
	buffer_store_dword v118, off, s[0:3], 0 offset:360
	buffer_store_dword v118, off, s[0:3], 0 offset:364
.LBB121_265:
	s_or_b64 exec, exec, s[4:5]
	s_waitcnt lgkmcnt(0)
	; wave barrier
	buffer_load_dword v127, off, s[0:3], 0 offset:368
	buffer_load_dword v128, off, s[0:3], 0 offset:372
	;; [unrolled: 1-line block ×21, first 2 shown]
	ds_read_b128 v[119:122], v118 offset:832
	ds_read_b128 v[123:126], v118 offset:848
	buffer_load_dword v144, off, s[0:3], 0 offset:452
	v_cmp_lt_u32_e32 vcc, 44, v0
	s_waitcnt vmcnt(20) lgkmcnt(1)
	v_fma_f64 v[119:120], v[127:128], v[119:120], 0
	buffer_load_dword v128, off, s[0:3], 0 offset:460
	buffer_load_dword v127, off, s[0:3], 0 offset:456
	s_waitcnt vmcnt(20)
	v_fma_f64 v[119:120], v[129:130], v[121:122], v[119:120]
	buffer_load_dword v129, off, s[0:3], 0 offset:360
	buffer_load_dword v130, off, s[0:3], 0 offset:364
	s_waitcnt vmcnt(20) lgkmcnt(0)
	v_fma_f64 v[119:120], v[131:132], v[123:124], v[119:120]
	s_waitcnt vmcnt(18)
	v_fma_f64 v[131:132], v[133:134], v[125:126], v[119:120]
	ds_read_b128 v[119:122], v118 offset:864
	ds_read_b128 v[123:126], v118 offset:880
	s_waitcnt vmcnt(16) lgkmcnt(1)
	v_fma_f64 v[119:120], v[135:136], v[119:120], v[131:132]
	s_waitcnt vmcnt(14)
	v_fma_f64 v[119:120], v[137:138], v[121:122], v[119:120]
	s_waitcnt vmcnt(12) lgkmcnt(0)
	v_fma_f64 v[119:120], v[139:140], v[123:124], v[119:120]
	s_waitcnt vmcnt(7)
	v_fma_f64 v[131:132], v[141:142], v[125:126], v[119:120]
	ds_read_b128 v[119:122], v118 offset:896
	ds_read_b128 v[123:126], v118 offset:912
	s_waitcnt vmcnt(6) lgkmcnt(1)
	v_fma_f64 v[118:119], v[147:148], v[119:120], v[131:132]
	s_waitcnt vmcnt(5)
	v_fma_f64 v[118:119], v[145:146], v[121:122], v[118:119]
	s_waitcnt vmcnt(4) lgkmcnt(0)
	v_fma_f64 v[118:119], v[143:144], v[123:124], v[118:119]
	s_waitcnt vmcnt(2)
	v_fma_f64 v[118:119], v[127:128], v[125:126], v[118:119]
	s_waitcnt vmcnt(0)
	v_add_f64 v[118:119], v[129:130], -v[118:119]
	buffer_store_dword v119, off, s[0:3], 0 offset:364
	buffer_store_dword v118, off, s[0:3], 0 offset:360
	s_and_saveexec_b64 s[4:5], vcc
	s_cbranch_execz .LBB121_267
; %bb.266:
	buffer_load_dword v118, off, s[0:3], 0 offset:352
	buffer_load_dword v119, off, s[0:3], 0 offset:356
	v_mov_b32_e32 v120, 0
	buffer_store_dword v120, off, s[0:3], 0 offset:352
	buffer_store_dword v120, off, s[0:3], 0 offset:356
	s_waitcnt vmcnt(2)
	ds_write_b64 v117, v[118:119]
.LBB121_267:
	s_or_b64 exec, exec, s[4:5]
	s_waitcnt lgkmcnt(0)
	; wave barrier
	buffer_load_dword v127, off, s[0:3], 0 offset:360
	buffer_load_dword v128, off, s[0:3], 0 offset:364
	;; [unrolled: 1-line block ×21, first 2 shown]
	v_mov_b32_e32 v118, 0
	ds_read2_b64 v[119:122], v118 offset0:103 offset1:104
	ds_read2_b64 v[123:126], v118 offset0:105 offset1:106
	buffer_load_dword v144, off, s[0:3], 0 offset:444
	v_cmp_lt_u32_e32 vcc, 43, v0
	s_waitcnt vmcnt(20) lgkmcnt(1)
	v_fma_f64 v[119:120], v[127:128], v[119:120], 0
	s_waitcnt vmcnt(18)
	v_fma_f64 v[119:120], v[129:130], v[121:122], v[119:120]
	buffer_load_dword v128, off, s[0:3], 0 offset:452
	buffer_load_dword v129, off, s[0:3], 0 offset:456
	;; [unrolled: 1-line block ×4, first 2 shown]
	s_waitcnt vmcnt(20) lgkmcnt(0)
	v_fma_f64 v[119:120], v[131:132], v[123:124], v[119:120]
	buffer_load_dword v131, off, s[0:3], 0 offset:352
	buffer_load_dword v132, off, s[0:3], 0 offset:356
	s_waitcnt vmcnt(20)
	v_fma_f64 v[133:134], v[133:134], v[125:126], v[119:120]
	ds_read2_b64 v[119:122], v118 offset0:107 offset1:108
	ds_read2_b64 v[123:126], v118 offset0:109 offset1:110
	s_waitcnt vmcnt(18) lgkmcnt(1)
	v_fma_f64 v[119:120], v[135:136], v[119:120], v[133:134]
	s_waitcnt vmcnt(16)
	v_fma_f64 v[119:120], v[137:138], v[121:122], v[119:120]
	s_waitcnt vmcnt(14) lgkmcnt(0)
	v_fma_f64 v[119:120], v[139:140], v[123:124], v[119:120]
	s_waitcnt vmcnt(9)
	v_fma_f64 v[133:134], v[141:142], v[125:126], v[119:120]
	ds_read2_b64 v[119:122], v118 offset0:111 offset1:112
	ds_read2_b64 v[123:126], v118 offset0:113 offset1:114
	s_waitcnt vmcnt(8) lgkmcnt(1)
	v_fma_f64 v[119:120], v[147:148], v[119:120], v[133:134]
	s_waitcnt vmcnt(7)
	v_fma_f64 v[119:120], v[145:146], v[121:122], v[119:120]
	ds_read_b64 v[121:122], v118 offset:920
	s_waitcnt vmcnt(6) lgkmcnt(1)
	v_fma_f64 v[119:120], v[143:144], v[123:124], v[119:120]
	s_waitcnt vmcnt(3)
	v_fma_f64 v[119:120], v[127:128], v[125:126], v[119:120]
	s_waitcnt vmcnt(2) lgkmcnt(0)
	v_fma_f64 v[119:120], v[129:130], v[121:122], v[119:120]
	s_waitcnt vmcnt(0)
	v_add_f64 v[119:120], v[131:132], -v[119:120]
	buffer_store_dword v120, off, s[0:3], 0 offset:356
	buffer_store_dword v119, off, s[0:3], 0 offset:352
	s_and_saveexec_b64 s[4:5], vcc
	s_cbranch_execz .LBB121_269
; %bb.268:
	buffer_load_dword v119, off, s[0:3], 0 offset:344
	buffer_load_dword v120, off, s[0:3], 0 offset:348
	s_waitcnt vmcnt(0)
	ds_write_b64 v117, v[119:120]
	buffer_store_dword v118, off, s[0:3], 0 offset:344
	buffer_store_dword v118, off, s[0:3], 0 offset:348
.LBB121_269:
	s_or_b64 exec, exec, s[4:5]
	s_waitcnt lgkmcnt(0)
	; wave barrier
	buffer_load_dword v127, off, s[0:3], 0 offset:352
	buffer_load_dword v128, off, s[0:3], 0 offset:356
	;; [unrolled: 1-line block ×22, first 2 shown]
	ds_read_b128 v[119:122], v118 offset:816
	ds_read_b128 v[123:126], v118 offset:832
	v_cmp_lt_u32_e32 vcc, 42, v0
	s_waitcnt vmcnt(20) lgkmcnt(1)
	v_fma_f64 v[119:120], v[127:128], v[119:120], 0
	s_waitcnt vmcnt(18)
	v_fma_f64 v[119:120], v[129:130], v[121:122], v[119:120]
	buffer_load_dword v128, off, s[0:3], 0 offset:444
	buffer_load_dword v129, off, s[0:3], 0 offset:456
	;; [unrolled: 1-line block ×6, first 2 shown]
	s_waitcnt vmcnt(22) lgkmcnt(0)
	v_fma_f64 v[119:120], v[131:132], v[123:124], v[119:120]
	s_waitcnt vmcnt(20)
	v_fma_f64 v[131:132], v[133:134], v[125:126], v[119:120]
	ds_read_b128 v[119:122], v118 offset:848
	buffer_load_dword v133, off, s[0:3], 0 offset:344
	buffer_load_dword v134, off, s[0:3], 0 offset:348
	ds_read_b128 v[123:126], v118 offset:864
	s_waitcnt vmcnt(20) lgkmcnt(1)
	v_fma_f64 v[119:120], v[135:136], v[119:120], v[131:132]
	s_waitcnt vmcnt(18)
	v_fma_f64 v[119:120], v[137:138], v[121:122], v[119:120]
	s_waitcnt vmcnt(16) lgkmcnt(0)
	v_fma_f64 v[119:120], v[139:140], v[123:124], v[119:120]
	s_waitcnt vmcnt(11)
	v_fma_f64 v[131:132], v[141:142], v[125:126], v[119:120]
	ds_read_b128 v[119:122], v118 offset:880
	ds_read_b128 v[123:126], v118 offset:896
	s_waitcnt vmcnt(10) lgkmcnt(1)
	v_fma_f64 v[119:120], v[147:148], v[119:120], v[131:132]
	s_waitcnt vmcnt(9)
	v_fma_f64 v[119:120], v[145:146], v[121:122], v[119:120]
	s_waitcnt vmcnt(8) lgkmcnt(0)
	v_fma_f64 v[119:120], v[143:144], v[123:124], v[119:120]
	s_waitcnt vmcnt(4)
	v_fma_f64 v[122:123], v[127:128], v[125:126], v[119:120]
	ds_read_b128 v[118:121], v118 offset:912
	s_waitcnt vmcnt(3) lgkmcnt(0)
	v_fma_f64 v[118:119], v[149:150], v[118:119], v[122:123]
	s_waitcnt vmcnt(2)
	v_fma_f64 v[118:119], v[129:130], v[120:121], v[118:119]
	s_waitcnt vmcnt(0)
	v_add_f64 v[118:119], v[133:134], -v[118:119]
	buffer_store_dword v119, off, s[0:3], 0 offset:348
	buffer_store_dword v118, off, s[0:3], 0 offset:344
	s_and_saveexec_b64 s[4:5], vcc
	s_cbranch_execz .LBB121_271
; %bb.270:
	buffer_load_dword v118, off, s[0:3], 0 offset:336
	buffer_load_dword v119, off, s[0:3], 0 offset:340
	v_mov_b32_e32 v120, 0
	buffer_store_dword v120, off, s[0:3], 0 offset:336
	buffer_store_dword v120, off, s[0:3], 0 offset:340
	s_waitcnt vmcnt(2)
	ds_write_b64 v117, v[118:119]
.LBB121_271:
	s_or_b64 exec, exec, s[4:5]
	s_waitcnt lgkmcnt(0)
	; wave barrier
	buffer_load_dword v127, off, s[0:3], 0 offset:344
	buffer_load_dword v128, off, s[0:3], 0 offset:348
	;; [unrolled: 1-line block ×22, first 2 shown]
	v_mov_b32_e32 v118, 0
	ds_read2_b64 v[119:122], v118 offset0:101 offset1:102
	ds_read2_b64 v[123:126], v118 offset0:103 offset1:104
	v_cmp_lt_u32_e32 vcc, 41, v0
	s_waitcnt vmcnt(20) lgkmcnt(1)
	v_fma_f64 v[119:120], v[127:128], v[119:120], 0
	s_waitcnt vmcnt(18)
	v_fma_f64 v[119:120], v[129:130], v[121:122], v[119:120]
	buffer_load_dword v128, off, s[0:3], 0 offset:436
	buffer_load_dword v129, off, s[0:3], 0 offset:456
	;; [unrolled: 1-line block ×8, first 2 shown]
	s_waitcnt vmcnt(24) lgkmcnt(0)
	v_fma_f64 v[119:120], v[131:132], v[123:124], v[119:120]
	s_waitcnt vmcnt(22)
	v_fma_f64 v[131:132], v[133:134], v[125:126], v[119:120]
	ds_read2_b64 v[119:122], v118 offset0:105 offset1:106
	ds_read2_b64 v[123:126], v118 offset0:107 offset1:108
	s_waitcnt vmcnt(20) lgkmcnt(1)
	v_fma_f64 v[119:120], v[135:136], v[119:120], v[131:132]
	buffer_load_dword v131, off, s[0:3], 0 offset:336
	buffer_load_dword v132, off, s[0:3], 0 offset:340
	s_waitcnt vmcnt(20)
	v_fma_f64 v[119:120], v[137:138], v[121:122], v[119:120]
	s_waitcnt vmcnt(18) lgkmcnt(0)
	v_fma_f64 v[119:120], v[139:140], v[123:124], v[119:120]
	s_waitcnt vmcnt(13)
	v_fma_f64 v[133:134], v[141:142], v[125:126], v[119:120]
	ds_read2_b64 v[119:122], v118 offset0:109 offset1:110
	ds_read2_b64 v[123:126], v118 offset0:111 offset1:112
	s_waitcnt vmcnt(12) lgkmcnt(1)
	v_fma_f64 v[119:120], v[147:148], v[119:120], v[133:134]
	s_waitcnt vmcnt(11)
	v_fma_f64 v[119:120], v[145:146], v[121:122], v[119:120]
	s_waitcnt vmcnt(10) lgkmcnt(0)
	v_fma_f64 v[119:120], v[143:144], v[123:124], v[119:120]
	s_waitcnt vmcnt(5)
	v_fma_f64 v[123:124], v[127:128], v[125:126], v[119:120]
	ds_read2_b64 v[119:122], v118 offset0:113 offset1:114
	ds_read_b64 v[125:126], v118 offset:920
	s_waitcnt vmcnt(4) lgkmcnt(1)
	v_fma_f64 v[119:120], v[151:152], v[119:120], v[123:124]
	s_waitcnt vmcnt(3)
	v_fma_f64 v[119:120], v[149:150], v[121:122], v[119:120]
	s_waitcnt vmcnt(2) lgkmcnt(0)
	v_fma_f64 v[119:120], v[129:130], v[125:126], v[119:120]
	s_waitcnt vmcnt(0)
	v_add_f64 v[119:120], v[131:132], -v[119:120]
	buffer_store_dword v120, off, s[0:3], 0 offset:340
	buffer_store_dword v119, off, s[0:3], 0 offset:336
	s_and_saveexec_b64 s[4:5], vcc
	s_cbranch_execz .LBB121_273
; %bb.272:
	buffer_load_dword v119, off, s[0:3], 0 offset:328
	buffer_load_dword v120, off, s[0:3], 0 offset:332
	s_waitcnt vmcnt(0)
	ds_write_b64 v117, v[119:120]
	buffer_store_dword v118, off, s[0:3], 0 offset:328
	buffer_store_dword v118, off, s[0:3], 0 offset:332
.LBB121_273:
	s_or_b64 exec, exec, s[4:5]
	s_waitcnt lgkmcnt(0)
	; wave barrier
	buffer_load_dword v127, off, s[0:3], 0 offset:336
	buffer_load_dword v128, off, s[0:3], 0 offset:340
	;; [unrolled: 1-line block ×22, first 2 shown]
	ds_read_b128 v[119:122], v118 offset:800
	ds_read_b128 v[123:126], v118 offset:816
	v_cmp_lt_u32_e32 vcc, 40, v0
	s_waitcnt vmcnt(20) lgkmcnt(1)
	v_fma_f64 v[119:120], v[127:128], v[119:120], 0
	s_waitcnt vmcnt(18)
	v_fma_f64 v[119:120], v[129:130], v[121:122], v[119:120]
	buffer_load_dword v128, off, s[0:3], 0 offset:428
	buffer_load_dword v129, off, s[0:3], 0 offset:448
	;; [unrolled: 1-line block ×8, first 2 shown]
	s_waitcnt vmcnt(24) lgkmcnt(0)
	v_fma_f64 v[119:120], v[131:132], v[123:124], v[119:120]
	s_waitcnt vmcnt(22)
	v_fma_f64 v[131:132], v[133:134], v[125:126], v[119:120]
	ds_read_b128 v[119:122], v118 offset:832
	ds_read_b128 v[123:126], v118 offset:848
	s_waitcnt vmcnt(20) lgkmcnt(1)
	v_fma_f64 v[119:120], v[135:136], v[119:120], v[131:132]
	buffer_load_dword v132, off, s[0:3], 0 offset:460
	buffer_load_dword v131, off, s[0:3], 0 offset:456
	;; [unrolled: 1-line block ×4, first 2 shown]
	s_waitcnt vmcnt(22)
	v_fma_f64 v[119:120], v[137:138], v[121:122], v[119:120]
	s_waitcnt vmcnt(20) lgkmcnt(0)
	v_fma_f64 v[119:120], v[139:140], v[123:124], v[119:120]
	s_waitcnt vmcnt(15)
	v_fma_f64 v[135:136], v[141:142], v[125:126], v[119:120]
	ds_read_b128 v[119:122], v118 offset:864
	ds_read_b128 v[123:126], v118 offset:880
	s_waitcnt vmcnt(14) lgkmcnt(1)
	v_fma_f64 v[119:120], v[147:148], v[119:120], v[135:136]
	s_waitcnt vmcnt(13)
	v_fma_f64 v[119:120], v[145:146], v[121:122], v[119:120]
	s_waitcnt vmcnt(12) lgkmcnt(0)
	v_fma_f64 v[119:120], v[143:144], v[123:124], v[119:120]
	s_waitcnt vmcnt(7)
	v_fma_f64 v[127:128], v[127:128], v[125:126], v[119:120]
	ds_read_b128 v[119:122], v118 offset:896
	ds_read_b128 v[123:126], v118 offset:912
	s_waitcnt vmcnt(6) lgkmcnt(1)
	v_fma_f64 v[118:119], v[151:152], v[119:120], v[127:128]
	s_waitcnt vmcnt(5)
	v_fma_f64 v[118:119], v[149:150], v[121:122], v[118:119]
	s_waitcnt vmcnt(4) lgkmcnt(0)
	v_fma_f64 v[118:119], v[129:130], v[123:124], v[118:119]
	s_waitcnt vmcnt(2)
	v_fma_f64 v[118:119], v[131:132], v[125:126], v[118:119]
	s_waitcnt vmcnt(0)
	v_add_f64 v[118:119], v[133:134], -v[118:119]
	buffer_store_dword v119, off, s[0:3], 0 offset:332
	buffer_store_dword v118, off, s[0:3], 0 offset:328
	s_and_saveexec_b64 s[4:5], vcc
	s_cbranch_execz .LBB121_275
; %bb.274:
	buffer_load_dword v118, off, s[0:3], 0 offset:320
	buffer_load_dword v119, off, s[0:3], 0 offset:324
	v_mov_b32_e32 v120, 0
	buffer_store_dword v120, off, s[0:3], 0 offset:320
	buffer_store_dword v120, off, s[0:3], 0 offset:324
	s_waitcnt vmcnt(2)
	ds_write_b64 v117, v[118:119]
.LBB121_275:
	s_or_b64 exec, exec, s[4:5]
	s_waitcnt lgkmcnt(0)
	; wave barrier
	buffer_load_dword v127, off, s[0:3], 0 offset:328
	buffer_load_dword v128, off, s[0:3], 0 offset:332
	;; [unrolled: 1-line block ×22, first 2 shown]
	v_mov_b32_e32 v118, 0
	ds_read2_b64 v[119:122], v118 offset0:99 offset1:100
	ds_read2_b64 v[123:126], v118 offset0:101 offset1:102
	v_cmp_lt_u32_e32 vcc, 39, v0
	s_waitcnt vmcnt(20) lgkmcnt(1)
	v_fma_f64 v[119:120], v[127:128], v[119:120], 0
	s_waitcnt vmcnt(18)
	v_fma_f64 v[119:120], v[129:130], v[121:122], v[119:120]
	buffer_load_dword v128, off, s[0:3], 0 offset:420
	buffer_load_dword v129, off, s[0:3], 0 offset:440
	;; [unrolled: 1-line block ×7, first 2 shown]
	s_waitcnt vmcnt(23) lgkmcnt(0)
	v_fma_f64 v[119:120], v[131:132], v[123:124], v[119:120]
	s_waitcnt vmcnt(21)
	v_fma_f64 v[130:131], v[133:134], v[125:126], v[119:120]
	ds_read2_b64 v[119:122], v118 offset0:103 offset1:104
	ds_read2_b64 v[123:126], v118 offset0:105 offset1:106
	s_waitcnt vmcnt(19) lgkmcnt(1)
	v_fma_f64 v[119:120], v[135:136], v[119:120], v[130:131]
	buffer_load_dword v130, off, s[0:3], 0 offset:444
	buffer_load_dword v132, off, s[0:3], 0 offset:452
	;; [unrolled: 1-line block ×7, first 2 shown]
	s_waitcnt vmcnt(24)
	v_fma_f64 v[119:120], v[137:138], v[121:122], v[119:120]
	s_waitcnt vmcnt(22) lgkmcnt(0)
	v_fma_f64 v[119:120], v[139:140], v[123:124], v[119:120]
	s_waitcnt vmcnt(17)
	v_fma_f64 v[137:138], v[141:142], v[125:126], v[119:120]
	ds_read2_b64 v[119:122], v118 offset0:107 offset1:108
	ds_read2_b64 v[123:126], v118 offset0:109 offset1:110
	s_waitcnt vmcnt(16) lgkmcnt(1)
	v_fma_f64 v[119:120], v[147:148], v[119:120], v[137:138]
	s_waitcnt vmcnt(15)
	v_fma_f64 v[119:120], v[145:146], v[121:122], v[119:120]
	s_waitcnt vmcnt(14) lgkmcnt(0)
	v_fma_f64 v[119:120], v[143:144], v[123:124], v[119:120]
	s_waitcnt vmcnt(9)
	v_fma_f64 v[127:128], v[127:128], v[125:126], v[119:120]
	ds_read2_b64 v[119:122], v118 offset0:111 offset1:112
	ds_read2_b64 v[123:126], v118 offset0:113 offset1:114
	s_waitcnt vmcnt(8) lgkmcnt(1)
	v_fma_f64 v[119:120], v[151:152], v[119:120], v[127:128]
	s_waitcnt vmcnt(7)
	v_fma_f64 v[119:120], v[149:150], v[121:122], v[119:120]
	ds_read_b64 v[121:122], v118 offset:920
	s_waitcnt vmcnt(6) lgkmcnt(1)
	v_fma_f64 v[119:120], v[129:130], v[123:124], v[119:120]
	s_waitcnt vmcnt(3)
	v_fma_f64 v[119:120], v[131:132], v[125:126], v[119:120]
	s_waitcnt vmcnt(2) lgkmcnt(0)
	v_fma_f64 v[119:120], v[133:134], v[121:122], v[119:120]
	s_waitcnt vmcnt(0)
	v_add_f64 v[119:120], v[135:136], -v[119:120]
	buffer_store_dword v120, off, s[0:3], 0 offset:324
	buffer_store_dword v119, off, s[0:3], 0 offset:320
	s_and_saveexec_b64 s[4:5], vcc
	s_cbranch_execz .LBB121_277
; %bb.276:
	buffer_load_dword v119, off, s[0:3], 0 offset:312
	buffer_load_dword v120, off, s[0:3], 0 offset:316
	s_waitcnt vmcnt(0)
	ds_write_b64 v117, v[119:120]
	buffer_store_dword v118, off, s[0:3], 0 offset:312
	buffer_store_dword v118, off, s[0:3], 0 offset:316
.LBB121_277:
	s_or_b64 exec, exec, s[4:5]
	s_waitcnt lgkmcnt(0)
	; wave barrier
	buffer_load_dword v127, off, s[0:3], 0 offset:320
	buffer_load_dword v128, off, s[0:3], 0 offset:324
	;; [unrolled: 1-line block ×22, first 2 shown]
	ds_read_b128 v[119:122], v118 offset:784
	ds_read_b128 v[123:126], v118 offset:800
	v_cmp_lt_u32_e32 vcc, 38, v0
	s_waitcnt vmcnt(20) lgkmcnt(1)
	v_fma_f64 v[119:120], v[127:128], v[119:120], 0
	s_waitcnt vmcnt(18)
	v_fma_f64 v[119:120], v[129:130], v[121:122], v[119:120]
	buffer_load_dword v128, off, s[0:3], 0 offset:412
	buffer_load_dword v129, off, s[0:3], 0 offset:432
	;; [unrolled: 1-line block ×7, first 2 shown]
	s_waitcnt vmcnt(23) lgkmcnt(0)
	v_fma_f64 v[119:120], v[131:132], v[123:124], v[119:120]
	s_waitcnt vmcnt(21)
	v_fma_f64 v[130:131], v[133:134], v[125:126], v[119:120]
	ds_read_b128 v[119:122], v118 offset:816
	ds_read_b128 v[123:126], v118 offset:832
	s_waitcnt vmcnt(19) lgkmcnt(1)
	v_fma_f64 v[119:120], v[135:136], v[119:120], v[130:131]
	buffer_load_dword v130, off, s[0:3], 0 offset:436
	buffer_load_dword v132, off, s[0:3], 0 offset:444
	;; [unrolled: 1-line block ×7, first 2 shown]
	s_waitcnt vmcnt(24)
	v_fma_f64 v[119:120], v[137:138], v[121:122], v[119:120]
	s_waitcnt vmcnt(22) lgkmcnt(0)
	v_fma_f64 v[119:120], v[139:140], v[123:124], v[119:120]
	s_waitcnt vmcnt(17)
	v_fma_f64 v[137:138], v[141:142], v[125:126], v[119:120]
	ds_read_b128 v[119:122], v118 offset:848
	buffer_load_dword v139, off, s[0:3], 0 offset:312
	buffer_load_dword v140, off, s[0:3], 0 offset:316
	ds_read_b128 v[123:126], v118 offset:864
	s_waitcnt vmcnt(18) lgkmcnt(1)
	v_fma_f64 v[119:120], v[147:148], v[119:120], v[137:138]
	s_waitcnt vmcnt(17)
	v_fma_f64 v[119:120], v[145:146], v[121:122], v[119:120]
	s_waitcnt vmcnt(16) lgkmcnt(0)
	v_fma_f64 v[119:120], v[143:144], v[123:124], v[119:120]
	s_waitcnt vmcnt(11)
	v_fma_f64 v[127:128], v[127:128], v[125:126], v[119:120]
	ds_read_b128 v[119:122], v118 offset:880
	ds_read_b128 v[123:126], v118 offset:896
	s_waitcnt vmcnt(10) lgkmcnt(1)
	v_fma_f64 v[119:120], v[151:152], v[119:120], v[127:128]
	s_waitcnt vmcnt(9)
	v_fma_f64 v[119:120], v[149:150], v[121:122], v[119:120]
	s_waitcnt vmcnt(8) lgkmcnt(0)
	v_fma_f64 v[119:120], v[129:130], v[123:124], v[119:120]
	s_waitcnt vmcnt(4)
	v_fma_f64 v[122:123], v[131:132], v[125:126], v[119:120]
	ds_read_b128 v[118:121], v118 offset:912
	s_waitcnt vmcnt(3) lgkmcnt(0)
	v_fma_f64 v[118:119], v[135:136], v[118:119], v[122:123]
	s_waitcnt vmcnt(2)
	v_fma_f64 v[118:119], v[133:134], v[120:121], v[118:119]
	s_waitcnt vmcnt(0)
	v_add_f64 v[118:119], v[139:140], -v[118:119]
	buffer_store_dword v119, off, s[0:3], 0 offset:316
	buffer_store_dword v118, off, s[0:3], 0 offset:312
	s_and_saveexec_b64 s[4:5], vcc
	s_cbranch_execz .LBB121_279
; %bb.278:
	buffer_load_dword v118, off, s[0:3], 0 offset:304
	buffer_load_dword v119, off, s[0:3], 0 offset:308
	v_mov_b32_e32 v120, 0
	buffer_store_dword v120, off, s[0:3], 0 offset:304
	buffer_store_dword v120, off, s[0:3], 0 offset:308
	s_waitcnt vmcnt(2)
	ds_write_b64 v117, v[118:119]
.LBB121_279:
	s_or_b64 exec, exec, s[4:5]
	s_waitcnt lgkmcnt(0)
	; wave barrier
	buffer_load_dword v127, off, s[0:3], 0 offset:312
	buffer_load_dword v128, off, s[0:3], 0 offset:316
	buffer_load_dword v129, off, s[0:3], 0 offset:320
	buffer_load_dword v130, off, s[0:3], 0 offset:324
	buffer_load_dword v131, off, s[0:3], 0 offset:328
	buffer_load_dword v132, off, s[0:3], 0 offset:332
	buffer_load_dword v133, off, s[0:3], 0 offset:336
	buffer_load_dword v134, off, s[0:3], 0 offset:340
	buffer_load_dword v135, off, s[0:3], 0 offset:344
	buffer_load_dword v136, off, s[0:3], 0 offset:348
	buffer_load_dword v137, off, s[0:3], 0 offset:352
	buffer_load_dword v138, off, s[0:3], 0 offset:356
	buffer_load_dword v139, off, s[0:3], 0 offset:360
	buffer_load_dword v140, off, s[0:3], 0 offset:364
	buffer_load_dword v142, off, s[0:3], 0 offset:372
	buffer_load_dword v143, off, s[0:3], 0 offset:392
	buffer_load_dword v145, off, s[0:3], 0 offset:384
	buffer_load_dword v147, off, s[0:3], 0 offset:376
	buffer_load_dword v141, off, s[0:3], 0 offset:368
	buffer_load_dword v148, off, s[0:3], 0 offset:380
	buffer_load_dword v146, off, s[0:3], 0 offset:388
	buffer_load_dword v144, off, s[0:3], 0 offset:396
	v_mov_b32_e32 v118, 0
	ds_read2_b64 v[119:122], v118 offset0:97 offset1:98
	ds_read2_b64 v[123:126], v118 offset0:99 offset1:100
	v_cmp_lt_u32_e32 vcc, 37, v0
	s_waitcnt vmcnt(20) lgkmcnt(1)
	v_fma_f64 v[119:120], v[127:128], v[119:120], 0
	s_waitcnt vmcnt(18)
	v_fma_f64 v[119:120], v[129:130], v[121:122], v[119:120]
	buffer_load_dword v128, off, s[0:3], 0 offset:404
	buffer_load_dword v129, off, s[0:3], 0 offset:424
	;; [unrolled: 1-line block ×7, first 2 shown]
	s_waitcnt vmcnt(23) lgkmcnt(0)
	v_fma_f64 v[119:120], v[131:132], v[123:124], v[119:120]
	s_waitcnt vmcnt(21)
	v_fma_f64 v[130:131], v[133:134], v[125:126], v[119:120]
	ds_read2_b64 v[119:122], v118 offset0:101 offset1:102
	ds_read2_b64 v[123:126], v118 offset0:103 offset1:104
	s_waitcnt vmcnt(19) lgkmcnt(1)
	v_fma_f64 v[119:120], v[135:136], v[119:120], v[130:131]
	buffer_load_dword v130, off, s[0:3], 0 offset:428
	s_waitcnt vmcnt(18)
	v_fma_f64 v[119:120], v[137:138], v[121:122], v[119:120]
	buffer_load_dword v132, off, s[0:3], 0 offset:436
	buffer_load_dword v133, off, s[0:3], 0 offset:456
	;; [unrolled: 1-line block ×8, first 2 shown]
	s_waitcnt vmcnt(24) lgkmcnt(0)
	v_fma_f64 v[119:120], v[139:140], v[123:124], v[119:120]
	s_waitcnt vmcnt(19)
	v_fma_f64 v[139:140], v[141:142], v[125:126], v[119:120]
	ds_read2_b64 v[119:122], v118 offset0:105 offset1:106
	ds_read2_b64 v[123:126], v118 offset0:107 offset1:108
	s_waitcnt vmcnt(18) lgkmcnt(1)
	v_fma_f64 v[119:120], v[147:148], v[119:120], v[139:140]
	buffer_load_dword v139, off, s[0:3], 0 offset:304
	buffer_load_dword v140, off, s[0:3], 0 offset:308
	s_waitcnt vmcnt(19)
	v_fma_f64 v[119:120], v[145:146], v[121:122], v[119:120]
	s_waitcnt vmcnt(18) lgkmcnt(0)
	v_fma_f64 v[119:120], v[143:144], v[123:124], v[119:120]
	s_waitcnt vmcnt(13)
	v_fma_f64 v[127:128], v[127:128], v[125:126], v[119:120]
	ds_read2_b64 v[119:122], v118 offset0:109 offset1:110
	ds_read2_b64 v[123:126], v118 offset0:111 offset1:112
	s_waitcnt vmcnt(12) lgkmcnt(1)
	v_fma_f64 v[119:120], v[151:152], v[119:120], v[127:128]
	s_waitcnt vmcnt(11)
	v_fma_f64 v[119:120], v[149:150], v[121:122], v[119:120]
	s_waitcnt vmcnt(10) lgkmcnt(0)
	v_fma_f64 v[119:120], v[129:130], v[123:124], v[119:120]
	s_waitcnt vmcnt(5)
	v_fma_f64 v[123:124], v[131:132], v[125:126], v[119:120]
	ds_read2_b64 v[119:122], v118 offset0:113 offset1:114
	ds_read_b64 v[125:126], v118 offset:920
	s_waitcnt vmcnt(4) lgkmcnt(1)
	v_fma_f64 v[119:120], v[137:138], v[119:120], v[123:124]
	s_waitcnt vmcnt(3)
	v_fma_f64 v[119:120], v[135:136], v[121:122], v[119:120]
	s_waitcnt vmcnt(2) lgkmcnt(0)
	v_fma_f64 v[119:120], v[133:134], v[125:126], v[119:120]
	s_waitcnt vmcnt(0)
	v_add_f64 v[119:120], v[139:140], -v[119:120]
	buffer_store_dword v120, off, s[0:3], 0 offset:308
	buffer_store_dword v119, off, s[0:3], 0 offset:304
	s_and_saveexec_b64 s[4:5], vcc
	s_cbranch_execz .LBB121_281
; %bb.280:
	buffer_load_dword v119, off, s[0:3], 0 offset:296
	buffer_load_dword v120, off, s[0:3], 0 offset:300
	s_waitcnt vmcnt(0)
	ds_write_b64 v117, v[119:120]
	buffer_store_dword v118, off, s[0:3], 0 offset:296
	buffer_store_dword v118, off, s[0:3], 0 offset:300
.LBB121_281:
	s_or_b64 exec, exec, s[4:5]
	s_waitcnt lgkmcnt(0)
	; wave barrier
	buffer_load_dword v127, off, s[0:3], 0 offset:304
	buffer_load_dword v128, off, s[0:3], 0 offset:308
	;; [unrolled: 1-line block ×22, first 2 shown]
	ds_read_b128 v[119:122], v118 offset:768
	ds_read_b128 v[123:126], v118 offset:784
	v_cmp_lt_u32_e32 vcc, 36, v0
	s_waitcnt vmcnt(20) lgkmcnt(1)
	v_fma_f64 v[119:120], v[127:128], v[119:120], 0
	s_waitcnt vmcnt(18)
	v_fma_f64 v[119:120], v[129:130], v[121:122], v[119:120]
	buffer_load_dword v128, off, s[0:3], 0 offset:396
	buffer_load_dword v129, off, s[0:3], 0 offset:416
	;; [unrolled: 1-line block ×7, first 2 shown]
	s_waitcnt vmcnt(23) lgkmcnt(0)
	v_fma_f64 v[119:120], v[131:132], v[123:124], v[119:120]
	s_waitcnt vmcnt(21)
	v_fma_f64 v[130:131], v[133:134], v[125:126], v[119:120]
	ds_read_b128 v[119:122], v118 offset:800
	ds_read_b128 v[123:126], v118 offset:816
	s_waitcnt vmcnt(19) lgkmcnt(1)
	v_fma_f64 v[119:120], v[135:136], v[119:120], v[130:131]
	buffer_load_dword v130, off, s[0:3], 0 offset:420
	s_waitcnt vmcnt(18)
	v_fma_f64 v[119:120], v[137:138], v[121:122], v[119:120]
	buffer_load_dword v132, off, s[0:3], 0 offset:428
	buffer_load_dword v133, off, s[0:3], 0 offset:448
	;; [unrolled: 1-line block ×8, first 2 shown]
	s_waitcnt vmcnt(24) lgkmcnt(0)
	v_fma_f64 v[119:120], v[139:140], v[123:124], v[119:120]
	s_waitcnt vmcnt(19)
	v_fma_f64 v[139:140], v[141:142], v[125:126], v[119:120]
	ds_read_b128 v[119:122], v118 offset:832
	ds_read_b128 v[123:126], v118 offset:848
	s_waitcnt vmcnt(18) lgkmcnt(1)
	v_fma_f64 v[119:120], v[147:148], v[119:120], v[139:140]
	buffer_load_dword v140, off, s[0:3], 0 offset:460
	buffer_load_dword v139, off, s[0:3], 0 offset:456
	buffer_load_dword v141, off, s[0:3], 0 offset:296
	buffer_load_dword v142, off, s[0:3], 0 offset:300
	s_waitcnt vmcnt(21)
	v_fma_f64 v[119:120], v[145:146], v[121:122], v[119:120]
	s_waitcnt vmcnt(20) lgkmcnt(0)
	v_fma_f64 v[119:120], v[143:144], v[123:124], v[119:120]
	s_waitcnt vmcnt(15)
	v_fma_f64 v[127:128], v[127:128], v[125:126], v[119:120]
	ds_read_b128 v[119:122], v118 offset:864
	ds_read_b128 v[123:126], v118 offset:880
	s_waitcnt vmcnt(14) lgkmcnt(1)
	v_fma_f64 v[119:120], v[151:152], v[119:120], v[127:128]
	s_waitcnt vmcnt(13)
	v_fma_f64 v[119:120], v[149:150], v[121:122], v[119:120]
	s_waitcnt vmcnt(12) lgkmcnt(0)
	v_fma_f64 v[119:120], v[129:130], v[123:124], v[119:120]
	s_waitcnt vmcnt(7)
	v_fma_f64 v[127:128], v[131:132], v[125:126], v[119:120]
	ds_read_b128 v[119:122], v118 offset:896
	ds_read_b128 v[123:126], v118 offset:912
	s_waitcnt vmcnt(6) lgkmcnt(1)
	v_fma_f64 v[118:119], v[137:138], v[119:120], v[127:128]
	s_waitcnt vmcnt(5)
	v_fma_f64 v[118:119], v[135:136], v[121:122], v[118:119]
	s_waitcnt vmcnt(4) lgkmcnt(0)
	v_fma_f64 v[118:119], v[133:134], v[123:124], v[118:119]
	s_waitcnt vmcnt(2)
	v_fma_f64 v[118:119], v[139:140], v[125:126], v[118:119]
	s_waitcnt vmcnt(0)
	v_add_f64 v[118:119], v[141:142], -v[118:119]
	buffer_store_dword v119, off, s[0:3], 0 offset:300
	buffer_store_dword v118, off, s[0:3], 0 offset:296
	s_and_saveexec_b64 s[4:5], vcc
	s_cbranch_execz .LBB121_283
; %bb.282:
	buffer_load_dword v118, off, s[0:3], 0 offset:288
	buffer_load_dword v119, off, s[0:3], 0 offset:292
	v_mov_b32_e32 v120, 0
	buffer_store_dword v120, off, s[0:3], 0 offset:288
	buffer_store_dword v120, off, s[0:3], 0 offset:292
	s_waitcnt vmcnt(2)
	ds_write_b64 v117, v[118:119]
.LBB121_283:
	s_or_b64 exec, exec, s[4:5]
	s_waitcnt lgkmcnt(0)
	; wave barrier
	buffer_load_dword v127, off, s[0:3], 0 offset:296
	buffer_load_dword v128, off, s[0:3], 0 offset:300
	;; [unrolled: 1-line block ×21, first 2 shown]
	v_mov_b32_e32 v118, 0
	ds_read2_b64 v[119:122], v118 offset0:95 offset1:96
	ds_read2_b64 v[123:126], v118 offset0:97 offset1:98
	buffer_load_dword v144, off, s[0:3], 0 offset:380
	v_cmp_lt_u32_e32 vcc, 35, v0
	s_waitcnt vmcnt(20) lgkmcnt(1)
	v_fma_f64 v[119:120], v[127:128], v[119:120], 0
	s_waitcnt vmcnt(18)
	v_fma_f64 v[119:120], v[129:130], v[121:122], v[119:120]
	buffer_load_dword v128, off, s[0:3], 0 offset:388
	buffer_load_dword v129, off, s[0:3], 0 offset:408
	buffer_load_dword v149, off, s[0:3], 0 offset:400
	buffer_load_dword v151, off, s[0:3], 0 offset:392
	buffer_load_dword v127, off, s[0:3], 0 offset:384
	buffer_load_dword v152, off, s[0:3], 0 offset:396
	buffer_load_dword v150, off, s[0:3], 0 offset:404
	s_waitcnt vmcnt(23) lgkmcnt(0)
	v_fma_f64 v[119:120], v[131:132], v[123:124], v[119:120]
	s_waitcnt vmcnt(21)
	v_fma_f64 v[130:131], v[133:134], v[125:126], v[119:120]
	ds_read2_b64 v[119:122], v118 offset0:99 offset1:100
	ds_read2_b64 v[123:126], v118 offset0:101 offset1:102
	s_waitcnt vmcnt(19) lgkmcnt(1)
	v_fma_f64 v[119:120], v[135:136], v[119:120], v[130:131]
	buffer_load_dword v130, off, s[0:3], 0 offset:412
	s_waitcnt vmcnt(18)
	v_fma_f64 v[119:120], v[137:138], v[121:122], v[119:120]
	buffer_load_dword v132, off, s[0:3], 0 offset:420
	buffer_load_dword v133, off, s[0:3], 0 offset:440
	;; [unrolled: 1-line block ×7, first 2 shown]
	s_waitcnt vmcnt(23) lgkmcnt(0)
	v_fma_f64 v[119:120], v[139:140], v[123:124], v[119:120]
	s_waitcnt vmcnt(18)
	v_fma_f64 v[139:140], v[141:142], v[125:126], v[119:120]
	ds_read2_b64 v[119:122], v118 offset0:103 offset1:104
	ds_read2_b64 v[123:126], v118 offset0:105 offset1:106
	buffer_load_dword v134, off, s[0:3], 0 offset:444
	s_waitcnt vmcnt(18) lgkmcnt(1)
	v_fma_f64 v[119:120], v[147:148], v[119:120], v[139:140]
	buffer_load_dword v140, off, s[0:3], 0 offset:452
	buffer_load_dword v141, off, s[0:3], 0 offset:456
	;; [unrolled: 1-line block ×4, first 2 shown]
	s_waitcnt vmcnt(21)
	v_fma_f64 v[119:120], v[145:146], v[121:122], v[119:120]
	s_waitcnt vmcnt(20) lgkmcnt(0)
	v_fma_f64 v[119:120], v[143:144], v[123:124], v[119:120]
	buffer_load_dword v143, off, s[0:3], 0 offset:288
	buffer_load_dword v144, off, s[0:3], 0 offset:292
	s_waitcnt vmcnt(17)
	v_fma_f64 v[127:128], v[127:128], v[125:126], v[119:120]
	ds_read2_b64 v[119:122], v118 offset0:107 offset1:108
	ds_read2_b64 v[123:126], v118 offset0:109 offset1:110
	s_waitcnt vmcnt(16) lgkmcnt(1)
	v_fma_f64 v[119:120], v[151:152], v[119:120], v[127:128]
	s_waitcnt vmcnt(15)
	v_fma_f64 v[119:120], v[149:150], v[121:122], v[119:120]
	s_waitcnt vmcnt(14) lgkmcnt(0)
	v_fma_f64 v[119:120], v[129:130], v[123:124], v[119:120]
	s_waitcnt vmcnt(9)
	v_fma_f64 v[127:128], v[131:132], v[125:126], v[119:120]
	ds_read2_b64 v[119:122], v118 offset0:111 offset1:112
	ds_read2_b64 v[123:126], v118 offset0:113 offset1:114
	s_waitcnt vmcnt(8) lgkmcnt(1)
	v_fma_f64 v[119:120], v[137:138], v[119:120], v[127:128]
	s_waitcnt vmcnt(7)
	v_fma_f64 v[119:120], v[135:136], v[121:122], v[119:120]
	ds_read_b64 v[121:122], v118 offset:920
	s_waitcnt vmcnt(6) lgkmcnt(1)
	v_fma_f64 v[119:120], v[133:134], v[123:124], v[119:120]
	s_waitcnt vmcnt(3)
	v_fma_f64 v[119:120], v[139:140], v[125:126], v[119:120]
	s_waitcnt vmcnt(2) lgkmcnt(0)
	v_fma_f64 v[119:120], v[141:142], v[121:122], v[119:120]
	s_waitcnt vmcnt(0)
	v_add_f64 v[119:120], v[143:144], -v[119:120]
	buffer_store_dword v120, off, s[0:3], 0 offset:292
	buffer_store_dword v119, off, s[0:3], 0 offset:288
	s_and_saveexec_b64 s[4:5], vcc
	s_cbranch_execz .LBB121_285
; %bb.284:
	buffer_load_dword v119, off, s[0:3], 0 offset:280
	buffer_load_dword v120, off, s[0:3], 0 offset:284
	s_waitcnt vmcnt(0)
	ds_write_b64 v117, v[119:120]
	buffer_store_dword v118, off, s[0:3], 0 offset:280
	buffer_store_dword v118, off, s[0:3], 0 offset:284
.LBB121_285:
	s_or_b64 exec, exec, s[4:5]
	s_waitcnt lgkmcnt(0)
	; wave barrier
	buffer_load_dword v127, off, s[0:3], 0 offset:288
	buffer_load_dword v128, off, s[0:3], 0 offset:292
	;; [unrolled: 1-line block ×21, first 2 shown]
	ds_read_b128 v[119:122], v118 offset:752
	ds_read_b128 v[123:126], v118 offset:768
	buffer_load_dword v144, off, s[0:3], 0 offset:372
	v_cmp_lt_u32_e32 vcc, 34, v0
	s_waitcnt vmcnt(20) lgkmcnt(1)
	v_fma_f64 v[119:120], v[127:128], v[119:120], 0
	s_waitcnt vmcnt(18)
	v_fma_f64 v[119:120], v[129:130], v[121:122], v[119:120]
	buffer_load_dword v128, off, s[0:3], 0 offset:380
	buffer_load_dword v129, off, s[0:3], 0 offset:400
	;; [unrolled: 1-line block ×7, first 2 shown]
	s_waitcnt vmcnt(23) lgkmcnt(0)
	v_fma_f64 v[119:120], v[131:132], v[123:124], v[119:120]
	s_waitcnt vmcnt(21)
	v_fma_f64 v[130:131], v[133:134], v[125:126], v[119:120]
	ds_read_b128 v[119:122], v118 offset:784
	ds_read_b128 v[123:126], v118 offset:800
	s_waitcnt vmcnt(19) lgkmcnt(1)
	v_fma_f64 v[119:120], v[135:136], v[119:120], v[130:131]
	buffer_load_dword v130, off, s[0:3], 0 offset:404
	s_waitcnt vmcnt(18)
	v_fma_f64 v[119:120], v[137:138], v[121:122], v[119:120]
	buffer_load_dword v132, off, s[0:3], 0 offset:412
	buffer_load_dword v133, off, s[0:3], 0 offset:432
	;; [unrolled: 1-line block ×8, first 2 shown]
	s_waitcnt vmcnt(24) lgkmcnt(0)
	v_fma_f64 v[119:120], v[139:140], v[123:124], v[119:120]
	s_waitcnt vmcnt(19)
	v_fma_f64 v[139:140], v[141:142], v[125:126], v[119:120]
	ds_read_b128 v[119:122], v118 offset:816
	ds_read_b128 v[123:126], v118 offset:832
	s_waitcnt vmcnt(18) lgkmcnt(1)
	v_fma_f64 v[119:120], v[147:148], v[119:120], v[139:140]
	s_waitcnt vmcnt(17)
	v_fma_f64 v[119:120], v[145:146], v[121:122], v[119:120]
	buffer_load_dword v140, off, s[0:3], 0 offset:444
	buffer_load_dword v141, off, s[0:3], 0 offset:456
	;; [unrolled: 1-line block ×6, first 2 shown]
	s_waitcnt vmcnt(22) lgkmcnt(0)
	v_fma_f64 v[119:120], v[143:144], v[123:124], v[119:120]
	s_waitcnt vmcnt(17)
	v_fma_f64 v[127:128], v[127:128], v[125:126], v[119:120]
	ds_read_b128 v[119:122], v118 offset:848
	buffer_load_dword v143, off, s[0:3], 0 offset:280
	buffer_load_dword v144, off, s[0:3], 0 offset:284
	ds_read_b128 v[123:126], v118 offset:864
	s_waitcnt vmcnt(18) lgkmcnt(1)
	v_fma_f64 v[119:120], v[151:152], v[119:120], v[127:128]
	s_waitcnt vmcnt(17)
	v_fma_f64 v[119:120], v[149:150], v[121:122], v[119:120]
	s_waitcnt vmcnt(16) lgkmcnt(0)
	v_fma_f64 v[119:120], v[129:130], v[123:124], v[119:120]
	s_waitcnt vmcnt(11)
	v_fma_f64 v[127:128], v[131:132], v[125:126], v[119:120]
	ds_read_b128 v[119:122], v118 offset:880
	ds_read_b128 v[123:126], v118 offset:896
	s_waitcnt vmcnt(10) lgkmcnt(1)
	v_fma_f64 v[119:120], v[137:138], v[119:120], v[127:128]
	s_waitcnt vmcnt(9)
	v_fma_f64 v[119:120], v[135:136], v[121:122], v[119:120]
	s_waitcnt vmcnt(8) lgkmcnt(0)
	v_fma_f64 v[119:120], v[133:134], v[123:124], v[119:120]
	s_waitcnt vmcnt(4)
	v_fma_f64 v[122:123], v[139:140], v[125:126], v[119:120]
	ds_read_b128 v[118:121], v118 offset:912
	s_waitcnt vmcnt(3) lgkmcnt(0)
	v_fma_f64 v[118:119], v[145:146], v[118:119], v[122:123]
	s_waitcnt vmcnt(2)
	v_fma_f64 v[118:119], v[141:142], v[120:121], v[118:119]
	s_waitcnt vmcnt(0)
	v_add_f64 v[118:119], v[143:144], -v[118:119]
	buffer_store_dword v119, off, s[0:3], 0 offset:284
	buffer_store_dword v118, off, s[0:3], 0 offset:280
	s_and_saveexec_b64 s[4:5], vcc
	s_cbranch_execz .LBB121_287
; %bb.286:
	buffer_load_dword v118, off, s[0:3], 0 offset:272
	buffer_load_dword v119, off, s[0:3], 0 offset:276
	v_mov_b32_e32 v120, 0
	buffer_store_dword v120, off, s[0:3], 0 offset:272
	buffer_store_dword v120, off, s[0:3], 0 offset:276
	s_waitcnt vmcnt(2)
	ds_write_b64 v117, v[118:119]
.LBB121_287:
	s_or_b64 exec, exec, s[4:5]
	s_waitcnt lgkmcnt(0)
	; wave barrier
	buffer_load_dword v127, off, s[0:3], 0 offset:280
	buffer_load_dword v128, off, s[0:3], 0 offset:284
	;; [unrolled: 1-line block ×21, first 2 shown]
	v_mov_b32_e32 v118, 0
	ds_read2_b64 v[119:122], v118 offset0:93 offset1:94
	ds_read2_b64 v[123:126], v118 offset0:95 offset1:96
	buffer_load_dword v144, off, s[0:3], 0 offset:364
	v_cmp_lt_u32_e32 vcc, 33, v0
	s_waitcnt vmcnt(20) lgkmcnt(1)
	v_fma_f64 v[119:120], v[127:128], v[119:120], 0
	s_waitcnt vmcnt(18)
	v_fma_f64 v[119:120], v[129:130], v[121:122], v[119:120]
	buffer_load_dword v128, off, s[0:3], 0 offset:372
	buffer_load_dword v129, off, s[0:3], 0 offset:392
	;; [unrolled: 1-line block ×7, first 2 shown]
	s_waitcnt vmcnt(23) lgkmcnt(0)
	v_fma_f64 v[119:120], v[131:132], v[123:124], v[119:120]
	s_waitcnt vmcnt(21)
	v_fma_f64 v[130:131], v[133:134], v[125:126], v[119:120]
	ds_read2_b64 v[119:122], v118 offset0:97 offset1:98
	ds_read2_b64 v[123:126], v118 offset0:99 offset1:100
	s_waitcnt vmcnt(19) lgkmcnt(1)
	v_fma_f64 v[119:120], v[135:136], v[119:120], v[130:131]
	buffer_load_dword v130, off, s[0:3], 0 offset:396
	s_waitcnt vmcnt(18)
	v_fma_f64 v[119:120], v[137:138], v[121:122], v[119:120]
	buffer_load_dword v132, off, s[0:3], 0 offset:404
	buffer_load_dword v133, off, s[0:3], 0 offset:424
	;; [unrolled: 1-line block ×8, first 2 shown]
	s_waitcnt vmcnt(24) lgkmcnt(0)
	v_fma_f64 v[119:120], v[139:140], v[123:124], v[119:120]
	s_waitcnt vmcnt(19)
	v_fma_f64 v[139:140], v[141:142], v[125:126], v[119:120]
	ds_read2_b64 v[119:122], v118 offset0:101 offset1:102
	ds_read2_b64 v[123:126], v118 offset0:103 offset1:104
	s_waitcnt vmcnt(18) lgkmcnt(1)
	v_fma_f64 v[119:120], v[147:148], v[119:120], v[139:140]
	s_waitcnt vmcnt(17)
	v_fma_f64 v[119:120], v[145:146], v[121:122], v[119:120]
	buffer_load_dword v140, off, s[0:3], 0 offset:436
	buffer_load_dword v141, off, s[0:3], 0 offset:456
	;; [unrolled: 1-line block ×8, first 2 shown]
	s_waitcnt vmcnt(24) lgkmcnt(0)
	v_fma_f64 v[119:120], v[143:144], v[123:124], v[119:120]
	s_waitcnt vmcnt(19)
	v_fma_f64 v[127:128], v[127:128], v[125:126], v[119:120]
	ds_read2_b64 v[119:122], v118 offset0:105 offset1:106
	ds_read2_b64 v[123:126], v118 offset0:107 offset1:108
	s_waitcnt vmcnt(18) lgkmcnt(1)
	v_fma_f64 v[119:120], v[151:152], v[119:120], v[127:128]
	buffer_load_dword v127, off, s[0:3], 0 offset:272
	buffer_load_dword v128, off, s[0:3], 0 offset:276
	s_waitcnt vmcnt(19)
	v_fma_f64 v[119:120], v[149:150], v[121:122], v[119:120]
	s_waitcnt vmcnt(18) lgkmcnt(0)
	v_fma_f64 v[119:120], v[129:130], v[123:124], v[119:120]
	s_waitcnt vmcnt(13)
	v_fma_f64 v[129:130], v[131:132], v[125:126], v[119:120]
	ds_read2_b64 v[119:122], v118 offset0:109 offset1:110
	ds_read2_b64 v[123:126], v118 offset0:111 offset1:112
	s_waitcnt vmcnt(12) lgkmcnt(1)
	v_fma_f64 v[119:120], v[137:138], v[119:120], v[129:130]
	s_waitcnt vmcnt(11)
	v_fma_f64 v[119:120], v[135:136], v[121:122], v[119:120]
	s_waitcnt vmcnt(10) lgkmcnt(0)
	v_fma_f64 v[119:120], v[133:134], v[123:124], v[119:120]
	s_waitcnt vmcnt(5)
	v_fma_f64 v[123:124], v[139:140], v[125:126], v[119:120]
	ds_read2_b64 v[119:122], v118 offset0:113 offset1:114
	ds_read_b64 v[125:126], v118 offset:920
	s_waitcnt vmcnt(4) lgkmcnt(1)
	v_fma_f64 v[119:120], v[147:148], v[119:120], v[123:124]
	s_waitcnt vmcnt(3)
	v_fma_f64 v[119:120], v[145:146], v[121:122], v[119:120]
	s_waitcnt vmcnt(2) lgkmcnt(0)
	v_fma_f64 v[119:120], v[141:142], v[125:126], v[119:120]
	s_waitcnt vmcnt(0)
	v_add_f64 v[119:120], v[127:128], -v[119:120]
	buffer_store_dword v120, off, s[0:3], 0 offset:276
	buffer_store_dword v119, off, s[0:3], 0 offset:272
	s_and_saveexec_b64 s[4:5], vcc
	s_cbranch_execz .LBB121_289
; %bb.288:
	buffer_load_dword v119, off, s[0:3], 0 offset:264
	buffer_load_dword v120, off, s[0:3], 0 offset:268
	s_waitcnt vmcnt(0)
	ds_write_b64 v117, v[119:120]
	buffer_store_dword v118, off, s[0:3], 0 offset:264
	buffer_store_dword v118, off, s[0:3], 0 offset:268
.LBB121_289:
	s_or_b64 exec, exec, s[4:5]
	s_waitcnt lgkmcnt(0)
	; wave barrier
	buffer_load_dword v127, off, s[0:3], 0 offset:272
	buffer_load_dword v128, off, s[0:3], 0 offset:276
	;; [unrolled: 1-line block ×21, first 2 shown]
	ds_read_b128 v[119:122], v118 offset:736
	ds_read_b128 v[123:126], v118 offset:752
	buffer_load_dword v144, off, s[0:3], 0 offset:356
	v_cmp_lt_u32_e32 vcc, 32, v0
	s_waitcnt vmcnt(20) lgkmcnt(1)
	v_fma_f64 v[119:120], v[127:128], v[119:120], 0
	s_waitcnt vmcnt(18)
	v_fma_f64 v[119:120], v[129:130], v[121:122], v[119:120]
	buffer_load_dword v128, off, s[0:3], 0 offset:364
	buffer_load_dword v129, off, s[0:3], 0 offset:384
	;; [unrolled: 1-line block ×7, first 2 shown]
	s_waitcnt vmcnt(23) lgkmcnt(0)
	v_fma_f64 v[119:120], v[131:132], v[123:124], v[119:120]
	s_waitcnt vmcnt(21)
	v_fma_f64 v[130:131], v[133:134], v[125:126], v[119:120]
	ds_read_b128 v[119:122], v118 offset:768
	ds_read_b128 v[123:126], v118 offset:784
	s_waitcnt vmcnt(19) lgkmcnt(1)
	v_fma_f64 v[119:120], v[135:136], v[119:120], v[130:131]
	buffer_load_dword v130, off, s[0:3], 0 offset:388
	s_waitcnt vmcnt(18)
	v_fma_f64 v[119:120], v[137:138], v[121:122], v[119:120]
	buffer_load_dword v132, off, s[0:3], 0 offset:396
	buffer_load_dword v133, off, s[0:3], 0 offset:416
	;; [unrolled: 1-line block ×8, first 2 shown]
	s_waitcnt vmcnt(24) lgkmcnt(0)
	v_fma_f64 v[119:120], v[139:140], v[123:124], v[119:120]
	s_waitcnt vmcnt(19)
	v_fma_f64 v[139:140], v[141:142], v[125:126], v[119:120]
	ds_read_b128 v[119:122], v118 offset:800
	ds_read_b128 v[123:126], v118 offset:816
	s_waitcnt vmcnt(18) lgkmcnt(1)
	v_fma_f64 v[119:120], v[147:148], v[119:120], v[139:140]
	s_waitcnt vmcnt(17)
	v_fma_f64 v[119:120], v[145:146], v[121:122], v[119:120]
	buffer_load_dword v140, off, s[0:3], 0 offset:428
	buffer_load_dword v141, off, s[0:3], 0 offset:448
	;; [unrolled: 1-line block ×8, first 2 shown]
	s_waitcnt vmcnt(24) lgkmcnt(0)
	v_fma_f64 v[119:120], v[143:144], v[123:124], v[119:120]
	s_waitcnt vmcnt(19)
	v_fma_f64 v[127:128], v[127:128], v[125:126], v[119:120]
	ds_read_b128 v[119:122], v118 offset:832
	ds_read_b128 v[123:126], v118 offset:848
	s_waitcnt vmcnt(18) lgkmcnt(1)
	v_fma_f64 v[119:120], v[151:152], v[119:120], v[127:128]
	buffer_load_dword v128, off, s[0:3], 0 offset:460
	buffer_load_dword v127, off, s[0:3], 0 offset:456
	buffer_load_dword v143, off, s[0:3], 0 offset:264
	buffer_load_dword v144, off, s[0:3], 0 offset:268
	s_waitcnt vmcnt(21)
	v_fma_f64 v[119:120], v[149:150], v[121:122], v[119:120]
	s_waitcnt vmcnt(20) lgkmcnt(0)
	v_fma_f64 v[119:120], v[129:130], v[123:124], v[119:120]
	s_waitcnt vmcnt(15)
	v_fma_f64 v[129:130], v[131:132], v[125:126], v[119:120]
	ds_read_b128 v[119:122], v118 offset:864
	ds_read_b128 v[123:126], v118 offset:880
	s_waitcnt vmcnt(14) lgkmcnt(1)
	v_fma_f64 v[119:120], v[137:138], v[119:120], v[129:130]
	s_waitcnt vmcnt(13)
	v_fma_f64 v[119:120], v[135:136], v[121:122], v[119:120]
	s_waitcnt vmcnt(12) lgkmcnt(0)
	v_fma_f64 v[119:120], v[133:134], v[123:124], v[119:120]
	s_waitcnt vmcnt(7)
	v_fma_f64 v[129:130], v[139:140], v[125:126], v[119:120]
	ds_read_b128 v[119:122], v118 offset:896
	ds_read_b128 v[123:126], v118 offset:912
	s_waitcnt vmcnt(6) lgkmcnt(1)
	v_fma_f64 v[118:119], v[147:148], v[119:120], v[129:130]
	s_waitcnt vmcnt(5)
	v_fma_f64 v[118:119], v[145:146], v[121:122], v[118:119]
	s_waitcnt vmcnt(4) lgkmcnt(0)
	v_fma_f64 v[118:119], v[141:142], v[123:124], v[118:119]
	s_waitcnt vmcnt(2)
	v_fma_f64 v[118:119], v[127:128], v[125:126], v[118:119]
	s_waitcnt vmcnt(0)
	v_add_f64 v[118:119], v[143:144], -v[118:119]
	buffer_store_dword v119, off, s[0:3], 0 offset:268
	buffer_store_dword v118, off, s[0:3], 0 offset:264
	s_and_saveexec_b64 s[4:5], vcc
	s_cbranch_execz .LBB121_291
; %bb.290:
	buffer_load_dword v118, off, s[0:3], 0 offset:256
	buffer_load_dword v119, off, s[0:3], 0 offset:260
	v_mov_b32_e32 v120, 0
	buffer_store_dword v120, off, s[0:3], 0 offset:256
	buffer_store_dword v120, off, s[0:3], 0 offset:260
	s_waitcnt vmcnt(2)
	ds_write_b64 v117, v[118:119]
.LBB121_291:
	s_or_b64 exec, exec, s[4:5]
	s_waitcnt lgkmcnt(0)
	; wave barrier
	buffer_load_dword v127, off, s[0:3], 0 offset:264
	buffer_load_dword v128, off, s[0:3], 0 offset:268
	buffer_load_dword v129, off, s[0:3], 0 offset:272
	buffer_load_dword v130, off, s[0:3], 0 offset:276
	buffer_load_dword v131, off, s[0:3], 0 offset:280
	buffer_load_dword v132, off, s[0:3], 0 offset:284
	buffer_load_dword v133, off, s[0:3], 0 offset:288
	buffer_load_dword v134, off, s[0:3], 0 offset:292
	buffer_load_dword v135, off, s[0:3], 0 offset:296
	buffer_load_dword v136, off, s[0:3], 0 offset:300
	buffer_load_dword v137, off, s[0:3], 0 offset:304
	buffer_load_dword v138, off, s[0:3], 0 offset:308
	buffer_load_dword v139, off, s[0:3], 0 offset:312
	buffer_load_dword v140, off, s[0:3], 0 offset:316
	buffer_load_dword v142, off, s[0:3], 0 offset:324
	buffer_load_dword v143, off, s[0:3], 0 offset:344
	buffer_load_dword v145, off, s[0:3], 0 offset:336
	buffer_load_dword v147, off, s[0:3], 0 offset:328
	buffer_load_dword v141, off, s[0:3], 0 offset:320
	buffer_load_dword v148, off, s[0:3], 0 offset:332
	buffer_load_dword v146, off, s[0:3], 0 offset:340
	v_mov_b32_e32 v118, 0
	ds_read2_b64 v[119:122], v118 offset0:91 offset1:92
	ds_read2_b64 v[123:126], v118 offset0:93 offset1:94
	buffer_load_dword v144, off, s[0:3], 0 offset:348
	v_cmp_lt_u32_e32 vcc, 31, v0
	s_waitcnt vmcnt(20) lgkmcnt(1)
	v_fma_f64 v[119:120], v[127:128], v[119:120], 0
	s_waitcnt vmcnt(18)
	v_fma_f64 v[119:120], v[129:130], v[121:122], v[119:120]
	buffer_load_dword v128, off, s[0:3], 0 offset:356
	buffer_load_dword v129, off, s[0:3], 0 offset:376
	;; [unrolled: 1-line block ×7, first 2 shown]
	s_waitcnt vmcnt(23) lgkmcnt(0)
	v_fma_f64 v[119:120], v[131:132], v[123:124], v[119:120]
	s_waitcnt vmcnt(21)
	v_fma_f64 v[130:131], v[133:134], v[125:126], v[119:120]
	ds_read2_b64 v[119:122], v118 offset0:95 offset1:96
	ds_read2_b64 v[123:126], v118 offset0:97 offset1:98
	s_waitcnt vmcnt(19) lgkmcnt(1)
	v_fma_f64 v[119:120], v[135:136], v[119:120], v[130:131]
	buffer_load_dword v130, off, s[0:3], 0 offset:380
	s_waitcnt vmcnt(18)
	v_fma_f64 v[119:120], v[137:138], v[121:122], v[119:120]
	buffer_load_dword v132, off, s[0:3], 0 offset:388
	buffer_load_dword v133, off, s[0:3], 0 offset:408
	;; [unrolled: 1-line block ×8, first 2 shown]
	s_waitcnt vmcnt(24) lgkmcnt(0)
	v_fma_f64 v[119:120], v[139:140], v[123:124], v[119:120]
	s_waitcnt vmcnt(19)
	v_fma_f64 v[139:140], v[141:142], v[125:126], v[119:120]
	ds_read2_b64 v[119:122], v118 offset0:99 offset1:100
	ds_read2_b64 v[123:126], v118 offset0:101 offset1:102
	s_waitcnt vmcnt(18) lgkmcnt(1)
	v_fma_f64 v[119:120], v[147:148], v[119:120], v[139:140]
	s_waitcnt vmcnt(17)
	v_fma_f64 v[119:120], v[145:146], v[121:122], v[119:120]
	buffer_load_dword v140, off, s[0:3], 0 offset:420
	buffer_load_dword v141, off, s[0:3], 0 offset:440
	;; [unrolled: 1-line block ×7, first 2 shown]
	s_waitcnt vmcnt(23) lgkmcnt(0)
	v_fma_f64 v[119:120], v[143:144], v[123:124], v[119:120]
	s_waitcnt vmcnt(18)
	v_fma_f64 v[127:128], v[127:128], v[125:126], v[119:120]
	ds_read2_b64 v[119:122], v118 offset0:103 offset1:104
	ds_read2_b64 v[123:126], v118 offset0:105 offset1:106
	buffer_load_dword v142, off, s[0:3], 0 offset:444
	s_waitcnt vmcnt(18) lgkmcnt(1)
	v_fma_f64 v[119:120], v[151:152], v[119:120], v[127:128]
	buffer_load_dword v128, off, s[0:3], 0 offset:452
	buffer_load_dword v143, off, s[0:3], 0 offset:456
	;; [unrolled: 1-line block ×4, first 2 shown]
	s_waitcnt vmcnt(21)
	v_fma_f64 v[119:120], v[149:150], v[121:122], v[119:120]
	s_waitcnt vmcnt(20) lgkmcnt(0)
	v_fma_f64 v[119:120], v[129:130], v[123:124], v[119:120]
	buffer_load_dword v129, off, s[0:3], 0 offset:256
	buffer_load_dword v130, off, s[0:3], 0 offset:260
	s_waitcnt vmcnt(17)
	v_fma_f64 v[131:132], v[131:132], v[125:126], v[119:120]
	ds_read2_b64 v[119:122], v118 offset0:107 offset1:108
	ds_read2_b64 v[123:126], v118 offset0:109 offset1:110
	s_waitcnt vmcnt(16) lgkmcnt(1)
	v_fma_f64 v[119:120], v[137:138], v[119:120], v[131:132]
	s_waitcnt vmcnt(15)
	v_fma_f64 v[119:120], v[135:136], v[121:122], v[119:120]
	s_waitcnt vmcnt(14) lgkmcnt(0)
	v_fma_f64 v[119:120], v[133:134], v[123:124], v[119:120]
	s_waitcnt vmcnt(9)
	v_fma_f64 v[131:132], v[139:140], v[125:126], v[119:120]
	ds_read2_b64 v[119:122], v118 offset0:111 offset1:112
	ds_read2_b64 v[123:126], v118 offset0:113 offset1:114
	s_waitcnt vmcnt(8) lgkmcnt(1)
	v_fma_f64 v[119:120], v[147:148], v[119:120], v[131:132]
	s_waitcnt vmcnt(7)
	v_fma_f64 v[119:120], v[145:146], v[121:122], v[119:120]
	ds_read_b64 v[121:122], v118 offset:920
	s_waitcnt vmcnt(6) lgkmcnt(1)
	v_fma_f64 v[119:120], v[141:142], v[123:124], v[119:120]
	s_waitcnt vmcnt(3)
	v_fma_f64 v[119:120], v[127:128], v[125:126], v[119:120]
	s_waitcnt vmcnt(2) lgkmcnt(0)
	v_fma_f64 v[119:120], v[143:144], v[121:122], v[119:120]
	s_waitcnt vmcnt(0)
	v_add_f64 v[119:120], v[129:130], -v[119:120]
	buffer_store_dword v120, off, s[0:3], 0 offset:260
	buffer_store_dword v119, off, s[0:3], 0 offset:256
	s_and_saveexec_b64 s[4:5], vcc
	s_cbranch_execz .LBB121_293
; %bb.292:
	buffer_load_dword v119, off, s[0:3], 0 offset:248
	buffer_load_dword v120, off, s[0:3], 0 offset:252
	s_waitcnt vmcnt(0)
	ds_write_b64 v117, v[119:120]
	buffer_store_dword v118, off, s[0:3], 0 offset:248
	buffer_store_dword v118, off, s[0:3], 0 offset:252
.LBB121_293:
	s_or_b64 exec, exec, s[4:5]
	s_waitcnt lgkmcnt(0)
	; wave barrier
	buffer_load_dword v127, off, s[0:3], 0 offset:256
	buffer_load_dword v128, off, s[0:3], 0 offset:260
	;; [unrolled: 1-line block ×22, first 2 shown]
	ds_read_b128 v[119:122], v118 offset:720
	ds_read_b128 v[123:126], v118 offset:736
	v_cmp_lt_u32_e32 vcc, 30, v0
	s_waitcnt vmcnt(20) lgkmcnt(1)
	v_fma_f64 v[119:120], v[127:128], v[119:120], 0
	s_waitcnt vmcnt(18)
	v_fma_f64 v[119:120], v[129:130], v[121:122], v[119:120]
	buffer_load_dword v128, off, s[0:3], 0 offset:348
	buffer_load_dword v129, off, s[0:3], 0 offset:368
	;; [unrolled: 1-line block ×7, first 2 shown]
	s_waitcnt vmcnt(23) lgkmcnt(0)
	v_fma_f64 v[119:120], v[131:132], v[123:124], v[119:120]
	s_waitcnt vmcnt(21)
	v_fma_f64 v[130:131], v[133:134], v[125:126], v[119:120]
	ds_read_b128 v[119:122], v118 offset:752
	ds_read_b128 v[123:126], v118 offset:768
	s_waitcnt vmcnt(19) lgkmcnt(1)
	v_fma_f64 v[119:120], v[135:136], v[119:120], v[130:131]
	buffer_load_dword v130, off, s[0:3], 0 offset:372
	s_waitcnt vmcnt(18)
	v_fma_f64 v[119:120], v[137:138], v[121:122], v[119:120]
	buffer_load_dword v132, off, s[0:3], 0 offset:380
	buffer_load_dword v133, off, s[0:3], 0 offset:400
	;; [unrolled: 1-line block ×8, first 2 shown]
	s_waitcnt vmcnt(24) lgkmcnt(0)
	v_fma_f64 v[119:120], v[139:140], v[123:124], v[119:120]
	s_waitcnt vmcnt(19)
	v_fma_f64 v[139:140], v[141:142], v[125:126], v[119:120]
	ds_read_b128 v[119:122], v118 offset:784
	ds_read_b128 v[123:126], v118 offset:800
	s_waitcnt vmcnt(18) lgkmcnt(1)
	v_fma_f64 v[119:120], v[147:148], v[119:120], v[139:140]
	s_waitcnt vmcnt(17)
	v_fma_f64 v[119:120], v[145:146], v[121:122], v[119:120]
	buffer_load_dword v140, off, s[0:3], 0 offset:412
	buffer_load_dword v141, off, s[0:3], 0 offset:432
	;; [unrolled: 1-line block ×8, first 2 shown]
	s_waitcnt vmcnt(24) lgkmcnt(0)
	v_fma_f64 v[119:120], v[143:144], v[123:124], v[119:120]
	s_waitcnt vmcnt(19)
	v_fma_f64 v[127:128], v[127:128], v[125:126], v[119:120]
	ds_read_b128 v[119:122], v118 offset:816
	ds_read_b128 v[123:126], v118 offset:832
	s_waitcnt vmcnt(18) lgkmcnt(1)
	v_fma_f64 v[119:120], v[151:152], v[119:120], v[127:128]
	s_waitcnt vmcnt(17)
	v_fma_f64 v[119:120], v[149:150], v[121:122], v[119:120]
	buffer_load_dword v128, off, s[0:3], 0 offset:444
	buffer_load_dword v143, off, s[0:3], 0 offset:456
	;; [unrolled: 1-line block ×6, first 2 shown]
	s_waitcnt vmcnt(22) lgkmcnt(0)
	v_fma_f64 v[119:120], v[129:130], v[123:124], v[119:120]
	s_waitcnt vmcnt(17)
	v_fma_f64 v[129:130], v[131:132], v[125:126], v[119:120]
	ds_read_b128 v[119:122], v118 offset:848
	buffer_load_dword v131, off, s[0:3], 0 offset:248
	buffer_load_dword v132, off, s[0:3], 0 offset:252
	ds_read_b128 v[123:126], v118 offset:864
	s_waitcnt vmcnt(18) lgkmcnt(1)
	v_fma_f64 v[119:120], v[137:138], v[119:120], v[129:130]
	s_waitcnt vmcnt(17)
	v_fma_f64 v[119:120], v[135:136], v[121:122], v[119:120]
	s_waitcnt vmcnt(16) lgkmcnt(0)
	v_fma_f64 v[119:120], v[133:134], v[123:124], v[119:120]
	s_waitcnt vmcnt(11)
	v_fma_f64 v[129:130], v[139:140], v[125:126], v[119:120]
	ds_read_b128 v[119:122], v118 offset:880
	ds_read_b128 v[123:126], v118 offset:896
	s_waitcnt vmcnt(10) lgkmcnt(1)
	v_fma_f64 v[119:120], v[147:148], v[119:120], v[129:130]
	s_waitcnt vmcnt(9)
	v_fma_f64 v[119:120], v[145:146], v[121:122], v[119:120]
	s_waitcnt vmcnt(8) lgkmcnt(0)
	v_fma_f64 v[119:120], v[141:142], v[123:124], v[119:120]
	s_waitcnt vmcnt(4)
	v_fma_f64 v[122:123], v[127:128], v[125:126], v[119:120]
	ds_read_b128 v[118:121], v118 offset:912
	s_waitcnt vmcnt(3) lgkmcnt(0)
	v_fma_f64 v[118:119], v[149:150], v[118:119], v[122:123]
	s_waitcnt vmcnt(2)
	v_fma_f64 v[118:119], v[143:144], v[120:121], v[118:119]
	s_waitcnt vmcnt(0)
	v_add_f64 v[118:119], v[131:132], -v[118:119]
	buffer_store_dword v119, off, s[0:3], 0 offset:252
	buffer_store_dword v118, off, s[0:3], 0 offset:248
	s_and_saveexec_b64 s[4:5], vcc
	s_cbranch_execz .LBB121_295
; %bb.294:
	buffer_load_dword v118, off, s[0:3], 0 offset:240
	buffer_load_dword v119, off, s[0:3], 0 offset:244
	v_mov_b32_e32 v120, 0
	buffer_store_dword v120, off, s[0:3], 0 offset:240
	buffer_store_dword v120, off, s[0:3], 0 offset:244
	s_waitcnt vmcnt(2)
	ds_write_b64 v117, v[118:119]
.LBB121_295:
	s_or_b64 exec, exec, s[4:5]
	s_waitcnt lgkmcnt(0)
	; wave barrier
	buffer_load_dword v127, off, s[0:3], 0 offset:248
	buffer_load_dword v128, off, s[0:3], 0 offset:252
	;; [unrolled: 1-line block ×22, first 2 shown]
	v_mov_b32_e32 v118, 0
	ds_read2_b64 v[119:122], v118 offset0:89 offset1:90
	ds_read2_b64 v[123:126], v118 offset0:91 offset1:92
	v_cmp_lt_u32_e32 vcc, 29, v0
	s_waitcnt vmcnt(20) lgkmcnt(1)
	v_fma_f64 v[119:120], v[127:128], v[119:120], 0
	s_waitcnt vmcnt(18)
	v_fma_f64 v[119:120], v[129:130], v[121:122], v[119:120]
	buffer_load_dword v128, off, s[0:3], 0 offset:340
	buffer_load_dword v129, off, s[0:3], 0 offset:360
	buffer_load_dword v149, off, s[0:3], 0 offset:352
	buffer_load_dword v151, off, s[0:3], 0 offset:344
	buffer_load_dword v127, off, s[0:3], 0 offset:336
	buffer_load_dword v152, off, s[0:3], 0 offset:348
	buffer_load_dword v150, off, s[0:3], 0 offset:356
	s_waitcnt vmcnt(23) lgkmcnt(0)
	v_fma_f64 v[119:120], v[131:132], v[123:124], v[119:120]
	s_waitcnt vmcnt(21)
	v_fma_f64 v[130:131], v[133:134], v[125:126], v[119:120]
	ds_read2_b64 v[119:122], v118 offset0:93 offset1:94
	ds_read2_b64 v[123:126], v118 offset0:95 offset1:96
	s_waitcnt vmcnt(19) lgkmcnt(1)
	v_fma_f64 v[119:120], v[135:136], v[119:120], v[130:131]
	buffer_load_dword v130, off, s[0:3], 0 offset:364
	s_waitcnt vmcnt(18)
	v_fma_f64 v[119:120], v[137:138], v[121:122], v[119:120]
	buffer_load_dword v132, off, s[0:3], 0 offset:372
	buffer_load_dword v133, off, s[0:3], 0 offset:392
	buffer_load_dword v135, off, s[0:3], 0 offset:384
	buffer_load_dword v137, off, s[0:3], 0 offset:376
	buffer_load_dword v131, off, s[0:3], 0 offset:368
	buffer_load_dword v138, off, s[0:3], 0 offset:380
	buffer_load_dword v136, off, s[0:3], 0 offset:388
	buffer_load_dword v134, off, s[0:3], 0 offset:396
	s_waitcnt vmcnt(24) lgkmcnt(0)
	v_fma_f64 v[119:120], v[139:140], v[123:124], v[119:120]
	s_waitcnt vmcnt(19)
	v_fma_f64 v[139:140], v[141:142], v[125:126], v[119:120]
	ds_read2_b64 v[119:122], v118 offset0:97 offset1:98
	ds_read2_b64 v[123:126], v118 offset0:99 offset1:100
	s_waitcnt vmcnt(18) lgkmcnt(1)
	v_fma_f64 v[119:120], v[147:148], v[119:120], v[139:140]
	s_waitcnt vmcnt(17)
	v_fma_f64 v[119:120], v[145:146], v[121:122], v[119:120]
	buffer_load_dword v140, off, s[0:3], 0 offset:404
	buffer_load_dword v141, off, s[0:3], 0 offset:424
	buffer_load_dword v145, off, s[0:3], 0 offset:416
	buffer_load_dword v147, off, s[0:3], 0 offset:408
	buffer_load_dword v139, off, s[0:3], 0 offset:400
	buffer_load_dword v148, off, s[0:3], 0 offset:412
	buffer_load_dword v146, off, s[0:3], 0 offset:420
	buffer_load_dword v142, off, s[0:3], 0 offset:428
	s_waitcnt vmcnt(24) lgkmcnt(0)
	v_fma_f64 v[119:120], v[143:144], v[123:124], v[119:120]
	s_waitcnt vmcnt(19)
	v_fma_f64 v[127:128], v[127:128], v[125:126], v[119:120]
	ds_read2_b64 v[119:122], v118 offset0:101 offset1:102
	ds_read2_b64 v[123:126], v118 offset0:103 offset1:104
	s_waitcnt vmcnt(18) lgkmcnt(1)
	v_fma_f64 v[119:120], v[151:152], v[119:120], v[127:128]
	;; [unrolled: 18-line block ×3, first 2 shown]
	buffer_load_dword v129, off, s[0:3], 0 offset:240
	buffer_load_dword v130, off, s[0:3], 0 offset:244
	s_waitcnt vmcnt(19)
	v_fma_f64 v[119:120], v[135:136], v[121:122], v[119:120]
	s_waitcnt vmcnt(18) lgkmcnt(0)
	v_fma_f64 v[119:120], v[133:134], v[123:124], v[119:120]
	s_waitcnt vmcnt(13)
	v_fma_f64 v[131:132], v[139:140], v[125:126], v[119:120]
	ds_read2_b64 v[119:122], v118 offset0:109 offset1:110
	ds_read2_b64 v[123:126], v118 offset0:111 offset1:112
	s_waitcnt vmcnt(12) lgkmcnt(1)
	v_fma_f64 v[119:120], v[147:148], v[119:120], v[131:132]
	s_waitcnt vmcnt(11)
	v_fma_f64 v[119:120], v[145:146], v[121:122], v[119:120]
	s_waitcnt vmcnt(10) lgkmcnt(0)
	v_fma_f64 v[119:120], v[141:142], v[123:124], v[119:120]
	s_waitcnt vmcnt(5)
	v_fma_f64 v[123:124], v[127:128], v[125:126], v[119:120]
	ds_read2_b64 v[119:122], v118 offset0:113 offset1:114
	ds_read_b64 v[125:126], v118 offset:920
	s_waitcnt vmcnt(4) lgkmcnt(1)
	v_fma_f64 v[119:120], v[151:152], v[119:120], v[123:124]
	s_waitcnt vmcnt(3)
	v_fma_f64 v[119:120], v[149:150], v[121:122], v[119:120]
	s_waitcnt vmcnt(2) lgkmcnt(0)
	v_fma_f64 v[119:120], v[143:144], v[125:126], v[119:120]
	s_waitcnt vmcnt(0)
	v_add_f64 v[119:120], v[129:130], -v[119:120]
	buffer_store_dword v120, off, s[0:3], 0 offset:244
	buffer_store_dword v119, off, s[0:3], 0 offset:240
	s_and_saveexec_b64 s[4:5], vcc
	s_cbranch_execz .LBB121_297
; %bb.296:
	buffer_load_dword v119, off, s[0:3], 0 offset:232
	buffer_load_dword v120, off, s[0:3], 0 offset:236
	s_waitcnt vmcnt(0)
	ds_write_b64 v117, v[119:120]
	buffer_store_dword v118, off, s[0:3], 0 offset:232
	buffer_store_dword v118, off, s[0:3], 0 offset:236
.LBB121_297:
	s_or_b64 exec, exec, s[4:5]
	s_waitcnt lgkmcnt(0)
	; wave barrier
	buffer_load_dword v127, off, s[0:3], 0 offset:240
	buffer_load_dword v128, off, s[0:3], 0 offset:244
	;; [unrolled: 1-line block ×22, first 2 shown]
	ds_read_b128 v[119:122], v118 offset:704
	ds_read_b128 v[123:126], v118 offset:720
	v_cmp_lt_u32_e32 vcc, 28, v0
	s_waitcnt vmcnt(20) lgkmcnt(1)
	v_fma_f64 v[119:120], v[127:128], v[119:120], 0
	s_waitcnt vmcnt(18)
	v_fma_f64 v[119:120], v[129:130], v[121:122], v[119:120]
	buffer_load_dword v128, off, s[0:3], 0 offset:332
	buffer_load_dword v129, off, s[0:3], 0 offset:352
	;; [unrolled: 1-line block ×7, first 2 shown]
	s_waitcnt vmcnt(23) lgkmcnt(0)
	v_fma_f64 v[119:120], v[131:132], v[123:124], v[119:120]
	s_waitcnt vmcnt(21)
	v_fma_f64 v[130:131], v[133:134], v[125:126], v[119:120]
	ds_read_b128 v[119:122], v118 offset:736
	ds_read_b128 v[123:126], v118 offset:752
	s_waitcnt vmcnt(19) lgkmcnt(1)
	v_fma_f64 v[119:120], v[135:136], v[119:120], v[130:131]
	buffer_load_dword v130, off, s[0:3], 0 offset:356
	s_waitcnt vmcnt(18)
	v_fma_f64 v[119:120], v[137:138], v[121:122], v[119:120]
	buffer_load_dword v132, off, s[0:3], 0 offset:364
	buffer_load_dword v133, off, s[0:3], 0 offset:384
	buffer_load_dword v135, off, s[0:3], 0 offset:376
	buffer_load_dword v137, off, s[0:3], 0 offset:368
	buffer_load_dword v131, off, s[0:3], 0 offset:360
	buffer_load_dword v138, off, s[0:3], 0 offset:372
	buffer_load_dword v136, off, s[0:3], 0 offset:380
	buffer_load_dword v134, off, s[0:3], 0 offset:388
	s_waitcnt vmcnt(24) lgkmcnt(0)
	v_fma_f64 v[119:120], v[139:140], v[123:124], v[119:120]
	s_waitcnt vmcnt(19)
	v_fma_f64 v[139:140], v[141:142], v[125:126], v[119:120]
	ds_read_b128 v[119:122], v118 offset:768
	ds_read_b128 v[123:126], v118 offset:784
	s_waitcnt vmcnt(18) lgkmcnt(1)
	v_fma_f64 v[119:120], v[147:148], v[119:120], v[139:140]
	s_waitcnt vmcnt(17)
	v_fma_f64 v[119:120], v[145:146], v[121:122], v[119:120]
	buffer_load_dword v140, off, s[0:3], 0 offset:396
	buffer_load_dword v141, off, s[0:3], 0 offset:416
	buffer_load_dword v145, off, s[0:3], 0 offset:408
	buffer_load_dword v147, off, s[0:3], 0 offset:400
	buffer_load_dword v139, off, s[0:3], 0 offset:392
	buffer_load_dword v148, off, s[0:3], 0 offset:404
	buffer_load_dword v146, off, s[0:3], 0 offset:412
	buffer_load_dword v142, off, s[0:3], 0 offset:420
	s_waitcnt vmcnt(24) lgkmcnt(0)
	v_fma_f64 v[119:120], v[143:144], v[123:124], v[119:120]
	s_waitcnt vmcnt(19)
	v_fma_f64 v[127:128], v[127:128], v[125:126], v[119:120]
	ds_read_b128 v[119:122], v118 offset:800
	ds_read_b128 v[123:126], v118 offset:816
	s_waitcnt vmcnt(18) lgkmcnt(1)
	v_fma_f64 v[119:120], v[151:152], v[119:120], v[127:128]
	;; [unrolled: 18-line block ×3, first 2 shown]
	buffer_load_dword v130, off, s[0:3], 0 offset:460
	buffer_load_dword v129, off, s[0:3], 0 offset:456
	;; [unrolled: 1-line block ×4, first 2 shown]
	s_waitcnt vmcnt(21)
	v_fma_f64 v[119:120], v[135:136], v[121:122], v[119:120]
	s_waitcnt vmcnt(20) lgkmcnt(0)
	v_fma_f64 v[119:120], v[133:134], v[123:124], v[119:120]
	s_waitcnt vmcnt(15)
	v_fma_f64 v[133:134], v[139:140], v[125:126], v[119:120]
	ds_read_b128 v[119:122], v118 offset:864
	ds_read_b128 v[123:126], v118 offset:880
	s_waitcnt vmcnt(14) lgkmcnt(1)
	v_fma_f64 v[119:120], v[147:148], v[119:120], v[133:134]
	s_waitcnt vmcnt(13)
	v_fma_f64 v[119:120], v[145:146], v[121:122], v[119:120]
	s_waitcnt vmcnt(12) lgkmcnt(0)
	v_fma_f64 v[119:120], v[141:142], v[123:124], v[119:120]
	s_waitcnt vmcnt(7)
	v_fma_f64 v[127:128], v[127:128], v[125:126], v[119:120]
	ds_read_b128 v[119:122], v118 offset:896
	ds_read_b128 v[123:126], v118 offset:912
	s_waitcnt vmcnt(6) lgkmcnt(1)
	v_fma_f64 v[118:119], v[151:152], v[119:120], v[127:128]
	s_waitcnt vmcnt(5)
	v_fma_f64 v[118:119], v[149:150], v[121:122], v[118:119]
	s_waitcnt vmcnt(4) lgkmcnt(0)
	v_fma_f64 v[118:119], v[143:144], v[123:124], v[118:119]
	s_waitcnt vmcnt(2)
	v_fma_f64 v[118:119], v[129:130], v[125:126], v[118:119]
	s_waitcnt vmcnt(0)
	v_add_f64 v[118:119], v[131:132], -v[118:119]
	buffer_store_dword v119, off, s[0:3], 0 offset:236
	buffer_store_dword v118, off, s[0:3], 0 offset:232
	s_and_saveexec_b64 s[4:5], vcc
	s_cbranch_execz .LBB121_299
; %bb.298:
	buffer_load_dword v118, off, s[0:3], 0 offset:224
	buffer_load_dword v119, off, s[0:3], 0 offset:228
	v_mov_b32_e32 v120, 0
	buffer_store_dword v120, off, s[0:3], 0 offset:224
	buffer_store_dword v120, off, s[0:3], 0 offset:228
	s_waitcnt vmcnt(2)
	ds_write_b64 v117, v[118:119]
.LBB121_299:
	s_or_b64 exec, exec, s[4:5]
	s_waitcnt lgkmcnt(0)
	; wave barrier
	buffer_load_dword v127, off, s[0:3], 0 offset:232
	buffer_load_dword v128, off, s[0:3], 0 offset:236
	;; [unrolled: 1-line block ×22, first 2 shown]
	v_mov_b32_e32 v118, 0
	ds_read2_b64 v[119:122], v118 offset0:87 offset1:88
	ds_read2_b64 v[123:126], v118 offset0:89 offset1:90
	v_cmp_lt_u32_e32 vcc, 27, v0
	s_waitcnt vmcnt(20) lgkmcnt(1)
	v_fma_f64 v[119:120], v[127:128], v[119:120], 0
	s_waitcnt vmcnt(18)
	v_fma_f64 v[119:120], v[129:130], v[121:122], v[119:120]
	buffer_load_dword v128, off, s[0:3], 0 offset:324
	buffer_load_dword v129, off, s[0:3], 0 offset:344
	buffer_load_dword v149, off, s[0:3], 0 offset:336
	buffer_load_dword v151, off, s[0:3], 0 offset:328
	buffer_load_dword v127, off, s[0:3], 0 offset:320
	buffer_load_dword v152, off, s[0:3], 0 offset:332
	buffer_load_dword v150, off, s[0:3], 0 offset:340
	s_waitcnt vmcnt(23) lgkmcnt(0)
	v_fma_f64 v[119:120], v[131:132], v[123:124], v[119:120]
	s_waitcnt vmcnt(21)
	v_fma_f64 v[130:131], v[133:134], v[125:126], v[119:120]
	ds_read2_b64 v[119:122], v118 offset0:91 offset1:92
	ds_read2_b64 v[123:126], v118 offset0:93 offset1:94
	s_waitcnt vmcnt(19) lgkmcnt(1)
	v_fma_f64 v[119:120], v[135:136], v[119:120], v[130:131]
	buffer_load_dword v130, off, s[0:3], 0 offset:348
	s_waitcnt vmcnt(18)
	v_fma_f64 v[119:120], v[137:138], v[121:122], v[119:120]
	buffer_load_dword v132, off, s[0:3], 0 offset:356
	buffer_load_dword v133, off, s[0:3], 0 offset:376
	buffer_load_dword v135, off, s[0:3], 0 offset:368
	buffer_load_dword v137, off, s[0:3], 0 offset:360
	buffer_load_dword v131, off, s[0:3], 0 offset:352
	buffer_load_dword v138, off, s[0:3], 0 offset:364
	buffer_load_dword v136, off, s[0:3], 0 offset:372
	s_waitcnt vmcnt(23) lgkmcnt(0)
	v_fma_f64 v[119:120], v[139:140], v[123:124], v[119:120]
	s_waitcnt vmcnt(18)
	v_fma_f64 v[139:140], v[141:142], v[125:126], v[119:120]
	ds_read2_b64 v[119:122], v118 offset0:95 offset1:96
	ds_read2_b64 v[123:126], v118 offset0:97 offset1:98
	buffer_load_dword v134, off, s[0:3], 0 offset:380
	s_waitcnt vmcnt(18) lgkmcnt(1)
	v_fma_f64 v[119:120], v[147:148], v[119:120], v[139:140]
	s_waitcnt vmcnt(17)
	v_fma_f64 v[119:120], v[145:146], v[121:122], v[119:120]
	buffer_load_dword v140, off, s[0:3], 0 offset:388
	buffer_load_dword v141, off, s[0:3], 0 offset:408
	;; [unrolled: 1-line block ×8, first 2 shown]
	s_waitcnt vmcnt(24) lgkmcnt(0)
	v_fma_f64 v[119:120], v[143:144], v[123:124], v[119:120]
	s_waitcnt vmcnt(19)
	v_fma_f64 v[127:128], v[127:128], v[125:126], v[119:120]
	ds_read2_b64 v[119:122], v118 offset0:99 offset1:100
	ds_read2_b64 v[123:126], v118 offset0:101 offset1:102
	s_waitcnt vmcnt(18) lgkmcnt(1)
	v_fma_f64 v[119:120], v[151:152], v[119:120], v[127:128]
	s_waitcnt vmcnt(17)
	v_fma_f64 v[119:120], v[149:150], v[121:122], v[119:120]
	buffer_load_dword v128, off, s[0:3], 0 offset:420
	buffer_load_dword v143, off, s[0:3], 0 offset:440
	;; [unrolled: 1-line block ×7, first 2 shown]
	s_waitcnt vmcnt(23) lgkmcnt(0)
	v_fma_f64 v[119:120], v[129:130], v[123:124], v[119:120]
	s_waitcnt vmcnt(18)
	v_fma_f64 v[129:130], v[131:132], v[125:126], v[119:120]
	ds_read2_b64 v[119:122], v118 offset0:103 offset1:104
	ds_read2_b64 v[123:126], v118 offset0:105 offset1:106
	buffer_load_dword v144, off, s[0:3], 0 offset:444
	s_waitcnt vmcnt(18) lgkmcnt(1)
	v_fma_f64 v[119:120], v[137:138], v[119:120], v[129:130]
	buffer_load_dword v130, off, s[0:3], 0 offset:452
	buffer_load_dword v131, off, s[0:3], 0 offset:456
	;; [unrolled: 1-line block ×4, first 2 shown]
	s_waitcnt vmcnt(21)
	v_fma_f64 v[119:120], v[135:136], v[121:122], v[119:120]
	s_waitcnt vmcnt(20) lgkmcnt(0)
	v_fma_f64 v[119:120], v[133:134], v[123:124], v[119:120]
	buffer_load_dword v133, off, s[0:3], 0 offset:224
	buffer_load_dword v134, off, s[0:3], 0 offset:228
	s_waitcnt vmcnt(17)
	v_fma_f64 v[135:136], v[139:140], v[125:126], v[119:120]
	ds_read2_b64 v[119:122], v118 offset0:107 offset1:108
	ds_read2_b64 v[123:126], v118 offset0:109 offset1:110
	s_waitcnt vmcnt(16) lgkmcnt(1)
	v_fma_f64 v[119:120], v[147:148], v[119:120], v[135:136]
	s_waitcnt vmcnt(15)
	v_fma_f64 v[119:120], v[145:146], v[121:122], v[119:120]
	s_waitcnt vmcnt(14) lgkmcnt(0)
	v_fma_f64 v[119:120], v[141:142], v[123:124], v[119:120]
	s_waitcnt vmcnt(9)
	v_fma_f64 v[127:128], v[127:128], v[125:126], v[119:120]
	ds_read2_b64 v[119:122], v118 offset0:111 offset1:112
	ds_read2_b64 v[123:126], v118 offset0:113 offset1:114
	s_waitcnt vmcnt(8) lgkmcnt(1)
	v_fma_f64 v[119:120], v[151:152], v[119:120], v[127:128]
	s_waitcnt vmcnt(7)
	v_fma_f64 v[119:120], v[149:150], v[121:122], v[119:120]
	ds_read_b64 v[121:122], v118 offset:920
	s_waitcnt vmcnt(6) lgkmcnt(1)
	v_fma_f64 v[119:120], v[143:144], v[123:124], v[119:120]
	s_waitcnt vmcnt(3)
	v_fma_f64 v[119:120], v[129:130], v[125:126], v[119:120]
	s_waitcnt vmcnt(2) lgkmcnt(0)
	v_fma_f64 v[119:120], v[131:132], v[121:122], v[119:120]
	s_waitcnt vmcnt(0)
	v_add_f64 v[119:120], v[133:134], -v[119:120]
	buffer_store_dword v120, off, s[0:3], 0 offset:228
	buffer_store_dword v119, off, s[0:3], 0 offset:224
	s_and_saveexec_b64 s[4:5], vcc
	s_cbranch_execz .LBB121_301
; %bb.300:
	buffer_load_dword v119, off, s[0:3], 0 offset:216
	buffer_load_dword v120, off, s[0:3], 0 offset:220
	s_waitcnt vmcnt(0)
	ds_write_b64 v117, v[119:120]
	buffer_store_dword v118, off, s[0:3], 0 offset:216
	buffer_store_dword v118, off, s[0:3], 0 offset:220
.LBB121_301:
	s_or_b64 exec, exec, s[4:5]
	s_waitcnt lgkmcnt(0)
	; wave barrier
	buffer_load_dword v127, off, s[0:3], 0 offset:224
	buffer_load_dword v128, off, s[0:3], 0 offset:228
	buffer_load_dword v129, off, s[0:3], 0 offset:232
	buffer_load_dword v130, off, s[0:3], 0 offset:236
	buffer_load_dword v131, off, s[0:3], 0 offset:240
	buffer_load_dword v132, off, s[0:3], 0 offset:244
	buffer_load_dword v133, off, s[0:3], 0 offset:248
	buffer_load_dword v134, off, s[0:3], 0 offset:252
	buffer_load_dword v135, off, s[0:3], 0 offset:256
	buffer_load_dword v136, off, s[0:3], 0 offset:260
	buffer_load_dword v137, off, s[0:3], 0 offset:264
	buffer_load_dword v138, off, s[0:3], 0 offset:268
	buffer_load_dword v139, off, s[0:3], 0 offset:272
	buffer_load_dword v140, off, s[0:3], 0 offset:276
	buffer_load_dword v142, off, s[0:3], 0 offset:284
	buffer_load_dword v143, off, s[0:3], 0 offset:304
	buffer_load_dword v145, off, s[0:3], 0 offset:296
	buffer_load_dword v147, off, s[0:3], 0 offset:288
	buffer_load_dword v141, off, s[0:3], 0 offset:280
	buffer_load_dword v148, off, s[0:3], 0 offset:292
	buffer_load_dword v146, off, s[0:3], 0 offset:300
	buffer_load_dword v144, off, s[0:3], 0 offset:308
	ds_read_b128 v[119:122], v118 offset:688
	ds_read_b128 v[123:126], v118 offset:704
	v_cmp_lt_u32_e32 vcc, 26, v0
	s_waitcnt vmcnt(20) lgkmcnt(1)
	v_fma_f64 v[119:120], v[127:128], v[119:120], 0
	s_waitcnt vmcnt(18)
	v_fma_f64 v[119:120], v[129:130], v[121:122], v[119:120]
	buffer_load_dword v128, off, s[0:3], 0 offset:316
	buffer_load_dword v129, off, s[0:3], 0 offset:336
	;; [unrolled: 1-line block ×7, first 2 shown]
	s_waitcnt vmcnt(23) lgkmcnt(0)
	v_fma_f64 v[119:120], v[131:132], v[123:124], v[119:120]
	s_waitcnt vmcnt(21)
	v_fma_f64 v[130:131], v[133:134], v[125:126], v[119:120]
	ds_read_b128 v[119:122], v118 offset:720
	ds_read_b128 v[123:126], v118 offset:736
	s_waitcnt vmcnt(19) lgkmcnt(1)
	v_fma_f64 v[119:120], v[135:136], v[119:120], v[130:131]
	buffer_load_dword v130, off, s[0:3], 0 offset:340
	s_waitcnt vmcnt(18)
	v_fma_f64 v[119:120], v[137:138], v[121:122], v[119:120]
	buffer_load_dword v132, off, s[0:3], 0 offset:348
	buffer_load_dword v133, off, s[0:3], 0 offset:368
	;; [unrolled: 1-line block ×7, first 2 shown]
	s_waitcnt vmcnt(23) lgkmcnt(0)
	v_fma_f64 v[119:120], v[139:140], v[123:124], v[119:120]
	s_waitcnt vmcnt(18)
	v_fma_f64 v[139:140], v[141:142], v[125:126], v[119:120]
	ds_read_b128 v[119:122], v118 offset:752
	ds_read_b128 v[123:126], v118 offset:768
	buffer_load_dword v134, off, s[0:3], 0 offset:372
	s_waitcnt vmcnt(18) lgkmcnt(1)
	v_fma_f64 v[119:120], v[147:148], v[119:120], v[139:140]
	s_waitcnt vmcnt(17)
	v_fma_f64 v[119:120], v[145:146], v[121:122], v[119:120]
	buffer_load_dword v140, off, s[0:3], 0 offset:380
	buffer_load_dword v141, off, s[0:3], 0 offset:400
	buffer_load_dword v145, off, s[0:3], 0 offset:392
	buffer_load_dword v147, off, s[0:3], 0 offset:384
	buffer_load_dword v139, off, s[0:3], 0 offset:376
	buffer_load_dword v148, off, s[0:3], 0 offset:388
	buffer_load_dword v146, off, s[0:3], 0 offset:396
	buffer_load_dword v142, off, s[0:3], 0 offset:404
	s_waitcnt vmcnt(24) lgkmcnt(0)
	v_fma_f64 v[119:120], v[143:144], v[123:124], v[119:120]
	s_waitcnt vmcnt(19)
	v_fma_f64 v[127:128], v[127:128], v[125:126], v[119:120]
	ds_read_b128 v[119:122], v118 offset:784
	ds_read_b128 v[123:126], v118 offset:800
	s_waitcnt vmcnt(18) lgkmcnt(1)
	v_fma_f64 v[119:120], v[151:152], v[119:120], v[127:128]
	s_waitcnt vmcnt(17)
	v_fma_f64 v[119:120], v[149:150], v[121:122], v[119:120]
	buffer_load_dword v128, off, s[0:3], 0 offset:412
	buffer_load_dword v143, off, s[0:3], 0 offset:432
	;; [unrolled: 1-line block ×8, first 2 shown]
	s_waitcnt vmcnt(24) lgkmcnt(0)
	v_fma_f64 v[119:120], v[129:130], v[123:124], v[119:120]
	s_waitcnt vmcnt(19)
	v_fma_f64 v[129:130], v[131:132], v[125:126], v[119:120]
	ds_read_b128 v[119:122], v118 offset:816
	ds_read_b128 v[123:126], v118 offset:832
	s_waitcnt vmcnt(18) lgkmcnt(1)
	v_fma_f64 v[119:120], v[137:138], v[119:120], v[129:130]
	s_waitcnt vmcnt(17)
	v_fma_f64 v[119:120], v[135:136], v[121:122], v[119:120]
	buffer_load_dword v130, off, s[0:3], 0 offset:444
	buffer_load_dword v131, off, s[0:3], 0 offset:456
	;; [unrolled: 1-line block ×6, first 2 shown]
	s_waitcnt vmcnt(22) lgkmcnt(0)
	v_fma_f64 v[119:120], v[133:134], v[123:124], v[119:120]
	s_waitcnt vmcnt(17)
	v_fma_f64 v[133:134], v[139:140], v[125:126], v[119:120]
	ds_read_b128 v[119:122], v118 offset:848
	buffer_load_dword v137, off, s[0:3], 0 offset:216
	buffer_load_dword v138, off, s[0:3], 0 offset:220
	ds_read_b128 v[123:126], v118 offset:864
	s_waitcnt vmcnt(18) lgkmcnt(1)
	v_fma_f64 v[119:120], v[147:148], v[119:120], v[133:134]
	s_waitcnt vmcnt(17)
	v_fma_f64 v[119:120], v[145:146], v[121:122], v[119:120]
	s_waitcnt vmcnt(16) lgkmcnt(0)
	v_fma_f64 v[119:120], v[141:142], v[123:124], v[119:120]
	s_waitcnt vmcnt(11)
	v_fma_f64 v[127:128], v[127:128], v[125:126], v[119:120]
	ds_read_b128 v[119:122], v118 offset:880
	ds_read_b128 v[123:126], v118 offset:896
	s_waitcnt vmcnt(10) lgkmcnt(1)
	v_fma_f64 v[119:120], v[151:152], v[119:120], v[127:128]
	s_waitcnt vmcnt(9)
	v_fma_f64 v[119:120], v[149:150], v[121:122], v[119:120]
	s_waitcnt vmcnt(8) lgkmcnt(0)
	v_fma_f64 v[119:120], v[143:144], v[123:124], v[119:120]
	s_waitcnt vmcnt(4)
	v_fma_f64 v[122:123], v[129:130], v[125:126], v[119:120]
	ds_read_b128 v[118:121], v118 offset:912
	s_waitcnt vmcnt(3) lgkmcnt(0)
	v_fma_f64 v[118:119], v[135:136], v[118:119], v[122:123]
	s_waitcnt vmcnt(2)
	v_fma_f64 v[118:119], v[131:132], v[120:121], v[118:119]
	s_waitcnt vmcnt(0)
	v_add_f64 v[118:119], v[137:138], -v[118:119]
	buffer_store_dword v119, off, s[0:3], 0 offset:220
	buffer_store_dword v118, off, s[0:3], 0 offset:216
	s_and_saveexec_b64 s[4:5], vcc
	s_cbranch_execz .LBB121_303
; %bb.302:
	buffer_load_dword v118, off, s[0:3], 0 offset:208
	buffer_load_dword v119, off, s[0:3], 0 offset:212
	v_mov_b32_e32 v120, 0
	buffer_store_dword v120, off, s[0:3], 0 offset:208
	buffer_store_dword v120, off, s[0:3], 0 offset:212
	s_waitcnt vmcnt(2)
	ds_write_b64 v117, v[118:119]
.LBB121_303:
	s_or_b64 exec, exec, s[4:5]
	s_waitcnt lgkmcnt(0)
	; wave barrier
	buffer_load_dword v127, off, s[0:3], 0 offset:216
	buffer_load_dword v128, off, s[0:3], 0 offset:220
	;; [unrolled: 1-line block ×22, first 2 shown]
	v_mov_b32_e32 v118, 0
	ds_read2_b64 v[119:122], v118 offset0:85 offset1:86
	ds_read2_b64 v[123:126], v118 offset0:87 offset1:88
	v_cmp_lt_u32_e32 vcc, 25, v0
	s_waitcnt vmcnt(20) lgkmcnt(1)
	v_fma_f64 v[119:120], v[127:128], v[119:120], 0
	s_waitcnt vmcnt(18)
	v_fma_f64 v[119:120], v[129:130], v[121:122], v[119:120]
	buffer_load_dword v128, off, s[0:3], 0 offset:308
	buffer_load_dword v129, off, s[0:3], 0 offset:328
	;; [unrolled: 1-line block ×7, first 2 shown]
	s_waitcnt vmcnt(23) lgkmcnt(0)
	v_fma_f64 v[119:120], v[131:132], v[123:124], v[119:120]
	s_waitcnt vmcnt(21)
	v_fma_f64 v[130:131], v[133:134], v[125:126], v[119:120]
	ds_read2_b64 v[119:122], v118 offset0:89 offset1:90
	ds_read2_b64 v[123:126], v118 offset0:91 offset1:92
	s_waitcnt vmcnt(19) lgkmcnt(1)
	v_fma_f64 v[119:120], v[135:136], v[119:120], v[130:131]
	buffer_load_dword v130, off, s[0:3], 0 offset:332
	s_waitcnt vmcnt(18)
	v_fma_f64 v[119:120], v[137:138], v[121:122], v[119:120]
	buffer_load_dword v132, off, s[0:3], 0 offset:340
	buffer_load_dword v133, off, s[0:3], 0 offset:360
	buffer_load_dword v135, off, s[0:3], 0 offset:352
	buffer_load_dword v137, off, s[0:3], 0 offset:344
	buffer_load_dword v131, off, s[0:3], 0 offset:336
	buffer_load_dword v138, off, s[0:3], 0 offset:348
	buffer_load_dword v136, off, s[0:3], 0 offset:356
	s_waitcnt vmcnt(23) lgkmcnt(0)
	v_fma_f64 v[119:120], v[139:140], v[123:124], v[119:120]
	s_waitcnt vmcnt(18)
	v_fma_f64 v[139:140], v[141:142], v[125:126], v[119:120]
	ds_read2_b64 v[119:122], v118 offset0:93 offset1:94
	ds_read2_b64 v[123:126], v118 offset0:95 offset1:96
	buffer_load_dword v134, off, s[0:3], 0 offset:364
	s_waitcnt vmcnt(18) lgkmcnt(1)
	v_fma_f64 v[119:120], v[147:148], v[119:120], v[139:140]
	s_waitcnt vmcnt(17)
	v_fma_f64 v[119:120], v[145:146], v[121:122], v[119:120]
	buffer_load_dword v140, off, s[0:3], 0 offset:372
	buffer_load_dword v141, off, s[0:3], 0 offset:392
	buffer_load_dword v145, off, s[0:3], 0 offset:384
	buffer_load_dword v147, off, s[0:3], 0 offset:376
	buffer_load_dword v139, off, s[0:3], 0 offset:368
	buffer_load_dword v148, off, s[0:3], 0 offset:380
	buffer_load_dword v146, off, s[0:3], 0 offset:388
	buffer_load_dword v142, off, s[0:3], 0 offset:396
	s_waitcnt vmcnt(24) lgkmcnt(0)
	v_fma_f64 v[119:120], v[143:144], v[123:124], v[119:120]
	s_waitcnt vmcnt(19)
	v_fma_f64 v[127:128], v[127:128], v[125:126], v[119:120]
	ds_read2_b64 v[119:122], v118 offset0:97 offset1:98
	ds_read2_b64 v[123:126], v118 offset0:99 offset1:100
	s_waitcnt vmcnt(18) lgkmcnt(1)
	v_fma_f64 v[119:120], v[151:152], v[119:120], v[127:128]
	s_waitcnt vmcnt(17)
	v_fma_f64 v[119:120], v[149:150], v[121:122], v[119:120]
	buffer_load_dword v128, off, s[0:3], 0 offset:404
	buffer_load_dword v143, off, s[0:3], 0 offset:424
	buffer_load_dword v149, off, s[0:3], 0 offset:416
	buffer_load_dword v151, off, s[0:3], 0 offset:408
	buffer_load_dword v127, off, s[0:3], 0 offset:400
	buffer_load_dword v152, off, s[0:3], 0 offset:412
	buffer_load_dword v150, off, s[0:3], 0 offset:420
	buffer_load_dword v144, off, s[0:3], 0 offset:428
	s_waitcnt vmcnt(24) lgkmcnt(0)
	v_fma_f64 v[119:120], v[129:130], v[123:124], v[119:120]
	s_waitcnt vmcnt(19)
	v_fma_f64 v[129:130], v[131:132], v[125:126], v[119:120]
	ds_read2_b64 v[119:122], v118 offset0:101 offset1:102
	ds_read2_b64 v[123:126], v118 offset0:103 offset1:104
	;; [unrolled: 18-line block ×3, first 2 shown]
	s_waitcnt vmcnt(18) lgkmcnt(1)
	v_fma_f64 v[119:120], v[147:148], v[119:120], v[133:134]
	buffer_load_dword v133, off, s[0:3], 0 offset:208
	buffer_load_dword v134, off, s[0:3], 0 offset:212
	s_waitcnt vmcnt(19)
	v_fma_f64 v[119:120], v[145:146], v[121:122], v[119:120]
	s_waitcnt vmcnt(18) lgkmcnt(0)
	v_fma_f64 v[119:120], v[141:142], v[123:124], v[119:120]
	s_waitcnt vmcnt(13)
	v_fma_f64 v[127:128], v[127:128], v[125:126], v[119:120]
	ds_read2_b64 v[119:122], v118 offset0:109 offset1:110
	ds_read2_b64 v[123:126], v118 offset0:111 offset1:112
	s_waitcnt vmcnt(12) lgkmcnt(1)
	v_fma_f64 v[119:120], v[151:152], v[119:120], v[127:128]
	s_waitcnt vmcnt(11)
	v_fma_f64 v[119:120], v[149:150], v[121:122], v[119:120]
	s_waitcnt vmcnt(10) lgkmcnt(0)
	v_fma_f64 v[119:120], v[143:144], v[123:124], v[119:120]
	s_waitcnt vmcnt(5)
	v_fma_f64 v[123:124], v[129:130], v[125:126], v[119:120]
	ds_read2_b64 v[119:122], v118 offset0:113 offset1:114
	ds_read_b64 v[125:126], v118 offset:920
	s_waitcnt vmcnt(4) lgkmcnt(1)
	v_fma_f64 v[119:120], v[137:138], v[119:120], v[123:124]
	s_waitcnt vmcnt(3)
	v_fma_f64 v[119:120], v[135:136], v[121:122], v[119:120]
	s_waitcnt vmcnt(2) lgkmcnt(0)
	v_fma_f64 v[119:120], v[131:132], v[125:126], v[119:120]
	s_waitcnt vmcnt(0)
	v_add_f64 v[119:120], v[133:134], -v[119:120]
	buffer_store_dword v120, off, s[0:3], 0 offset:212
	buffer_store_dword v119, off, s[0:3], 0 offset:208
	s_and_saveexec_b64 s[4:5], vcc
	s_cbranch_execz .LBB121_305
; %bb.304:
	buffer_load_dword v119, off, s[0:3], 0 offset:200
	buffer_load_dword v120, off, s[0:3], 0 offset:204
	s_waitcnt vmcnt(0)
	ds_write_b64 v117, v[119:120]
	buffer_store_dword v118, off, s[0:3], 0 offset:200
	buffer_store_dword v118, off, s[0:3], 0 offset:204
.LBB121_305:
	s_or_b64 exec, exec, s[4:5]
	s_waitcnt lgkmcnt(0)
	; wave barrier
	buffer_load_dword v127, off, s[0:3], 0 offset:208
	buffer_load_dword v128, off, s[0:3], 0 offset:212
	buffer_load_dword v129, off, s[0:3], 0 offset:216
	buffer_load_dword v130, off, s[0:3], 0 offset:220
	buffer_load_dword v131, off, s[0:3], 0 offset:224
	buffer_load_dword v132, off, s[0:3], 0 offset:228
	buffer_load_dword v133, off, s[0:3], 0 offset:232
	buffer_load_dword v134, off, s[0:3], 0 offset:236
	buffer_load_dword v135, off, s[0:3], 0 offset:240
	buffer_load_dword v136, off, s[0:3], 0 offset:244
	buffer_load_dword v137, off, s[0:3], 0 offset:248
	buffer_load_dword v138, off, s[0:3], 0 offset:252
	buffer_load_dword v139, off, s[0:3], 0 offset:256
	buffer_load_dword v140, off, s[0:3], 0 offset:260
	buffer_load_dword v142, off, s[0:3], 0 offset:268
	buffer_load_dword v143, off, s[0:3], 0 offset:288
	buffer_load_dword v145, off, s[0:3], 0 offset:280
	buffer_load_dword v147, off, s[0:3], 0 offset:272
	buffer_load_dword v141, off, s[0:3], 0 offset:264
	buffer_load_dword v148, off, s[0:3], 0 offset:276
	buffer_load_dword v146, off, s[0:3], 0 offset:284
	buffer_load_dword v144, off, s[0:3], 0 offset:292
	ds_read_b128 v[119:122], v118 offset:672
	ds_read_b128 v[123:126], v118 offset:688
	v_cmp_lt_u32_e32 vcc, 24, v0
	s_waitcnt vmcnt(20) lgkmcnt(1)
	v_fma_f64 v[119:120], v[127:128], v[119:120], 0
	s_waitcnt vmcnt(18)
	v_fma_f64 v[119:120], v[129:130], v[121:122], v[119:120]
	buffer_load_dword v128, off, s[0:3], 0 offset:300
	buffer_load_dword v129, off, s[0:3], 0 offset:320
	;; [unrolled: 1-line block ×7, first 2 shown]
	s_waitcnt vmcnt(23) lgkmcnt(0)
	v_fma_f64 v[119:120], v[131:132], v[123:124], v[119:120]
	s_waitcnt vmcnt(21)
	v_fma_f64 v[130:131], v[133:134], v[125:126], v[119:120]
	ds_read_b128 v[119:122], v118 offset:704
	ds_read_b128 v[123:126], v118 offset:720
	s_waitcnt vmcnt(19) lgkmcnt(1)
	v_fma_f64 v[119:120], v[135:136], v[119:120], v[130:131]
	buffer_load_dword v130, off, s[0:3], 0 offset:324
	s_waitcnt vmcnt(18)
	v_fma_f64 v[119:120], v[137:138], v[121:122], v[119:120]
	buffer_load_dword v132, off, s[0:3], 0 offset:332
	buffer_load_dword v133, off, s[0:3], 0 offset:352
	;; [unrolled: 1-line block ×7, first 2 shown]
	s_waitcnt vmcnt(23) lgkmcnt(0)
	v_fma_f64 v[119:120], v[139:140], v[123:124], v[119:120]
	s_waitcnt vmcnt(18)
	v_fma_f64 v[139:140], v[141:142], v[125:126], v[119:120]
	ds_read_b128 v[119:122], v118 offset:736
	ds_read_b128 v[123:126], v118 offset:752
	buffer_load_dword v134, off, s[0:3], 0 offset:356
	s_waitcnt vmcnt(18) lgkmcnt(1)
	v_fma_f64 v[119:120], v[147:148], v[119:120], v[139:140]
	s_waitcnt vmcnt(17)
	v_fma_f64 v[119:120], v[145:146], v[121:122], v[119:120]
	buffer_load_dword v140, off, s[0:3], 0 offset:364
	buffer_load_dword v141, off, s[0:3], 0 offset:384
	buffer_load_dword v145, off, s[0:3], 0 offset:376
	buffer_load_dword v147, off, s[0:3], 0 offset:368
	buffer_load_dword v139, off, s[0:3], 0 offset:360
	buffer_load_dword v148, off, s[0:3], 0 offset:372
	buffer_load_dword v146, off, s[0:3], 0 offset:380
	buffer_load_dword v142, off, s[0:3], 0 offset:388
	s_waitcnt vmcnt(24) lgkmcnt(0)
	v_fma_f64 v[119:120], v[143:144], v[123:124], v[119:120]
	s_waitcnt vmcnt(19)
	v_fma_f64 v[127:128], v[127:128], v[125:126], v[119:120]
	ds_read_b128 v[119:122], v118 offset:768
	ds_read_b128 v[123:126], v118 offset:784
	s_waitcnt vmcnt(18) lgkmcnt(1)
	v_fma_f64 v[119:120], v[151:152], v[119:120], v[127:128]
	s_waitcnt vmcnt(17)
	v_fma_f64 v[119:120], v[149:150], v[121:122], v[119:120]
	buffer_load_dword v128, off, s[0:3], 0 offset:396
	buffer_load_dword v143, off, s[0:3], 0 offset:416
	buffer_load_dword v149, off, s[0:3], 0 offset:408
	buffer_load_dword v151, off, s[0:3], 0 offset:400
	buffer_load_dword v127, off, s[0:3], 0 offset:392
	buffer_load_dword v152, off, s[0:3], 0 offset:404
	buffer_load_dword v150, off, s[0:3], 0 offset:412
	buffer_load_dword v144, off, s[0:3], 0 offset:420
	s_waitcnt vmcnt(24) lgkmcnt(0)
	v_fma_f64 v[119:120], v[129:130], v[123:124], v[119:120]
	s_waitcnt vmcnt(19)
	v_fma_f64 v[129:130], v[131:132], v[125:126], v[119:120]
	ds_read_b128 v[119:122], v118 offset:800
	ds_read_b128 v[123:126], v118 offset:816
	;; [unrolled: 18-line block ×3, first 2 shown]
	s_waitcnt vmcnt(18) lgkmcnt(1)
	v_fma_f64 v[119:120], v[147:148], v[119:120], v[133:134]
	buffer_load_dword v134, off, s[0:3], 0 offset:460
	buffer_load_dword v133, off, s[0:3], 0 offset:456
	;; [unrolled: 1-line block ×4, first 2 shown]
	s_waitcnt vmcnt(21)
	v_fma_f64 v[119:120], v[145:146], v[121:122], v[119:120]
	s_waitcnt vmcnt(20) lgkmcnt(0)
	v_fma_f64 v[119:120], v[141:142], v[123:124], v[119:120]
	s_waitcnt vmcnt(15)
	v_fma_f64 v[127:128], v[127:128], v[125:126], v[119:120]
	ds_read_b128 v[119:122], v118 offset:864
	ds_read_b128 v[123:126], v118 offset:880
	s_waitcnt vmcnt(14) lgkmcnt(1)
	v_fma_f64 v[119:120], v[151:152], v[119:120], v[127:128]
	s_waitcnt vmcnt(13)
	v_fma_f64 v[119:120], v[149:150], v[121:122], v[119:120]
	s_waitcnt vmcnt(12) lgkmcnt(0)
	v_fma_f64 v[119:120], v[143:144], v[123:124], v[119:120]
	s_waitcnt vmcnt(7)
	v_fma_f64 v[127:128], v[129:130], v[125:126], v[119:120]
	ds_read_b128 v[119:122], v118 offset:896
	ds_read_b128 v[123:126], v118 offset:912
	s_waitcnt vmcnt(6) lgkmcnt(1)
	v_fma_f64 v[118:119], v[137:138], v[119:120], v[127:128]
	s_waitcnt vmcnt(5)
	v_fma_f64 v[118:119], v[135:136], v[121:122], v[118:119]
	s_waitcnt vmcnt(4) lgkmcnt(0)
	v_fma_f64 v[118:119], v[131:132], v[123:124], v[118:119]
	s_waitcnt vmcnt(2)
	v_fma_f64 v[118:119], v[133:134], v[125:126], v[118:119]
	s_waitcnt vmcnt(0)
	v_add_f64 v[118:119], v[139:140], -v[118:119]
	buffer_store_dword v119, off, s[0:3], 0 offset:204
	buffer_store_dword v118, off, s[0:3], 0 offset:200
	s_and_saveexec_b64 s[4:5], vcc
	s_cbranch_execz .LBB121_307
; %bb.306:
	buffer_load_dword v118, off, s[0:3], 0 offset:192
	buffer_load_dword v119, off, s[0:3], 0 offset:196
	v_mov_b32_e32 v120, 0
	buffer_store_dword v120, off, s[0:3], 0 offset:192
	buffer_store_dword v120, off, s[0:3], 0 offset:196
	s_waitcnt vmcnt(2)
	ds_write_b64 v117, v[118:119]
.LBB121_307:
	s_or_b64 exec, exec, s[4:5]
	s_waitcnt lgkmcnt(0)
	; wave barrier
	buffer_load_dword v127, off, s[0:3], 0 offset:200
	buffer_load_dword v128, off, s[0:3], 0 offset:204
	;; [unrolled: 1-line block ×21, first 2 shown]
	v_mov_b32_e32 v118, 0
	ds_read2_b64 v[119:122], v118 offset0:83 offset1:84
	ds_read2_b64 v[123:126], v118 offset0:85 offset1:86
	buffer_load_dword v144, off, s[0:3], 0 offset:284
	v_cmp_lt_u32_e32 vcc, 23, v0
	s_waitcnt vmcnt(20) lgkmcnt(1)
	v_fma_f64 v[119:120], v[127:128], v[119:120], 0
	s_waitcnt vmcnt(18)
	v_fma_f64 v[119:120], v[129:130], v[121:122], v[119:120]
	buffer_load_dword v128, off, s[0:3], 0 offset:292
	buffer_load_dword v129, off, s[0:3], 0 offset:312
	;; [unrolled: 1-line block ×7, first 2 shown]
	s_waitcnt vmcnt(23) lgkmcnt(0)
	v_fma_f64 v[119:120], v[131:132], v[123:124], v[119:120]
	s_waitcnt vmcnt(21)
	v_fma_f64 v[130:131], v[133:134], v[125:126], v[119:120]
	ds_read2_b64 v[119:122], v118 offset0:87 offset1:88
	ds_read2_b64 v[123:126], v118 offset0:89 offset1:90
	s_waitcnt vmcnt(19) lgkmcnt(1)
	v_fma_f64 v[119:120], v[135:136], v[119:120], v[130:131]
	buffer_load_dword v130, off, s[0:3], 0 offset:316
	s_waitcnt vmcnt(18)
	v_fma_f64 v[119:120], v[137:138], v[121:122], v[119:120]
	buffer_load_dword v132, off, s[0:3], 0 offset:324
	buffer_load_dword v133, off, s[0:3], 0 offset:344
	;; [unrolled: 1-line block ×7, first 2 shown]
	s_waitcnt vmcnt(23) lgkmcnt(0)
	v_fma_f64 v[119:120], v[139:140], v[123:124], v[119:120]
	s_waitcnt vmcnt(18)
	v_fma_f64 v[139:140], v[141:142], v[125:126], v[119:120]
	ds_read2_b64 v[119:122], v118 offset0:91 offset1:92
	ds_read2_b64 v[123:126], v118 offset0:93 offset1:94
	buffer_load_dword v134, off, s[0:3], 0 offset:348
	s_waitcnt vmcnt(18) lgkmcnt(1)
	v_fma_f64 v[119:120], v[147:148], v[119:120], v[139:140]
	s_waitcnt vmcnt(17)
	v_fma_f64 v[119:120], v[145:146], v[121:122], v[119:120]
	buffer_load_dword v140, off, s[0:3], 0 offset:356
	buffer_load_dword v141, off, s[0:3], 0 offset:376
	;; [unrolled: 1-line block ×7, first 2 shown]
	s_waitcnt vmcnt(23) lgkmcnt(0)
	v_fma_f64 v[119:120], v[143:144], v[123:124], v[119:120]
	s_waitcnt vmcnt(18)
	v_fma_f64 v[127:128], v[127:128], v[125:126], v[119:120]
	ds_read2_b64 v[119:122], v118 offset0:95 offset1:96
	ds_read2_b64 v[123:126], v118 offset0:97 offset1:98
	buffer_load_dword v142, off, s[0:3], 0 offset:380
	s_waitcnt vmcnt(18) lgkmcnt(1)
	v_fma_f64 v[119:120], v[151:152], v[119:120], v[127:128]
	s_waitcnt vmcnt(17)
	v_fma_f64 v[119:120], v[149:150], v[121:122], v[119:120]
	buffer_load_dword v128, off, s[0:3], 0 offset:388
	buffer_load_dword v143, off, s[0:3], 0 offset:408
	;; [unrolled: 1-line block ×8, first 2 shown]
	s_waitcnt vmcnt(24) lgkmcnt(0)
	v_fma_f64 v[119:120], v[129:130], v[123:124], v[119:120]
	s_waitcnt vmcnt(19)
	v_fma_f64 v[129:130], v[131:132], v[125:126], v[119:120]
	ds_read2_b64 v[119:122], v118 offset0:99 offset1:100
	ds_read2_b64 v[123:126], v118 offset0:101 offset1:102
	s_waitcnt vmcnt(18) lgkmcnt(1)
	v_fma_f64 v[119:120], v[137:138], v[119:120], v[129:130]
	s_waitcnt vmcnt(17)
	v_fma_f64 v[119:120], v[135:136], v[121:122], v[119:120]
	buffer_load_dword v130, off, s[0:3], 0 offset:420
	buffer_load_dword v131, off, s[0:3], 0 offset:440
	;; [unrolled: 1-line block ×7, first 2 shown]
	s_waitcnt vmcnt(23) lgkmcnt(0)
	v_fma_f64 v[119:120], v[133:134], v[123:124], v[119:120]
	s_waitcnt vmcnt(18)
	v_fma_f64 v[132:133], v[139:140], v[125:126], v[119:120]
	ds_read2_b64 v[119:122], v118 offset0:103 offset1:104
	ds_read2_b64 v[123:126], v118 offset0:105 offset1:106
	s_waitcnt vmcnt(17) lgkmcnt(1)
	v_fma_f64 v[119:120], v[147:148], v[119:120], v[132:133]
	buffer_load_dword v132, off, s[0:3], 0 offset:444
	buffer_load_dword v134, off, s[0:3], 0 offset:452
	;; [unrolled: 1-line block ×5, first 2 shown]
	s_waitcnt vmcnt(21)
	v_fma_f64 v[119:120], v[145:146], v[121:122], v[119:120]
	s_waitcnt vmcnt(20) lgkmcnt(0)
	v_fma_f64 v[119:120], v[141:142], v[123:124], v[119:120]
	buffer_load_dword v141, off, s[0:3], 0 offset:192
	buffer_load_dword v142, off, s[0:3], 0 offset:196
	s_waitcnt vmcnt(17)
	v_fma_f64 v[127:128], v[127:128], v[125:126], v[119:120]
	ds_read2_b64 v[119:122], v118 offset0:107 offset1:108
	ds_read2_b64 v[123:126], v118 offset0:109 offset1:110
	s_waitcnt vmcnt(16) lgkmcnt(1)
	v_fma_f64 v[119:120], v[151:152], v[119:120], v[127:128]
	s_waitcnt vmcnt(15)
	v_fma_f64 v[119:120], v[149:150], v[121:122], v[119:120]
	s_waitcnt vmcnt(14) lgkmcnt(0)
	v_fma_f64 v[119:120], v[143:144], v[123:124], v[119:120]
	s_waitcnt vmcnt(9)
	v_fma_f64 v[127:128], v[129:130], v[125:126], v[119:120]
	ds_read2_b64 v[119:122], v118 offset0:111 offset1:112
	ds_read2_b64 v[123:126], v118 offset0:113 offset1:114
	s_waitcnt vmcnt(8) lgkmcnt(1)
	v_fma_f64 v[119:120], v[137:138], v[119:120], v[127:128]
	s_waitcnt vmcnt(7)
	v_fma_f64 v[119:120], v[135:136], v[121:122], v[119:120]
	ds_read_b64 v[121:122], v118 offset:920
	s_waitcnt vmcnt(6) lgkmcnt(1)
	v_fma_f64 v[119:120], v[131:132], v[123:124], v[119:120]
	s_waitcnt vmcnt(3)
	v_fma_f64 v[119:120], v[133:134], v[125:126], v[119:120]
	s_waitcnt vmcnt(2) lgkmcnt(0)
	v_fma_f64 v[119:120], v[139:140], v[121:122], v[119:120]
	s_waitcnt vmcnt(0)
	v_add_f64 v[119:120], v[141:142], -v[119:120]
	buffer_store_dword v120, off, s[0:3], 0 offset:196
	buffer_store_dword v119, off, s[0:3], 0 offset:192
	s_and_saveexec_b64 s[4:5], vcc
	s_cbranch_execz .LBB121_309
; %bb.308:
	buffer_load_dword v119, off, s[0:3], 0 offset:184
	buffer_load_dword v120, off, s[0:3], 0 offset:188
	s_waitcnt vmcnt(0)
	ds_write_b64 v117, v[119:120]
	buffer_store_dword v118, off, s[0:3], 0 offset:184
	buffer_store_dword v118, off, s[0:3], 0 offset:188
.LBB121_309:
	s_or_b64 exec, exec, s[4:5]
	s_waitcnt lgkmcnt(0)
	; wave barrier
	buffer_load_dword v127, off, s[0:3], 0 offset:192
	buffer_load_dword v128, off, s[0:3], 0 offset:196
	;; [unrolled: 1-line block ×21, first 2 shown]
	ds_read_b128 v[119:122], v118 offset:656
	ds_read_b128 v[123:126], v118 offset:672
	buffer_load_dword v144, off, s[0:3], 0 offset:276
	v_cmp_lt_u32_e32 vcc, 22, v0
	s_waitcnt vmcnt(20) lgkmcnt(1)
	v_fma_f64 v[119:120], v[127:128], v[119:120], 0
	s_waitcnt vmcnt(18)
	v_fma_f64 v[119:120], v[129:130], v[121:122], v[119:120]
	buffer_load_dword v128, off, s[0:3], 0 offset:284
	buffer_load_dword v129, off, s[0:3], 0 offset:304
	;; [unrolled: 1-line block ×7, first 2 shown]
	s_waitcnt vmcnt(23) lgkmcnt(0)
	v_fma_f64 v[119:120], v[131:132], v[123:124], v[119:120]
	s_waitcnt vmcnt(21)
	v_fma_f64 v[130:131], v[133:134], v[125:126], v[119:120]
	ds_read_b128 v[119:122], v118 offset:688
	ds_read_b128 v[123:126], v118 offset:704
	s_waitcnt vmcnt(19) lgkmcnt(1)
	v_fma_f64 v[119:120], v[135:136], v[119:120], v[130:131]
	buffer_load_dword v130, off, s[0:3], 0 offset:308
	s_waitcnt vmcnt(18)
	v_fma_f64 v[119:120], v[137:138], v[121:122], v[119:120]
	buffer_load_dword v132, off, s[0:3], 0 offset:316
	buffer_load_dword v133, off, s[0:3], 0 offset:336
	;; [unrolled: 1-line block ×8, first 2 shown]
	s_waitcnt vmcnt(24) lgkmcnt(0)
	v_fma_f64 v[119:120], v[139:140], v[123:124], v[119:120]
	s_waitcnt vmcnt(19)
	v_fma_f64 v[139:140], v[141:142], v[125:126], v[119:120]
	ds_read_b128 v[119:122], v118 offset:720
	ds_read_b128 v[123:126], v118 offset:736
	s_waitcnt vmcnt(18) lgkmcnt(1)
	v_fma_f64 v[119:120], v[147:148], v[119:120], v[139:140]
	s_waitcnt vmcnt(17)
	v_fma_f64 v[119:120], v[145:146], v[121:122], v[119:120]
	buffer_load_dword v140, off, s[0:3], 0 offset:348
	buffer_load_dword v141, off, s[0:3], 0 offset:368
	;; [unrolled: 1-line block ×7, first 2 shown]
	s_waitcnt vmcnt(23) lgkmcnt(0)
	v_fma_f64 v[119:120], v[143:144], v[123:124], v[119:120]
	s_waitcnt vmcnt(18)
	v_fma_f64 v[127:128], v[127:128], v[125:126], v[119:120]
	ds_read_b128 v[119:122], v118 offset:752
	ds_read_b128 v[123:126], v118 offset:768
	buffer_load_dword v142, off, s[0:3], 0 offset:372
	s_waitcnt vmcnt(18) lgkmcnt(1)
	v_fma_f64 v[119:120], v[151:152], v[119:120], v[127:128]
	s_waitcnt vmcnt(17)
	v_fma_f64 v[119:120], v[149:150], v[121:122], v[119:120]
	buffer_load_dword v128, off, s[0:3], 0 offset:380
	buffer_load_dword v143, off, s[0:3], 0 offset:400
	;; [unrolled: 1-line block ×8, first 2 shown]
	s_waitcnt vmcnt(24) lgkmcnt(0)
	v_fma_f64 v[119:120], v[129:130], v[123:124], v[119:120]
	s_waitcnt vmcnt(19)
	v_fma_f64 v[129:130], v[131:132], v[125:126], v[119:120]
	ds_read_b128 v[119:122], v118 offset:784
	ds_read_b128 v[123:126], v118 offset:800
	s_waitcnt vmcnt(18) lgkmcnt(1)
	v_fma_f64 v[119:120], v[137:138], v[119:120], v[129:130]
	s_waitcnt vmcnt(17)
	v_fma_f64 v[119:120], v[135:136], v[121:122], v[119:120]
	buffer_load_dword v130, off, s[0:3], 0 offset:412
	buffer_load_dword v131, off, s[0:3], 0 offset:432
	;; [unrolled: 1-line block ×7, first 2 shown]
	s_waitcnt vmcnt(23) lgkmcnt(0)
	v_fma_f64 v[119:120], v[133:134], v[123:124], v[119:120]
	s_waitcnt vmcnt(18)
	v_fma_f64 v[132:133], v[139:140], v[125:126], v[119:120]
	ds_read_b128 v[119:122], v118 offset:816
	ds_read_b128 v[123:126], v118 offset:832
	s_waitcnt vmcnt(17) lgkmcnt(1)
	v_fma_f64 v[119:120], v[147:148], v[119:120], v[132:133]
	buffer_load_dword v132, off, s[0:3], 0 offset:436
	s_waitcnt vmcnt(17)
	v_fma_f64 v[119:120], v[145:146], v[121:122], v[119:120]
	buffer_load_dword v134, off, s[0:3], 0 offset:444
	buffer_load_dword v139, off, s[0:3], 0 offset:456
	;; [unrolled: 1-line block ×6, first 2 shown]
	s_waitcnt vmcnt(22) lgkmcnt(0)
	v_fma_f64 v[119:120], v[141:142], v[123:124], v[119:120]
	s_waitcnt vmcnt(17)
	v_fma_f64 v[127:128], v[127:128], v[125:126], v[119:120]
	ds_read_b128 v[119:122], v118 offset:848
	buffer_load_dword v141, off, s[0:3], 0 offset:184
	buffer_load_dword v142, off, s[0:3], 0 offset:188
	ds_read_b128 v[123:126], v118 offset:864
	s_waitcnt vmcnt(18) lgkmcnt(1)
	v_fma_f64 v[119:120], v[151:152], v[119:120], v[127:128]
	s_waitcnt vmcnt(17)
	v_fma_f64 v[119:120], v[149:150], v[121:122], v[119:120]
	s_waitcnt vmcnt(16) lgkmcnt(0)
	v_fma_f64 v[119:120], v[143:144], v[123:124], v[119:120]
	s_waitcnt vmcnt(11)
	v_fma_f64 v[127:128], v[129:130], v[125:126], v[119:120]
	ds_read_b128 v[119:122], v118 offset:880
	ds_read_b128 v[123:126], v118 offset:896
	s_waitcnt vmcnt(10) lgkmcnt(1)
	v_fma_f64 v[119:120], v[137:138], v[119:120], v[127:128]
	s_waitcnt vmcnt(9)
	v_fma_f64 v[119:120], v[135:136], v[121:122], v[119:120]
	s_waitcnt vmcnt(8) lgkmcnt(0)
	v_fma_f64 v[119:120], v[131:132], v[123:124], v[119:120]
	s_waitcnt vmcnt(4)
	v_fma_f64 v[122:123], v[133:134], v[125:126], v[119:120]
	ds_read_b128 v[118:121], v118 offset:912
	s_waitcnt vmcnt(3) lgkmcnt(0)
	v_fma_f64 v[118:119], v[145:146], v[118:119], v[122:123]
	s_waitcnt vmcnt(2)
	v_fma_f64 v[118:119], v[139:140], v[120:121], v[118:119]
	s_waitcnt vmcnt(0)
	v_add_f64 v[118:119], v[141:142], -v[118:119]
	buffer_store_dword v119, off, s[0:3], 0 offset:188
	buffer_store_dword v118, off, s[0:3], 0 offset:184
	s_and_saveexec_b64 s[4:5], vcc
	s_cbranch_execz .LBB121_311
; %bb.310:
	buffer_load_dword v118, off, s[0:3], 0 offset:176
	buffer_load_dword v119, off, s[0:3], 0 offset:180
	v_mov_b32_e32 v120, 0
	buffer_store_dword v120, off, s[0:3], 0 offset:176
	buffer_store_dword v120, off, s[0:3], 0 offset:180
	s_waitcnt vmcnt(2)
	ds_write_b64 v117, v[118:119]
.LBB121_311:
	s_or_b64 exec, exec, s[4:5]
	s_waitcnt lgkmcnt(0)
	; wave barrier
	buffer_load_dword v127, off, s[0:3], 0 offset:184
	buffer_load_dword v128, off, s[0:3], 0 offset:188
	;; [unrolled: 1-line block ×21, first 2 shown]
	v_mov_b32_e32 v118, 0
	ds_read2_b64 v[119:122], v118 offset0:81 offset1:82
	ds_read2_b64 v[123:126], v118 offset0:83 offset1:84
	buffer_load_dword v144, off, s[0:3], 0 offset:268
	v_cmp_lt_u32_e32 vcc, 21, v0
	s_waitcnt vmcnt(20) lgkmcnt(1)
	v_fma_f64 v[119:120], v[127:128], v[119:120], 0
	s_waitcnt vmcnt(18)
	v_fma_f64 v[119:120], v[129:130], v[121:122], v[119:120]
	buffer_load_dword v128, off, s[0:3], 0 offset:276
	buffer_load_dword v129, off, s[0:3], 0 offset:296
	;; [unrolled: 1-line block ×7, first 2 shown]
	s_waitcnt vmcnt(23) lgkmcnt(0)
	v_fma_f64 v[119:120], v[131:132], v[123:124], v[119:120]
	s_waitcnt vmcnt(21)
	v_fma_f64 v[130:131], v[133:134], v[125:126], v[119:120]
	ds_read2_b64 v[119:122], v118 offset0:85 offset1:86
	ds_read2_b64 v[123:126], v118 offset0:87 offset1:88
	s_waitcnt vmcnt(19) lgkmcnt(1)
	v_fma_f64 v[119:120], v[135:136], v[119:120], v[130:131]
	buffer_load_dword v130, off, s[0:3], 0 offset:300
	s_waitcnt vmcnt(18)
	v_fma_f64 v[119:120], v[137:138], v[121:122], v[119:120]
	buffer_load_dword v132, off, s[0:3], 0 offset:308
	buffer_load_dword v133, off, s[0:3], 0 offset:328
	;; [unrolled: 1-line block ×8, first 2 shown]
	s_waitcnt vmcnt(24) lgkmcnt(0)
	v_fma_f64 v[119:120], v[139:140], v[123:124], v[119:120]
	s_waitcnt vmcnt(19)
	v_fma_f64 v[139:140], v[141:142], v[125:126], v[119:120]
	ds_read2_b64 v[119:122], v118 offset0:89 offset1:90
	ds_read2_b64 v[123:126], v118 offset0:91 offset1:92
	s_waitcnt vmcnt(18) lgkmcnt(1)
	v_fma_f64 v[119:120], v[147:148], v[119:120], v[139:140]
	s_waitcnt vmcnt(17)
	v_fma_f64 v[119:120], v[145:146], v[121:122], v[119:120]
	buffer_load_dword v140, off, s[0:3], 0 offset:340
	buffer_load_dword v141, off, s[0:3], 0 offset:360
	buffer_load_dword v145, off, s[0:3], 0 offset:352
	buffer_load_dword v147, off, s[0:3], 0 offset:344
	buffer_load_dword v139, off, s[0:3], 0 offset:336
	buffer_load_dword v148, off, s[0:3], 0 offset:348
	buffer_load_dword v146, off, s[0:3], 0 offset:356
	s_waitcnt vmcnt(23) lgkmcnt(0)
	v_fma_f64 v[119:120], v[143:144], v[123:124], v[119:120]
	s_waitcnt vmcnt(18)
	v_fma_f64 v[127:128], v[127:128], v[125:126], v[119:120]
	ds_read2_b64 v[119:122], v118 offset0:93 offset1:94
	ds_read2_b64 v[123:126], v118 offset0:95 offset1:96
	buffer_load_dword v142, off, s[0:3], 0 offset:364
	s_waitcnt vmcnt(18) lgkmcnt(1)
	v_fma_f64 v[119:120], v[151:152], v[119:120], v[127:128]
	s_waitcnt vmcnt(17)
	v_fma_f64 v[119:120], v[149:150], v[121:122], v[119:120]
	buffer_load_dword v128, off, s[0:3], 0 offset:372
	buffer_load_dword v143, off, s[0:3], 0 offset:392
	;; [unrolled: 1-line block ×8, first 2 shown]
	s_waitcnt vmcnt(24) lgkmcnt(0)
	v_fma_f64 v[119:120], v[129:130], v[123:124], v[119:120]
	s_waitcnt vmcnt(19)
	v_fma_f64 v[129:130], v[131:132], v[125:126], v[119:120]
	ds_read2_b64 v[119:122], v118 offset0:97 offset1:98
	ds_read2_b64 v[123:126], v118 offset0:99 offset1:100
	s_waitcnt vmcnt(18) lgkmcnt(1)
	v_fma_f64 v[119:120], v[137:138], v[119:120], v[129:130]
	s_waitcnt vmcnt(17)
	v_fma_f64 v[119:120], v[135:136], v[121:122], v[119:120]
	buffer_load_dword v130, off, s[0:3], 0 offset:404
	buffer_load_dword v131, off, s[0:3], 0 offset:424
	buffer_load_dword v135, off, s[0:3], 0 offset:416
	buffer_load_dword v137, off, s[0:3], 0 offset:408
	buffer_load_dword v129, off, s[0:3], 0 offset:400
	buffer_load_dword v138, off, s[0:3], 0 offset:412
	buffer_load_dword v136, off, s[0:3], 0 offset:420
	s_waitcnt vmcnt(23) lgkmcnt(0)
	v_fma_f64 v[119:120], v[133:134], v[123:124], v[119:120]
	s_waitcnt vmcnt(18)
	v_fma_f64 v[132:133], v[139:140], v[125:126], v[119:120]
	ds_read2_b64 v[119:122], v118 offset0:101 offset1:102
	ds_read2_b64 v[123:126], v118 offset0:103 offset1:104
	s_waitcnt vmcnt(17) lgkmcnt(1)
	v_fma_f64 v[119:120], v[147:148], v[119:120], v[132:133]
	buffer_load_dword v132, off, s[0:3], 0 offset:428
	s_waitcnt vmcnt(17)
	v_fma_f64 v[119:120], v[145:146], v[121:122], v[119:120]
	buffer_load_dword v134, off, s[0:3], 0 offset:436
	buffer_load_dword v139, off, s[0:3], 0 offset:456
	;; [unrolled: 1-line block ×8, first 2 shown]
	s_waitcnt vmcnt(24) lgkmcnt(0)
	v_fma_f64 v[119:120], v[141:142], v[123:124], v[119:120]
	s_waitcnt vmcnt(19)
	v_fma_f64 v[127:128], v[127:128], v[125:126], v[119:120]
	ds_read2_b64 v[119:122], v118 offset0:105 offset1:106
	ds_read2_b64 v[123:126], v118 offset0:107 offset1:108
	s_waitcnt vmcnt(18) lgkmcnt(1)
	v_fma_f64 v[119:120], v[151:152], v[119:120], v[127:128]
	buffer_load_dword v127, off, s[0:3], 0 offset:176
	buffer_load_dword v128, off, s[0:3], 0 offset:180
	s_waitcnt vmcnt(19)
	v_fma_f64 v[119:120], v[149:150], v[121:122], v[119:120]
	s_waitcnt vmcnt(18) lgkmcnt(0)
	v_fma_f64 v[119:120], v[143:144], v[123:124], v[119:120]
	s_waitcnt vmcnt(13)
	v_fma_f64 v[129:130], v[129:130], v[125:126], v[119:120]
	ds_read2_b64 v[119:122], v118 offset0:109 offset1:110
	ds_read2_b64 v[123:126], v118 offset0:111 offset1:112
	s_waitcnt vmcnt(12) lgkmcnt(1)
	v_fma_f64 v[119:120], v[137:138], v[119:120], v[129:130]
	s_waitcnt vmcnt(11)
	v_fma_f64 v[119:120], v[135:136], v[121:122], v[119:120]
	s_waitcnt vmcnt(10) lgkmcnt(0)
	v_fma_f64 v[119:120], v[131:132], v[123:124], v[119:120]
	s_waitcnt vmcnt(5)
	v_fma_f64 v[123:124], v[133:134], v[125:126], v[119:120]
	ds_read2_b64 v[119:122], v118 offset0:113 offset1:114
	ds_read_b64 v[125:126], v118 offset:920
	s_waitcnt vmcnt(4) lgkmcnt(1)
	v_fma_f64 v[119:120], v[147:148], v[119:120], v[123:124]
	s_waitcnt vmcnt(3)
	v_fma_f64 v[119:120], v[145:146], v[121:122], v[119:120]
	s_waitcnt vmcnt(2) lgkmcnt(0)
	v_fma_f64 v[119:120], v[139:140], v[125:126], v[119:120]
	s_waitcnt vmcnt(0)
	v_add_f64 v[119:120], v[127:128], -v[119:120]
	buffer_store_dword v120, off, s[0:3], 0 offset:180
	buffer_store_dword v119, off, s[0:3], 0 offset:176
	s_and_saveexec_b64 s[4:5], vcc
	s_cbranch_execz .LBB121_313
; %bb.312:
	buffer_load_dword v119, off, s[0:3], 0 offset:168
	buffer_load_dword v120, off, s[0:3], 0 offset:172
	s_waitcnt vmcnt(0)
	ds_write_b64 v117, v[119:120]
	buffer_store_dword v118, off, s[0:3], 0 offset:168
	buffer_store_dword v118, off, s[0:3], 0 offset:172
.LBB121_313:
	s_or_b64 exec, exec, s[4:5]
	s_waitcnt lgkmcnt(0)
	; wave barrier
	buffer_load_dword v127, off, s[0:3], 0 offset:176
	buffer_load_dword v128, off, s[0:3], 0 offset:180
	;; [unrolled: 1-line block ×21, first 2 shown]
	ds_read_b128 v[119:122], v118 offset:640
	ds_read_b128 v[123:126], v118 offset:656
	buffer_load_dword v144, off, s[0:3], 0 offset:260
	v_cmp_lt_u32_e32 vcc, 20, v0
	s_waitcnt vmcnt(20) lgkmcnt(1)
	v_fma_f64 v[119:120], v[127:128], v[119:120], 0
	s_waitcnt vmcnt(18)
	v_fma_f64 v[119:120], v[129:130], v[121:122], v[119:120]
	buffer_load_dword v128, off, s[0:3], 0 offset:268
	buffer_load_dword v129, off, s[0:3], 0 offset:288
	;; [unrolled: 1-line block ×7, first 2 shown]
	s_waitcnt vmcnt(23) lgkmcnt(0)
	v_fma_f64 v[119:120], v[131:132], v[123:124], v[119:120]
	s_waitcnt vmcnt(21)
	v_fma_f64 v[130:131], v[133:134], v[125:126], v[119:120]
	ds_read_b128 v[119:122], v118 offset:672
	ds_read_b128 v[123:126], v118 offset:688
	s_waitcnt vmcnt(19) lgkmcnt(1)
	v_fma_f64 v[119:120], v[135:136], v[119:120], v[130:131]
	buffer_load_dword v130, off, s[0:3], 0 offset:292
	s_waitcnt vmcnt(18)
	v_fma_f64 v[119:120], v[137:138], v[121:122], v[119:120]
	buffer_load_dword v132, off, s[0:3], 0 offset:300
	buffer_load_dword v133, off, s[0:3], 0 offset:320
	;; [unrolled: 1-line block ×8, first 2 shown]
	s_waitcnt vmcnt(24) lgkmcnt(0)
	v_fma_f64 v[119:120], v[139:140], v[123:124], v[119:120]
	s_waitcnt vmcnt(19)
	v_fma_f64 v[139:140], v[141:142], v[125:126], v[119:120]
	ds_read_b128 v[119:122], v118 offset:704
	ds_read_b128 v[123:126], v118 offset:720
	s_waitcnt vmcnt(18) lgkmcnt(1)
	v_fma_f64 v[119:120], v[147:148], v[119:120], v[139:140]
	s_waitcnt vmcnt(17)
	v_fma_f64 v[119:120], v[145:146], v[121:122], v[119:120]
	buffer_load_dword v140, off, s[0:3], 0 offset:332
	buffer_load_dword v141, off, s[0:3], 0 offset:352
	;; [unrolled: 1-line block ×7, first 2 shown]
	s_waitcnt vmcnt(23) lgkmcnt(0)
	v_fma_f64 v[119:120], v[143:144], v[123:124], v[119:120]
	s_waitcnt vmcnt(18)
	v_fma_f64 v[127:128], v[127:128], v[125:126], v[119:120]
	ds_read_b128 v[119:122], v118 offset:736
	ds_read_b128 v[123:126], v118 offset:752
	buffer_load_dword v142, off, s[0:3], 0 offset:356
	s_waitcnt vmcnt(18) lgkmcnt(1)
	v_fma_f64 v[119:120], v[151:152], v[119:120], v[127:128]
	s_waitcnt vmcnt(17)
	v_fma_f64 v[119:120], v[149:150], v[121:122], v[119:120]
	buffer_load_dword v128, off, s[0:3], 0 offset:364
	buffer_load_dword v143, off, s[0:3], 0 offset:384
	;; [unrolled: 1-line block ×8, first 2 shown]
	s_waitcnt vmcnt(24) lgkmcnt(0)
	v_fma_f64 v[119:120], v[129:130], v[123:124], v[119:120]
	s_waitcnt vmcnt(19)
	v_fma_f64 v[129:130], v[131:132], v[125:126], v[119:120]
	ds_read_b128 v[119:122], v118 offset:768
	ds_read_b128 v[123:126], v118 offset:784
	s_waitcnt vmcnt(18) lgkmcnt(1)
	v_fma_f64 v[119:120], v[137:138], v[119:120], v[129:130]
	s_waitcnt vmcnt(17)
	v_fma_f64 v[119:120], v[135:136], v[121:122], v[119:120]
	buffer_load_dword v130, off, s[0:3], 0 offset:396
	buffer_load_dword v131, off, s[0:3], 0 offset:416
	;; [unrolled: 1-line block ×7, first 2 shown]
	s_waitcnt vmcnt(23) lgkmcnt(0)
	v_fma_f64 v[119:120], v[133:134], v[123:124], v[119:120]
	s_waitcnt vmcnt(18)
	v_fma_f64 v[132:133], v[139:140], v[125:126], v[119:120]
	ds_read_b128 v[119:122], v118 offset:800
	ds_read_b128 v[123:126], v118 offset:816
	s_waitcnt vmcnt(17) lgkmcnt(1)
	v_fma_f64 v[119:120], v[147:148], v[119:120], v[132:133]
	buffer_load_dword v132, off, s[0:3], 0 offset:420
	s_waitcnt vmcnt(17)
	v_fma_f64 v[119:120], v[145:146], v[121:122], v[119:120]
	buffer_load_dword v134, off, s[0:3], 0 offset:428
	buffer_load_dword v139, off, s[0:3], 0 offset:448
	buffer_load_dword v145, off, s[0:3], 0 offset:440
	buffer_load_dword v147, off, s[0:3], 0 offset:432
	buffer_load_dword v133, off, s[0:3], 0 offset:424
	buffer_load_dword v148, off, s[0:3], 0 offset:436
	buffer_load_dword v146, off, s[0:3], 0 offset:444
	buffer_load_dword v140, off, s[0:3], 0 offset:452
	s_waitcnt vmcnt(24) lgkmcnt(0)
	v_fma_f64 v[119:120], v[141:142], v[123:124], v[119:120]
	s_waitcnt vmcnt(19)
	v_fma_f64 v[127:128], v[127:128], v[125:126], v[119:120]
	ds_read_b128 v[119:122], v118 offset:832
	ds_read_b128 v[123:126], v118 offset:848
	s_waitcnt vmcnt(18) lgkmcnt(1)
	v_fma_f64 v[119:120], v[151:152], v[119:120], v[127:128]
	buffer_load_dword v128, off, s[0:3], 0 offset:460
	buffer_load_dword v127, off, s[0:3], 0 offset:456
	;; [unrolled: 1-line block ×4, first 2 shown]
	s_waitcnt vmcnt(21)
	v_fma_f64 v[119:120], v[149:150], v[121:122], v[119:120]
	s_waitcnt vmcnt(20) lgkmcnt(0)
	v_fma_f64 v[119:120], v[143:144], v[123:124], v[119:120]
	s_waitcnt vmcnt(15)
	v_fma_f64 v[129:130], v[129:130], v[125:126], v[119:120]
	ds_read_b128 v[119:122], v118 offset:864
	ds_read_b128 v[123:126], v118 offset:880
	s_waitcnt vmcnt(14) lgkmcnt(1)
	v_fma_f64 v[119:120], v[137:138], v[119:120], v[129:130]
	s_waitcnt vmcnt(13)
	v_fma_f64 v[119:120], v[135:136], v[121:122], v[119:120]
	s_waitcnt vmcnt(12) lgkmcnt(0)
	v_fma_f64 v[119:120], v[131:132], v[123:124], v[119:120]
	s_waitcnt vmcnt(7)
	v_fma_f64 v[129:130], v[133:134], v[125:126], v[119:120]
	ds_read_b128 v[119:122], v118 offset:896
	ds_read_b128 v[123:126], v118 offset:912
	s_waitcnt vmcnt(6) lgkmcnt(1)
	v_fma_f64 v[118:119], v[147:148], v[119:120], v[129:130]
	s_waitcnt vmcnt(5)
	v_fma_f64 v[118:119], v[145:146], v[121:122], v[118:119]
	s_waitcnt vmcnt(4) lgkmcnt(0)
	v_fma_f64 v[118:119], v[139:140], v[123:124], v[118:119]
	s_waitcnt vmcnt(2)
	v_fma_f64 v[118:119], v[127:128], v[125:126], v[118:119]
	s_waitcnt vmcnt(0)
	v_add_f64 v[118:119], v[141:142], -v[118:119]
	buffer_store_dword v119, off, s[0:3], 0 offset:172
	buffer_store_dword v118, off, s[0:3], 0 offset:168
	s_and_saveexec_b64 s[4:5], vcc
	s_cbranch_execz .LBB121_315
; %bb.314:
	buffer_load_dword v118, off, s[0:3], 0 offset:160
	buffer_load_dword v119, off, s[0:3], 0 offset:164
	v_mov_b32_e32 v120, 0
	buffer_store_dword v120, off, s[0:3], 0 offset:160
	buffer_store_dword v120, off, s[0:3], 0 offset:164
	s_waitcnt vmcnt(2)
	ds_write_b64 v117, v[118:119]
.LBB121_315:
	s_or_b64 exec, exec, s[4:5]
	s_waitcnt lgkmcnt(0)
	; wave barrier
	buffer_load_dword v127, off, s[0:3], 0 offset:168
	buffer_load_dword v128, off, s[0:3], 0 offset:172
	;; [unrolled: 1-line block ×21, first 2 shown]
	v_mov_b32_e32 v118, 0
	ds_read2_b64 v[119:122], v118 offset0:79 offset1:80
	ds_read2_b64 v[123:126], v118 offset0:81 offset1:82
	buffer_load_dword v144, off, s[0:3], 0 offset:252
	v_cmp_lt_u32_e32 vcc, 19, v0
	s_waitcnt vmcnt(20) lgkmcnt(1)
	v_fma_f64 v[119:120], v[127:128], v[119:120], 0
	s_waitcnt vmcnt(18)
	v_fma_f64 v[119:120], v[129:130], v[121:122], v[119:120]
	buffer_load_dword v128, off, s[0:3], 0 offset:260
	buffer_load_dword v129, off, s[0:3], 0 offset:280
	;; [unrolled: 1-line block ×7, first 2 shown]
	s_waitcnt vmcnt(23) lgkmcnt(0)
	v_fma_f64 v[119:120], v[131:132], v[123:124], v[119:120]
	s_waitcnt vmcnt(21)
	v_fma_f64 v[130:131], v[133:134], v[125:126], v[119:120]
	ds_read2_b64 v[119:122], v118 offset0:83 offset1:84
	ds_read2_b64 v[123:126], v118 offset0:85 offset1:86
	s_waitcnt vmcnt(19) lgkmcnt(1)
	v_fma_f64 v[119:120], v[135:136], v[119:120], v[130:131]
	buffer_load_dword v130, off, s[0:3], 0 offset:284
	s_waitcnt vmcnt(18)
	v_fma_f64 v[119:120], v[137:138], v[121:122], v[119:120]
	buffer_load_dword v132, off, s[0:3], 0 offset:292
	buffer_load_dword v133, off, s[0:3], 0 offset:312
	;; [unrolled: 1-line block ×8, first 2 shown]
	s_waitcnt vmcnt(24) lgkmcnt(0)
	v_fma_f64 v[119:120], v[139:140], v[123:124], v[119:120]
	s_waitcnt vmcnt(19)
	v_fma_f64 v[139:140], v[141:142], v[125:126], v[119:120]
	ds_read2_b64 v[119:122], v118 offset0:87 offset1:88
	ds_read2_b64 v[123:126], v118 offset0:89 offset1:90
	s_waitcnt vmcnt(18) lgkmcnt(1)
	v_fma_f64 v[119:120], v[147:148], v[119:120], v[139:140]
	s_waitcnt vmcnt(17)
	v_fma_f64 v[119:120], v[145:146], v[121:122], v[119:120]
	buffer_load_dword v140, off, s[0:3], 0 offset:324
	buffer_load_dword v141, off, s[0:3], 0 offset:344
	;; [unrolled: 1-line block ×7, first 2 shown]
	s_waitcnt vmcnt(23) lgkmcnt(0)
	v_fma_f64 v[119:120], v[143:144], v[123:124], v[119:120]
	s_waitcnt vmcnt(18)
	v_fma_f64 v[127:128], v[127:128], v[125:126], v[119:120]
	ds_read2_b64 v[119:122], v118 offset0:91 offset1:92
	ds_read2_b64 v[123:126], v118 offset0:93 offset1:94
	buffer_load_dword v142, off, s[0:3], 0 offset:348
	s_waitcnt vmcnt(18) lgkmcnt(1)
	v_fma_f64 v[119:120], v[151:152], v[119:120], v[127:128]
	s_waitcnt vmcnt(17)
	v_fma_f64 v[119:120], v[149:150], v[121:122], v[119:120]
	buffer_load_dword v128, off, s[0:3], 0 offset:356
	buffer_load_dword v143, off, s[0:3], 0 offset:376
	;; [unrolled: 1-line block ×7, first 2 shown]
	s_waitcnt vmcnt(23) lgkmcnt(0)
	v_fma_f64 v[119:120], v[129:130], v[123:124], v[119:120]
	s_waitcnt vmcnt(18)
	v_fma_f64 v[129:130], v[131:132], v[125:126], v[119:120]
	ds_read2_b64 v[119:122], v118 offset0:95 offset1:96
	ds_read2_b64 v[123:126], v118 offset0:97 offset1:98
	buffer_load_dword v144, off, s[0:3], 0 offset:380
	s_waitcnt vmcnt(18) lgkmcnt(1)
	v_fma_f64 v[119:120], v[137:138], v[119:120], v[129:130]
	s_waitcnt vmcnt(17)
	v_fma_f64 v[119:120], v[135:136], v[121:122], v[119:120]
	buffer_load_dword v130, off, s[0:3], 0 offset:388
	buffer_load_dword v131, off, s[0:3], 0 offset:408
	buffer_load_dword v135, off, s[0:3], 0 offset:400
	buffer_load_dword v137, off, s[0:3], 0 offset:392
	buffer_load_dword v129, off, s[0:3], 0 offset:384
	buffer_load_dword v138, off, s[0:3], 0 offset:396
	buffer_load_dword v136, off, s[0:3], 0 offset:404
	s_waitcnt vmcnt(23) lgkmcnt(0)
	v_fma_f64 v[119:120], v[133:134], v[123:124], v[119:120]
	s_waitcnt vmcnt(18)
	v_fma_f64 v[132:133], v[139:140], v[125:126], v[119:120]
	ds_read2_b64 v[119:122], v118 offset0:99 offset1:100
	ds_read2_b64 v[123:126], v118 offset0:101 offset1:102
	s_waitcnt vmcnt(17) lgkmcnt(1)
	v_fma_f64 v[119:120], v[147:148], v[119:120], v[132:133]
	buffer_load_dword v132, off, s[0:3], 0 offset:412
	s_waitcnt vmcnt(17)
	v_fma_f64 v[119:120], v[145:146], v[121:122], v[119:120]
	buffer_load_dword v134, off, s[0:3], 0 offset:420
	buffer_load_dword v139, off, s[0:3], 0 offset:440
	;; [unrolled: 1-line block ×7, first 2 shown]
	s_waitcnt vmcnt(23) lgkmcnt(0)
	v_fma_f64 v[119:120], v[141:142], v[123:124], v[119:120]
	s_waitcnt vmcnt(18)
	v_fma_f64 v[127:128], v[127:128], v[125:126], v[119:120]
	ds_read2_b64 v[119:122], v118 offset0:103 offset1:104
	ds_read2_b64 v[123:126], v118 offset0:105 offset1:106
	buffer_load_dword v140, off, s[0:3], 0 offset:444
	s_waitcnt vmcnt(18) lgkmcnt(1)
	v_fma_f64 v[119:120], v[151:152], v[119:120], v[127:128]
	buffer_load_dword v128, off, s[0:3], 0 offset:452
	buffer_load_dword v141, off, s[0:3], 0 offset:456
	;; [unrolled: 1-line block ×4, first 2 shown]
	s_waitcnt vmcnt(21)
	v_fma_f64 v[119:120], v[149:150], v[121:122], v[119:120]
	s_waitcnt vmcnt(20) lgkmcnt(0)
	v_fma_f64 v[119:120], v[143:144], v[123:124], v[119:120]
	buffer_load_dword v143, off, s[0:3], 0 offset:160
	buffer_load_dword v144, off, s[0:3], 0 offset:164
	s_waitcnt vmcnt(17)
	v_fma_f64 v[129:130], v[129:130], v[125:126], v[119:120]
	ds_read2_b64 v[119:122], v118 offset0:107 offset1:108
	ds_read2_b64 v[123:126], v118 offset0:109 offset1:110
	s_waitcnt vmcnt(16) lgkmcnt(1)
	v_fma_f64 v[119:120], v[137:138], v[119:120], v[129:130]
	s_waitcnt vmcnt(15)
	v_fma_f64 v[119:120], v[135:136], v[121:122], v[119:120]
	s_waitcnt vmcnt(14) lgkmcnt(0)
	v_fma_f64 v[119:120], v[131:132], v[123:124], v[119:120]
	s_waitcnt vmcnt(9)
	v_fma_f64 v[129:130], v[133:134], v[125:126], v[119:120]
	ds_read2_b64 v[119:122], v118 offset0:111 offset1:112
	ds_read2_b64 v[123:126], v118 offset0:113 offset1:114
	s_waitcnt vmcnt(8) lgkmcnt(1)
	v_fma_f64 v[119:120], v[147:148], v[119:120], v[129:130]
	s_waitcnt vmcnt(7)
	v_fma_f64 v[119:120], v[145:146], v[121:122], v[119:120]
	ds_read_b64 v[121:122], v118 offset:920
	s_waitcnt vmcnt(6) lgkmcnt(1)
	v_fma_f64 v[119:120], v[139:140], v[123:124], v[119:120]
	s_waitcnt vmcnt(3)
	v_fma_f64 v[119:120], v[127:128], v[125:126], v[119:120]
	s_waitcnt vmcnt(2) lgkmcnt(0)
	v_fma_f64 v[119:120], v[141:142], v[121:122], v[119:120]
	s_waitcnt vmcnt(0)
	v_add_f64 v[119:120], v[143:144], -v[119:120]
	buffer_store_dword v120, off, s[0:3], 0 offset:164
	buffer_store_dword v119, off, s[0:3], 0 offset:160
	s_and_saveexec_b64 s[4:5], vcc
	s_cbranch_execz .LBB121_317
; %bb.316:
	buffer_load_dword v119, off, s[0:3], 0 offset:152
	buffer_load_dword v120, off, s[0:3], 0 offset:156
	s_waitcnt vmcnt(0)
	ds_write_b64 v117, v[119:120]
	buffer_store_dword v118, off, s[0:3], 0 offset:152
	buffer_store_dword v118, off, s[0:3], 0 offset:156
.LBB121_317:
	s_or_b64 exec, exec, s[4:5]
	s_waitcnt lgkmcnt(0)
	; wave barrier
	buffer_load_dword v127, off, s[0:3], 0 offset:160
	buffer_load_dword v128, off, s[0:3], 0 offset:164
	;; [unrolled: 1-line block ×22, first 2 shown]
	ds_read_b128 v[119:122], v118 offset:624
	ds_read_b128 v[123:126], v118 offset:640
	v_cmp_lt_u32_e32 vcc, 18, v0
	s_waitcnt vmcnt(20) lgkmcnt(1)
	v_fma_f64 v[119:120], v[127:128], v[119:120], 0
	s_waitcnt vmcnt(18)
	v_fma_f64 v[119:120], v[129:130], v[121:122], v[119:120]
	buffer_load_dword v128, off, s[0:3], 0 offset:252
	buffer_load_dword v129, off, s[0:3], 0 offset:272
	;; [unrolled: 1-line block ×7, first 2 shown]
	s_waitcnt vmcnt(23) lgkmcnt(0)
	v_fma_f64 v[119:120], v[131:132], v[123:124], v[119:120]
	s_waitcnt vmcnt(21)
	v_fma_f64 v[130:131], v[133:134], v[125:126], v[119:120]
	ds_read_b128 v[119:122], v118 offset:656
	ds_read_b128 v[123:126], v118 offset:672
	s_waitcnt vmcnt(19) lgkmcnt(1)
	v_fma_f64 v[119:120], v[135:136], v[119:120], v[130:131]
	buffer_load_dword v130, off, s[0:3], 0 offset:276
	s_waitcnt vmcnt(18)
	v_fma_f64 v[119:120], v[137:138], v[121:122], v[119:120]
	buffer_load_dword v132, off, s[0:3], 0 offset:284
	buffer_load_dword v133, off, s[0:3], 0 offset:304
	;; [unrolled: 1-line block ×8, first 2 shown]
	s_waitcnt vmcnt(24) lgkmcnt(0)
	v_fma_f64 v[119:120], v[139:140], v[123:124], v[119:120]
	s_waitcnt vmcnt(19)
	v_fma_f64 v[139:140], v[141:142], v[125:126], v[119:120]
	ds_read_b128 v[119:122], v118 offset:688
	ds_read_b128 v[123:126], v118 offset:704
	s_waitcnt vmcnt(18) lgkmcnt(1)
	v_fma_f64 v[119:120], v[147:148], v[119:120], v[139:140]
	s_waitcnt vmcnt(17)
	v_fma_f64 v[119:120], v[145:146], v[121:122], v[119:120]
	buffer_load_dword v140, off, s[0:3], 0 offset:316
	buffer_load_dword v141, off, s[0:3], 0 offset:336
	;; [unrolled: 1-line block ×8, first 2 shown]
	s_waitcnt vmcnt(24) lgkmcnt(0)
	v_fma_f64 v[119:120], v[143:144], v[123:124], v[119:120]
	s_waitcnt vmcnt(19)
	v_fma_f64 v[127:128], v[127:128], v[125:126], v[119:120]
	ds_read_b128 v[119:122], v118 offset:720
	ds_read_b128 v[123:126], v118 offset:736
	s_waitcnt vmcnt(18) lgkmcnt(1)
	v_fma_f64 v[119:120], v[151:152], v[119:120], v[127:128]
	s_waitcnt vmcnt(17)
	v_fma_f64 v[119:120], v[149:150], v[121:122], v[119:120]
	buffer_load_dword v128, off, s[0:3], 0 offset:348
	buffer_load_dword v143, off, s[0:3], 0 offset:368
	;; [unrolled: 1-line block ×7, first 2 shown]
	s_waitcnt vmcnt(23) lgkmcnt(0)
	v_fma_f64 v[119:120], v[129:130], v[123:124], v[119:120]
	s_waitcnt vmcnt(18)
	v_fma_f64 v[129:130], v[131:132], v[125:126], v[119:120]
	ds_read_b128 v[119:122], v118 offset:752
	ds_read_b128 v[123:126], v118 offset:768
	buffer_load_dword v144, off, s[0:3], 0 offset:372
	s_waitcnt vmcnt(18) lgkmcnt(1)
	v_fma_f64 v[119:120], v[137:138], v[119:120], v[129:130]
	s_waitcnt vmcnt(17)
	v_fma_f64 v[119:120], v[135:136], v[121:122], v[119:120]
	buffer_load_dword v130, off, s[0:3], 0 offset:380
	buffer_load_dword v131, off, s[0:3], 0 offset:400
	;; [unrolled: 1-line block ×7, first 2 shown]
	s_waitcnt vmcnt(23) lgkmcnt(0)
	v_fma_f64 v[119:120], v[133:134], v[123:124], v[119:120]
	s_waitcnt vmcnt(18)
	v_fma_f64 v[132:133], v[139:140], v[125:126], v[119:120]
	ds_read_b128 v[119:122], v118 offset:784
	ds_read_b128 v[123:126], v118 offset:800
	s_waitcnt vmcnt(17) lgkmcnt(1)
	v_fma_f64 v[119:120], v[147:148], v[119:120], v[132:133]
	buffer_load_dword v132, off, s[0:3], 0 offset:404
	s_waitcnt vmcnt(17)
	v_fma_f64 v[119:120], v[145:146], v[121:122], v[119:120]
	buffer_load_dword v134, off, s[0:3], 0 offset:412
	buffer_load_dword v139, off, s[0:3], 0 offset:432
	;; [unrolled: 1-line block ×8, first 2 shown]
	s_waitcnt vmcnt(24) lgkmcnt(0)
	v_fma_f64 v[119:120], v[141:142], v[123:124], v[119:120]
	s_waitcnt vmcnt(19)
	v_fma_f64 v[127:128], v[127:128], v[125:126], v[119:120]
	ds_read_b128 v[119:122], v118 offset:816
	ds_read_b128 v[123:126], v118 offset:832
	s_waitcnt vmcnt(18) lgkmcnt(1)
	v_fma_f64 v[119:120], v[151:152], v[119:120], v[127:128]
	s_waitcnt vmcnt(17)
	v_fma_f64 v[119:120], v[149:150], v[121:122], v[119:120]
	buffer_load_dword v128, off, s[0:3], 0 offset:444
	buffer_load_dword v141, off, s[0:3], 0 offset:456
	;; [unrolled: 1-line block ×6, first 2 shown]
	s_waitcnt vmcnt(22) lgkmcnt(0)
	v_fma_f64 v[119:120], v[143:144], v[123:124], v[119:120]
	s_waitcnt vmcnt(17)
	v_fma_f64 v[129:130], v[129:130], v[125:126], v[119:120]
	ds_read_b128 v[119:122], v118 offset:848
	buffer_load_dword v143, off, s[0:3], 0 offset:152
	buffer_load_dword v144, off, s[0:3], 0 offset:156
	ds_read_b128 v[123:126], v118 offset:864
	s_waitcnt vmcnt(18) lgkmcnt(1)
	v_fma_f64 v[119:120], v[137:138], v[119:120], v[129:130]
	s_waitcnt vmcnt(17)
	v_fma_f64 v[119:120], v[135:136], v[121:122], v[119:120]
	s_waitcnt vmcnt(16) lgkmcnt(0)
	v_fma_f64 v[119:120], v[131:132], v[123:124], v[119:120]
	s_waitcnt vmcnt(11)
	v_fma_f64 v[129:130], v[133:134], v[125:126], v[119:120]
	ds_read_b128 v[119:122], v118 offset:880
	ds_read_b128 v[123:126], v118 offset:896
	s_waitcnt vmcnt(10) lgkmcnt(1)
	v_fma_f64 v[119:120], v[147:148], v[119:120], v[129:130]
	s_waitcnt vmcnt(9)
	v_fma_f64 v[119:120], v[145:146], v[121:122], v[119:120]
	s_waitcnt vmcnt(8) lgkmcnt(0)
	v_fma_f64 v[119:120], v[139:140], v[123:124], v[119:120]
	s_waitcnt vmcnt(4)
	v_fma_f64 v[122:123], v[127:128], v[125:126], v[119:120]
	ds_read_b128 v[118:121], v118 offset:912
	s_waitcnt vmcnt(3) lgkmcnt(0)
	v_fma_f64 v[118:119], v[149:150], v[118:119], v[122:123]
	s_waitcnt vmcnt(2)
	v_fma_f64 v[118:119], v[141:142], v[120:121], v[118:119]
	s_waitcnt vmcnt(0)
	v_add_f64 v[118:119], v[143:144], -v[118:119]
	buffer_store_dword v119, off, s[0:3], 0 offset:156
	buffer_store_dword v118, off, s[0:3], 0 offset:152
	s_and_saveexec_b64 s[4:5], vcc
	s_cbranch_execz .LBB121_319
; %bb.318:
	buffer_load_dword v118, off, s[0:3], 0 offset:144
	buffer_load_dword v119, off, s[0:3], 0 offset:148
	v_mov_b32_e32 v120, 0
	buffer_store_dword v120, off, s[0:3], 0 offset:144
	buffer_store_dword v120, off, s[0:3], 0 offset:148
	s_waitcnt vmcnt(2)
	ds_write_b64 v117, v[118:119]
.LBB121_319:
	s_or_b64 exec, exec, s[4:5]
	s_waitcnt lgkmcnt(0)
	; wave barrier
	buffer_load_dword v127, off, s[0:3], 0 offset:152
	buffer_load_dword v128, off, s[0:3], 0 offset:156
	;; [unrolled: 1-line block ×22, first 2 shown]
	v_mov_b32_e32 v118, 0
	ds_read2_b64 v[119:122], v118 offset0:77 offset1:78
	ds_read2_b64 v[123:126], v118 offset0:79 offset1:80
	v_cmp_lt_u32_e32 vcc, 17, v0
	s_waitcnt vmcnt(20) lgkmcnt(1)
	v_fma_f64 v[119:120], v[127:128], v[119:120], 0
	s_waitcnt vmcnt(18)
	v_fma_f64 v[119:120], v[129:130], v[121:122], v[119:120]
	buffer_load_dword v128, off, s[0:3], 0 offset:244
	buffer_load_dword v129, off, s[0:3], 0 offset:264
	;; [unrolled: 1-line block ×7, first 2 shown]
	s_waitcnt vmcnt(23) lgkmcnt(0)
	v_fma_f64 v[119:120], v[131:132], v[123:124], v[119:120]
	s_waitcnt vmcnt(21)
	v_fma_f64 v[130:131], v[133:134], v[125:126], v[119:120]
	ds_read2_b64 v[119:122], v118 offset0:81 offset1:82
	ds_read2_b64 v[123:126], v118 offset0:83 offset1:84
	s_waitcnt vmcnt(19) lgkmcnt(1)
	v_fma_f64 v[119:120], v[135:136], v[119:120], v[130:131]
	buffer_load_dword v130, off, s[0:3], 0 offset:268
	s_waitcnt vmcnt(18)
	v_fma_f64 v[119:120], v[137:138], v[121:122], v[119:120]
	buffer_load_dword v132, off, s[0:3], 0 offset:276
	buffer_load_dword v133, off, s[0:3], 0 offset:296
	;; [unrolled: 1-line block ×8, first 2 shown]
	s_waitcnt vmcnt(24) lgkmcnt(0)
	v_fma_f64 v[119:120], v[139:140], v[123:124], v[119:120]
	s_waitcnt vmcnt(19)
	v_fma_f64 v[139:140], v[141:142], v[125:126], v[119:120]
	ds_read2_b64 v[119:122], v118 offset0:85 offset1:86
	ds_read2_b64 v[123:126], v118 offset0:87 offset1:88
	s_waitcnt vmcnt(18) lgkmcnt(1)
	v_fma_f64 v[119:120], v[147:148], v[119:120], v[139:140]
	s_waitcnt vmcnt(17)
	v_fma_f64 v[119:120], v[145:146], v[121:122], v[119:120]
	buffer_load_dword v140, off, s[0:3], 0 offset:308
	buffer_load_dword v141, off, s[0:3], 0 offset:328
	;; [unrolled: 1-line block ×8, first 2 shown]
	s_waitcnt vmcnt(24) lgkmcnt(0)
	v_fma_f64 v[119:120], v[143:144], v[123:124], v[119:120]
	s_waitcnt vmcnt(19)
	v_fma_f64 v[127:128], v[127:128], v[125:126], v[119:120]
	ds_read2_b64 v[119:122], v118 offset0:89 offset1:90
	ds_read2_b64 v[123:126], v118 offset0:91 offset1:92
	s_waitcnt vmcnt(18) lgkmcnt(1)
	v_fma_f64 v[119:120], v[151:152], v[119:120], v[127:128]
	s_waitcnt vmcnt(17)
	v_fma_f64 v[119:120], v[149:150], v[121:122], v[119:120]
	buffer_load_dword v128, off, s[0:3], 0 offset:340
	buffer_load_dword v143, off, s[0:3], 0 offset:360
	;; [unrolled: 1-line block ×7, first 2 shown]
	s_waitcnt vmcnt(23) lgkmcnt(0)
	v_fma_f64 v[119:120], v[129:130], v[123:124], v[119:120]
	s_waitcnt vmcnt(18)
	v_fma_f64 v[129:130], v[131:132], v[125:126], v[119:120]
	ds_read2_b64 v[119:122], v118 offset0:93 offset1:94
	ds_read2_b64 v[123:126], v118 offset0:95 offset1:96
	buffer_load_dword v144, off, s[0:3], 0 offset:364
	s_waitcnt vmcnt(18) lgkmcnt(1)
	v_fma_f64 v[119:120], v[137:138], v[119:120], v[129:130]
	s_waitcnt vmcnt(17)
	v_fma_f64 v[119:120], v[135:136], v[121:122], v[119:120]
	buffer_load_dword v130, off, s[0:3], 0 offset:372
	buffer_load_dword v131, off, s[0:3], 0 offset:392
	;; [unrolled: 1-line block ×7, first 2 shown]
	s_waitcnt vmcnt(23) lgkmcnt(0)
	v_fma_f64 v[119:120], v[133:134], v[123:124], v[119:120]
	s_waitcnt vmcnt(18)
	v_fma_f64 v[132:133], v[139:140], v[125:126], v[119:120]
	ds_read2_b64 v[119:122], v118 offset0:97 offset1:98
	ds_read2_b64 v[123:126], v118 offset0:99 offset1:100
	s_waitcnt vmcnt(17) lgkmcnt(1)
	v_fma_f64 v[119:120], v[147:148], v[119:120], v[132:133]
	buffer_load_dword v132, off, s[0:3], 0 offset:396
	s_waitcnt vmcnt(17)
	v_fma_f64 v[119:120], v[145:146], v[121:122], v[119:120]
	buffer_load_dword v134, off, s[0:3], 0 offset:404
	buffer_load_dword v139, off, s[0:3], 0 offset:424
	;; [unrolled: 1-line block ×8, first 2 shown]
	s_waitcnt vmcnt(24) lgkmcnt(0)
	v_fma_f64 v[119:120], v[141:142], v[123:124], v[119:120]
	s_waitcnt vmcnt(19)
	v_fma_f64 v[127:128], v[127:128], v[125:126], v[119:120]
	ds_read2_b64 v[119:122], v118 offset0:101 offset1:102
	ds_read2_b64 v[123:126], v118 offset0:103 offset1:104
	s_waitcnt vmcnt(18) lgkmcnt(1)
	v_fma_f64 v[119:120], v[151:152], v[119:120], v[127:128]
	s_waitcnt vmcnt(17)
	v_fma_f64 v[119:120], v[149:150], v[121:122], v[119:120]
	buffer_load_dword v128, off, s[0:3], 0 offset:436
	buffer_load_dword v141, off, s[0:3], 0 offset:456
	;; [unrolled: 1-line block ×8, first 2 shown]
	s_waitcnt vmcnt(24) lgkmcnt(0)
	v_fma_f64 v[119:120], v[143:144], v[123:124], v[119:120]
	s_waitcnt vmcnt(19)
	v_fma_f64 v[129:130], v[129:130], v[125:126], v[119:120]
	ds_read2_b64 v[119:122], v118 offset0:105 offset1:106
	ds_read2_b64 v[123:126], v118 offset0:107 offset1:108
	s_waitcnt vmcnt(18) lgkmcnt(1)
	v_fma_f64 v[119:120], v[137:138], v[119:120], v[129:130]
	buffer_load_dword v129, off, s[0:3], 0 offset:144
	buffer_load_dword v130, off, s[0:3], 0 offset:148
	s_waitcnt vmcnt(19)
	v_fma_f64 v[119:120], v[135:136], v[121:122], v[119:120]
	s_waitcnt vmcnt(18) lgkmcnt(0)
	v_fma_f64 v[119:120], v[131:132], v[123:124], v[119:120]
	s_waitcnt vmcnt(13)
	v_fma_f64 v[131:132], v[133:134], v[125:126], v[119:120]
	ds_read2_b64 v[119:122], v118 offset0:109 offset1:110
	ds_read2_b64 v[123:126], v118 offset0:111 offset1:112
	s_waitcnt vmcnt(12) lgkmcnt(1)
	v_fma_f64 v[119:120], v[147:148], v[119:120], v[131:132]
	s_waitcnt vmcnt(11)
	v_fma_f64 v[119:120], v[145:146], v[121:122], v[119:120]
	s_waitcnt vmcnt(10) lgkmcnt(0)
	v_fma_f64 v[119:120], v[139:140], v[123:124], v[119:120]
	s_waitcnt vmcnt(5)
	v_fma_f64 v[123:124], v[127:128], v[125:126], v[119:120]
	ds_read2_b64 v[119:122], v118 offset0:113 offset1:114
	ds_read_b64 v[125:126], v118 offset:920
	s_waitcnt vmcnt(4) lgkmcnt(1)
	v_fma_f64 v[119:120], v[151:152], v[119:120], v[123:124]
	s_waitcnt vmcnt(3)
	v_fma_f64 v[119:120], v[149:150], v[121:122], v[119:120]
	s_waitcnt vmcnt(2) lgkmcnt(0)
	v_fma_f64 v[119:120], v[141:142], v[125:126], v[119:120]
	s_waitcnt vmcnt(0)
	v_add_f64 v[119:120], v[129:130], -v[119:120]
	buffer_store_dword v120, off, s[0:3], 0 offset:148
	buffer_store_dword v119, off, s[0:3], 0 offset:144
	s_and_saveexec_b64 s[4:5], vcc
	s_cbranch_execz .LBB121_321
; %bb.320:
	buffer_load_dword v119, off, s[0:3], 0 offset:136
	buffer_load_dword v120, off, s[0:3], 0 offset:140
	s_waitcnt vmcnt(0)
	ds_write_b64 v117, v[119:120]
	buffer_store_dword v118, off, s[0:3], 0 offset:136
	buffer_store_dword v118, off, s[0:3], 0 offset:140
.LBB121_321:
	s_or_b64 exec, exec, s[4:5]
	s_waitcnt lgkmcnt(0)
	; wave barrier
	buffer_load_dword v127, off, s[0:3], 0 offset:144
	buffer_load_dword v128, off, s[0:3], 0 offset:148
	;; [unrolled: 1-line block ×22, first 2 shown]
	ds_read_b128 v[119:122], v118 offset:608
	ds_read_b128 v[123:126], v118 offset:624
	v_cmp_lt_u32_e32 vcc, 16, v0
	s_waitcnt vmcnt(20) lgkmcnt(1)
	v_fma_f64 v[119:120], v[127:128], v[119:120], 0
	s_waitcnt vmcnt(18)
	v_fma_f64 v[119:120], v[129:130], v[121:122], v[119:120]
	buffer_load_dword v128, off, s[0:3], 0 offset:236
	buffer_load_dword v129, off, s[0:3], 0 offset:256
	;; [unrolled: 1-line block ×7, first 2 shown]
	s_waitcnt vmcnt(23) lgkmcnt(0)
	v_fma_f64 v[119:120], v[131:132], v[123:124], v[119:120]
	s_waitcnt vmcnt(21)
	v_fma_f64 v[130:131], v[133:134], v[125:126], v[119:120]
	ds_read_b128 v[119:122], v118 offset:640
	ds_read_b128 v[123:126], v118 offset:656
	s_waitcnt vmcnt(19) lgkmcnt(1)
	v_fma_f64 v[119:120], v[135:136], v[119:120], v[130:131]
	buffer_load_dword v130, off, s[0:3], 0 offset:260
	s_waitcnt vmcnt(18)
	v_fma_f64 v[119:120], v[137:138], v[121:122], v[119:120]
	buffer_load_dword v132, off, s[0:3], 0 offset:268
	buffer_load_dword v133, off, s[0:3], 0 offset:288
	;; [unrolled: 1-line block ×8, first 2 shown]
	s_waitcnt vmcnt(24) lgkmcnt(0)
	v_fma_f64 v[119:120], v[139:140], v[123:124], v[119:120]
	s_waitcnt vmcnt(19)
	v_fma_f64 v[139:140], v[141:142], v[125:126], v[119:120]
	ds_read_b128 v[119:122], v118 offset:672
	ds_read_b128 v[123:126], v118 offset:688
	s_waitcnt vmcnt(18) lgkmcnt(1)
	v_fma_f64 v[119:120], v[147:148], v[119:120], v[139:140]
	s_waitcnt vmcnt(17)
	v_fma_f64 v[119:120], v[145:146], v[121:122], v[119:120]
	buffer_load_dword v140, off, s[0:3], 0 offset:300
	buffer_load_dword v141, off, s[0:3], 0 offset:320
	;; [unrolled: 1-line block ×8, first 2 shown]
	s_waitcnt vmcnt(24) lgkmcnt(0)
	v_fma_f64 v[119:120], v[143:144], v[123:124], v[119:120]
	s_waitcnt vmcnt(19)
	v_fma_f64 v[127:128], v[127:128], v[125:126], v[119:120]
	ds_read_b128 v[119:122], v118 offset:704
	ds_read_b128 v[123:126], v118 offset:720
	s_waitcnt vmcnt(18) lgkmcnt(1)
	v_fma_f64 v[119:120], v[151:152], v[119:120], v[127:128]
	s_waitcnt vmcnt(17)
	v_fma_f64 v[119:120], v[149:150], v[121:122], v[119:120]
	buffer_load_dword v128, off, s[0:3], 0 offset:332
	buffer_load_dword v143, off, s[0:3], 0 offset:352
	;; [unrolled: 1-line block ×7, first 2 shown]
	s_waitcnt vmcnt(23) lgkmcnt(0)
	v_fma_f64 v[119:120], v[129:130], v[123:124], v[119:120]
	s_waitcnt vmcnt(18)
	v_fma_f64 v[129:130], v[131:132], v[125:126], v[119:120]
	ds_read_b128 v[119:122], v118 offset:736
	ds_read_b128 v[123:126], v118 offset:752
	buffer_load_dword v144, off, s[0:3], 0 offset:356
	s_waitcnt vmcnt(18) lgkmcnt(1)
	v_fma_f64 v[119:120], v[137:138], v[119:120], v[129:130]
	s_waitcnt vmcnt(17)
	v_fma_f64 v[119:120], v[135:136], v[121:122], v[119:120]
	buffer_load_dword v130, off, s[0:3], 0 offset:364
	buffer_load_dword v131, off, s[0:3], 0 offset:384
	buffer_load_dword v135, off, s[0:3], 0 offset:376
	buffer_load_dword v137, off, s[0:3], 0 offset:368
	buffer_load_dword v129, off, s[0:3], 0 offset:360
	buffer_load_dword v138, off, s[0:3], 0 offset:372
	buffer_load_dword v136, off, s[0:3], 0 offset:380
	s_waitcnt vmcnt(23) lgkmcnt(0)
	v_fma_f64 v[119:120], v[133:134], v[123:124], v[119:120]
	s_waitcnt vmcnt(18)
	v_fma_f64 v[132:133], v[139:140], v[125:126], v[119:120]
	ds_read_b128 v[119:122], v118 offset:768
	ds_read_b128 v[123:126], v118 offset:784
	s_waitcnt vmcnt(17) lgkmcnt(1)
	v_fma_f64 v[119:120], v[147:148], v[119:120], v[132:133]
	buffer_load_dword v132, off, s[0:3], 0 offset:388
	s_waitcnt vmcnt(17)
	v_fma_f64 v[119:120], v[145:146], v[121:122], v[119:120]
	buffer_load_dword v134, off, s[0:3], 0 offset:396
	buffer_load_dword v139, off, s[0:3], 0 offset:416
	;; [unrolled: 1-line block ×8, first 2 shown]
	s_waitcnt vmcnt(24) lgkmcnt(0)
	v_fma_f64 v[119:120], v[141:142], v[123:124], v[119:120]
	s_waitcnt vmcnt(19)
	v_fma_f64 v[127:128], v[127:128], v[125:126], v[119:120]
	ds_read_b128 v[119:122], v118 offset:800
	ds_read_b128 v[123:126], v118 offset:816
	s_waitcnt vmcnt(18) lgkmcnt(1)
	v_fma_f64 v[119:120], v[151:152], v[119:120], v[127:128]
	s_waitcnt vmcnt(17)
	v_fma_f64 v[119:120], v[149:150], v[121:122], v[119:120]
	buffer_load_dword v128, off, s[0:3], 0 offset:428
	buffer_load_dword v141, off, s[0:3], 0 offset:448
	;; [unrolled: 1-line block ×8, first 2 shown]
	s_waitcnt vmcnt(24) lgkmcnt(0)
	v_fma_f64 v[119:120], v[143:144], v[123:124], v[119:120]
	s_waitcnt vmcnt(19)
	v_fma_f64 v[129:130], v[129:130], v[125:126], v[119:120]
	ds_read_b128 v[119:122], v118 offset:832
	ds_read_b128 v[123:126], v118 offset:848
	s_waitcnt vmcnt(18) lgkmcnt(1)
	v_fma_f64 v[119:120], v[137:138], v[119:120], v[129:130]
	buffer_load_dword v130, off, s[0:3], 0 offset:460
	buffer_load_dword v129, off, s[0:3], 0 offset:456
	s_waitcnt vmcnt(19)
	v_fma_f64 v[119:120], v[135:136], v[121:122], v[119:120]
	buffer_load_dword v135, off, s[0:3], 0 offset:136
	buffer_load_dword v136, off, s[0:3], 0 offset:140
	s_waitcnt vmcnt(20) lgkmcnt(0)
	v_fma_f64 v[119:120], v[131:132], v[123:124], v[119:120]
	s_waitcnt vmcnt(15)
	v_fma_f64 v[131:132], v[133:134], v[125:126], v[119:120]
	ds_read_b128 v[119:122], v118 offset:864
	ds_read_b128 v[123:126], v118 offset:880
	s_waitcnt vmcnt(14) lgkmcnt(1)
	v_fma_f64 v[119:120], v[147:148], v[119:120], v[131:132]
	s_waitcnt vmcnt(13)
	v_fma_f64 v[119:120], v[145:146], v[121:122], v[119:120]
	s_waitcnt vmcnt(12) lgkmcnt(0)
	v_fma_f64 v[119:120], v[139:140], v[123:124], v[119:120]
	s_waitcnt vmcnt(7)
	v_fma_f64 v[127:128], v[127:128], v[125:126], v[119:120]
	ds_read_b128 v[119:122], v118 offset:896
	ds_read_b128 v[123:126], v118 offset:912
	s_waitcnt vmcnt(6) lgkmcnt(1)
	v_fma_f64 v[118:119], v[151:152], v[119:120], v[127:128]
	s_waitcnt vmcnt(5)
	v_fma_f64 v[118:119], v[149:150], v[121:122], v[118:119]
	s_waitcnt vmcnt(4) lgkmcnt(0)
	v_fma_f64 v[118:119], v[141:142], v[123:124], v[118:119]
	s_waitcnt vmcnt(2)
	v_fma_f64 v[118:119], v[129:130], v[125:126], v[118:119]
	s_waitcnt vmcnt(0)
	v_add_f64 v[118:119], v[135:136], -v[118:119]
	buffer_store_dword v119, off, s[0:3], 0 offset:140
	buffer_store_dword v118, off, s[0:3], 0 offset:136
	s_and_saveexec_b64 s[4:5], vcc
	s_cbranch_execz .LBB121_323
; %bb.322:
	buffer_load_dword v118, off, s[0:3], 0 offset:128
	buffer_load_dword v119, off, s[0:3], 0 offset:132
	v_mov_b32_e32 v120, 0
	buffer_store_dword v120, off, s[0:3], 0 offset:128
	buffer_store_dword v120, off, s[0:3], 0 offset:132
	s_waitcnt vmcnt(2)
	ds_write_b64 v117, v[118:119]
.LBB121_323:
	s_or_b64 exec, exec, s[4:5]
	s_waitcnt lgkmcnt(0)
	; wave barrier
	buffer_load_dword v127, off, s[0:3], 0 offset:136
	buffer_load_dword v128, off, s[0:3], 0 offset:140
	;; [unrolled: 1-line block ×22, first 2 shown]
	v_mov_b32_e32 v118, 0
	ds_read2_b64 v[119:122], v118 offset0:75 offset1:76
	ds_read2_b64 v[123:126], v118 offset0:77 offset1:78
	v_cmp_lt_u32_e32 vcc, 15, v0
	s_waitcnt vmcnt(20) lgkmcnt(1)
	v_fma_f64 v[119:120], v[127:128], v[119:120], 0
	s_waitcnt vmcnt(18)
	v_fma_f64 v[119:120], v[129:130], v[121:122], v[119:120]
	buffer_load_dword v128, off, s[0:3], 0 offset:228
	buffer_load_dword v129, off, s[0:3], 0 offset:248
	;; [unrolled: 1-line block ×7, first 2 shown]
	s_waitcnt vmcnt(23) lgkmcnt(0)
	v_fma_f64 v[119:120], v[131:132], v[123:124], v[119:120]
	s_waitcnt vmcnt(21)
	v_fma_f64 v[130:131], v[133:134], v[125:126], v[119:120]
	ds_read2_b64 v[119:122], v118 offset0:79 offset1:80
	ds_read2_b64 v[123:126], v118 offset0:81 offset1:82
	s_waitcnt vmcnt(19) lgkmcnt(1)
	v_fma_f64 v[119:120], v[135:136], v[119:120], v[130:131]
	buffer_load_dword v130, off, s[0:3], 0 offset:252
	s_waitcnt vmcnt(18)
	v_fma_f64 v[119:120], v[137:138], v[121:122], v[119:120]
	buffer_load_dword v132, off, s[0:3], 0 offset:260
	buffer_load_dword v133, off, s[0:3], 0 offset:280
	;; [unrolled: 1-line block ×7, first 2 shown]
	s_waitcnt vmcnt(23) lgkmcnt(0)
	v_fma_f64 v[119:120], v[139:140], v[123:124], v[119:120]
	s_waitcnt vmcnt(18)
	v_fma_f64 v[139:140], v[141:142], v[125:126], v[119:120]
	ds_read2_b64 v[119:122], v118 offset0:83 offset1:84
	ds_read2_b64 v[123:126], v118 offset0:85 offset1:86
	buffer_load_dword v134, off, s[0:3], 0 offset:284
	s_waitcnt vmcnt(18) lgkmcnt(1)
	v_fma_f64 v[119:120], v[147:148], v[119:120], v[139:140]
	s_waitcnt vmcnt(17)
	v_fma_f64 v[119:120], v[145:146], v[121:122], v[119:120]
	buffer_load_dword v140, off, s[0:3], 0 offset:292
	buffer_load_dword v141, off, s[0:3], 0 offset:312
	;; [unrolled: 1-line block ×8, first 2 shown]
	s_waitcnt vmcnt(24) lgkmcnt(0)
	v_fma_f64 v[119:120], v[143:144], v[123:124], v[119:120]
	s_waitcnt vmcnt(19)
	v_fma_f64 v[127:128], v[127:128], v[125:126], v[119:120]
	ds_read2_b64 v[119:122], v118 offset0:87 offset1:88
	ds_read2_b64 v[123:126], v118 offset0:89 offset1:90
	s_waitcnt vmcnt(18) lgkmcnt(1)
	v_fma_f64 v[119:120], v[151:152], v[119:120], v[127:128]
	s_waitcnt vmcnt(17)
	v_fma_f64 v[119:120], v[149:150], v[121:122], v[119:120]
	buffer_load_dword v128, off, s[0:3], 0 offset:324
	buffer_load_dword v143, off, s[0:3], 0 offset:344
	;; [unrolled: 1-line block ×7, first 2 shown]
	s_waitcnt vmcnt(23) lgkmcnt(0)
	v_fma_f64 v[119:120], v[129:130], v[123:124], v[119:120]
	s_waitcnt vmcnt(18)
	v_fma_f64 v[129:130], v[131:132], v[125:126], v[119:120]
	ds_read2_b64 v[119:122], v118 offset0:91 offset1:92
	ds_read2_b64 v[123:126], v118 offset0:93 offset1:94
	buffer_load_dword v144, off, s[0:3], 0 offset:348
	s_waitcnt vmcnt(18) lgkmcnt(1)
	v_fma_f64 v[119:120], v[137:138], v[119:120], v[129:130]
	s_waitcnt vmcnt(17)
	v_fma_f64 v[119:120], v[135:136], v[121:122], v[119:120]
	buffer_load_dword v130, off, s[0:3], 0 offset:356
	buffer_load_dword v131, off, s[0:3], 0 offset:376
	;; [unrolled: 1-line block ×7, first 2 shown]
	s_waitcnt vmcnt(23) lgkmcnt(0)
	v_fma_f64 v[119:120], v[133:134], v[123:124], v[119:120]
	s_waitcnt vmcnt(18)
	v_fma_f64 v[132:133], v[139:140], v[125:126], v[119:120]
	ds_read2_b64 v[119:122], v118 offset0:95 offset1:96
	ds_read2_b64 v[123:126], v118 offset0:97 offset1:98
	s_waitcnt vmcnt(17) lgkmcnt(1)
	v_fma_f64 v[119:120], v[147:148], v[119:120], v[132:133]
	buffer_load_dword v132, off, s[0:3], 0 offset:380
	s_waitcnt vmcnt(17)
	v_fma_f64 v[119:120], v[145:146], v[121:122], v[119:120]
	buffer_load_dword v134, off, s[0:3], 0 offset:388
	buffer_load_dword v139, off, s[0:3], 0 offset:408
	;; [unrolled: 1-line block ×8, first 2 shown]
	s_waitcnt vmcnt(24) lgkmcnt(0)
	v_fma_f64 v[119:120], v[141:142], v[123:124], v[119:120]
	s_waitcnt vmcnt(19)
	v_fma_f64 v[127:128], v[127:128], v[125:126], v[119:120]
	ds_read2_b64 v[119:122], v118 offset0:99 offset1:100
	ds_read2_b64 v[123:126], v118 offset0:101 offset1:102
	s_waitcnt vmcnt(18) lgkmcnt(1)
	v_fma_f64 v[119:120], v[151:152], v[119:120], v[127:128]
	s_waitcnt vmcnt(17)
	v_fma_f64 v[119:120], v[149:150], v[121:122], v[119:120]
	buffer_load_dword v128, off, s[0:3], 0 offset:420
	buffer_load_dword v141, off, s[0:3], 0 offset:440
	;; [unrolled: 1-line block ×7, first 2 shown]
	s_waitcnt vmcnt(23) lgkmcnt(0)
	v_fma_f64 v[119:120], v[143:144], v[123:124], v[119:120]
	s_waitcnt vmcnt(18)
	v_fma_f64 v[129:130], v[129:130], v[125:126], v[119:120]
	ds_read2_b64 v[119:122], v118 offset0:103 offset1:104
	ds_read2_b64 v[123:126], v118 offset0:105 offset1:106
	buffer_load_dword v142, off, s[0:3], 0 offset:444
	s_waitcnt vmcnt(18) lgkmcnt(1)
	v_fma_f64 v[119:120], v[137:138], v[119:120], v[129:130]
	s_waitcnt vmcnt(17)
	v_fma_f64 v[119:120], v[135:136], v[121:122], v[119:120]
	buffer_load_dword v130, off, s[0:3], 0 offset:452
	buffer_load_dword v135, off, s[0:3], 0 offset:456
	;; [unrolled: 1-line block ×4, first 2 shown]
	s_waitcnt vmcnt(20) lgkmcnt(0)
	v_fma_f64 v[119:120], v[131:132], v[123:124], v[119:120]
	buffer_load_dword v131, off, s[0:3], 0 offset:128
	buffer_load_dword v132, off, s[0:3], 0 offset:132
	s_waitcnt vmcnt(17)
	v_fma_f64 v[133:134], v[133:134], v[125:126], v[119:120]
	ds_read2_b64 v[119:122], v118 offset0:107 offset1:108
	ds_read2_b64 v[123:126], v118 offset0:109 offset1:110
	s_waitcnt vmcnt(16) lgkmcnt(1)
	v_fma_f64 v[119:120], v[147:148], v[119:120], v[133:134]
	s_waitcnt vmcnt(15)
	v_fma_f64 v[119:120], v[145:146], v[121:122], v[119:120]
	s_waitcnt vmcnt(14) lgkmcnt(0)
	v_fma_f64 v[119:120], v[139:140], v[123:124], v[119:120]
	s_waitcnt vmcnt(9)
	v_fma_f64 v[127:128], v[127:128], v[125:126], v[119:120]
	ds_read2_b64 v[119:122], v118 offset0:111 offset1:112
	ds_read2_b64 v[123:126], v118 offset0:113 offset1:114
	s_waitcnt vmcnt(8) lgkmcnt(1)
	v_fma_f64 v[119:120], v[151:152], v[119:120], v[127:128]
	s_waitcnt vmcnt(7)
	v_fma_f64 v[119:120], v[149:150], v[121:122], v[119:120]
	ds_read_b64 v[121:122], v118 offset:920
	s_waitcnt vmcnt(6) lgkmcnt(1)
	v_fma_f64 v[119:120], v[141:142], v[123:124], v[119:120]
	s_waitcnt vmcnt(3)
	v_fma_f64 v[119:120], v[129:130], v[125:126], v[119:120]
	s_waitcnt vmcnt(2) lgkmcnt(0)
	v_fma_f64 v[119:120], v[135:136], v[121:122], v[119:120]
	s_waitcnt vmcnt(0)
	v_add_f64 v[119:120], v[131:132], -v[119:120]
	buffer_store_dword v120, off, s[0:3], 0 offset:132
	buffer_store_dword v119, off, s[0:3], 0 offset:128
	s_and_saveexec_b64 s[4:5], vcc
	s_cbranch_execz .LBB121_325
; %bb.324:
	buffer_load_dword v119, off, s[0:3], 0 offset:120
	buffer_load_dword v120, off, s[0:3], 0 offset:124
	s_waitcnt vmcnt(0)
	ds_write_b64 v117, v[119:120]
	buffer_store_dword v118, off, s[0:3], 0 offset:120
	buffer_store_dword v118, off, s[0:3], 0 offset:124
.LBB121_325:
	s_or_b64 exec, exec, s[4:5]
	s_waitcnt lgkmcnt(0)
	; wave barrier
	buffer_load_dword v127, off, s[0:3], 0 offset:128
	buffer_load_dword v128, off, s[0:3], 0 offset:132
	buffer_load_dword v129, off, s[0:3], 0 offset:136
	buffer_load_dword v130, off, s[0:3], 0 offset:140
	buffer_load_dword v131, off, s[0:3], 0 offset:144
	buffer_load_dword v132, off, s[0:3], 0 offset:148
	buffer_load_dword v133, off, s[0:3], 0 offset:152
	buffer_load_dword v134, off, s[0:3], 0 offset:156
	buffer_load_dword v135, off, s[0:3], 0 offset:160
	buffer_load_dword v136, off, s[0:3], 0 offset:164
	buffer_load_dword v137, off, s[0:3], 0 offset:168
	buffer_load_dword v138, off, s[0:3], 0 offset:172
	buffer_load_dword v139, off, s[0:3], 0 offset:176
	buffer_load_dword v140, off, s[0:3], 0 offset:180
	buffer_load_dword v142, off, s[0:3], 0 offset:188
	buffer_load_dword v143, off, s[0:3], 0 offset:208
	buffer_load_dword v145, off, s[0:3], 0 offset:200
	buffer_load_dword v147, off, s[0:3], 0 offset:192
	buffer_load_dword v141, off, s[0:3], 0 offset:184
	buffer_load_dword v148, off, s[0:3], 0 offset:196
	buffer_load_dword v146, off, s[0:3], 0 offset:204
	buffer_load_dword v144, off, s[0:3], 0 offset:212
	ds_read_b128 v[119:122], v118 offset:592
	ds_read_b128 v[123:126], v118 offset:608
	v_cmp_lt_u32_e32 vcc, 14, v0
	s_waitcnt vmcnt(20) lgkmcnt(1)
	v_fma_f64 v[119:120], v[127:128], v[119:120], 0
	s_waitcnt vmcnt(18)
	v_fma_f64 v[119:120], v[129:130], v[121:122], v[119:120]
	buffer_load_dword v128, off, s[0:3], 0 offset:220
	buffer_load_dword v129, off, s[0:3], 0 offset:240
	;; [unrolled: 1-line block ×7, first 2 shown]
	s_waitcnt vmcnt(23) lgkmcnt(0)
	v_fma_f64 v[119:120], v[131:132], v[123:124], v[119:120]
	s_waitcnt vmcnt(21)
	v_fma_f64 v[130:131], v[133:134], v[125:126], v[119:120]
	ds_read_b128 v[119:122], v118 offset:624
	ds_read_b128 v[123:126], v118 offset:640
	s_waitcnt vmcnt(19) lgkmcnt(1)
	v_fma_f64 v[119:120], v[135:136], v[119:120], v[130:131]
	buffer_load_dword v130, off, s[0:3], 0 offset:244
	s_waitcnt vmcnt(18)
	v_fma_f64 v[119:120], v[137:138], v[121:122], v[119:120]
	buffer_load_dword v132, off, s[0:3], 0 offset:252
	buffer_load_dword v133, off, s[0:3], 0 offset:272
	;; [unrolled: 1-line block ×7, first 2 shown]
	s_waitcnt vmcnt(23) lgkmcnt(0)
	v_fma_f64 v[119:120], v[139:140], v[123:124], v[119:120]
	s_waitcnt vmcnt(18)
	v_fma_f64 v[139:140], v[141:142], v[125:126], v[119:120]
	ds_read_b128 v[119:122], v118 offset:656
	ds_read_b128 v[123:126], v118 offset:672
	buffer_load_dword v134, off, s[0:3], 0 offset:276
	s_waitcnt vmcnt(18) lgkmcnt(1)
	v_fma_f64 v[119:120], v[147:148], v[119:120], v[139:140]
	s_waitcnt vmcnt(17)
	v_fma_f64 v[119:120], v[145:146], v[121:122], v[119:120]
	buffer_load_dword v140, off, s[0:3], 0 offset:284
	buffer_load_dword v141, off, s[0:3], 0 offset:304
	;; [unrolled: 1-line block ×8, first 2 shown]
	s_waitcnt vmcnt(24) lgkmcnt(0)
	v_fma_f64 v[119:120], v[143:144], v[123:124], v[119:120]
	s_waitcnt vmcnt(19)
	v_fma_f64 v[127:128], v[127:128], v[125:126], v[119:120]
	ds_read_b128 v[119:122], v118 offset:688
	ds_read_b128 v[123:126], v118 offset:704
	s_waitcnt vmcnt(18) lgkmcnt(1)
	v_fma_f64 v[119:120], v[151:152], v[119:120], v[127:128]
	s_waitcnt vmcnt(17)
	v_fma_f64 v[119:120], v[149:150], v[121:122], v[119:120]
	buffer_load_dword v128, off, s[0:3], 0 offset:316
	buffer_load_dword v143, off, s[0:3], 0 offset:336
	;; [unrolled: 1-line block ×8, first 2 shown]
	s_waitcnt vmcnt(24) lgkmcnt(0)
	v_fma_f64 v[119:120], v[129:130], v[123:124], v[119:120]
	s_waitcnt vmcnt(19)
	v_fma_f64 v[129:130], v[131:132], v[125:126], v[119:120]
	ds_read_b128 v[119:122], v118 offset:720
	ds_read_b128 v[123:126], v118 offset:736
	s_waitcnt vmcnt(18) lgkmcnt(1)
	v_fma_f64 v[119:120], v[137:138], v[119:120], v[129:130]
	s_waitcnt vmcnt(17)
	v_fma_f64 v[119:120], v[135:136], v[121:122], v[119:120]
	buffer_load_dword v130, off, s[0:3], 0 offset:348
	buffer_load_dword v131, off, s[0:3], 0 offset:368
	;; [unrolled: 1-line block ×7, first 2 shown]
	s_waitcnt vmcnt(23) lgkmcnt(0)
	v_fma_f64 v[119:120], v[133:134], v[123:124], v[119:120]
	s_waitcnt vmcnt(18)
	v_fma_f64 v[132:133], v[139:140], v[125:126], v[119:120]
	ds_read_b128 v[119:122], v118 offset:752
	ds_read_b128 v[123:126], v118 offset:768
	s_waitcnt vmcnt(17) lgkmcnt(1)
	v_fma_f64 v[119:120], v[147:148], v[119:120], v[132:133]
	buffer_load_dword v132, off, s[0:3], 0 offset:372
	s_waitcnt vmcnt(17)
	v_fma_f64 v[119:120], v[145:146], v[121:122], v[119:120]
	buffer_load_dword v134, off, s[0:3], 0 offset:380
	buffer_load_dword v139, off, s[0:3], 0 offset:400
	;; [unrolled: 1-line block ×8, first 2 shown]
	s_waitcnt vmcnt(24) lgkmcnt(0)
	v_fma_f64 v[119:120], v[141:142], v[123:124], v[119:120]
	s_waitcnt vmcnt(19)
	v_fma_f64 v[127:128], v[127:128], v[125:126], v[119:120]
	ds_read_b128 v[119:122], v118 offset:784
	ds_read_b128 v[123:126], v118 offset:800
	s_waitcnt vmcnt(18) lgkmcnt(1)
	v_fma_f64 v[119:120], v[151:152], v[119:120], v[127:128]
	s_waitcnt vmcnt(17)
	v_fma_f64 v[119:120], v[149:150], v[121:122], v[119:120]
	buffer_load_dword v128, off, s[0:3], 0 offset:412
	buffer_load_dword v141, off, s[0:3], 0 offset:432
	;; [unrolled: 1-line block ×8, first 2 shown]
	s_waitcnt vmcnt(24) lgkmcnt(0)
	v_fma_f64 v[119:120], v[143:144], v[123:124], v[119:120]
	s_waitcnt vmcnt(19)
	v_fma_f64 v[129:130], v[129:130], v[125:126], v[119:120]
	ds_read_b128 v[119:122], v118 offset:816
	ds_read_b128 v[123:126], v118 offset:832
	s_waitcnt vmcnt(18) lgkmcnt(1)
	v_fma_f64 v[119:120], v[137:138], v[119:120], v[129:130]
	s_waitcnt vmcnt(17)
	v_fma_f64 v[119:120], v[135:136], v[121:122], v[119:120]
	buffer_load_dword v130, off, s[0:3], 0 offset:444
	buffer_load_dword v135, off, s[0:3], 0 offset:456
	;; [unrolled: 1-line block ×6, first 2 shown]
	s_waitcnt vmcnt(22) lgkmcnt(0)
	v_fma_f64 v[119:120], v[131:132], v[123:124], v[119:120]
	s_waitcnt vmcnt(17)
	v_fma_f64 v[131:132], v[133:134], v[125:126], v[119:120]
	ds_read_b128 v[119:122], v118 offset:848
	buffer_load_dword v133, off, s[0:3], 0 offset:120
	buffer_load_dword v134, off, s[0:3], 0 offset:124
	ds_read_b128 v[123:126], v118 offset:864
	s_waitcnt vmcnt(18) lgkmcnt(1)
	v_fma_f64 v[119:120], v[147:148], v[119:120], v[131:132]
	s_waitcnt vmcnt(17)
	v_fma_f64 v[119:120], v[145:146], v[121:122], v[119:120]
	s_waitcnt vmcnt(16) lgkmcnt(0)
	v_fma_f64 v[119:120], v[139:140], v[123:124], v[119:120]
	s_waitcnt vmcnt(11)
	v_fma_f64 v[127:128], v[127:128], v[125:126], v[119:120]
	ds_read_b128 v[119:122], v118 offset:880
	ds_read_b128 v[123:126], v118 offset:896
	s_waitcnt vmcnt(10) lgkmcnt(1)
	v_fma_f64 v[119:120], v[151:152], v[119:120], v[127:128]
	s_waitcnt vmcnt(9)
	v_fma_f64 v[119:120], v[149:150], v[121:122], v[119:120]
	s_waitcnt vmcnt(8) lgkmcnt(0)
	v_fma_f64 v[119:120], v[141:142], v[123:124], v[119:120]
	s_waitcnt vmcnt(4)
	v_fma_f64 v[122:123], v[129:130], v[125:126], v[119:120]
	ds_read_b128 v[118:121], v118 offset:912
	s_waitcnt vmcnt(3) lgkmcnt(0)
	v_fma_f64 v[118:119], v[137:138], v[118:119], v[122:123]
	s_waitcnt vmcnt(2)
	v_fma_f64 v[118:119], v[135:136], v[120:121], v[118:119]
	s_waitcnt vmcnt(0)
	v_add_f64 v[118:119], v[133:134], -v[118:119]
	buffer_store_dword v119, off, s[0:3], 0 offset:124
	buffer_store_dword v118, off, s[0:3], 0 offset:120
	s_and_saveexec_b64 s[4:5], vcc
	s_cbranch_execz .LBB121_327
; %bb.326:
	buffer_load_dword v118, off, s[0:3], 0 offset:112
	buffer_load_dword v119, off, s[0:3], 0 offset:116
	v_mov_b32_e32 v120, 0
	buffer_store_dword v120, off, s[0:3], 0 offset:112
	buffer_store_dword v120, off, s[0:3], 0 offset:116
	s_waitcnt vmcnt(2)
	ds_write_b64 v117, v[118:119]
.LBB121_327:
	s_or_b64 exec, exec, s[4:5]
	s_waitcnt lgkmcnt(0)
	; wave barrier
	buffer_load_dword v127, off, s[0:3], 0 offset:120
	buffer_load_dword v128, off, s[0:3], 0 offset:124
	;; [unrolled: 1-line block ×22, first 2 shown]
	v_mov_b32_e32 v118, 0
	ds_read2_b64 v[119:122], v118 offset0:73 offset1:74
	ds_read2_b64 v[123:126], v118 offset0:75 offset1:76
	v_cmp_lt_u32_e32 vcc, 13, v0
	s_waitcnt vmcnt(20) lgkmcnt(1)
	v_fma_f64 v[119:120], v[127:128], v[119:120], 0
	s_waitcnt vmcnt(18)
	v_fma_f64 v[119:120], v[129:130], v[121:122], v[119:120]
	buffer_load_dword v128, off, s[0:3], 0 offset:212
	buffer_load_dword v129, off, s[0:3], 0 offset:232
	;; [unrolled: 1-line block ×7, first 2 shown]
	s_waitcnt vmcnt(23) lgkmcnt(0)
	v_fma_f64 v[119:120], v[131:132], v[123:124], v[119:120]
	s_waitcnt vmcnt(21)
	v_fma_f64 v[130:131], v[133:134], v[125:126], v[119:120]
	ds_read2_b64 v[119:122], v118 offset0:77 offset1:78
	ds_read2_b64 v[123:126], v118 offset0:79 offset1:80
	s_waitcnt vmcnt(19) lgkmcnt(1)
	v_fma_f64 v[119:120], v[135:136], v[119:120], v[130:131]
	buffer_load_dword v130, off, s[0:3], 0 offset:236
	s_waitcnt vmcnt(18)
	v_fma_f64 v[119:120], v[137:138], v[121:122], v[119:120]
	buffer_load_dword v132, off, s[0:3], 0 offset:244
	buffer_load_dword v133, off, s[0:3], 0 offset:264
	;; [unrolled: 1-line block ×7, first 2 shown]
	s_waitcnt vmcnt(23) lgkmcnt(0)
	v_fma_f64 v[119:120], v[139:140], v[123:124], v[119:120]
	s_waitcnt vmcnt(18)
	v_fma_f64 v[139:140], v[141:142], v[125:126], v[119:120]
	ds_read2_b64 v[119:122], v118 offset0:81 offset1:82
	ds_read2_b64 v[123:126], v118 offset0:83 offset1:84
	buffer_load_dword v134, off, s[0:3], 0 offset:268
	s_waitcnt vmcnt(18) lgkmcnt(1)
	v_fma_f64 v[119:120], v[147:148], v[119:120], v[139:140]
	s_waitcnt vmcnt(17)
	v_fma_f64 v[119:120], v[145:146], v[121:122], v[119:120]
	buffer_load_dword v140, off, s[0:3], 0 offset:276
	buffer_load_dword v141, off, s[0:3], 0 offset:296
	;; [unrolled: 1-line block ×8, first 2 shown]
	s_waitcnt vmcnt(24) lgkmcnt(0)
	v_fma_f64 v[119:120], v[143:144], v[123:124], v[119:120]
	s_waitcnt vmcnt(19)
	v_fma_f64 v[127:128], v[127:128], v[125:126], v[119:120]
	ds_read2_b64 v[119:122], v118 offset0:85 offset1:86
	ds_read2_b64 v[123:126], v118 offset0:87 offset1:88
	s_waitcnt vmcnt(18) lgkmcnt(1)
	v_fma_f64 v[119:120], v[151:152], v[119:120], v[127:128]
	s_waitcnt vmcnt(17)
	v_fma_f64 v[119:120], v[149:150], v[121:122], v[119:120]
	buffer_load_dword v128, off, s[0:3], 0 offset:308
	buffer_load_dword v143, off, s[0:3], 0 offset:328
	;; [unrolled: 1-line block ×8, first 2 shown]
	s_waitcnt vmcnt(24) lgkmcnt(0)
	v_fma_f64 v[119:120], v[129:130], v[123:124], v[119:120]
	s_waitcnt vmcnt(19)
	v_fma_f64 v[129:130], v[131:132], v[125:126], v[119:120]
	ds_read2_b64 v[119:122], v118 offset0:89 offset1:90
	ds_read2_b64 v[123:126], v118 offset0:91 offset1:92
	s_waitcnt vmcnt(18) lgkmcnt(1)
	v_fma_f64 v[119:120], v[137:138], v[119:120], v[129:130]
	s_waitcnt vmcnt(17)
	v_fma_f64 v[119:120], v[135:136], v[121:122], v[119:120]
	buffer_load_dword v130, off, s[0:3], 0 offset:340
	buffer_load_dword v131, off, s[0:3], 0 offset:360
	;; [unrolled: 1-line block ×7, first 2 shown]
	s_waitcnt vmcnt(23) lgkmcnt(0)
	v_fma_f64 v[119:120], v[133:134], v[123:124], v[119:120]
	s_waitcnt vmcnt(18)
	v_fma_f64 v[132:133], v[139:140], v[125:126], v[119:120]
	ds_read2_b64 v[119:122], v118 offset0:93 offset1:94
	ds_read2_b64 v[123:126], v118 offset0:95 offset1:96
	s_waitcnt vmcnt(17) lgkmcnt(1)
	v_fma_f64 v[119:120], v[147:148], v[119:120], v[132:133]
	buffer_load_dword v132, off, s[0:3], 0 offset:364
	s_waitcnt vmcnt(17)
	v_fma_f64 v[119:120], v[145:146], v[121:122], v[119:120]
	buffer_load_dword v134, off, s[0:3], 0 offset:372
	buffer_load_dword v139, off, s[0:3], 0 offset:392
	buffer_load_dword v145, off, s[0:3], 0 offset:384
	buffer_load_dword v147, off, s[0:3], 0 offset:376
	buffer_load_dword v133, off, s[0:3], 0 offset:368
	buffer_load_dword v148, off, s[0:3], 0 offset:380
	buffer_load_dword v146, off, s[0:3], 0 offset:388
	buffer_load_dword v140, off, s[0:3], 0 offset:396
	s_waitcnt vmcnt(24) lgkmcnt(0)
	v_fma_f64 v[119:120], v[141:142], v[123:124], v[119:120]
	s_waitcnt vmcnt(19)
	v_fma_f64 v[127:128], v[127:128], v[125:126], v[119:120]
	ds_read2_b64 v[119:122], v118 offset0:97 offset1:98
	ds_read2_b64 v[123:126], v118 offset0:99 offset1:100
	s_waitcnt vmcnt(18) lgkmcnt(1)
	v_fma_f64 v[119:120], v[151:152], v[119:120], v[127:128]
	s_waitcnt vmcnt(17)
	v_fma_f64 v[119:120], v[149:150], v[121:122], v[119:120]
	buffer_load_dword v128, off, s[0:3], 0 offset:404
	buffer_load_dword v141, off, s[0:3], 0 offset:424
	buffer_load_dword v149, off, s[0:3], 0 offset:416
	buffer_load_dword v151, off, s[0:3], 0 offset:408
	buffer_load_dword v127, off, s[0:3], 0 offset:400
	buffer_load_dword v152, off, s[0:3], 0 offset:412
	buffer_load_dword v150, off, s[0:3], 0 offset:420
	buffer_load_dword v142, off, s[0:3], 0 offset:428
	s_waitcnt vmcnt(24) lgkmcnt(0)
	v_fma_f64 v[119:120], v[143:144], v[123:124], v[119:120]
	s_waitcnt vmcnt(19)
	v_fma_f64 v[129:130], v[129:130], v[125:126], v[119:120]
	ds_read2_b64 v[119:122], v118 offset0:101 offset1:102
	ds_read2_b64 v[123:126], v118 offset0:103 offset1:104
	s_waitcnt vmcnt(18) lgkmcnt(1)
	v_fma_f64 v[119:120], v[137:138], v[119:120], v[129:130]
	s_waitcnt vmcnt(17)
	v_fma_f64 v[119:120], v[135:136], v[121:122], v[119:120]
	buffer_load_dword v130, off, s[0:3], 0 offset:436
	buffer_load_dword v135, off, s[0:3], 0 offset:456
	buffer_load_dword v137, off, s[0:3], 0 offset:448
	buffer_load_dword v143, off, s[0:3], 0 offset:440
	buffer_load_dword v129, off, s[0:3], 0 offset:432
	buffer_load_dword v144, off, s[0:3], 0 offset:444
	buffer_load_dword v138, off, s[0:3], 0 offset:452
	buffer_load_dword v136, off, s[0:3], 0 offset:460
	s_waitcnt vmcnt(24) lgkmcnt(0)
	v_fma_f64 v[119:120], v[131:132], v[123:124], v[119:120]
	s_waitcnt vmcnt(19)
	v_fma_f64 v[131:132], v[133:134], v[125:126], v[119:120]
	ds_read2_b64 v[119:122], v118 offset0:105 offset1:106
	ds_read2_b64 v[123:126], v118 offset0:107 offset1:108
	s_waitcnt vmcnt(18) lgkmcnt(1)
	v_fma_f64 v[119:120], v[147:148], v[119:120], v[131:132]
	buffer_load_dword v131, off, s[0:3], 0 offset:112
	buffer_load_dword v132, off, s[0:3], 0 offset:116
	s_waitcnt vmcnt(19)
	v_fma_f64 v[119:120], v[145:146], v[121:122], v[119:120]
	s_waitcnt vmcnt(18) lgkmcnt(0)
	v_fma_f64 v[119:120], v[139:140], v[123:124], v[119:120]
	s_waitcnt vmcnt(13)
	v_fma_f64 v[127:128], v[127:128], v[125:126], v[119:120]
	ds_read2_b64 v[119:122], v118 offset0:109 offset1:110
	ds_read2_b64 v[123:126], v118 offset0:111 offset1:112
	s_waitcnt vmcnt(12) lgkmcnt(1)
	v_fma_f64 v[119:120], v[151:152], v[119:120], v[127:128]
	s_waitcnt vmcnt(11)
	v_fma_f64 v[119:120], v[149:150], v[121:122], v[119:120]
	s_waitcnt vmcnt(10) lgkmcnt(0)
	v_fma_f64 v[119:120], v[141:142], v[123:124], v[119:120]
	s_waitcnt vmcnt(5)
	v_fma_f64 v[123:124], v[129:130], v[125:126], v[119:120]
	ds_read2_b64 v[119:122], v118 offset0:113 offset1:114
	ds_read_b64 v[125:126], v118 offset:920
	s_waitcnt vmcnt(4) lgkmcnt(1)
	v_fma_f64 v[119:120], v[143:144], v[119:120], v[123:124]
	s_waitcnt vmcnt(3)
	v_fma_f64 v[119:120], v[137:138], v[121:122], v[119:120]
	s_waitcnt vmcnt(2) lgkmcnt(0)
	v_fma_f64 v[119:120], v[135:136], v[125:126], v[119:120]
	s_waitcnt vmcnt(0)
	v_add_f64 v[119:120], v[131:132], -v[119:120]
	buffer_store_dword v120, off, s[0:3], 0 offset:116
	buffer_store_dword v119, off, s[0:3], 0 offset:112
	s_and_saveexec_b64 s[4:5], vcc
	s_cbranch_execz .LBB121_329
; %bb.328:
	buffer_load_dword v119, off, s[0:3], 0 offset:104
	buffer_load_dword v120, off, s[0:3], 0 offset:108
	s_waitcnt vmcnt(0)
	ds_write_b64 v117, v[119:120]
	buffer_store_dword v118, off, s[0:3], 0 offset:104
	buffer_store_dword v118, off, s[0:3], 0 offset:108
.LBB121_329:
	s_or_b64 exec, exec, s[4:5]
	s_waitcnt lgkmcnt(0)
	; wave barrier
	buffer_load_dword v127, off, s[0:3], 0 offset:112
	buffer_load_dword v128, off, s[0:3], 0 offset:116
	;; [unrolled: 1-line block ×22, first 2 shown]
	ds_read_b128 v[119:122], v118 offset:576
	ds_read_b128 v[123:126], v118 offset:592
	v_cmp_lt_u32_e32 vcc, 12, v0
	s_waitcnt vmcnt(20) lgkmcnt(1)
	v_fma_f64 v[119:120], v[127:128], v[119:120], 0
	s_waitcnt vmcnt(18)
	v_fma_f64 v[119:120], v[129:130], v[121:122], v[119:120]
	buffer_load_dword v128, off, s[0:3], 0 offset:204
	buffer_load_dword v129, off, s[0:3], 0 offset:224
	;; [unrolled: 1-line block ×7, first 2 shown]
	s_waitcnt vmcnt(23) lgkmcnt(0)
	v_fma_f64 v[119:120], v[131:132], v[123:124], v[119:120]
	s_waitcnt vmcnt(21)
	v_fma_f64 v[130:131], v[133:134], v[125:126], v[119:120]
	ds_read_b128 v[119:122], v118 offset:608
	ds_read_b128 v[123:126], v118 offset:624
	s_waitcnt vmcnt(19) lgkmcnt(1)
	v_fma_f64 v[119:120], v[135:136], v[119:120], v[130:131]
	buffer_load_dword v130, off, s[0:3], 0 offset:228
	s_waitcnt vmcnt(18)
	v_fma_f64 v[119:120], v[137:138], v[121:122], v[119:120]
	buffer_load_dword v132, off, s[0:3], 0 offset:236
	buffer_load_dword v133, off, s[0:3], 0 offset:256
	;; [unrolled: 1-line block ×7, first 2 shown]
	s_waitcnt vmcnt(23) lgkmcnt(0)
	v_fma_f64 v[119:120], v[139:140], v[123:124], v[119:120]
	s_waitcnt vmcnt(18)
	v_fma_f64 v[139:140], v[141:142], v[125:126], v[119:120]
	ds_read_b128 v[119:122], v118 offset:640
	ds_read_b128 v[123:126], v118 offset:656
	buffer_load_dword v134, off, s[0:3], 0 offset:260
	s_waitcnt vmcnt(18) lgkmcnt(1)
	v_fma_f64 v[119:120], v[147:148], v[119:120], v[139:140]
	s_waitcnt vmcnt(17)
	v_fma_f64 v[119:120], v[145:146], v[121:122], v[119:120]
	buffer_load_dword v140, off, s[0:3], 0 offset:268
	buffer_load_dword v141, off, s[0:3], 0 offset:288
	;; [unrolled: 1-line block ×8, first 2 shown]
	s_waitcnt vmcnt(24) lgkmcnt(0)
	v_fma_f64 v[119:120], v[143:144], v[123:124], v[119:120]
	s_waitcnt vmcnt(19)
	v_fma_f64 v[127:128], v[127:128], v[125:126], v[119:120]
	ds_read_b128 v[119:122], v118 offset:672
	ds_read_b128 v[123:126], v118 offset:688
	s_waitcnt vmcnt(18) lgkmcnt(1)
	v_fma_f64 v[119:120], v[151:152], v[119:120], v[127:128]
	s_waitcnt vmcnt(17)
	v_fma_f64 v[119:120], v[149:150], v[121:122], v[119:120]
	buffer_load_dword v128, off, s[0:3], 0 offset:300
	buffer_load_dword v143, off, s[0:3], 0 offset:320
	;; [unrolled: 1-line block ×8, first 2 shown]
	s_waitcnt vmcnt(24) lgkmcnt(0)
	v_fma_f64 v[119:120], v[129:130], v[123:124], v[119:120]
	s_waitcnt vmcnt(19)
	v_fma_f64 v[129:130], v[131:132], v[125:126], v[119:120]
	ds_read_b128 v[119:122], v118 offset:704
	ds_read_b128 v[123:126], v118 offset:720
	s_waitcnt vmcnt(18) lgkmcnt(1)
	v_fma_f64 v[119:120], v[137:138], v[119:120], v[129:130]
	s_waitcnt vmcnt(17)
	v_fma_f64 v[119:120], v[135:136], v[121:122], v[119:120]
	buffer_load_dword v130, off, s[0:3], 0 offset:332
	buffer_load_dword v131, off, s[0:3], 0 offset:352
	;; [unrolled: 1-line block ×7, first 2 shown]
	s_waitcnt vmcnt(23) lgkmcnt(0)
	v_fma_f64 v[119:120], v[133:134], v[123:124], v[119:120]
	s_waitcnt vmcnt(18)
	v_fma_f64 v[132:133], v[139:140], v[125:126], v[119:120]
	ds_read_b128 v[119:122], v118 offset:736
	ds_read_b128 v[123:126], v118 offset:752
	s_waitcnt vmcnt(17) lgkmcnt(1)
	v_fma_f64 v[119:120], v[147:148], v[119:120], v[132:133]
	buffer_load_dword v132, off, s[0:3], 0 offset:356
	s_waitcnt vmcnt(17)
	v_fma_f64 v[119:120], v[145:146], v[121:122], v[119:120]
	buffer_load_dword v134, off, s[0:3], 0 offset:364
	buffer_load_dword v139, off, s[0:3], 0 offset:384
	buffer_load_dword v145, off, s[0:3], 0 offset:376
	buffer_load_dword v147, off, s[0:3], 0 offset:368
	buffer_load_dword v133, off, s[0:3], 0 offset:360
	buffer_load_dword v148, off, s[0:3], 0 offset:372
	buffer_load_dword v146, off, s[0:3], 0 offset:380
	buffer_load_dword v140, off, s[0:3], 0 offset:388
	s_waitcnt vmcnt(24) lgkmcnt(0)
	v_fma_f64 v[119:120], v[141:142], v[123:124], v[119:120]
	s_waitcnt vmcnt(19)
	v_fma_f64 v[127:128], v[127:128], v[125:126], v[119:120]
	ds_read_b128 v[119:122], v118 offset:768
	ds_read_b128 v[123:126], v118 offset:784
	s_waitcnt vmcnt(18) lgkmcnt(1)
	v_fma_f64 v[119:120], v[151:152], v[119:120], v[127:128]
	s_waitcnt vmcnt(17)
	v_fma_f64 v[119:120], v[149:150], v[121:122], v[119:120]
	buffer_load_dword v128, off, s[0:3], 0 offset:396
	buffer_load_dword v141, off, s[0:3], 0 offset:416
	buffer_load_dword v149, off, s[0:3], 0 offset:408
	buffer_load_dword v151, off, s[0:3], 0 offset:400
	buffer_load_dword v127, off, s[0:3], 0 offset:392
	buffer_load_dword v152, off, s[0:3], 0 offset:404
	buffer_load_dword v150, off, s[0:3], 0 offset:412
	buffer_load_dword v142, off, s[0:3], 0 offset:420
	s_waitcnt vmcnt(24) lgkmcnt(0)
	v_fma_f64 v[119:120], v[143:144], v[123:124], v[119:120]
	s_waitcnt vmcnt(19)
	v_fma_f64 v[129:130], v[129:130], v[125:126], v[119:120]
	ds_read_b128 v[119:122], v118 offset:800
	ds_read_b128 v[123:126], v118 offset:816
	s_waitcnt vmcnt(18) lgkmcnt(1)
	v_fma_f64 v[119:120], v[137:138], v[119:120], v[129:130]
	s_waitcnt vmcnt(17)
	v_fma_f64 v[119:120], v[135:136], v[121:122], v[119:120]
	buffer_load_dword v130, off, s[0:3], 0 offset:428
	buffer_load_dword v135, off, s[0:3], 0 offset:448
	buffer_load_dword v137, off, s[0:3], 0 offset:440
	buffer_load_dword v143, off, s[0:3], 0 offset:432
	buffer_load_dword v129, off, s[0:3], 0 offset:424
	buffer_load_dword v144, off, s[0:3], 0 offset:436
	buffer_load_dword v138, off, s[0:3], 0 offset:444
	buffer_load_dword v136, off, s[0:3], 0 offset:452
	s_waitcnt vmcnt(24) lgkmcnt(0)
	v_fma_f64 v[119:120], v[131:132], v[123:124], v[119:120]
	s_waitcnt vmcnt(19)
	v_fma_f64 v[131:132], v[133:134], v[125:126], v[119:120]
	ds_read_b128 v[119:122], v118 offset:832
	ds_read_b128 v[123:126], v118 offset:848
	s_waitcnt vmcnt(18) lgkmcnt(1)
	v_fma_f64 v[119:120], v[147:148], v[119:120], v[131:132]
	buffer_load_dword v132, off, s[0:3], 0 offset:460
	buffer_load_dword v131, off, s[0:3], 0 offset:456
	;; [unrolled: 1-line block ×4, first 2 shown]
	s_waitcnt vmcnt(21)
	v_fma_f64 v[119:120], v[145:146], v[121:122], v[119:120]
	s_waitcnt vmcnt(20) lgkmcnt(0)
	v_fma_f64 v[119:120], v[139:140], v[123:124], v[119:120]
	s_waitcnt vmcnt(15)
	v_fma_f64 v[127:128], v[127:128], v[125:126], v[119:120]
	ds_read_b128 v[119:122], v118 offset:864
	ds_read_b128 v[123:126], v118 offset:880
	s_waitcnt vmcnt(14) lgkmcnt(1)
	v_fma_f64 v[119:120], v[151:152], v[119:120], v[127:128]
	s_waitcnt vmcnt(13)
	v_fma_f64 v[119:120], v[149:150], v[121:122], v[119:120]
	s_waitcnt vmcnt(12) lgkmcnt(0)
	v_fma_f64 v[119:120], v[141:142], v[123:124], v[119:120]
	s_waitcnt vmcnt(7)
	v_fma_f64 v[127:128], v[129:130], v[125:126], v[119:120]
	ds_read_b128 v[119:122], v118 offset:896
	ds_read_b128 v[123:126], v118 offset:912
	s_waitcnt vmcnt(6) lgkmcnt(1)
	v_fma_f64 v[118:119], v[143:144], v[119:120], v[127:128]
	s_waitcnt vmcnt(5)
	v_fma_f64 v[118:119], v[137:138], v[121:122], v[118:119]
	s_waitcnt vmcnt(4) lgkmcnt(0)
	v_fma_f64 v[118:119], v[135:136], v[123:124], v[118:119]
	s_waitcnt vmcnt(2)
	v_fma_f64 v[118:119], v[131:132], v[125:126], v[118:119]
	s_waitcnt vmcnt(0)
	v_add_f64 v[118:119], v[133:134], -v[118:119]
	buffer_store_dword v119, off, s[0:3], 0 offset:108
	buffer_store_dword v118, off, s[0:3], 0 offset:104
	s_and_saveexec_b64 s[4:5], vcc
	s_cbranch_execz .LBB121_331
; %bb.330:
	buffer_load_dword v118, off, s[0:3], 0 offset:96
	buffer_load_dword v119, off, s[0:3], 0 offset:100
	v_mov_b32_e32 v120, 0
	buffer_store_dword v120, off, s[0:3], 0 offset:96
	buffer_store_dword v120, off, s[0:3], 0 offset:100
	s_waitcnt vmcnt(2)
	ds_write_b64 v117, v[118:119]
.LBB121_331:
	s_or_b64 exec, exec, s[4:5]
	s_waitcnt lgkmcnt(0)
	; wave barrier
	buffer_load_dword v127, off, s[0:3], 0 offset:104
	buffer_load_dword v128, off, s[0:3], 0 offset:108
	buffer_load_dword v129, off, s[0:3], 0 offset:112
	buffer_load_dword v130, off, s[0:3], 0 offset:116
	buffer_load_dword v131, off, s[0:3], 0 offset:120
	buffer_load_dword v132, off, s[0:3], 0 offset:124
	buffer_load_dword v133, off, s[0:3], 0 offset:128
	buffer_load_dword v134, off, s[0:3], 0 offset:132
	buffer_load_dword v135, off, s[0:3], 0 offset:136
	buffer_load_dword v136, off, s[0:3], 0 offset:140
	buffer_load_dword v137, off, s[0:3], 0 offset:144
	buffer_load_dword v138, off, s[0:3], 0 offset:148
	buffer_load_dword v139, off, s[0:3], 0 offset:152
	buffer_load_dword v140, off, s[0:3], 0 offset:156
	buffer_load_dword v142, off, s[0:3], 0 offset:164
	buffer_load_dword v143, off, s[0:3], 0 offset:184
	buffer_load_dword v145, off, s[0:3], 0 offset:176
	buffer_load_dword v147, off, s[0:3], 0 offset:168
	buffer_load_dword v141, off, s[0:3], 0 offset:160
	buffer_load_dword v148, off, s[0:3], 0 offset:172
	buffer_load_dword v146, off, s[0:3], 0 offset:180
	v_mov_b32_e32 v118, 0
	ds_read2_b64 v[119:122], v118 offset0:71 offset1:72
	ds_read2_b64 v[123:126], v118 offset0:73 offset1:74
	buffer_load_dword v144, off, s[0:3], 0 offset:188
	v_cmp_lt_u32_e32 vcc, 11, v0
	s_waitcnt vmcnt(20) lgkmcnt(1)
	v_fma_f64 v[119:120], v[127:128], v[119:120], 0
	s_waitcnt vmcnt(18)
	v_fma_f64 v[119:120], v[129:130], v[121:122], v[119:120]
	buffer_load_dword v128, off, s[0:3], 0 offset:196
	buffer_load_dword v129, off, s[0:3], 0 offset:216
	;; [unrolled: 1-line block ×7, first 2 shown]
	s_waitcnt vmcnt(23) lgkmcnt(0)
	v_fma_f64 v[119:120], v[131:132], v[123:124], v[119:120]
	s_waitcnt vmcnt(21)
	v_fma_f64 v[130:131], v[133:134], v[125:126], v[119:120]
	ds_read2_b64 v[119:122], v118 offset0:75 offset1:76
	ds_read2_b64 v[123:126], v118 offset0:77 offset1:78
	s_waitcnt vmcnt(19) lgkmcnt(1)
	v_fma_f64 v[119:120], v[135:136], v[119:120], v[130:131]
	buffer_load_dword v130, off, s[0:3], 0 offset:220
	s_waitcnt vmcnt(18)
	v_fma_f64 v[119:120], v[137:138], v[121:122], v[119:120]
	buffer_load_dword v132, off, s[0:3], 0 offset:228
	buffer_load_dword v133, off, s[0:3], 0 offset:248
	;; [unrolled: 1-line block ×7, first 2 shown]
	s_waitcnt vmcnt(23) lgkmcnt(0)
	v_fma_f64 v[119:120], v[139:140], v[123:124], v[119:120]
	s_waitcnt vmcnt(18)
	v_fma_f64 v[139:140], v[141:142], v[125:126], v[119:120]
	ds_read2_b64 v[119:122], v118 offset0:79 offset1:80
	ds_read2_b64 v[123:126], v118 offset0:81 offset1:82
	buffer_load_dword v134, off, s[0:3], 0 offset:252
	s_waitcnt vmcnt(18) lgkmcnt(1)
	v_fma_f64 v[119:120], v[147:148], v[119:120], v[139:140]
	s_waitcnt vmcnt(17)
	v_fma_f64 v[119:120], v[145:146], v[121:122], v[119:120]
	buffer_load_dword v140, off, s[0:3], 0 offset:260
	buffer_load_dword v141, off, s[0:3], 0 offset:280
	;; [unrolled: 1-line block ×7, first 2 shown]
	s_waitcnt vmcnt(23) lgkmcnt(0)
	v_fma_f64 v[119:120], v[143:144], v[123:124], v[119:120]
	s_waitcnt vmcnt(18)
	v_fma_f64 v[127:128], v[127:128], v[125:126], v[119:120]
	ds_read2_b64 v[119:122], v118 offset0:83 offset1:84
	ds_read2_b64 v[123:126], v118 offset0:85 offset1:86
	buffer_load_dword v142, off, s[0:3], 0 offset:284
	s_waitcnt vmcnt(18) lgkmcnt(1)
	v_fma_f64 v[119:120], v[151:152], v[119:120], v[127:128]
	s_waitcnt vmcnt(17)
	v_fma_f64 v[119:120], v[149:150], v[121:122], v[119:120]
	buffer_load_dword v128, off, s[0:3], 0 offset:292
	buffer_load_dword v143, off, s[0:3], 0 offset:312
	;; [unrolled: 1-line block ×8, first 2 shown]
	s_waitcnt vmcnt(24) lgkmcnt(0)
	v_fma_f64 v[119:120], v[129:130], v[123:124], v[119:120]
	s_waitcnt vmcnt(19)
	v_fma_f64 v[129:130], v[131:132], v[125:126], v[119:120]
	ds_read2_b64 v[119:122], v118 offset0:87 offset1:88
	ds_read2_b64 v[123:126], v118 offset0:89 offset1:90
	s_waitcnt vmcnt(18) lgkmcnt(1)
	v_fma_f64 v[119:120], v[137:138], v[119:120], v[129:130]
	s_waitcnt vmcnt(17)
	v_fma_f64 v[119:120], v[135:136], v[121:122], v[119:120]
	buffer_load_dword v130, off, s[0:3], 0 offset:324
	buffer_load_dword v131, off, s[0:3], 0 offset:344
	;; [unrolled: 1-line block ×7, first 2 shown]
	s_waitcnt vmcnt(23) lgkmcnt(0)
	v_fma_f64 v[119:120], v[133:134], v[123:124], v[119:120]
	s_waitcnt vmcnt(18)
	v_fma_f64 v[132:133], v[139:140], v[125:126], v[119:120]
	ds_read2_b64 v[119:122], v118 offset0:91 offset1:92
	ds_read2_b64 v[123:126], v118 offset0:93 offset1:94
	s_waitcnt vmcnt(17) lgkmcnt(1)
	v_fma_f64 v[119:120], v[147:148], v[119:120], v[132:133]
	buffer_load_dword v132, off, s[0:3], 0 offset:348
	s_waitcnt vmcnt(17)
	v_fma_f64 v[119:120], v[145:146], v[121:122], v[119:120]
	buffer_load_dword v134, off, s[0:3], 0 offset:356
	buffer_load_dword v139, off, s[0:3], 0 offset:376
	;; [unrolled: 1-line block ×7, first 2 shown]
	s_waitcnt vmcnt(23) lgkmcnt(0)
	v_fma_f64 v[119:120], v[141:142], v[123:124], v[119:120]
	s_waitcnt vmcnt(18)
	v_fma_f64 v[127:128], v[127:128], v[125:126], v[119:120]
	ds_read2_b64 v[119:122], v118 offset0:95 offset1:96
	ds_read2_b64 v[123:126], v118 offset0:97 offset1:98
	buffer_load_dword v140, off, s[0:3], 0 offset:380
	s_waitcnt vmcnt(18) lgkmcnt(1)
	v_fma_f64 v[119:120], v[151:152], v[119:120], v[127:128]
	s_waitcnt vmcnt(17)
	v_fma_f64 v[119:120], v[149:150], v[121:122], v[119:120]
	buffer_load_dword v128, off, s[0:3], 0 offset:388
	buffer_load_dword v141, off, s[0:3], 0 offset:408
	buffer_load_dword v149, off, s[0:3], 0 offset:400
	buffer_load_dword v151, off, s[0:3], 0 offset:392
	buffer_load_dword v127, off, s[0:3], 0 offset:384
	buffer_load_dword v152, off, s[0:3], 0 offset:396
	buffer_load_dword v150, off, s[0:3], 0 offset:404
	buffer_load_dword v142, off, s[0:3], 0 offset:412
	s_waitcnt vmcnt(24) lgkmcnt(0)
	v_fma_f64 v[119:120], v[143:144], v[123:124], v[119:120]
	s_waitcnt vmcnt(19)
	v_fma_f64 v[129:130], v[129:130], v[125:126], v[119:120]
	ds_read2_b64 v[119:122], v118 offset0:99 offset1:100
	ds_read2_b64 v[123:126], v118 offset0:101 offset1:102
	s_waitcnt vmcnt(18) lgkmcnt(1)
	v_fma_f64 v[119:120], v[137:138], v[119:120], v[129:130]
	s_waitcnt vmcnt(17)
	v_fma_f64 v[119:120], v[135:136], v[121:122], v[119:120]
	buffer_load_dword v130, off, s[0:3], 0 offset:420
	buffer_load_dword v135, off, s[0:3], 0 offset:440
	;; [unrolled: 1-line block ×7, first 2 shown]
	s_waitcnt vmcnt(23) lgkmcnt(0)
	v_fma_f64 v[119:120], v[131:132], v[123:124], v[119:120]
	s_waitcnt vmcnt(18)
	v_fma_f64 v[131:132], v[133:134], v[125:126], v[119:120]
	ds_read2_b64 v[119:122], v118 offset0:103 offset1:104
	ds_read2_b64 v[123:126], v118 offset0:105 offset1:106
	buffer_load_dword v136, off, s[0:3], 0 offset:444
	s_waitcnt vmcnt(18) lgkmcnt(1)
	v_fma_f64 v[119:120], v[147:148], v[119:120], v[131:132]
	buffer_load_dword v132, off, s[0:3], 0 offset:452
	buffer_load_dword v133, off, s[0:3], 0 offset:456
	;; [unrolled: 1-line block ×4, first 2 shown]
	s_waitcnt vmcnt(21)
	v_fma_f64 v[119:120], v[145:146], v[121:122], v[119:120]
	s_waitcnt vmcnt(20) lgkmcnt(0)
	v_fma_f64 v[119:120], v[139:140], v[123:124], v[119:120]
	buffer_load_dword v139, off, s[0:3], 0 offset:96
	buffer_load_dword v140, off, s[0:3], 0 offset:100
	s_waitcnt vmcnt(17)
	v_fma_f64 v[127:128], v[127:128], v[125:126], v[119:120]
	ds_read2_b64 v[119:122], v118 offset0:107 offset1:108
	ds_read2_b64 v[123:126], v118 offset0:109 offset1:110
	s_waitcnt vmcnt(16) lgkmcnt(1)
	v_fma_f64 v[119:120], v[151:152], v[119:120], v[127:128]
	s_waitcnt vmcnt(15)
	v_fma_f64 v[119:120], v[149:150], v[121:122], v[119:120]
	s_waitcnt vmcnt(14) lgkmcnt(0)
	v_fma_f64 v[119:120], v[141:142], v[123:124], v[119:120]
	s_waitcnt vmcnt(9)
	v_fma_f64 v[127:128], v[129:130], v[125:126], v[119:120]
	ds_read2_b64 v[119:122], v118 offset0:111 offset1:112
	ds_read2_b64 v[123:126], v118 offset0:113 offset1:114
	s_waitcnt vmcnt(8) lgkmcnt(1)
	v_fma_f64 v[119:120], v[143:144], v[119:120], v[127:128]
	s_waitcnt vmcnt(7)
	v_fma_f64 v[119:120], v[137:138], v[121:122], v[119:120]
	ds_read_b64 v[121:122], v118 offset:920
	s_waitcnt vmcnt(6) lgkmcnt(1)
	v_fma_f64 v[119:120], v[135:136], v[123:124], v[119:120]
	s_waitcnt vmcnt(3)
	v_fma_f64 v[119:120], v[131:132], v[125:126], v[119:120]
	s_waitcnt vmcnt(2) lgkmcnt(0)
	v_fma_f64 v[119:120], v[133:134], v[121:122], v[119:120]
	s_waitcnt vmcnt(0)
	v_add_f64 v[119:120], v[139:140], -v[119:120]
	buffer_store_dword v120, off, s[0:3], 0 offset:100
	buffer_store_dword v119, off, s[0:3], 0 offset:96
	s_and_saveexec_b64 s[4:5], vcc
	s_cbranch_execz .LBB121_333
; %bb.332:
	buffer_load_dword v119, off, s[0:3], 0 offset:88
	buffer_load_dword v120, off, s[0:3], 0 offset:92
	s_waitcnt vmcnt(0)
	ds_write_b64 v117, v[119:120]
	buffer_store_dword v118, off, s[0:3], 0 offset:88
	buffer_store_dword v118, off, s[0:3], 0 offset:92
.LBB121_333:
	s_or_b64 exec, exec, s[4:5]
	s_waitcnt lgkmcnt(0)
	; wave barrier
	buffer_load_dword v127, off, s[0:3], 0 offset:96
	buffer_load_dword v128, off, s[0:3], 0 offset:100
	;; [unrolled: 1-line block ×21, first 2 shown]
	ds_read_b128 v[119:122], v118 offset:560
	ds_read_b128 v[123:126], v118 offset:576
	buffer_load_dword v144, off, s[0:3], 0 offset:180
	v_cmp_lt_u32_e32 vcc, 10, v0
	s_waitcnt vmcnt(20) lgkmcnt(1)
	v_fma_f64 v[119:120], v[127:128], v[119:120], 0
	s_waitcnt vmcnt(18)
	v_fma_f64 v[119:120], v[129:130], v[121:122], v[119:120]
	buffer_load_dword v128, off, s[0:3], 0 offset:188
	buffer_load_dword v129, off, s[0:3], 0 offset:208
	;; [unrolled: 1-line block ×7, first 2 shown]
	s_waitcnt vmcnt(23) lgkmcnt(0)
	v_fma_f64 v[119:120], v[131:132], v[123:124], v[119:120]
	s_waitcnt vmcnt(21)
	v_fma_f64 v[130:131], v[133:134], v[125:126], v[119:120]
	ds_read_b128 v[119:122], v118 offset:592
	ds_read_b128 v[123:126], v118 offset:608
	s_waitcnt vmcnt(19) lgkmcnt(1)
	v_fma_f64 v[119:120], v[135:136], v[119:120], v[130:131]
	buffer_load_dword v130, off, s[0:3], 0 offset:212
	s_waitcnt vmcnt(18)
	v_fma_f64 v[119:120], v[137:138], v[121:122], v[119:120]
	buffer_load_dword v132, off, s[0:3], 0 offset:220
	buffer_load_dword v133, off, s[0:3], 0 offset:240
	buffer_load_dword v135, off, s[0:3], 0 offset:232
	buffer_load_dword v137, off, s[0:3], 0 offset:224
	buffer_load_dword v131, off, s[0:3], 0 offset:216
	buffer_load_dword v138, off, s[0:3], 0 offset:228
	buffer_load_dword v136, off, s[0:3], 0 offset:236
	buffer_load_dword v134, off, s[0:3], 0 offset:244
	s_waitcnt vmcnt(24) lgkmcnt(0)
	v_fma_f64 v[119:120], v[139:140], v[123:124], v[119:120]
	s_waitcnt vmcnt(19)
	v_fma_f64 v[139:140], v[141:142], v[125:126], v[119:120]
	ds_read_b128 v[119:122], v118 offset:624
	ds_read_b128 v[123:126], v118 offset:640
	s_waitcnt vmcnt(18) lgkmcnt(1)
	v_fma_f64 v[119:120], v[147:148], v[119:120], v[139:140]
	s_waitcnt vmcnt(17)
	v_fma_f64 v[119:120], v[145:146], v[121:122], v[119:120]
	buffer_load_dword v140, off, s[0:3], 0 offset:252
	buffer_load_dword v141, off, s[0:3], 0 offset:272
	;; [unrolled: 1-line block ×7, first 2 shown]
	s_waitcnt vmcnt(23) lgkmcnt(0)
	v_fma_f64 v[119:120], v[143:144], v[123:124], v[119:120]
	s_waitcnt vmcnt(18)
	v_fma_f64 v[127:128], v[127:128], v[125:126], v[119:120]
	ds_read_b128 v[119:122], v118 offset:656
	ds_read_b128 v[123:126], v118 offset:672
	buffer_load_dword v142, off, s[0:3], 0 offset:276
	s_waitcnt vmcnt(18) lgkmcnt(1)
	v_fma_f64 v[119:120], v[151:152], v[119:120], v[127:128]
	s_waitcnt vmcnt(17)
	v_fma_f64 v[119:120], v[149:150], v[121:122], v[119:120]
	buffer_load_dword v128, off, s[0:3], 0 offset:284
	buffer_load_dword v143, off, s[0:3], 0 offset:304
	;; [unrolled: 1-line block ×8, first 2 shown]
	s_waitcnt vmcnt(24) lgkmcnt(0)
	v_fma_f64 v[119:120], v[129:130], v[123:124], v[119:120]
	s_waitcnt vmcnt(19)
	v_fma_f64 v[129:130], v[131:132], v[125:126], v[119:120]
	ds_read_b128 v[119:122], v118 offset:688
	ds_read_b128 v[123:126], v118 offset:704
	s_waitcnt vmcnt(18) lgkmcnt(1)
	v_fma_f64 v[119:120], v[137:138], v[119:120], v[129:130]
	s_waitcnt vmcnt(17)
	v_fma_f64 v[119:120], v[135:136], v[121:122], v[119:120]
	buffer_load_dword v130, off, s[0:3], 0 offset:316
	buffer_load_dword v131, off, s[0:3], 0 offset:336
	;; [unrolled: 1-line block ×7, first 2 shown]
	s_waitcnt vmcnt(23) lgkmcnt(0)
	v_fma_f64 v[119:120], v[133:134], v[123:124], v[119:120]
	s_waitcnt vmcnt(18)
	v_fma_f64 v[132:133], v[139:140], v[125:126], v[119:120]
	ds_read_b128 v[119:122], v118 offset:720
	ds_read_b128 v[123:126], v118 offset:736
	s_waitcnt vmcnt(17) lgkmcnt(1)
	v_fma_f64 v[119:120], v[147:148], v[119:120], v[132:133]
	buffer_load_dword v132, off, s[0:3], 0 offset:340
	s_waitcnt vmcnt(17)
	v_fma_f64 v[119:120], v[145:146], v[121:122], v[119:120]
	buffer_load_dword v134, off, s[0:3], 0 offset:348
	buffer_load_dword v139, off, s[0:3], 0 offset:368
	;; [unrolled: 1-line block ×7, first 2 shown]
	s_waitcnt vmcnt(23) lgkmcnt(0)
	v_fma_f64 v[119:120], v[141:142], v[123:124], v[119:120]
	s_waitcnt vmcnt(18)
	v_fma_f64 v[127:128], v[127:128], v[125:126], v[119:120]
	ds_read_b128 v[119:122], v118 offset:752
	ds_read_b128 v[123:126], v118 offset:768
	buffer_load_dword v140, off, s[0:3], 0 offset:372
	s_waitcnt vmcnt(18) lgkmcnt(1)
	v_fma_f64 v[119:120], v[151:152], v[119:120], v[127:128]
	s_waitcnt vmcnt(17)
	v_fma_f64 v[119:120], v[149:150], v[121:122], v[119:120]
	buffer_load_dword v128, off, s[0:3], 0 offset:380
	buffer_load_dword v141, off, s[0:3], 0 offset:400
	buffer_load_dword v149, off, s[0:3], 0 offset:392
	buffer_load_dword v151, off, s[0:3], 0 offset:384
	buffer_load_dword v127, off, s[0:3], 0 offset:376
	buffer_load_dword v152, off, s[0:3], 0 offset:388
	buffer_load_dword v150, off, s[0:3], 0 offset:396
	buffer_load_dword v142, off, s[0:3], 0 offset:404
	s_waitcnt vmcnt(24) lgkmcnt(0)
	v_fma_f64 v[119:120], v[143:144], v[123:124], v[119:120]
	s_waitcnt vmcnt(19)
	v_fma_f64 v[129:130], v[129:130], v[125:126], v[119:120]
	ds_read_b128 v[119:122], v118 offset:784
	ds_read_b128 v[123:126], v118 offset:800
	s_waitcnt vmcnt(18) lgkmcnt(1)
	v_fma_f64 v[119:120], v[137:138], v[119:120], v[129:130]
	s_waitcnt vmcnt(17)
	v_fma_f64 v[119:120], v[135:136], v[121:122], v[119:120]
	buffer_load_dword v130, off, s[0:3], 0 offset:412
	buffer_load_dword v135, off, s[0:3], 0 offset:432
	;; [unrolled: 1-line block ×8, first 2 shown]
	s_waitcnt vmcnt(24) lgkmcnt(0)
	v_fma_f64 v[119:120], v[131:132], v[123:124], v[119:120]
	s_waitcnt vmcnt(19)
	v_fma_f64 v[131:132], v[133:134], v[125:126], v[119:120]
	ds_read_b128 v[119:122], v118 offset:816
	ds_read_b128 v[123:126], v118 offset:832
	s_waitcnt vmcnt(18) lgkmcnt(1)
	v_fma_f64 v[119:120], v[147:148], v[119:120], v[131:132]
	s_waitcnt vmcnt(17)
	v_fma_f64 v[119:120], v[145:146], v[121:122], v[119:120]
	buffer_load_dword v132, off, s[0:3], 0 offset:444
	buffer_load_dword v133, off, s[0:3], 0 offset:456
	;; [unrolled: 1-line block ×6, first 2 shown]
	s_waitcnt vmcnt(22) lgkmcnt(0)
	v_fma_f64 v[119:120], v[139:140], v[123:124], v[119:120]
	s_waitcnt vmcnt(17)
	v_fma_f64 v[127:128], v[127:128], v[125:126], v[119:120]
	ds_read_b128 v[119:122], v118 offset:848
	buffer_load_dword v139, off, s[0:3], 0 offset:88
	buffer_load_dword v140, off, s[0:3], 0 offset:92
	ds_read_b128 v[123:126], v118 offset:864
	s_waitcnt vmcnt(18) lgkmcnt(1)
	v_fma_f64 v[119:120], v[151:152], v[119:120], v[127:128]
	s_waitcnt vmcnt(17)
	v_fma_f64 v[119:120], v[149:150], v[121:122], v[119:120]
	s_waitcnt vmcnt(16) lgkmcnt(0)
	v_fma_f64 v[119:120], v[141:142], v[123:124], v[119:120]
	s_waitcnt vmcnt(11)
	v_fma_f64 v[127:128], v[129:130], v[125:126], v[119:120]
	ds_read_b128 v[119:122], v118 offset:880
	ds_read_b128 v[123:126], v118 offset:896
	s_waitcnt vmcnt(10) lgkmcnt(1)
	v_fma_f64 v[119:120], v[143:144], v[119:120], v[127:128]
	s_waitcnt vmcnt(9)
	v_fma_f64 v[119:120], v[137:138], v[121:122], v[119:120]
	s_waitcnt vmcnt(8) lgkmcnt(0)
	v_fma_f64 v[119:120], v[135:136], v[123:124], v[119:120]
	s_waitcnt vmcnt(4)
	v_fma_f64 v[122:123], v[131:132], v[125:126], v[119:120]
	ds_read_b128 v[118:121], v118 offset:912
	s_waitcnt vmcnt(3) lgkmcnt(0)
	v_fma_f64 v[118:119], v[145:146], v[118:119], v[122:123]
	s_waitcnt vmcnt(2)
	v_fma_f64 v[118:119], v[133:134], v[120:121], v[118:119]
	s_waitcnt vmcnt(0)
	v_add_f64 v[118:119], v[139:140], -v[118:119]
	buffer_store_dword v119, off, s[0:3], 0 offset:92
	buffer_store_dword v118, off, s[0:3], 0 offset:88
	s_and_saveexec_b64 s[4:5], vcc
	s_cbranch_execz .LBB121_335
; %bb.334:
	buffer_load_dword v118, off, s[0:3], 0 offset:80
	buffer_load_dword v119, off, s[0:3], 0 offset:84
	v_mov_b32_e32 v120, 0
	buffer_store_dword v120, off, s[0:3], 0 offset:80
	buffer_store_dword v120, off, s[0:3], 0 offset:84
	s_waitcnt vmcnt(2)
	ds_write_b64 v117, v[118:119]
.LBB121_335:
	s_or_b64 exec, exec, s[4:5]
	s_waitcnt lgkmcnt(0)
	; wave barrier
	buffer_load_dword v127, off, s[0:3], 0 offset:88
	buffer_load_dword v128, off, s[0:3], 0 offset:92
	;; [unrolled: 1-line block ×21, first 2 shown]
	v_mov_b32_e32 v118, 0
	ds_read2_b64 v[119:122], v118 offset0:69 offset1:70
	ds_read2_b64 v[123:126], v118 offset0:71 offset1:72
	buffer_load_dword v144, off, s[0:3], 0 offset:172
	v_cmp_lt_u32_e32 vcc, 9, v0
	s_waitcnt vmcnt(20) lgkmcnt(1)
	v_fma_f64 v[119:120], v[127:128], v[119:120], 0
	s_waitcnt vmcnt(18)
	v_fma_f64 v[119:120], v[129:130], v[121:122], v[119:120]
	buffer_load_dword v128, off, s[0:3], 0 offset:180
	buffer_load_dword v129, off, s[0:3], 0 offset:200
	;; [unrolled: 1-line block ×7, first 2 shown]
	s_waitcnt vmcnt(23) lgkmcnt(0)
	v_fma_f64 v[119:120], v[131:132], v[123:124], v[119:120]
	s_waitcnt vmcnt(21)
	v_fma_f64 v[130:131], v[133:134], v[125:126], v[119:120]
	ds_read2_b64 v[119:122], v118 offset0:73 offset1:74
	ds_read2_b64 v[123:126], v118 offset0:75 offset1:76
	s_waitcnt vmcnt(19) lgkmcnt(1)
	v_fma_f64 v[119:120], v[135:136], v[119:120], v[130:131]
	buffer_load_dword v130, off, s[0:3], 0 offset:204
	s_waitcnt vmcnt(18)
	v_fma_f64 v[119:120], v[137:138], v[121:122], v[119:120]
	buffer_load_dword v132, off, s[0:3], 0 offset:212
	buffer_load_dword v133, off, s[0:3], 0 offset:232
	;; [unrolled: 1-line block ×8, first 2 shown]
	s_waitcnt vmcnt(24) lgkmcnt(0)
	v_fma_f64 v[119:120], v[139:140], v[123:124], v[119:120]
	s_waitcnt vmcnt(19)
	v_fma_f64 v[139:140], v[141:142], v[125:126], v[119:120]
	ds_read2_b64 v[119:122], v118 offset0:77 offset1:78
	ds_read2_b64 v[123:126], v118 offset0:79 offset1:80
	s_waitcnt vmcnt(18) lgkmcnt(1)
	v_fma_f64 v[119:120], v[147:148], v[119:120], v[139:140]
	s_waitcnt vmcnt(17)
	v_fma_f64 v[119:120], v[145:146], v[121:122], v[119:120]
	buffer_load_dword v140, off, s[0:3], 0 offset:244
	buffer_load_dword v141, off, s[0:3], 0 offset:264
	buffer_load_dword v145, off, s[0:3], 0 offset:256
	buffer_load_dword v147, off, s[0:3], 0 offset:248
	buffer_load_dword v139, off, s[0:3], 0 offset:240
	buffer_load_dword v148, off, s[0:3], 0 offset:252
	buffer_load_dword v146, off, s[0:3], 0 offset:260
	s_waitcnt vmcnt(23) lgkmcnt(0)
	v_fma_f64 v[119:120], v[143:144], v[123:124], v[119:120]
	s_waitcnt vmcnt(18)
	v_fma_f64 v[127:128], v[127:128], v[125:126], v[119:120]
	ds_read2_b64 v[119:122], v118 offset0:81 offset1:82
	ds_read2_b64 v[123:126], v118 offset0:83 offset1:84
	buffer_load_dword v142, off, s[0:3], 0 offset:268
	s_waitcnt vmcnt(18) lgkmcnt(1)
	v_fma_f64 v[119:120], v[151:152], v[119:120], v[127:128]
	s_waitcnt vmcnt(17)
	v_fma_f64 v[119:120], v[149:150], v[121:122], v[119:120]
	buffer_load_dword v128, off, s[0:3], 0 offset:276
	buffer_load_dword v143, off, s[0:3], 0 offset:296
	;; [unrolled: 1-line block ×8, first 2 shown]
	s_waitcnt vmcnt(24) lgkmcnt(0)
	v_fma_f64 v[119:120], v[129:130], v[123:124], v[119:120]
	s_waitcnt vmcnt(19)
	v_fma_f64 v[129:130], v[131:132], v[125:126], v[119:120]
	ds_read2_b64 v[119:122], v118 offset0:85 offset1:86
	ds_read2_b64 v[123:126], v118 offset0:87 offset1:88
	s_waitcnt vmcnt(18) lgkmcnt(1)
	v_fma_f64 v[119:120], v[137:138], v[119:120], v[129:130]
	s_waitcnt vmcnt(17)
	v_fma_f64 v[119:120], v[135:136], v[121:122], v[119:120]
	buffer_load_dword v130, off, s[0:3], 0 offset:308
	buffer_load_dword v131, off, s[0:3], 0 offset:328
	;; [unrolled: 1-line block ×7, first 2 shown]
	s_waitcnt vmcnt(23) lgkmcnt(0)
	v_fma_f64 v[119:120], v[133:134], v[123:124], v[119:120]
	s_waitcnt vmcnt(18)
	v_fma_f64 v[132:133], v[139:140], v[125:126], v[119:120]
	ds_read2_b64 v[119:122], v118 offset0:89 offset1:90
	ds_read2_b64 v[123:126], v118 offset0:91 offset1:92
	s_waitcnt vmcnt(17) lgkmcnt(1)
	v_fma_f64 v[119:120], v[147:148], v[119:120], v[132:133]
	buffer_load_dword v132, off, s[0:3], 0 offset:332
	s_waitcnt vmcnt(17)
	v_fma_f64 v[119:120], v[145:146], v[121:122], v[119:120]
	buffer_load_dword v134, off, s[0:3], 0 offset:340
	buffer_load_dword v139, off, s[0:3], 0 offset:360
	;; [unrolled: 1-line block ×7, first 2 shown]
	s_waitcnt vmcnt(23) lgkmcnt(0)
	v_fma_f64 v[119:120], v[141:142], v[123:124], v[119:120]
	s_waitcnt vmcnt(18)
	v_fma_f64 v[127:128], v[127:128], v[125:126], v[119:120]
	ds_read2_b64 v[119:122], v118 offset0:93 offset1:94
	ds_read2_b64 v[123:126], v118 offset0:95 offset1:96
	buffer_load_dword v140, off, s[0:3], 0 offset:364
	s_waitcnt vmcnt(18) lgkmcnt(1)
	v_fma_f64 v[119:120], v[151:152], v[119:120], v[127:128]
	s_waitcnt vmcnt(17)
	v_fma_f64 v[119:120], v[149:150], v[121:122], v[119:120]
	buffer_load_dword v128, off, s[0:3], 0 offset:372
	buffer_load_dword v141, off, s[0:3], 0 offset:392
	buffer_load_dword v149, off, s[0:3], 0 offset:384
	buffer_load_dword v151, off, s[0:3], 0 offset:376
	buffer_load_dword v127, off, s[0:3], 0 offset:368
	buffer_load_dword v152, off, s[0:3], 0 offset:380
	buffer_load_dword v150, off, s[0:3], 0 offset:388
	buffer_load_dword v142, off, s[0:3], 0 offset:396
	s_waitcnt vmcnt(24) lgkmcnt(0)
	v_fma_f64 v[119:120], v[143:144], v[123:124], v[119:120]
	s_waitcnt vmcnt(19)
	v_fma_f64 v[129:130], v[129:130], v[125:126], v[119:120]
	ds_read2_b64 v[119:122], v118 offset0:97 offset1:98
	ds_read2_b64 v[123:126], v118 offset0:99 offset1:100
	s_waitcnt vmcnt(18) lgkmcnt(1)
	v_fma_f64 v[119:120], v[137:138], v[119:120], v[129:130]
	s_waitcnt vmcnt(17)
	v_fma_f64 v[119:120], v[135:136], v[121:122], v[119:120]
	buffer_load_dword v130, off, s[0:3], 0 offset:404
	buffer_load_dword v135, off, s[0:3], 0 offset:424
	buffer_load_dword v137, off, s[0:3], 0 offset:416
	buffer_load_dword v143, off, s[0:3], 0 offset:408
	buffer_load_dword v129, off, s[0:3], 0 offset:400
	buffer_load_dword v144, off, s[0:3], 0 offset:412
	buffer_load_dword v138, off, s[0:3], 0 offset:420
	buffer_load_dword v136, off, s[0:3], 0 offset:428
	s_waitcnt vmcnt(24) lgkmcnt(0)
	v_fma_f64 v[119:120], v[131:132], v[123:124], v[119:120]
	s_waitcnt vmcnt(19)
	v_fma_f64 v[131:132], v[133:134], v[125:126], v[119:120]
	ds_read2_b64 v[119:122], v118 offset0:101 offset1:102
	ds_read2_b64 v[123:126], v118 offset0:103 offset1:104
	;; [unrolled: 18-line block ×3, first 2 shown]
	s_waitcnt vmcnt(18) lgkmcnt(1)
	v_fma_f64 v[119:120], v[151:152], v[119:120], v[127:128]
	buffer_load_dword v127, off, s[0:3], 0 offset:80
	buffer_load_dword v128, off, s[0:3], 0 offset:84
	s_waitcnt vmcnt(19)
	v_fma_f64 v[119:120], v[149:150], v[121:122], v[119:120]
	s_waitcnt vmcnt(18) lgkmcnt(0)
	v_fma_f64 v[119:120], v[141:142], v[123:124], v[119:120]
	s_waitcnt vmcnt(13)
	v_fma_f64 v[129:130], v[129:130], v[125:126], v[119:120]
	ds_read2_b64 v[119:122], v118 offset0:109 offset1:110
	ds_read2_b64 v[123:126], v118 offset0:111 offset1:112
	s_waitcnt vmcnt(12) lgkmcnt(1)
	v_fma_f64 v[119:120], v[143:144], v[119:120], v[129:130]
	s_waitcnt vmcnt(11)
	v_fma_f64 v[119:120], v[137:138], v[121:122], v[119:120]
	s_waitcnt vmcnt(10) lgkmcnt(0)
	v_fma_f64 v[119:120], v[135:136], v[123:124], v[119:120]
	s_waitcnt vmcnt(5)
	v_fma_f64 v[123:124], v[131:132], v[125:126], v[119:120]
	ds_read2_b64 v[119:122], v118 offset0:113 offset1:114
	ds_read_b64 v[125:126], v118 offset:920
	s_waitcnt vmcnt(4) lgkmcnt(1)
	v_fma_f64 v[119:120], v[147:148], v[119:120], v[123:124]
	s_waitcnt vmcnt(3)
	v_fma_f64 v[119:120], v[145:146], v[121:122], v[119:120]
	s_waitcnt vmcnt(2) lgkmcnt(0)
	v_fma_f64 v[119:120], v[133:134], v[125:126], v[119:120]
	s_waitcnt vmcnt(0)
	v_add_f64 v[119:120], v[127:128], -v[119:120]
	buffer_store_dword v120, off, s[0:3], 0 offset:84
	buffer_store_dword v119, off, s[0:3], 0 offset:80
	s_and_saveexec_b64 s[4:5], vcc
	s_cbranch_execz .LBB121_337
; %bb.336:
	buffer_load_dword v119, off, s[0:3], 0 offset:72
	buffer_load_dword v120, off, s[0:3], 0 offset:76
	s_waitcnt vmcnt(0)
	ds_write_b64 v117, v[119:120]
	buffer_store_dword v118, off, s[0:3], 0 offset:72
	buffer_store_dword v118, off, s[0:3], 0 offset:76
.LBB121_337:
	s_or_b64 exec, exec, s[4:5]
	s_waitcnt lgkmcnt(0)
	; wave barrier
	buffer_load_dword v127, off, s[0:3], 0 offset:80
	buffer_load_dword v128, off, s[0:3], 0 offset:84
	buffer_load_dword v129, off, s[0:3], 0 offset:88
	buffer_load_dword v130, off, s[0:3], 0 offset:92
	buffer_load_dword v131, off, s[0:3], 0 offset:96
	buffer_load_dword v132, off, s[0:3], 0 offset:100
	buffer_load_dword v133, off, s[0:3], 0 offset:104
	buffer_load_dword v134, off, s[0:3], 0 offset:108
	buffer_load_dword v135, off, s[0:3], 0 offset:112
	buffer_load_dword v136, off, s[0:3], 0 offset:116
	buffer_load_dword v137, off, s[0:3], 0 offset:120
	buffer_load_dword v138, off, s[0:3], 0 offset:124
	buffer_load_dword v139, off, s[0:3], 0 offset:128
	buffer_load_dword v140, off, s[0:3], 0 offset:132
	buffer_load_dword v142, off, s[0:3], 0 offset:140
	buffer_load_dword v143, off, s[0:3], 0 offset:160
	buffer_load_dword v145, off, s[0:3], 0 offset:152
	buffer_load_dword v147, off, s[0:3], 0 offset:144
	buffer_load_dword v141, off, s[0:3], 0 offset:136
	buffer_load_dword v148, off, s[0:3], 0 offset:148
	buffer_load_dword v146, off, s[0:3], 0 offset:156
	ds_read_b128 v[119:122], v118 offset:544
	ds_read_b128 v[123:126], v118 offset:560
	buffer_load_dword v144, off, s[0:3], 0 offset:164
	v_cmp_lt_u32_e32 vcc, 8, v0
	s_waitcnt vmcnt(20) lgkmcnt(1)
	v_fma_f64 v[119:120], v[127:128], v[119:120], 0
	s_waitcnt vmcnt(18)
	v_fma_f64 v[119:120], v[129:130], v[121:122], v[119:120]
	buffer_load_dword v128, off, s[0:3], 0 offset:172
	buffer_load_dword v129, off, s[0:3], 0 offset:192
	;; [unrolled: 1-line block ×7, first 2 shown]
	s_waitcnt vmcnt(23) lgkmcnt(0)
	v_fma_f64 v[119:120], v[131:132], v[123:124], v[119:120]
	s_waitcnt vmcnt(21)
	v_fma_f64 v[130:131], v[133:134], v[125:126], v[119:120]
	ds_read_b128 v[119:122], v118 offset:576
	ds_read_b128 v[123:126], v118 offset:592
	s_waitcnt vmcnt(19) lgkmcnt(1)
	v_fma_f64 v[119:120], v[135:136], v[119:120], v[130:131]
	buffer_load_dword v130, off, s[0:3], 0 offset:196
	s_waitcnt vmcnt(18)
	v_fma_f64 v[119:120], v[137:138], v[121:122], v[119:120]
	buffer_load_dword v132, off, s[0:3], 0 offset:204
	buffer_load_dword v133, off, s[0:3], 0 offset:224
	buffer_load_dword v135, off, s[0:3], 0 offset:216
	buffer_load_dword v137, off, s[0:3], 0 offset:208
	buffer_load_dword v131, off, s[0:3], 0 offset:200
	buffer_load_dword v138, off, s[0:3], 0 offset:212
	buffer_load_dword v136, off, s[0:3], 0 offset:220
	buffer_load_dword v134, off, s[0:3], 0 offset:228
	s_waitcnt vmcnt(24) lgkmcnt(0)
	v_fma_f64 v[119:120], v[139:140], v[123:124], v[119:120]
	s_waitcnt vmcnt(19)
	v_fma_f64 v[139:140], v[141:142], v[125:126], v[119:120]
	ds_read_b128 v[119:122], v118 offset:608
	ds_read_b128 v[123:126], v118 offset:624
	s_waitcnt vmcnt(18) lgkmcnt(1)
	v_fma_f64 v[119:120], v[147:148], v[119:120], v[139:140]
	s_waitcnt vmcnt(17)
	v_fma_f64 v[119:120], v[145:146], v[121:122], v[119:120]
	buffer_load_dword v140, off, s[0:3], 0 offset:236
	buffer_load_dword v141, off, s[0:3], 0 offset:256
	;; [unrolled: 1-line block ×7, first 2 shown]
	s_waitcnt vmcnt(23) lgkmcnt(0)
	v_fma_f64 v[119:120], v[143:144], v[123:124], v[119:120]
	s_waitcnt vmcnt(18)
	v_fma_f64 v[127:128], v[127:128], v[125:126], v[119:120]
	ds_read_b128 v[119:122], v118 offset:640
	ds_read_b128 v[123:126], v118 offset:656
	buffer_load_dword v142, off, s[0:3], 0 offset:260
	s_waitcnt vmcnt(18) lgkmcnt(1)
	v_fma_f64 v[119:120], v[151:152], v[119:120], v[127:128]
	s_waitcnt vmcnt(17)
	v_fma_f64 v[119:120], v[149:150], v[121:122], v[119:120]
	buffer_load_dword v128, off, s[0:3], 0 offset:268
	buffer_load_dword v143, off, s[0:3], 0 offset:288
	buffer_load_dword v149, off, s[0:3], 0 offset:280
	buffer_load_dword v151, off, s[0:3], 0 offset:272
	buffer_load_dword v127, off, s[0:3], 0 offset:264
	buffer_load_dword v152, off, s[0:3], 0 offset:276
	buffer_load_dword v150, off, s[0:3], 0 offset:284
	buffer_load_dword v144, off, s[0:3], 0 offset:292
	s_waitcnt vmcnt(24) lgkmcnt(0)
	v_fma_f64 v[119:120], v[129:130], v[123:124], v[119:120]
	s_waitcnt vmcnt(19)
	v_fma_f64 v[129:130], v[131:132], v[125:126], v[119:120]
	ds_read_b128 v[119:122], v118 offset:672
	ds_read_b128 v[123:126], v118 offset:688
	s_waitcnt vmcnt(18) lgkmcnt(1)
	v_fma_f64 v[119:120], v[137:138], v[119:120], v[129:130]
	s_waitcnt vmcnt(17)
	v_fma_f64 v[119:120], v[135:136], v[121:122], v[119:120]
	buffer_load_dword v130, off, s[0:3], 0 offset:300
	buffer_load_dword v131, off, s[0:3], 0 offset:320
	;; [unrolled: 1-line block ×7, first 2 shown]
	s_waitcnt vmcnt(23) lgkmcnt(0)
	v_fma_f64 v[119:120], v[133:134], v[123:124], v[119:120]
	s_waitcnt vmcnt(18)
	v_fma_f64 v[132:133], v[139:140], v[125:126], v[119:120]
	ds_read_b128 v[119:122], v118 offset:704
	ds_read_b128 v[123:126], v118 offset:720
	s_waitcnt vmcnt(17) lgkmcnt(1)
	v_fma_f64 v[119:120], v[147:148], v[119:120], v[132:133]
	buffer_load_dword v132, off, s[0:3], 0 offset:324
	s_waitcnt vmcnt(17)
	v_fma_f64 v[119:120], v[145:146], v[121:122], v[119:120]
	buffer_load_dword v134, off, s[0:3], 0 offset:332
	buffer_load_dword v139, off, s[0:3], 0 offset:352
	;; [unrolled: 1-line block ×7, first 2 shown]
	s_waitcnt vmcnt(23) lgkmcnt(0)
	v_fma_f64 v[119:120], v[141:142], v[123:124], v[119:120]
	s_waitcnt vmcnt(18)
	v_fma_f64 v[127:128], v[127:128], v[125:126], v[119:120]
	ds_read_b128 v[119:122], v118 offset:736
	ds_read_b128 v[123:126], v118 offset:752
	buffer_load_dword v140, off, s[0:3], 0 offset:356
	s_waitcnt vmcnt(18) lgkmcnt(1)
	v_fma_f64 v[119:120], v[151:152], v[119:120], v[127:128]
	s_waitcnt vmcnt(17)
	v_fma_f64 v[119:120], v[149:150], v[121:122], v[119:120]
	buffer_load_dword v128, off, s[0:3], 0 offset:364
	buffer_load_dword v141, off, s[0:3], 0 offset:384
	buffer_load_dword v149, off, s[0:3], 0 offset:376
	buffer_load_dword v151, off, s[0:3], 0 offset:368
	buffer_load_dword v127, off, s[0:3], 0 offset:360
	buffer_load_dword v152, off, s[0:3], 0 offset:372
	buffer_load_dword v150, off, s[0:3], 0 offset:380
	buffer_load_dword v142, off, s[0:3], 0 offset:388
	s_waitcnt vmcnt(24) lgkmcnt(0)
	v_fma_f64 v[119:120], v[143:144], v[123:124], v[119:120]
	s_waitcnt vmcnt(19)
	v_fma_f64 v[129:130], v[129:130], v[125:126], v[119:120]
	ds_read_b128 v[119:122], v118 offset:768
	ds_read_b128 v[123:126], v118 offset:784
	s_waitcnt vmcnt(18) lgkmcnt(1)
	v_fma_f64 v[119:120], v[137:138], v[119:120], v[129:130]
	s_waitcnt vmcnt(17)
	v_fma_f64 v[119:120], v[135:136], v[121:122], v[119:120]
	buffer_load_dword v130, off, s[0:3], 0 offset:396
	buffer_load_dword v135, off, s[0:3], 0 offset:416
	buffer_load_dword v137, off, s[0:3], 0 offset:408
	buffer_load_dword v143, off, s[0:3], 0 offset:400
	buffer_load_dword v129, off, s[0:3], 0 offset:392
	buffer_load_dword v144, off, s[0:3], 0 offset:404
	buffer_load_dword v138, off, s[0:3], 0 offset:412
	buffer_load_dword v136, off, s[0:3], 0 offset:420
	s_waitcnt vmcnt(24) lgkmcnt(0)
	v_fma_f64 v[119:120], v[131:132], v[123:124], v[119:120]
	s_waitcnt vmcnt(19)
	v_fma_f64 v[131:132], v[133:134], v[125:126], v[119:120]
	ds_read_b128 v[119:122], v118 offset:800
	ds_read_b128 v[123:126], v118 offset:816
	;; [unrolled: 18-line block ×3, first 2 shown]
	s_waitcnt vmcnt(18) lgkmcnt(1)
	v_fma_f64 v[119:120], v[151:152], v[119:120], v[127:128]
	buffer_load_dword v128, off, s[0:3], 0 offset:460
	buffer_load_dword v127, off, s[0:3], 0 offset:456
	;; [unrolled: 1-line block ×4, first 2 shown]
	s_waitcnt vmcnt(21)
	v_fma_f64 v[119:120], v[149:150], v[121:122], v[119:120]
	s_waitcnt vmcnt(20) lgkmcnt(0)
	v_fma_f64 v[119:120], v[141:142], v[123:124], v[119:120]
	s_waitcnt vmcnt(15)
	v_fma_f64 v[129:130], v[129:130], v[125:126], v[119:120]
	ds_read_b128 v[119:122], v118 offset:864
	ds_read_b128 v[123:126], v118 offset:880
	s_waitcnt vmcnt(14) lgkmcnt(1)
	v_fma_f64 v[119:120], v[143:144], v[119:120], v[129:130]
	s_waitcnt vmcnt(13)
	v_fma_f64 v[119:120], v[137:138], v[121:122], v[119:120]
	s_waitcnt vmcnt(12) lgkmcnt(0)
	v_fma_f64 v[119:120], v[135:136], v[123:124], v[119:120]
	s_waitcnt vmcnt(7)
	v_fma_f64 v[129:130], v[131:132], v[125:126], v[119:120]
	ds_read_b128 v[119:122], v118 offset:896
	ds_read_b128 v[123:126], v118 offset:912
	s_waitcnt vmcnt(6) lgkmcnt(1)
	v_fma_f64 v[118:119], v[147:148], v[119:120], v[129:130]
	s_waitcnt vmcnt(5)
	v_fma_f64 v[118:119], v[145:146], v[121:122], v[118:119]
	s_waitcnt vmcnt(4) lgkmcnt(0)
	v_fma_f64 v[118:119], v[133:134], v[123:124], v[118:119]
	s_waitcnt vmcnt(2)
	v_fma_f64 v[118:119], v[127:128], v[125:126], v[118:119]
	s_waitcnt vmcnt(0)
	v_add_f64 v[118:119], v[139:140], -v[118:119]
	buffer_store_dword v119, off, s[0:3], 0 offset:76
	buffer_store_dword v118, off, s[0:3], 0 offset:72
	s_and_saveexec_b64 s[4:5], vcc
	s_cbranch_execz .LBB121_339
; %bb.338:
	buffer_load_dword v118, off, s[0:3], 0 offset:64
	buffer_load_dword v119, off, s[0:3], 0 offset:68
	v_mov_b32_e32 v120, 0
	buffer_store_dword v120, off, s[0:3], 0 offset:64
	buffer_store_dword v120, off, s[0:3], 0 offset:68
	s_waitcnt vmcnt(2)
	ds_write_b64 v117, v[118:119]
.LBB121_339:
	s_or_b64 exec, exec, s[4:5]
	s_waitcnt lgkmcnt(0)
	; wave barrier
	buffer_load_dword v127, off, s[0:3], 0 offset:72
	buffer_load_dword v128, off, s[0:3], 0 offset:76
	;; [unrolled: 1-line block ×21, first 2 shown]
	v_mov_b32_e32 v118, 0
	ds_read2_b64 v[119:122], v118 offset0:67 offset1:68
	ds_read2_b64 v[123:126], v118 offset0:69 offset1:70
	buffer_load_dword v144, off, s[0:3], 0 offset:156
	v_cmp_lt_u32_e32 vcc, 7, v0
	s_waitcnt vmcnt(20) lgkmcnt(1)
	v_fma_f64 v[119:120], v[127:128], v[119:120], 0
	s_waitcnt vmcnt(18)
	v_fma_f64 v[119:120], v[129:130], v[121:122], v[119:120]
	buffer_load_dword v128, off, s[0:3], 0 offset:164
	buffer_load_dword v129, off, s[0:3], 0 offset:184
	;; [unrolled: 1-line block ×7, first 2 shown]
	s_waitcnt vmcnt(23) lgkmcnt(0)
	v_fma_f64 v[119:120], v[131:132], v[123:124], v[119:120]
	s_waitcnt vmcnt(21)
	v_fma_f64 v[130:131], v[133:134], v[125:126], v[119:120]
	ds_read2_b64 v[119:122], v118 offset0:71 offset1:72
	ds_read2_b64 v[123:126], v118 offset0:73 offset1:74
	s_waitcnt vmcnt(19) lgkmcnt(1)
	v_fma_f64 v[119:120], v[135:136], v[119:120], v[130:131]
	buffer_load_dword v130, off, s[0:3], 0 offset:188
	s_waitcnt vmcnt(18)
	v_fma_f64 v[119:120], v[137:138], v[121:122], v[119:120]
	buffer_load_dword v132, off, s[0:3], 0 offset:196
	buffer_load_dword v133, off, s[0:3], 0 offset:216
	;; [unrolled: 1-line block ×8, first 2 shown]
	s_waitcnt vmcnt(24) lgkmcnt(0)
	v_fma_f64 v[119:120], v[139:140], v[123:124], v[119:120]
	s_waitcnt vmcnt(19)
	v_fma_f64 v[139:140], v[141:142], v[125:126], v[119:120]
	ds_read2_b64 v[119:122], v118 offset0:75 offset1:76
	ds_read2_b64 v[123:126], v118 offset0:77 offset1:78
	s_waitcnt vmcnt(18) lgkmcnt(1)
	v_fma_f64 v[119:120], v[147:148], v[119:120], v[139:140]
	s_waitcnt vmcnt(17)
	v_fma_f64 v[119:120], v[145:146], v[121:122], v[119:120]
	buffer_load_dword v140, off, s[0:3], 0 offset:228
	buffer_load_dword v141, off, s[0:3], 0 offset:248
	buffer_load_dword v145, off, s[0:3], 0 offset:240
	buffer_load_dword v147, off, s[0:3], 0 offset:232
	buffer_load_dword v139, off, s[0:3], 0 offset:224
	buffer_load_dword v148, off, s[0:3], 0 offset:236
	buffer_load_dword v146, off, s[0:3], 0 offset:244
	s_waitcnt vmcnt(23) lgkmcnt(0)
	v_fma_f64 v[119:120], v[143:144], v[123:124], v[119:120]
	s_waitcnt vmcnt(18)
	v_fma_f64 v[127:128], v[127:128], v[125:126], v[119:120]
	ds_read2_b64 v[119:122], v118 offset0:79 offset1:80
	ds_read2_b64 v[123:126], v118 offset0:81 offset1:82
	buffer_load_dword v142, off, s[0:3], 0 offset:252
	s_waitcnt vmcnt(18) lgkmcnt(1)
	v_fma_f64 v[119:120], v[151:152], v[119:120], v[127:128]
	s_waitcnt vmcnt(17)
	v_fma_f64 v[119:120], v[149:150], v[121:122], v[119:120]
	buffer_load_dword v128, off, s[0:3], 0 offset:260
	buffer_load_dword v143, off, s[0:3], 0 offset:280
	buffer_load_dword v149, off, s[0:3], 0 offset:272
	buffer_load_dword v151, off, s[0:3], 0 offset:264
	buffer_load_dword v127, off, s[0:3], 0 offset:256
	buffer_load_dword v152, off, s[0:3], 0 offset:268
	buffer_load_dword v150, off, s[0:3], 0 offset:276
	s_waitcnt vmcnt(23) lgkmcnt(0)
	v_fma_f64 v[119:120], v[129:130], v[123:124], v[119:120]
	s_waitcnt vmcnt(18)
	v_fma_f64 v[129:130], v[131:132], v[125:126], v[119:120]
	ds_read2_b64 v[119:122], v118 offset0:83 offset1:84
	ds_read2_b64 v[123:126], v118 offset0:85 offset1:86
	buffer_load_dword v144, off, s[0:3], 0 offset:284
	s_waitcnt vmcnt(18) lgkmcnt(1)
	v_fma_f64 v[119:120], v[137:138], v[119:120], v[129:130]
	s_waitcnt vmcnt(17)
	v_fma_f64 v[119:120], v[135:136], v[121:122], v[119:120]
	buffer_load_dword v130, off, s[0:3], 0 offset:292
	buffer_load_dword v131, off, s[0:3], 0 offset:312
	;; [unrolled: 1-line block ×7, first 2 shown]
	s_waitcnt vmcnt(23) lgkmcnt(0)
	v_fma_f64 v[119:120], v[133:134], v[123:124], v[119:120]
	s_waitcnt vmcnt(18)
	v_fma_f64 v[132:133], v[139:140], v[125:126], v[119:120]
	ds_read2_b64 v[119:122], v118 offset0:87 offset1:88
	ds_read2_b64 v[123:126], v118 offset0:89 offset1:90
	s_waitcnt vmcnt(17) lgkmcnt(1)
	v_fma_f64 v[119:120], v[147:148], v[119:120], v[132:133]
	buffer_load_dword v132, off, s[0:3], 0 offset:316
	s_waitcnt vmcnt(17)
	v_fma_f64 v[119:120], v[145:146], v[121:122], v[119:120]
	buffer_load_dword v134, off, s[0:3], 0 offset:324
	buffer_load_dword v139, off, s[0:3], 0 offset:344
	;; [unrolled: 1-line block ×7, first 2 shown]
	s_waitcnt vmcnt(23) lgkmcnt(0)
	v_fma_f64 v[119:120], v[141:142], v[123:124], v[119:120]
	s_waitcnt vmcnt(18)
	v_fma_f64 v[127:128], v[127:128], v[125:126], v[119:120]
	ds_read2_b64 v[119:122], v118 offset0:91 offset1:92
	ds_read2_b64 v[123:126], v118 offset0:93 offset1:94
	buffer_load_dword v140, off, s[0:3], 0 offset:348
	s_waitcnt vmcnt(18) lgkmcnt(1)
	v_fma_f64 v[119:120], v[151:152], v[119:120], v[127:128]
	s_waitcnt vmcnt(17)
	v_fma_f64 v[119:120], v[149:150], v[121:122], v[119:120]
	buffer_load_dword v128, off, s[0:3], 0 offset:356
	buffer_load_dword v141, off, s[0:3], 0 offset:376
	;; [unrolled: 1-line block ×7, first 2 shown]
	s_waitcnt vmcnt(23) lgkmcnt(0)
	v_fma_f64 v[119:120], v[143:144], v[123:124], v[119:120]
	s_waitcnt vmcnt(18)
	v_fma_f64 v[129:130], v[129:130], v[125:126], v[119:120]
	ds_read2_b64 v[119:122], v118 offset0:95 offset1:96
	ds_read2_b64 v[123:126], v118 offset0:97 offset1:98
	buffer_load_dword v142, off, s[0:3], 0 offset:380
	s_waitcnt vmcnt(18) lgkmcnt(1)
	v_fma_f64 v[119:120], v[137:138], v[119:120], v[129:130]
	s_waitcnt vmcnt(17)
	v_fma_f64 v[119:120], v[135:136], v[121:122], v[119:120]
	buffer_load_dword v130, off, s[0:3], 0 offset:388
	buffer_load_dword v135, off, s[0:3], 0 offset:408
	;; [unrolled: 1-line block ×8, first 2 shown]
	s_waitcnt vmcnt(24) lgkmcnt(0)
	v_fma_f64 v[119:120], v[131:132], v[123:124], v[119:120]
	s_waitcnt vmcnt(19)
	v_fma_f64 v[131:132], v[133:134], v[125:126], v[119:120]
	ds_read2_b64 v[119:122], v118 offset0:99 offset1:100
	ds_read2_b64 v[123:126], v118 offset0:101 offset1:102
	s_waitcnt vmcnt(18) lgkmcnt(1)
	v_fma_f64 v[119:120], v[147:148], v[119:120], v[131:132]
	s_waitcnt vmcnt(17)
	v_fma_f64 v[119:120], v[145:146], v[121:122], v[119:120]
	buffer_load_dword v132, off, s[0:3], 0 offset:420
	buffer_load_dword v133, off, s[0:3], 0 offset:440
	;; [unrolled: 1-line block ×7, first 2 shown]
	s_waitcnt vmcnt(23) lgkmcnt(0)
	v_fma_f64 v[119:120], v[139:140], v[123:124], v[119:120]
	s_waitcnt vmcnt(18)
	v_fma_f64 v[127:128], v[127:128], v[125:126], v[119:120]
	ds_read2_b64 v[119:122], v118 offset0:103 offset1:104
	ds_read2_b64 v[123:126], v118 offset0:105 offset1:106
	buffer_load_dword v134, off, s[0:3], 0 offset:444
	s_waitcnt vmcnt(18) lgkmcnt(1)
	v_fma_f64 v[119:120], v[151:152], v[119:120], v[127:128]
	buffer_load_dword v128, off, s[0:3], 0 offset:452
	buffer_load_dword v139, off, s[0:3], 0 offset:456
	;; [unrolled: 1-line block ×4, first 2 shown]
	s_waitcnt vmcnt(21)
	v_fma_f64 v[119:120], v[149:150], v[121:122], v[119:120]
	s_waitcnt vmcnt(20) lgkmcnt(0)
	v_fma_f64 v[119:120], v[141:142], v[123:124], v[119:120]
	buffer_load_dword v141, off, s[0:3], 0 offset:64
	buffer_load_dword v142, off, s[0:3], 0 offset:68
	s_waitcnt vmcnt(17)
	v_fma_f64 v[129:130], v[129:130], v[125:126], v[119:120]
	ds_read2_b64 v[119:122], v118 offset0:107 offset1:108
	ds_read2_b64 v[123:126], v118 offset0:109 offset1:110
	s_waitcnt vmcnt(16) lgkmcnt(1)
	v_fma_f64 v[119:120], v[143:144], v[119:120], v[129:130]
	s_waitcnt vmcnt(15)
	v_fma_f64 v[119:120], v[137:138], v[121:122], v[119:120]
	s_waitcnt vmcnt(14) lgkmcnt(0)
	v_fma_f64 v[119:120], v[135:136], v[123:124], v[119:120]
	s_waitcnt vmcnt(9)
	v_fma_f64 v[129:130], v[131:132], v[125:126], v[119:120]
	ds_read2_b64 v[119:122], v118 offset0:111 offset1:112
	ds_read2_b64 v[123:126], v118 offset0:113 offset1:114
	s_waitcnt vmcnt(8) lgkmcnt(1)
	v_fma_f64 v[119:120], v[147:148], v[119:120], v[129:130]
	s_waitcnt vmcnt(7)
	v_fma_f64 v[119:120], v[145:146], v[121:122], v[119:120]
	ds_read_b64 v[121:122], v118 offset:920
	s_waitcnt vmcnt(6) lgkmcnt(1)
	v_fma_f64 v[119:120], v[133:134], v[123:124], v[119:120]
	s_waitcnt vmcnt(3)
	v_fma_f64 v[119:120], v[127:128], v[125:126], v[119:120]
	s_waitcnt vmcnt(2) lgkmcnt(0)
	v_fma_f64 v[119:120], v[139:140], v[121:122], v[119:120]
	s_waitcnt vmcnt(0)
	v_add_f64 v[119:120], v[141:142], -v[119:120]
	buffer_store_dword v120, off, s[0:3], 0 offset:68
	buffer_store_dword v119, off, s[0:3], 0 offset:64
	s_and_saveexec_b64 s[4:5], vcc
	s_cbranch_execz .LBB121_341
; %bb.340:
	buffer_load_dword v119, off, s[0:3], 0 offset:56
	buffer_load_dword v120, off, s[0:3], 0 offset:60
	s_waitcnt vmcnt(0)
	ds_write_b64 v117, v[119:120]
	buffer_store_dword v118, off, s[0:3], 0 offset:56
	buffer_store_dword v118, off, s[0:3], 0 offset:60
.LBB121_341:
	s_or_b64 exec, exec, s[4:5]
	s_waitcnt lgkmcnt(0)
	; wave barrier
	buffer_load_dword v127, off, s[0:3], 0 offset:64
	buffer_load_dword v128, off, s[0:3], 0 offset:68
	;; [unrolled: 1-line block ×22, first 2 shown]
	ds_read_b128 v[119:122], v118 offset:528
	ds_read_b128 v[123:126], v118 offset:544
	v_cmp_lt_u32_e32 vcc, 6, v0
	s_waitcnt vmcnt(20) lgkmcnt(1)
	v_fma_f64 v[119:120], v[127:128], v[119:120], 0
	s_waitcnt vmcnt(18)
	v_fma_f64 v[119:120], v[129:130], v[121:122], v[119:120]
	buffer_load_dword v128, off, s[0:3], 0 offset:156
	buffer_load_dword v129, off, s[0:3], 0 offset:176
	;; [unrolled: 1-line block ×7, first 2 shown]
	s_waitcnt vmcnt(23) lgkmcnt(0)
	v_fma_f64 v[119:120], v[131:132], v[123:124], v[119:120]
	s_waitcnt vmcnt(21)
	v_fma_f64 v[130:131], v[133:134], v[125:126], v[119:120]
	ds_read_b128 v[119:122], v118 offset:560
	ds_read_b128 v[123:126], v118 offset:576
	s_waitcnt vmcnt(19) lgkmcnt(1)
	v_fma_f64 v[119:120], v[135:136], v[119:120], v[130:131]
	buffer_load_dword v130, off, s[0:3], 0 offset:180
	s_waitcnt vmcnt(18)
	v_fma_f64 v[119:120], v[137:138], v[121:122], v[119:120]
	buffer_load_dword v132, off, s[0:3], 0 offset:188
	buffer_load_dword v133, off, s[0:3], 0 offset:208
	;; [unrolled: 1-line block ×8, first 2 shown]
	s_waitcnt vmcnt(24) lgkmcnt(0)
	v_fma_f64 v[119:120], v[139:140], v[123:124], v[119:120]
	s_waitcnt vmcnt(19)
	v_fma_f64 v[139:140], v[141:142], v[125:126], v[119:120]
	ds_read_b128 v[119:122], v118 offset:592
	ds_read_b128 v[123:126], v118 offset:608
	s_waitcnt vmcnt(18) lgkmcnt(1)
	v_fma_f64 v[119:120], v[147:148], v[119:120], v[139:140]
	s_waitcnt vmcnt(17)
	v_fma_f64 v[119:120], v[145:146], v[121:122], v[119:120]
	buffer_load_dword v140, off, s[0:3], 0 offset:220
	buffer_load_dword v141, off, s[0:3], 0 offset:240
	;; [unrolled: 1-line block ×8, first 2 shown]
	s_waitcnt vmcnt(24) lgkmcnt(0)
	v_fma_f64 v[119:120], v[143:144], v[123:124], v[119:120]
	s_waitcnt vmcnt(19)
	v_fma_f64 v[127:128], v[127:128], v[125:126], v[119:120]
	ds_read_b128 v[119:122], v118 offset:624
	ds_read_b128 v[123:126], v118 offset:640
	s_waitcnt vmcnt(18) lgkmcnt(1)
	v_fma_f64 v[119:120], v[151:152], v[119:120], v[127:128]
	s_waitcnt vmcnt(17)
	v_fma_f64 v[119:120], v[149:150], v[121:122], v[119:120]
	buffer_load_dword v128, off, s[0:3], 0 offset:252
	buffer_load_dword v143, off, s[0:3], 0 offset:272
	buffer_load_dword v149, off, s[0:3], 0 offset:264
	buffer_load_dword v151, off, s[0:3], 0 offset:256
	buffer_load_dword v127, off, s[0:3], 0 offset:248
	buffer_load_dword v152, off, s[0:3], 0 offset:260
	buffer_load_dword v150, off, s[0:3], 0 offset:268
	s_waitcnt vmcnt(23) lgkmcnt(0)
	v_fma_f64 v[119:120], v[129:130], v[123:124], v[119:120]
	s_waitcnt vmcnt(18)
	v_fma_f64 v[129:130], v[131:132], v[125:126], v[119:120]
	ds_read_b128 v[119:122], v118 offset:656
	ds_read_b128 v[123:126], v118 offset:672
	buffer_load_dword v144, off, s[0:3], 0 offset:276
	s_waitcnt vmcnt(18) lgkmcnt(1)
	v_fma_f64 v[119:120], v[137:138], v[119:120], v[129:130]
	s_waitcnt vmcnt(17)
	v_fma_f64 v[119:120], v[135:136], v[121:122], v[119:120]
	buffer_load_dword v130, off, s[0:3], 0 offset:284
	buffer_load_dword v131, off, s[0:3], 0 offset:304
	buffer_load_dword v135, off, s[0:3], 0 offset:296
	buffer_load_dword v137, off, s[0:3], 0 offset:288
	buffer_load_dword v129, off, s[0:3], 0 offset:280
	buffer_load_dword v138, off, s[0:3], 0 offset:292
	buffer_load_dword v136, off, s[0:3], 0 offset:300
	s_waitcnt vmcnt(23) lgkmcnt(0)
	v_fma_f64 v[119:120], v[133:134], v[123:124], v[119:120]
	s_waitcnt vmcnt(18)
	v_fma_f64 v[132:133], v[139:140], v[125:126], v[119:120]
	ds_read_b128 v[119:122], v118 offset:688
	ds_read_b128 v[123:126], v118 offset:704
	s_waitcnt vmcnt(17) lgkmcnt(1)
	v_fma_f64 v[119:120], v[147:148], v[119:120], v[132:133]
	buffer_load_dword v132, off, s[0:3], 0 offset:308
	s_waitcnt vmcnt(17)
	v_fma_f64 v[119:120], v[145:146], v[121:122], v[119:120]
	buffer_load_dword v134, off, s[0:3], 0 offset:316
	buffer_load_dword v139, off, s[0:3], 0 offset:336
	buffer_load_dword v145, off, s[0:3], 0 offset:328
	buffer_load_dword v147, off, s[0:3], 0 offset:320
	buffer_load_dword v133, off, s[0:3], 0 offset:312
	buffer_load_dword v148, off, s[0:3], 0 offset:324
	buffer_load_dword v146, off, s[0:3], 0 offset:332
	buffer_load_dword v140, off, s[0:3], 0 offset:340
	s_waitcnt vmcnt(24) lgkmcnt(0)
	v_fma_f64 v[119:120], v[141:142], v[123:124], v[119:120]
	s_waitcnt vmcnt(19)
	v_fma_f64 v[127:128], v[127:128], v[125:126], v[119:120]
	ds_read_b128 v[119:122], v118 offset:720
	ds_read_b128 v[123:126], v118 offset:736
	s_waitcnt vmcnt(18) lgkmcnt(1)
	v_fma_f64 v[119:120], v[151:152], v[119:120], v[127:128]
	s_waitcnt vmcnt(17)
	v_fma_f64 v[119:120], v[149:150], v[121:122], v[119:120]
	buffer_load_dword v128, off, s[0:3], 0 offset:348
	buffer_load_dword v141, off, s[0:3], 0 offset:368
	;; [unrolled: 1-line block ×7, first 2 shown]
	s_waitcnt vmcnt(23) lgkmcnt(0)
	v_fma_f64 v[119:120], v[143:144], v[123:124], v[119:120]
	s_waitcnt vmcnt(18)
	v_fma_f64 v[129:130], v[129:130], v[125:126], v[119:120]
	ds_read_b128 v[119:122], v118 offset:752
	ds_read_b128 v[123:126], v118 offset:768
	buffer_load_dword v142, off, s[0:3], 0 offset:372
	s_waitcnt vmcnt(18) lgkmcnt(1)
	v_fma_f64 v[119:120], v[137:138], v[119:120], v[129:130]
	s_waitcnt vmcnt(17)
	v_fma_f64 v[119:120], v[135:136], v[121:122], v[119:120]
	buffer_load_dword v130, off, s[0:3], 0 offset:380
	buffer_load_dword v135, off, s[0:3], 0 offset:400
	;; [unrolled: 1-line block ×8, first 2 shown]
	s_waitcnt vmcnt(24) lgkmcnt(0)
	v_fma_f64 v[119:120], v[131:132], v[123:124], v[119:120]
	s_waitcnt vmcnt(19)
	v_fma_f64 v[131:132], v[133:134], v[125:126], v[119:120]
	ds_read_b128 v[119:122], v118 offset:784
	ds_read_b128 v[123:126], v118 offset:800
	s_waitcnt vmcnt(18) lgkmcnt(1)
	v_fma_f64 v[119:120], v[147:148], v[119:120], v[131:132]
	s_waitcnt vmcnt(17)
	v_fma_f64 v[119:120], v[145:146], v[121:122], v[119:120]
	buffer_load_dword v132, off, s[0:3], 0 offset:412
	buffer_load_dword v133, off, s[0:3], 0 offset:432
	;; [unrolled: 1-line block ×8, first 2 shown]
	s_waitcnt vmcnt(24) lgkmcnt(0)
	v_fma_f64 v[119:120], v[139:140], v[123:124], v[119:120]
	s_waitcnt vmcnt(19)
	v_fma_f64 v[127:128], v[127:128], v[125:126], v[119:120]
	ds_read_b128 v[119:122], v118 offset:816
	ds_read_b128 v[123:126], v118 offset:832
	s_waitcnt vmcnt(18) lgkmcnt(1)
	v_fma_f64 v[119:120], v[151:152], v[119:120], v[127:128]
	s_waitcnt vmcnt(17)
	v_fma_f64 v[119:120], v[149:150], v[121:122], v[119:120]
	buffer_load_dword v128, off, s[0:3], 0 offset:444
	buffer_load_dword v139, off, s[0:3], 0 offset:456
	;; [unrolled: 1-line block ×6, first 2 shown]
	s_waitcnt vmcnt(22) lgkmcnt(0)
	v_fma_f64 v[119:120], v[141:142], v[123:124], v[119:120]
	s_waitcnt vmcnt(17)
	v_fma_f64 v[129:130], v[129:130], v[125:126], v[119:120]
	ds_read_b128 v[119:122], v118 offset:848
	buffer_load_dword v141, off, s[0:3], 0 offset:56
	buffer_load_dword v142, off, s[0:3], 0 offset:60
	ds_read_b128 v[123:126], v118 offset:864
	s_waitcnt vmcnt(18) lgkmcnt(1)
	v_fma_f64 v[119:120], v[143:144], v[119:120], v[129:130]
	s_waitcnt vmcnt(17)
	v_fma_f64 v[119:120], v[137:138], v[121:122], v[119:120]
	s_waitcnt vmcnt(16) lgkmcnt(0)
	v_fma_f64 v[119:120], v[135:136], v[123:124], v[119:120]
	s_waitcnt vmcnt(11)
	v_fma_f64 v[129:130], v[131:132], v[125:126], v[119:120]
	ds_read_b128 v[119:122], v118 offset:880
	ds_read_b128 v[123:126], v118 offset:896
	s_waitcnt vmcnt(10) lgkmcnt(1)
	v_fma_f64 v[119:120], v[147:148], v[119:120], v[129:130]
	s_waitcnt vmcnt(9)
	v_fma_f64 v[119:120], v[145:146], v[121:122], v[119:120]
	s_waitcnt vmcnt(8) lgkmcnt(0)
	v_fma_f64 v[119:120], v[133:134], v[123:124], v[119:120]
	s_waitcnt vmcnt(4)
	v_fma_f64 v[122:123], v[127:128], v[125:126], v[119:120]
	ds_read_b128 v[118:121], v118 offset:912
	s_waitcnt vmcnt(3) lgkmcnt(0)
	v_fma_f64 v[118:119], v[149:150], v[118:119], v[122:123]
	s_waitcnt vmcnt(2)
	v_fma_f64 v[118:119], v[139:140], v[120:121], v[118:119]
	s_waitcnt vmcnt(0)
	v_add_f64 v[118:119], v[141:142], -v[118:119]
	buffer_store_dword v119, off, s[0:3], 0 offset:60
	buffer_store_dword v118, off, s[0:3], 0 offset:56
	s_and_saveexec_b64 s[4:5], vcc
	s_cbranch_execz .LBB121_343
; %bb.342:
	buffer_load_dword v118, off, s[0:3], 0 offset:48
	buffer_load_dword v119, off, s[0:3], 0 offset:52
	v_mov_b32_e32 v120, 0
	buffer_store_dword v120, off, s[0:3], 0 offset:48
	buffer_store_dword v120, off, s[0:3], 0 offset:52
	s_waitcnt vmcnt(2)
	ds_write_b64 v117, v[118:119]
.LBB121_343:
	s_or_b64 exec, exec, s[4:5]
	s_waitcnt lgkmcnt(0)
	; wave barrier
	buffer_load_dword v127, off, s[0:3], 0 offset:56
	buffer_load_dword v128, off, s[0:3], 0 offset:60
	;; [unrolled: 1-line block ×22, first 2 shown]
	v_mov_b32_e32 v118, 0
	ds_read2_b64 v[119:122], v118 offset0:65 offset1:66
	ds_read2_b64 v[123:126], v118 offset0:67 offset1:68
	v_cmp_lt_u32_e32 vcc, 5, v0
	s_waitcnt vmcnt(20) lgkmcnt(1)
	v_fma_f64 v[119:120], v[127:128], v[119:120], 0
	s_waitcnt vmcnt(18)
	v_fma_f64 v[119:120], v[129:130], v[121:122], v[119:120]
	buffer_load_dword v128, off, s[0:3], 0 offset:148
	buffer_load_dword v129, off, s[0:3], 0 offset:168
	;; [unrolled: 1-line block ×7, first 2 shown]
	s_waitcnt vmcnt(23) lgkmcnt(0)
	v_fma_f64 v[119:120], v[131:132], v[123:124], v[119:120]
	s_waitcnt vmcnt(21)
	v_fma_f64 v[130:131], v[133:134], v[125:126], v[119:120]
	ds_read2_b64 v[119:122], v118 offset0:69 offset1:70
	ds_read2_b64 v[123:126], v118 offset0:71 offset1:72
	s_waitcnt vmcnt(19) lgkmcnt(1)
	v_fma_f64 v[119:120], v[135:136], v[119:120], v[130:131]
	buffer_load_dword v130, off, s[0:3], 0 offset:172
	s_waitcnt vmcnt(18)
	v_fma_f64 v[119:120], v[137:138], v[121:122], v[119:120]
	buffer_load_dword v132, off, s[0:3], 0 offset:180
	buffer_load_dword v133, off, s[0:3], 0 offset:200
	;; [unrolled: 1-line block ×8, first 2 shown]
	s_waitcnt vmcnt(24) lgkmcnt(0)
	v_fma_f64 v[119:120], v[139:140], v[123:124], v[119:120]
	s_waitcnt vmcnt(19)
	v_fma_f64 v[139:140], v[141:142], v[125:126], v[119:120]
	ds_read2_b64 v[119:122], v118 offset0:73 offset1:74
	ds_read2_b64 v[123:126], v118 offset0:75 offset1:76
	s_waitcnt vmcnt(18) lgkmcnt(1)
	v_fma_f64 v[119:120], v[147:148], v[119:120], v[139:140]
	s_waitcnt vmcnt(17)
	v_fma_f64 v[119:120], v[145:146], v[121:122], v[119:120]
	buffer_load_dword v140, off, s[0:3], 0 offset:212
	buffer_load_dword v141, off, s[0:3], 0 offset:232
	;; [unrolled: 1-line block ×8, first 2 shown]
	s_waitcnt vmcnt(24) lgkmcnt(0)
	v_fma_f64 v[119:120], v[143:144], v[123:124], v[119:120]
	s_waitcnt vmcnt(19)
	v_fma_f64 v[127:128], v[127:128], v[125:126], v[119:120]
	ds_read2_b64 v[119:122], v118 offset0:77 offset1:78
	ds_read2_b64 v[123:126], v118 offset0:79 offset1:80
	s_waitcnt vmcnt(18) lgkmcnt(1)
	v_fma_f64 v[119:120], v[151:152], v[119:120], v[127:128]
	s_waitcnt vmcnt(17)
	v_fma_f64 v[119:120], v[149:150], v[121:122], v[119:120]
	buffer_load_dword v128, off, s[0:3], 0 offset:244
	buffer_load_dword v143, off, s[0:3], 0 offset:264
	buffer_load_dword v149, off, s[0:3], 0 offset:256
	buffer_load_dword v151, off, s[0:3], 0 offset:248
	buffer_load_dword v127, off, s[0:3], 0 offset:240
	buffer_load_dword v152, off, s[0:3], 0 offset:252
	buffer_load_dword v150, off, s[0:3], 0 offset:260
	s_waitcnt vmcnt(23) lgkmcnt(0)
	v_fma_f64 v[119:120], v[129:130], v[123:124], v[119:120]
	s_waitcnt vmcnt(18)
	v_fma_f64 v[129:130], v[131:132], v[125:126], v[119:120]
	ds_read2_b64 v[119:122], v118 offset0:81 offset1:82
	ds_read2_b64 v[123:126], v118 offset0:83 offset1:84
	buffer_load_dword v144, off, s[0:3], 0 offset:268
	s_waitcnt vmcnt(18) lgkmcnt(1)
	v_fma_f64 v[119:120], v[137:138], v[119:120], v[129:130]
	s_waitcnt vmcnt(17)
	v_fma_f64 v[119:120], v[135:136], v[121:122], v[119:120]
	buffer_load_dword v130, off, s[0:3], 0 offset:276
	buffer_load_dword v131, off, s[0:3], 0 offset:296
	;; [unrolled: 1-line block ×7, first 2 shown]
	s_waitcnt vmcnt(23) lgkmcnt(0)
	v_fma_f64 v[119:120], v[133:134], v[123:124], v[119:120]
	s_waitcnt vmcnt(18)
	v_fma_f64 v[132:133], v[139:140], v[125:126], v[119:120]
	ds_read2_b64 v[119:122], v118 offset0:85 offset1:86
	ds_read2_b64 v[123:126], v118 offset0:87 offset1:88
	s_waitcnt vmcnt(17) lgkmcnt(1)
	v_fma_f64 v[119:120], v[147:148], v[119:120], v[132:133]
	buffer_load_dword v132, off, s[0:3], 0 offset:300
	s_waitcnt vmcnt(17)
	v_fma_f64 v[119:120], v[145:146], v[121:122], v[119:120]
	buffer_load_dword v134, off, s[0:3], 0 offset:308
	buffer_load_dword v139, off, s[0:3], 0 offset:328
	;; [unrolled: 1-line block ×8, first 2 shown]
	s_waitcnt vmcnt(24) lgkmcnt(0)
	v_fma_f64 v[119:120], v[141:142], v[123:124], v[119:120]
	s_waitcnt vmcnt(19)
	v_fma_f64 v[127:128], v[127:128], v[125:126], v[119:120]
	ds_read2_b64 v[119:122], v118 offset0:89 offset1:90
	ds_read2_b64 v[123:126], v118 offset0:91 offset1:92
	s_waitcnt vmcnt(18) lgkmcnt(1)
	v_fma_f64 v[119:120], v[151:152], v[119:120], v[127:128]
	s_waitcnt vmcnt(17)
	v_fma_f64 v[119:120], v[149:150], v[121:122], v[119:120]
	buffer_load_dword v128, off, s[0:3], 0 offset:340
	buffer_load_dword v141, off, s[0:3], 0 offset:360
	;; [unrolled: 1-line block ×7, first 2 shown]
	s_waitcnt vmcnt(23) lgkmcnt(0)
	v_fma_f64 v[119:120], v[143:144], v[123:124], v[119:120]
	s_waitcnt vmcnt(18)
	v_fma_f64 v[129:130], v[129:130], v[125:126], v[119:120]
	ds_read2_b64 v[119:122], v118 offset0:93 offset1:94
	ds_read2_b64 v[123:126], v118 offset0:95 offset1:96
	buffer_load_dword v142, off, s[0:3], 0 offset:364
	s_waitcnt vmcnt(18) lgkmcnt(1)
	v_fma_f64 v[119:120], v[137:138], v[119:120], v[129:130]
	s_waitcnt vmcnt(17)
	v_fma_f64 v[119:120], v[135:136], v[121:122], v[119:120]
	buffer_load_dword v130, off, s[0:3], 0 offset:372
	buffer_load_dword v135, off, s[0:3], 0 offset:392
	buffer_load_dword v137, off, s[0:3], 0 offset:384
	buffer_load_dword v143, off, s[0:3], 0 offset:376
	buffer_load_dword v129, off, s[0:3], 0 offset:368
	buffer_load_dword v144, off, s[0:3], 0 offset:380
	buffer_load_dword v138, off, s[0:3], 0 offset:388
	buffer_load_dword v136, off, s[0:3], 0 offset:396
	s_waitcnt vmcnt(24) lgkmcnt(0)
	v_fma_f64 v[119:120], v[131:132], v[123:124], v[119:120]
	s_waitcnt vmcnt(19)
	v_fma_f64 v[131:132], v[133:134], v[125:126], v[119:120]
	ds_read2_b64 v[119:122], v118 offset0:97 offset1:98
	ds_read2_b64 v[123:126], v118 offset0:99 offset1:100
	s_waitcnt vmcnt(18) lgkmcnt(1)
	v_fma_f64 v[119:120], v[147:148], v[119:120], v[131:132]
	s_waitcnt vmcnt(17)
	v_fma_f64 v[119:120], v[145:146], v[121:122], v[119:120]
	buffer_load_dword v132, off, s[0:3], 0 offset:404
	buffer_load_dword v133, off, s[0:3], 0 offset:424
	buffer_load_dword v145, off, s[0:3], 0 offset:416
	buffer_load_dword v147, off, s[0:3], 0 offset:408
	buffer_load_dword v131, off, s[0:3], 0 offset:400
	buffer_load_dword v148, off, s[0:3], 0 offset:412
	buffer_load_dword v146, off, s[0:3], 0 offset:420
	buffer_load_dword v134, off, s[0:3], 0 offset:428
	s_waitcnt vmcnt(24) lgkmcnt(0)
	v_fma_f64 v[119:120], v[139:140], v[123:124], v[119:120]
	s_waitcnt vmcnt(19)
	v_fma_f64 v[127:128], v[127:128], v[125:126], v[119:120]
	ds_read2_b64 v[119:122], v118 offset0:101 offset1:102
	ds_read2_b64 v[123:126], v118 offset0:103 offset1:104
	;; [unrolled: 18-line block ×3, first 2 shown]
	s_waitcnt vmcnt(18) lgkmcnt(1)
	v_fma_f64 v[119:120], v[143:144], v[119:120], v[129:130]
	buffer_load_dword v129, off, s[0:3], 0 offset:48
	buffer_load_dword v130, off, s[0:3], 0 offset:52
	s_waitcnt vmcnt(19)
	v_fma_f64 v[119:120], v[137:138], v[121:122], v[119:120]
	s_waitcnt vmcnt(18) lgkmcnt(0)
	v_fma_f64 v[119:120], v[135:136], v[123:124], v[119:120]
	s_waitcnt vmcnt(13)
	v_fma_f64 v[131:132], v[131:132], v[125:126], v[119:120]
	ds_read2_b64 v[119:122], v118 offset0:109 offset1:110
	ds_read2_b64 v[123:126], v118 offset0:111 offset1:112
	s_waitcnt vmcnt(12) lgkmcnt(1)
	v_fma_f64 v[119:120], v[147:148], v[119:120], v[131:132]
	s_waitcnt vmcnt(11)
	v_fma_f64 v[119:120], v[145:146], v[121:122], v[119:120]
	s_waitcnt vmcnt(10) lgkmcnt(0)
	v_fma_f64 v[119:120], v[133:134], v[123:124], v[119:120]
	s_waitcnt vmcnt(5)
	v_fma_f64 v[123:124], v[127:128], v[125:126], v[119:120]
	ds_read2_b64 v[119:122], v118 offset0:113 offset1:114
	ds_read_b64 v[125:126], v118 offset:920
	s_waitcnt vmcnt(4) lgkmcnt(1)
	v_fma_f64 v[119:120], v[151:152], v[119:120], v[123:124]
	s_waitcnt vmcnt(3)
	v_fma_f64 v[119:120], v[149:150], v[121:122], v[119:120]
	s_waitcnt vmcnt(2) lgkmcnt(0)
	v_fma_f64 v[119:120], v[139:140], v[125:126], v[119:120]
	s_waitcnt vmcnt(0)
	v_add_f64 v[119:120], v[129:130], -v[119:120]
	buffer_store_dword v120, off, s[0:3], 0 offset:52
	buffer_store_dword v119, off, s[0:3], 0 offset:48
	s_and_saveexec_b64 s[4:5], vcc
	s_cbranch_execz .LBB121_345
; %bb.344:
	buffer_load_dword v119, off, s[0:3], 0 offset:40
	buffer_load_dword v120, off, s[0:3], 0 offset:44
	s_waitcnt vmcnt(0)
	ds_write_b64 v117, v[119:120]
	buffer_store_dword v118, off, s[0:3], 0 offset:40
	buffer_store_dword v118, off, s[0:3], 0 offset:44
.LBB121_345:
	s_or_b64 exec, exec, s[4:5]
	s_waitcnt lgkmcnt(0)
	; wave barrier
	buffer_load_dword v127, off, s[0:3], 0 offset:48
	buffer_load_dword v128, off, s[0:3], 0 offset:52
	;; [unrolled: 1-line block ×22, first 2 shown]
	ds_read_b128 v[119:122], v118 offset:512
	ds_read_b128 v[123:126], v118 offset:528
	v_cmp_lt_u32_e32 vcc, 4, v0
	s_waitcnt vmcnt(20) lgkmcnt(1)
	v_fma_f64 v[119:120], v[127:128], v[119:120], 0
	s_waitcnt vmcnt(18)
	v_fma_f64 v[119:120], v[129:130], v[121:122], v[119:120]
	buffer_load_dword v128, off, s[0:3], 0 offset:140
	buffer_load_dword v129, off, s[0:3], 0 offset:160
	;; [unrolled: 1-line block ×7, first 2 shown]
	s_waitcnt vmcnt(23) lgkmcnt(0)
	v_fma_f64 v[119:120], v[131:132], v[123:124], v[119:120]
	s_waitcnt vmcnt(21)
	v_fma_f64 v[130:131], v[133:134], v[125:126], v[119:120]
	ds_read_b128 v[119:122], v118 offset:544
	ds_read_b128 v[123:126], v118 offset:560
	s_waitcnt vmcnt(19) lgkmcnt(1)
	v_fma_f64 v[119:120], v[135:136], v[119:120], v[130:131]
	buffer_load_dword v130, off, s[0:3], 0 offset:164
	s_waitcnt vmcnt(18)
	v_fma_f64 v[119:120], v[137:138], v[121:122], v[119:120]
	buffer_load_dword v132, off, s[0:3], 0 offset:172
	buffer_load_dword v133, off, s[0:3], 0 offset:192
	;; [unrolled: 1-line block ×8, first 2 shown]
	s_waitcnt vmcnt(24) lgkmcnt(0)
	v_fma_f64 v[119:120], v[139:140], v[123:124], v[119:120]
	s_waitcnt vmcnt(19)
	v_fma_f64 v[139:140], v[141:142], v[125:126], v[119:120]
	ds_read_b128 v[119:122], v118 offset:576
	ds_read_b128 v[123:126], v118 offset:592
	s_waitcnt vmcnt(18) lgkmcnt(1)
	v_fma_f64 v[119:120], v[147:148], v[119:120], v[139:140]
	s_waitcnt vmcnt(17)
	v_fma_f64 v[119:120], v[145:146], v[121:122], v[119:120]
	buffer_load_dword v140, off, s[0:3], 0 offset:204
	buffer_load_dword v141, off, s[0:3], 0 offset:224
	;; [unrolled: 1-line block ×8, first 2 shown]
	s_waitcnt vmcnt(24) lgkmcnt(0)
	v_fma_f64 v[119:120], v[143:144], v[123:124], v[119:120]
	s_waitcnt vmcnt(19)
	v_fma_f64 v[127:128], v[127:128], v[125:126], v[119:120]
	ds_read_b128 v[119:122], v118 offset:608
	ds_read_b128 v[123:126], v118 offset:624
	s_waitcnt vmcnt(18) lgkmcnt(1)
	v_fma_f64 v[119:120], v[151:152], v[119:120], v[127:128]
	s_waitcnt vmcnt(17)
	v_fma_f64 v[119:120], v[149:150], v[121:122], v[119:120]
	buffer_load_dword v128, off, s[0:3], 0 offset:236
	buffer_load_dword v143, off, s[0:3], 0 offset:256
	buffer_load_dword v149, off, s[0:3], 0 offset:248
	buffer_load_dword v151, off, s[0:3], 0 offset:240
	buffer_load_dword v127, off, s[0:3], 0 offset:232
	buffer_load_dword v152, off, s[0:3], 0 offset:244
	buffer_load_dword v150, off, s[0:3], 0 offset:252
	s_waitcnt vmcnt(23) lgkmcnt(0)
	v_fma_f64 v[119:120], v[129:130], v[123:124], v[119:120]
	s_waitcnt vmcnt(18)
	v_fma_f64 v[129:130], v[131:132], v[125:126], v[119:120]
	ds_read_b128 v[119:122], v118 offset:640
	ds_read_b128 v[123:126], v118 offset:656
	buffer_load_dword v144, off, s[0:3], 0 offset:260
	s_waitcnt vmcnt(18) lgkmcnt(1)
	v_fma_f64 v[119:120], v[137:138], v[119:120], v[129:130]
	s_waitcnt vmcnt(17)
	v_fma_f64 v[119:120], v[135:136], v[121:122], v[119:120]
	buffer_load_dword v130, off, s[0:3], 0 offset:268
	buffer_load_dword v131, off, s[0:3], 0 offset:288
	;; [unrolled: 1-line block ×7, first 2 shown]
	s_waitcnt vmcnt(23) lgkmcnt(0)
	v_fma_f64 v[119:120], v[133:134], v[123:124], v[119:120]
	s_waitcnt vmcnt(18)
	v_fma_f64 v[132:133], v[139:140], v[125:126], v[119:120]
	ds_read_b128 v[119:122], v118 offset:672
	ds_read_b128 v[123:126], v118 offset:688
	s_waitcnt vmcnt(17) lgkmcnt(1)
	v_fma_f64 v[119:120], v[147:148], v[119:120], v[132:133]
	buffer_load_dword v132, off, s[0:3], 0 offset:292
	s_waitcnt vmcnt(17)
	v_fma_f64 v[119:120], v[145:146], v[121:122], v[119:120]
	buffer_load_dword v134, off, s[0:3], 0 offset:300
	buffer_load_dword v139, off, s[0:3], 0 offset:320
	;; [unrolled: 1-line block ×8, first 2 shown]
	s_waitcnt vmcnt(24) lgkmcnt(0)
	v_fma_f64 v[119:120], v[141:142], v[123:124], v[119:120]
	s_waitcnt vmcnt(19)
	v_fma_f64 v[127:128], v[127:128], v[125:126], v[119:120]
	ds_read_b128 v[119:122], v118 offset:704
	ds_read_b128 v[123:126], v118 offset:720
	s_waitcnt vmcnt(18) lgkmcnt(1)
	v_fma_f64 v[119:120], v[151:152], v[119:120], v[127:128]
	s_waitcnt vmcnt(17)
	v_fma_f64 v[119:120], v[149:150], v[121:122], v[119:120]
	buffer_load_dword v128, off, s[0:3], 0 offset:332
	buffer_load_dword v141, off, s[0:3], 0 offset:352
	;; [unrolled: 1-line block ×7, first 2 shown]
	s_waitcnt vmcnt(23) lgkmcnt(0)
	v_fma_f64 v[119:120], v[143:144], v[123:124], v[119:120]
	s_waitcnt vmcnt(18)
	v_fma_f64 v[129:130], v[129:130], v[125:126], v[119:120]
	ds_read_b128 v[119:122], v118 offset:736
	ds_read_b128 v[123:126], v118 offset:752
	buffer_load_dword v142, off, s[0:3], 0 offset:356
	s_waitcnt vmcnt(18) lgkmcnt(1)
	v_fma_f64 v[119:120], v[137:138], v[119:120], v[129:130]
	s_waitcnt vmcnt(17)
	v_fma_f64 v[119:120], v[135:136], v[121:122], v[119:120]
	buffer_load_dword v130, off, s[0:3], 0 offset:364
	buffer_load_dword v135, off, s[0:3], 0 offset:384
	buffer_load_dword v137, off, s[0:3], 0 offset:376
	buffer_load_dword v143, off, s[0:3], 0 offset:368
	buffer_load_dword v129, off, s[0:3], 0 offset:360
	buffer_load_dword v144, off, s[0:3], 0 offset:372
	buffer_load_dword v138, off, s[0:3], 0 offset:380
	buffer_load_dword v136, off, s[0:3], 0 offset:388
	s_waitcnt vmcnt(24) lgkmcnt(0)
	v_fma_f64 v[119:120], v[131:132], v[123:124], v[119:120]
	s_waitcnt vmcnt(19)
	v_fma_f64 v[131:132], v[133:134], v[125:126], v[119:120]
	ds_read_b128 v[119:122], v118 offset:768
	ds_read_b128 v[123:126], v118 offset:784
	s_waitcnt vmcnt(18) lgkmcnt(1)
	v_fma_f64 v[119:120], v[147:148], v[119:120], v[131:132]
	s_waitcnt vmcnt(17)
	v_fma_f64 v[119:120], v[145:146], v[121:122], v[119:120]
	buffer_load_dword v132, off, s[0:3], 0 offset:396
	buffer_load_dword v133, off, s[0:3], 0 offset:416
	buffer_load_dword v145, off, s[0:3], 0 offset:408
	buffer_load_dword v147, off, s[0:3], 0 offset:400
	buffer_load_dword v131, off, s[0:3], 0 offset:392
	buffer_load_dword v148, off, s[0:3], 0 offset:404
	buffer_load_dword v146, off, s[0:3], 0 offset:412
	buffer_load_dword v134, off, s[0:3], 0 offset:420
	s_waitcnt vmcnt(24) lgkmcnt(0)
	v_fma_f64 v[119:120], v[139:140], v[123:124], v[119:120]
	s_waitcnt vmcnt(19)
	v_fma_f64 v[127:128], v[127:128], v[125:126], v[119:120]
	ds_read_b128 v[119:122], v118 offset:800
	ds_read_b128 v[123:126], v118 offset:816
	;; [unrolled: 18-line block ×3, first 2 shown]
	s_waitcnt vmcnt(18) lgkmcnt(1)
	v_fma_f64 v[119:120], v[143:144], v[119:120], v[129:130]
	buffer_load_dword v130, off, s[0:3], 0 offset:460
	buffer_load_dword v129, off, s[0:3], 0 offset:456
	s_waitcnt vmcnt(19)
	v_fma_f64 v[119:120], v[137:138], v[121:122], v[119:120]
	buffer_load_dword v137, off, s[0:3], 0 offset:40
	buffer_load_dword v138, off, s[0:3], 0 offset:44
	s_waitcnt vmcnt(20) lgkmcnt(0)
	v_fma_f64 v[119:120], v[135:136], v[123:124], v[119:120]
	s_waitcnt vmcnt(15)
	v_fma_f64 v[131:132], v[131:132], v[125:126], v[119:120]
	ds_read_b128 v[119:122], v118 offset:864
	ds_read_b128 v[123:126], v118 offset:880
	s_waitcnt vmcnt(14) lgkmcnt(1)
	v_fma_f64 v[119:120], v[147:148], v[119:120], v[131:132]
	s_waitcnt vmcnt(13)
	v_fma_f64 v[119:120], v[145:146], v[121:122], v[119:120]
	s_waitcnt vmcnt(12) lgkmcnt(0)
	v_fma_f64 v[119:120], v[133:134], v[123:124], v[119:120]
	s_waitcnt vmcnt(7)
	v_fma_f64 v[127:128], v[127:128], v[125:126], v[119:120]
	ds_read_b128 v[119:122], v118 offset:896
	ds_read_b128 v[123:126], v118 offset:912
	s_waitcnt vmcnt(6) lgkmcnt(1)
	v_fma_f64 v[118:119], v[151:152], v[119:120], v[127:128]
	s_waitcnt vmcnt(5)
	v_fma_f64 v[118:119], v[149:150], v[121:122], v[118:119]
	s_waitcnt vmcnt(4) lgkmcnt(0)
	v_fma_f64 v[118:119], v[139:140], v[123:124], v[118:119]
	s_waitcnt vmcnt(2)
	v_fma_f64 v[118:119], v[129:130], v[125:126], v[118:119]
	s_waitcnt vmcnt(0)
	v_add_f64 v[118:119], v[137:138], -v[118:119]
	buffer_store_dword v119, off, s[0:3], 0 offset:44
	buffer_store_dword v118, off, s[0:3], 0 offset:40
	s_and_saveexec_b64 s[4:5], vcc
	s_cbranch_execz .LBB121_347
; %bb.346:
	buffer_load_dword v118, off, s[0:3], 0 offset:32
	buffer_load_dword v119, off, s[0:3], 0 offset:36
	v_mov_b32_e32 v120, 0
	buffer_store_dword v120, off, s[0:3], 0 offset:32
	buffer_store_dword v120, off, s[0:3], 0 offset:36
	s_waitcnt vmcnt(2)
	ds_write_b64 v117, v[118:119]
.LBB121_347:
	s_or_b64 exec, exec, s[4:5]
	s_waitcnt lgkmcnt(0)
	; wave barrier
	buffer_load_dword v127, off, s[0:3], 0 offset:40
	buffer_load_dword v128, off, s[0:3], 0 offset:44
	;; [unrolled: 1-line block ×22, first 2 shown]
	v_mov_b32_e32 v118, 0
	ds_read2_b64 v[119:122], v118 offset0:63 offset1:64
	ds_read2_b64 v[123:126], v118 offset0:65 offset1:66
	v_cmp_lt_u32_e32 vcc, 3, v0
	s_waitcnt vmcnt(20) lgkmcnt(1)
	v_fma_f64 v[119:120], v[127:128], v[119:120], 0
	s_waitcnt vmcnt(18)
	v_fma_f64 v[119:120], v[129:130], v[121:122], v[119:120]
	buffer_load_dword v128, off, s[0:3], 0 offset:132
	buffer_load_dword v129, off, s[0:3], 0 offset:152
	;; [unrolled: 1-line block ×7, first 2 shown]
	s_waitcnt vmcnt(23) lgkmcnt(0)
	v_fma_f64 v[119:120], v[131:132], v[123:124], v[119:120]
	s_waitcnt vmcnt(21)
	v_fma_f64 v[130:131], v[133:134], v[125:126], v[119:120]
	ds_read2_b64 v[119:122], v118 offset0:67 offset1:68
	ds_read2_b64 v[123:126], v118 offset0:69 offset1:70
	s_waitcnt vmcnt(19) lgkmcnt(1)
	v_fma_f64 v[119:120], v[135:136], v[119:120], v[130:131]
	buffer_load_dword v130, off, s[0:3], 0 offset:156
	s_waitcnt vmcnt(18)
	v_fma_f64 v[119:120], v[137:138], v[121:122], v[119:120]
	buffer_load_dword v132, off, s[0:3], 0 offset:164
	buffer_load_dword v133, off, s[0:3], 0 offset:184
	;; [unrolled: 1-line block ×7, first 2 shown]
	s_waitcnt vmcnt(23) lgkmcnt(0)
	v_fma_f64 v[119:120], v[139:140], v[123:124], v[119:120]
	s_waitcnt vmcnt(18)
	v_fma_f64 v[139:140], v[141:142], v[125:126], v[119:120]
	ds_read2_b64 v[119:122], v118 offset0:71 offset1:72
	ds_read2_b64 v[123:126], v118 offset0:73 offset1:74
	buffer_load_dword v134, off, s[0:3], 0 offset:188
	s_waitcnt vmcnt(18) lgkmcnt(1)
	v_fma_f64 v[119:120], v[147:148], v[119:120], v[139:140]
	s_waitcnt vmcnt(17)
	v_fma_f64 v[119:120], v[145:146], v[121:122], v[119:120]
	buffer_load_dword v140, off, s[0:3], 0 offset:196
	buffer_load_dword v141, off, s[0:3], 0 offset:216
	;; [unrolled: 1-line block ×8, first 2 shown]
	s_waitcnt vmcnt(24) lgkmcnt(0)
	v_fma_f64 v[119:120], v[143:144], v[123:124], v[119:120]
	s_waitcnt vmcnt(19)
	v_fma_f64 v[127:128], v[127:128], v[125:126], v[119:120]
	ds_read2_b64 v[119:122], v118 offset0:75 offset1:76
	ds_read2_b64 v[123:126], v118 offset0:77 offset1:78
	s_waitcnt vmcnt(18) lgkmcnt(1)
	v_fma_f64 v[119:120], v[151:152], v[119:120], v[127:128]
	s_waitcnt vmcnt(17)
	v_fma_f64 v[119:120], v[149:150], v[121:122], v[119:120]
	buffer_load_dword v128, off, s[0:3], 0 offset:228
	buffer_load_dword v143, off, s[0:3], 0 offset:248
	;; [unrolled: 1-line block ×7, first 2 shown]
	s_waitcnt vmcnt(23) lgkmcnt(0)
	v_fma_f64 v[119:120], v[129:130], v[123:124], v[119:120]
	s_waitcnt vmcnt(18)
	v_fma_f64 v[129:130], v[131:132], v[125:126], v[119:120]
	ds_read2_b64 v[119:122], v118 offset0:79 offset1:80
	ds_read2_b64 v[123:126], v118 offset0:81 offset1:82
	buffer_load_dword v144, off, s[0:3], 0 offset:252
	s_waitcnt vmcnt(18) lgkmcnt(1)
	v_fma_f64 v[119:120], v[137:138], v[119:120], v[129:130]
	s_waitcnt vmcnt(17)
	v_fma_f64 v[119:120], v[135:136], v[121:122], v[119:120]
	buffer_load_dword v130, off, s[0:3], 0 offset:260
	buffer_load_dword v131, off, s[0:3], 0 offset:280
	;; [unrolled: 1-line block ×7, first 2 shown]
	s_waitcnt vmcnt(23) lgkmcnt(0)
	v_fma_f64 v[119:120], v[133:134], v[123:124], v[119:120]
	s_waitcnt vmcnt(18)
	v_fma_f64 v[132:133], v[139:140], v[125:126], v[119:120]
	ds_read2_b64 v[119:122], v118 offset0:83 offset1:84
	ds_read2_b64 v[123:126], v118 offset0:85 offset1:86
	s_waitcnt vmcnt(17) lgkmcnt(1)
	v_fma_f64 v[119:120], v[147:148], v[119:120], v[132:133]
	buffer_load_dword v132, off, s[0:3], 0 offset:284
	s_waitcnt vmcnt(17)
	v_fma_f64 v[119:120], v[145:146], v[121:122], v[119:120]
	buffer_load_dword v134, off, s[0:3], 0 offset:292
	buffer_load_dword v139, off, s[0:3], 0 offset:312
	;; [unrolled: 1-line block ×8, first 2 shown]
	s_waitcnt vmcnt(24) lgkmcnt(0)
	v_fma_f64 v[119:120], v[141:142], v[123:124], v[119:120]
	s_waitcnt vmcnt(19)
	v_fma_f64 v[127:128], v[127:128], v[125:126], v[119:120]
	ds_read2_b64 v[119:122], v118 offset0:87 offset1:88
	ds_read2_b64 v[123:126], v118 offset0:89 offset1:90
	s_waitcnt vmcnt(18) lgkmcnt(1)
	v_fma_f64 v[119:120], v[151:152], v[119:120], v[127:128]
	s_waitcnt vmcnt(17)
	v_fma_f64 v[119:120], v[149:150], v[121:122], v[119:120]
	buffer_load_dword v128, off, s[0:3], 0 offset:324
	buffer_load_dword v141, off, s[0:3], 0 offset:344
	;; [unrolled: 1-line block ×7, first 2 shown]
	s_waitcnt vmcnt(23) lgkmcnt(0)
	v_fma_f64 v[119:120], v[143:144], v[123:124], v[119:120]
	s_waitcnt vmcnt(18)
	v_fma_f64 v[129:130], v[129:130], v[125:126], v[119:120]
	ds_read2_b64 v[119:122], v118 offset0:91 offset1:92
	ds_read2_b64 v[123:126], v118 offset0:93 offset1:94
	buffer_load_dword v142, off, s[0:3], 0 offset:348
	s_waitcnt vmcnt(18) lgkmcnt(1)
	v_fma_f64 v[119:120], v[137:138], v[119:120], v[129:130]
	s_waitcnt vmcnt(17)
	v_fma_f64 v[119:120], v[135:136], v[121:122], v[119:120]
	buffer_load_dword v130, off, s[0:3], 0 offset:356
	buffer_load_dword v135, off, s[0:3], 0 offset:376
	;; [unrolled: 1-line block ×7, first 2 shown]
	s_waitcnt vmcnt(23) lgkmcnt(0)
	v_fma_f64 v[119:120], v[131:132], v[123:124], v[119:120]
	s_waitcnt vmcnt(18)
	v_fma_f64 v[131:132], v[133:134], v[125:126], v[119:120]
	ds_read2_b64 v[119:122], v118 offset0:95 offset1:96
	ds_read2_b64 v[123:126], v118 offset0:97 offset1:98
	buffer_load_dword v136, off, s[0:3], 0 offset:380
	s_waitcnt vmcnt(18) lgkmcnt(1)
	v_fma_f64 v[119:120], v[147:148], v[119:120], v[131:132]
	s_waitcnt vmcnt(17)
	v_fma_f64 v[119:120], v[145:146], v[121:122], v[119:120]
	buffer_load_dword v132, off, s[0:3], 0 offset:388
	buffer_load_dword v133, off, s[0:3], 0 offset:408
	;; [unrolled: 1-line block ×8, first 2 shown]
	s_waitcnt vmcnt(24) lgkmcnt(0)
	v_fma_f64 v[119:120], v[139:140], v[123:124], v[119:120]
	s_waitcnt vmcnt(19)
	v_fma_f64 v[127:128], v[127:128], v[125:126], v[119:120]
	ds_read2_b64 v[119:122], v118 offset0:99 offset1:100
	ds_read2_b64 v[123:126], v118 offset0:101 offset1:102
	s_waitcnt vmcnt(18) lgkmcnt(1)
	v_fma_f64 v[119:120], v[151:152], v[119:120], v[127:128]
	s_waitcnt vmcnt(17)
	v_fma_f64 v[119:120], v[149:150], v[121:122], v[119:120]
	buffer_load_dword v128, off, s[0:3], 0 offset:420
	buffer_load_dword v139, off, s[0:3], 0 offset:440
	;; [unrolled: 1-line block ×7, first 2 shown]
	s_waitcnt vmcnt(23) lgkmcnt(0)
	v_fma_f64 v[119:120], v[141:142], v[123:124], v[119:120]
	s_waitcnt vmcnt(18)
	v_fma_f64 v[129:130], v[129:130], v[125:126], v[119:120]
	ds_read2_b64 v[119:122], v118 offset0:103 offset1:104
	ds_read2_b64 v[123:126], v118 offset0:105 offset1:106
	buffer_load_dword v140, off, s[0:3], 0 offset:444
	s_waitcnt vmcnt(18) lgkmcnt(1)
	v_fma_f64 v[119:120], v[143:144], v[119:120], v[129:130]
	s_waitcnt vmcnt(17)
	v_fma_f64 v[119:120], v[137:138], v[121:122], v[119:120]
	buffer_load_dword v130, off, s[0:3], 0 offset:452
	buffer_load_dword v137, off, s[0:3], 0 offset:456
	;; [unrolled: 1-line block ×4, first 2 shown]
	s_waitcnt vmcnt(20) lgkmcnt(0)
	v_fma_f64 v[119:120], v[135:136], v[123:124], v[119:120]
	buffer_load_dword v135, off, s[0:3], 0 offset:32
	buffer_load_dword v136, off, s[0:3], 0 offset:36
	s_waitcnt vmcnt(17)
	v_fma_f64 v[131:132], v[131:132], v[125:126], v[119:120]
	ds_read2_b64 v[119:122], v118 offset0:107 offset1:108
	ds_read2_b64 v[123:126], v118 offset0:109 offset1:110
	s_waitcnt vmcnt(16) lgkmcnt(1)
	v_fma_f64 v[119:120], v[147:148], v[119:120], v[131:132]
	s_waitcnt vmcnt(15)
	v_fma_f64 v[119:120], v[145:146], v[121:122], v[119:120]
	s_waitcnt vmcnt(14) lgkmcnt(0)
	v_fma_f64 v[119:120], v[133:134], v[123:124], v[119:120]
	s_waitcnt vmcnt(9)
	v_fma_f64 v[127:128], v[127:128], v[125:126], v[119:120]
	ds_read2_b64 v[119:122], v118 offset0:111 offset1:112
	ds_read2_b64 v[123:126], v118 offset0:113 offset1:114
	s_waitcnt vmcnt(8) lgkmcnt(1)
	v_fma_f64 v[119:120], v[151:152], v[119:120], v[127:128]
	s_waitcnt vmcnt(7)
	v_fma_f64 v[119:120], v[149:150], v[121:122], v[119:120]
	ds_read_b64 v[121:122], v118 offset:920
	s_waitcnt vmcnt(6) lgkmcnt(1)
	v_fma_f64 v[119:120], v[139:140], v[123:124], v[119:120]
	s_waitcnt vmcnt(3)
	v_fma_f64 v[119:120], v[129:130], v[125:126], v[119:120]
	s_waitcnt vmcnt(2) lgkmcnt(0)
	v_fma_f64 v[119:120], v[137:138], v[121:122], v[119:120]
	s_waitcnt vmcnt(0)
	v_add_f64 v[119:120], v[135:136], -v[119:120]
	buffer_store_dword v120, off, s[0:3], 0 offset:36
	buffer_store_dword v119, off, s[0:3], 0 offset:32
	s_and_saveexec_b64 s[4:5], vcc
	s_cbranch_execz .LBB121_349
; %bb.348:
	buffer_load_dword v119, off, s[0:3], 0 offset:24
	buffer_load_dword v120, off, s[0:3], 0 offset:28
	s_waitcnt vmcnt(0)
	ds_write_b64 v117, v[119:120]
	buffer_store_dword v118, off, s[0:3], 0 offset:24
	buffer_store_dword v118, off, s[0:3], 0 offset:28
.LBB121_349:
	s_or_b64 exec, exec, s[4:5]
	s_waitcnt lgkmcnt(0)
	; wave barrier
	buffer_load_dword v127, off, s[0:3], 0 offset:32
	buffer_load_dword v128, off, s[0:3], 0 offset:36
	;; [unrolled: 1-line block ×22, first 2 shown]
	ds_read_b128 v[119:122], v118 offset:496
	ds_read_b128 v[123:126], v118 offset:512
	v_cmp_lt_u32_e32 vcc, 2, v0
	s_waitcnt vmcnt(20) lgkmcnt(1)
	v_fma_f64 v[119:120], v[127:128], v[119:120], 0
	s_waitcnt vmcnt(18)
	v_fma_f64 v[119:120], v[129:130], v[121:122], v[119:120]
	buffer_load_dword v128, off, s[0:3], 0 offset:124
	buffer_load_dword v129, off, s[0:3], 0 offset:144
	buffer_load_dword v149, off, s[0:3], 0 offset:136
	buffer_load_dword v151, off, s[0:3], 0 offset:128
	buffer_load_dword v127, off, s[0:3], 0 offset:120
	buffer_load_dword v152, off, s[0:3], 0 offset:132
	buffer_load_dword v150, off, s[0:3], 0 offset:140
	s_waitcnt vmcnt(23) lgkmcnt(0)
	v_fma_f64 v[119:120], v[131:132], v[123:124], v[119:120]
	s_waitcnt vmcnt(21)
	v_fma_f64 v[130:131], v[133:134], v[125:126], v[119:120]
	ds_read_b128 v[119:122], v118 offset:528
	ds_read_b128 v[123:126], v118 offset:544
	s_waitcnt vmcnt(19) lgkmcnt(1)
	v_fma_f64 v[119:120], v[135:136], v[119:120], v[130:131]
	buffer_load_dword v130, off, s[0:3], 0 offset:148
	s_waitcnt vmcnt(18)
	v_fma_f64 v[119:120], v[137:138], v[121:122], v[119:120]
	buffer_load_dword v132, off, s[0:3], 0 offset:156
	buffer_load_dword v133, off, s[0:3], 0 offset:176
	buffer_load_dword v135, off, s[0:3], 0 offset:168
	buffer_load_dword v137, off, s[0:3], 0 offset:160
	buffer_load_dword v131, off, s[0:3], 0 offset:152
	buffer_load_dword v138, off, s[0:3], 0 offset:164
	buffer_load_dword v136, off, s[0:3], 0 offset:172
	s_waitcnt vmcnt(23) lgkmcnt(0)
	v_fma_f64 v[119:120], v[139:140], v[123:124], v[119:120]
	s_waitcnt vmcnt(18)
	v_fma_f64 v[139:140], v[141:142], v[125:126], v[119:120]
	ds_read_b128 v[119:122], v118 offset:560
	ds_read_b128 v[123:126], v118 offset:576
	buffer_load_dword v134, off, s[0:3], 0 offset:180
	s_waitcnt vmcnt(18) lgkmcnt(1)
	v_fma_f64 v[119:120], v[147:148], v[119:120], v[139:140]
	s_waitcnt vmcnt(17)
	v_fma_f64 v[119:120], v[145:146], v[121:122], v[119:120]
	buffer_load_dword v140, off, s[0:3], 0 offset:188
	buffer_load_dword v141, off, s[0:3], 0 offset:208
	;; [unrolled: 1-line block ×8, first 2 shown]
	s_waitcnt vmcnt(24) lgkmcnt(0)
	v_fma_f64 v[119:120], v[143:144], v[123:124], v[119:120]
	s_waitcnt vmcnt(19)
	v_fma_f64 v[127:128], v[127:128], v[125:126], v[119:120]
	ds_read_b128 v[119:122], v118 offset:592
	ds_read_b128 v[123:126], v118 offset:608
	s_waitcnt vmcnt(18) lgkmcnt(1)
	v_fma_f64 v[119:120], v[151:152], v[119:120], v[127:128]
	s_waitcnt vmcnt(17)
	v_fma_f64 v[119:120], v[149:150], v[121:122], v[119:120]
	buffer_load_dword v128, off, s[0:3], 0 offset:220
	buffer_load_dword v143, off, s[0:3], 0 offset:240
	;; [unrolled: 1-line block ×8, first 2 shown]
	s_waitcnt vmcnt(24) lgkmcnt(0)
	v_fma_f64 v[119:120], v[129:130], v[123:124], v[119:120]
	s_waitcnt vmcnt(19)
	v_fma_f64 v[129:130], v[131:132], v[125:126], v[119:120]
	ds_read_b128 v[119:122], v118 offset:624
	ds_read_b128 v[123:126], v118 offset:640
	s_waitcnt vmcnt(18) lgkmcnt(1)
	v_fma_f64 v[119:120], v[137:138], v[119:120], v[129:130]
	s_waitcnt vmcnt(17)
	v_fma_f64 v[119:120], v[135:136], v[121:122], v[119:120]
	buffer_load_dword v130, off, s[0:3], 0 offset:252
	buffer_load_dword v131, off, s[0:3], 0 offset:272
	;; [unrolled: 1-line block ×7, first 2 shown]
	s_waitcnt vmcnt(23) lgkmcnt(0)
	v_fma_f64 v[119:120], v[133:134], v[123:124], v[119:120]
	s_waitcnt vmcnt(18)
	v_fma_f64 v[132:133], v[139:140], v[125:126], v[119:120]
	ds_read_b128 v[119:122], v118 offset:656
	ds_read_b128 v[123:126], v118 offset:672
	s_waitcnt vmcnt(17) lgkmcnt(1)
	v_fma_f64 v[119:120], v[147:148], v[119:120], v[132:133]
	buffer_load_dword v132, off, s[0:3], 0 offset:276
	s_waitcnt vmcnt(17)
	v_fma_f64 v[119:120], v[145:146], v[121:122], v[119:120]
	buffer_load_dword v134, off, s[0:3], 0 offset:284
	buffer_load_dword v139, off, s[0:3], 0 offset:304
	;; [unrolled: 1-line block ×8, first 2 shown]
	s_waitcnt vmcnt(24) lgkmcnt(0)
	v_fma_f64 v[119:120], v[141:142], v[123:124], v[119:120]
	s_waitcnt vmcnt(19)
	v_fma_f64 v[127:128], v[127:128], v[125:126], v[119:120]
	ds_read_b128 v[119:122], v118 offset:688
	ds_read_b128 v[123:126], v118 offset:704
	s_waitcnt vmcnt(18) lgkmcnt(1)
	v_fma_f64 v[119:120], v[151:152], v[119:120], v[127:128]
	s_waitcnt vmcnt(17)
	v_fma_f64 v[119:120], v[149:150], v[121:122], v[119:120]
	buffer_load_dword v128, off, s[0:3], 0 offset:316
	buffer_load_dword v141, off, s[0:3], 0 offset:336
	;; [unrolled: 1-line block ×8, first 2 shown]
	s_waitcnt vmcnt(24) lgkmcnt(0)
	v_fma_f64 v[119:120], v[143:144], v[123:124], v[119:120]
	s_waitcnt vmcnt(19)
	v_fma_f64 v[129:130], v[129:130], v[125:126], v[119:120]
	ds_read_b128 v[119:122], v118 offset:720
	ds_read_b128 v[123:126], v118 offset:736
	s_waitcnt vmcnt(18) lgkmcnt(1)
	v_fma_f64 v[119:120], v[137:138], v[119:120], v[129:130]
	s_waitcnt vmcnt(17)
	v_fma_f64 v[119:120], v[135:136], v[121:122], v[119:120]
	buffer_load_dword v130, off, s[0:3], 0 offset:348
	buffer_load_dword v135, off, s[0:3], 0 offset:368
	;; [unrolled: 1-line block ×7, first 2 shown]
	s_waitcnt vmcnt(23) lgkmcnt(0)
	v_fma_f64 v[119:120], v[131:132], v[123:124], v[119:120]
	s_waitcnt vmcnt(18)
	v_fma_f64 v[131:132], v[133:134], v[125:126], v[119:120]
	ds_read_b128 v[119:122], v118 offset:752
	ds_read_b128 v[123:126], v118 offset:768
	buffer_load_dword v136, off, s[0:3], 0 offset:372
	s_waitcnt vmcnt(18) lgkmcnt(1)
	v_fma_f64 v[119:120], v[147:148], v[119:120], v[131:132]
	s_waitcnt vmcnt(17)
	v_fma_f64 v[119:120], v[145:146], v[121:122], v[119:120]
	buffer_load_dword v132, off, s[0:3], 0 offset:380
	buffer_load_dword v133, off, s[0:3], 0 offset:400
	;; [unrolled: 1-line block ×8, first 2 shown]
	s_waitcnt vmcnt(24) lgkmcnt(0)
	v_fma_f64 v[119:120], v[139:140], v[123:124], v[119:120]
	s_waitcnt vmcnt(19)
	v_fma_f64 v[127:128], v[127:128], v[125:126], v[119:120]
	ds_read_b128 v[119:122], v118 offset:784
	ds_read_b128 v[123:126], v118 offset:800
	s_waitcnt vmcnt(18) lgkmcnt(1)
	v_fma_f64 v[119:120], v[151:152], v[119:120], v[127:128]
	s_waitcnt vmcnt(17)
	v_fma_f64 v[119:120], v[149:150], v[121:122], v[119:120]
	buffer_load_dword v128, off, s[0:3], 0 offset:412
	buffer_load_dword v139, off, s[0:3], 0 offset:432
	;; [unrolled: 1-line block ×8, first 2 shown]
	s_waitcnt vmcnt(24) lgkmcnt(0)
	v_fma_f64 v[119:120], v[141:142], v[123:124], v[119:120]
	s_waitcnt vmcnt(19)
	v_fma_f64 v[129:130], v[129:130], v[125:126], v[119:120]
	ds_read_b128 v[119:122], v118 offset:816
	ds_read_b128 v[123:126], v118 offset:832
	s_waitcnt vmcnt(18) lgkmcnt(1)
	v_fma_f64 v[119:120], v[143:144], v[119:120], v[129:130]
	s_waitcnt vmcnt(17)
	v_fma_f64 v[119:120], v[137:138], v[121:122], v[119:120]
	buffer_load_dword v130, off, s[0:3], 0 offset:444
	buffer_load_dword v137, off, s[0:3], 0 offset:456
	;; [unrolled: 1-line block ×6, first 2 shown]
	s_waitcnt vmcnt(22) lgkmcnt(0)
	v_fma_f64 v[119:120], v[135:136], v[123:124], v[119:120]
	s_waitcnt vmcnt(17)
	v_fma_f64 v[131:132], v[131:132], v[125:126], v[119:120]
	ds_read_b128 v[119:122], v118 offset:848
	buffer_load_dword v135, off, s[0:3], 0 offset:24
	buffer_load_dword v136, off, s[0:3], 0 offset:28
	ds_read_b128 v[123:126], v118 offset:864
	s_waitcnt vmcnt(18) lgkmcnt(1)
	v_fma_f64 v[119:120], v[147:148], v[119:120], v[131:132]
	s_waitcnt vmcnt(17)
	v_fma_f64 v[119:120], v[145:146], v[121:122], v[119:120]
	s_waitcnt vmcnt(16) lgkmcnt(0)
	v_fma_f64 v[119:120], v[133:134], v[123:124], v[119:120]
	s_waitcnt vmcnt(11)
	v_fma_f64 v[127:128], v[127:128], v[125:126], v[119:120]
	ds_read_b128 v[119:122], v118 offset:880
	ds_read_b128 v[123:126], v118 offset:896
	s_waitcnt vmcnt(10) lgkmcnt(1)
	v_fma_f64 v[119:120], v[151:152], v[119:120], v[127:128]
	s_waitcnt vmcnt(9)
	v_fma_f64 v[119:120], v[149:150], v[121:122], v[119:120]
	s_waitcnt vmcnt(8) lgkmcnt(0)
	v_fma_f64 v[119:120], v[139:140], v[123:124], v[119:120]
	s_waitcnt vmcnt(4)
	v_fma_f64 v[122:123], v[129:130], v[125:126], v[119:120]
	ds_read_b128 v[118:121], v118 offset:912
	s_waitcnt vmcnt(3) lgkmcnt(0)
	v_fma_f64 v[118:119], v[141:142], v[118:119], v[122:123]
	s_waitcnt vmcnt(2)
	v_fma_f64 v[118:119], v[137:138], v[120:121], v[118:119]
	s_waitcnt vmcnt(0)
	v_add_f64 v[118:119], v[135:136], -v[118:119]
	buffer_store_dword v119, off, s[0:3], 0 offset:28
	buffer_store_dword v118, off, s[0:3], 0 offset:24
	s_and_saveexec_b64 s[4:5], vcc
	s_cbranch_execz .LBB121_351
; %bb.350:
	buffer_load_dword v118, off, s[0:3], 0 offset:16
	buffer_load_dword v119, off, s[0:3], 0 offset:20
	v_mov_b32_e32 v120, 0
	buffer_store_dword v120, off, s[0:3], 0 offset:16
	buffer_store_dword v120, off, s[0:3], 0 offset:20
	s_waitcnt vmcnt(2)
	ds_write_b64 v117, v[118:119]
.LBB121_351:
	s_or_b64 exec, exec, s[4:5]
	s_waitcnt lgkmcnt(0)
	; wave barrier
	buffer_load_dword v127, off, s[0:3], 0 offset:24
	buffer_load_dword v128, off, s[0:3], 0 offset:28
	;; [unrolled: 1-line block ×22, first 2 shown]
	v_mov_b32_e32 v118, 0
	ds_read2_b64 v[119:122], v118 offset0:61 offset1:62
	ds_read2_b64 v[123:126], v118 offset0:63 offset1:64
	v_cmp_lt_u32_e32 vcc, 1, v0
	s_waitcnt vmcnt(20) lgkmcnt(1)
	v_fma_f64 v[119:120], v[127:128], v[119:120], 0
	s_waitcnt vmcnt(18)
	v_fma_f64 v[119:120], v[129:130], v[121:122], v[119:120]
	buffer_load_dword v128, off, s[0:3], 0 offset:116
	buffer_load_dword v129, off, s[0:3], 0 offset:136
	;; [unrolled: 1-line block ×7, first 2 shown]
	s_waitcnt vmcnt(23) lgkmcnt(0)
	v_fma_f64 v[119:120], v[131:132], v[123:124], v[119:120]
	s_waitcnt vmcnt(21)
	v_fma_f64 v[130:131], v[133:134], v[125:126], v[119:120]
	ds_read2_b64 v[119:122], v118 offset0:65 offset1:66
	ds_read2_b64 v[123:126], v118 offset0:67 offset1:68
	s_waitcnt vmcnt(19) lgkmcnt(1)
	v_fma_f64 v[119:120], v[135:136], v[119:120], v[130:131]
	buffer_load_dword v130, off, s[0:3], 0 offset:140
	s_waitcnt vmcnt(18)
	v_fma_f64 v[119:120], v[137:138], v[121:122], v[119:120]
	buffer_load_dword v132, off, s[0:3], 0 offset:148
	buffer_load_dword v133, off, s[0:3], 0 offset:168
	;; [unrolled: 1-line block ×7, first 2 shown]
	s_waitcnt vmcnt(23) lgkmcnt(0)
	v_fma_f64 v[119:120], v[139:140], v[123:124], v[119:120]
	s_waitcnt vmcnt(18)
	v_fma_f64 v[139:140], v[141:142], v[125:126], v[119:120]
	ds_read2_b64 v[119:122], v118 offset0:69 offset1:70
	ds_read2_b64 v[123:126], v118 offset0:71 offset1:72
	buffer_load_dword v134, off, s[0:3], 0 offset:172
	s_waitcnt vmcnt(18) lgkmcnt(1)
	v_fma_f64 v[119:120], v[147:148], v[119:120], v[139:140]
	s_waitcnt vmcnt(17)
	v_fma_f64 v[119:120], v[145:146], v[121:122], v[119:120]
	buffer_load_dword v140, off, s[0:3], 0 offset:180
	buffer_load_dword v141, off, s[0:3], 0 offset:200
	;; [unrolled: 1-line block ×8, first 2 shown]
	s_waitcnt vmcnt(24) lgkmcnt(0)
	v_fma_f64 v[119:120], v[143:144], v[123:124], v[119:120]
	s_waitcnt vmcnt(19)
	v_fma_f64 v[127:128], v[127:128], v[125:126], v[119:120]
	ds_read2_b64 v[119:122], v118 offset0:73 offset1:74
	ds_read2_b64 v[123:126], v118 offset0:75 offset1:76
	s_waitcnt vmcnt(18) lgkmcnt(1)
	v_fma_f64 v[119:120], v[151:152], v[119:120], v[127:128]
	s_waitcnt vmcnt(17)
	v_fma_f64 v[119:120], v[149:150], v[121:122], v[119:120]
	buffer_load_dword v128, off, s[0:3], 0 offset:212
	buffer_load_dword v143, off, s[0:3], 0 offset:232
	;; [unrolled: 1-line block ×8, first 2 shown]
	s_waitcnt vmcnt(24) lgkmcnt(0)
	v_fma_f64 v[119:120], v[129:130], v[123:124], v[119:120]
	s_waitcnt vmcnt(19)
	v_fma_f64 v[129:130], v[131:132], v[125:126], v[119:120]
	ds_read2_b64 v[119:122], v118 offset0:77 offset1:78
	ds_read2_b64 v[123:126], v118 offset0:79 offset1:80
	s_waitcnt vmcnt(18) lgkmcnt(1)
	v_fma_f64 v[119:120], v[137:138], v[119:120], v[129:130]
	s_waitcnt vmcnt(17)
	v_fma_f64 v[119:120], v[135:136], v[121:122], v[119:120]
	buffer_load_dword v130, off, s[0:3], 0 offset:244
	buffer_load_dword v131, off, s[0:3], 0 offset:264
	buffer_load_dword v135, off, s[0:3], 0 offset:256
	buffer_load_dword v137, off, s[0:3], 0 offset:248
	buffer_load_dword v129, off, s[0:3], 0 offset:240
	buffer_load_dword v138, off, s[0:3], 0 offset:252
	buffer_load_dword v136, off, s[0:3], 0 offset:260
	s_waitcnt vmcnt(23) lgkmcnt(0)
	v_fma_f64 v[119:120], v[133:134], v[123:124], v[119:120]
	s_waitcnt vmcnt(18)
	v_fma_f64 v[132:133], v[139:140], v[125:126], v[119:120]
	ds_read2_b64 v[119:122], v118 offset0:81 offset1:82
	ds_read2_b64 v[123:126], v118 offset0:83 offset1:84
	s_waitcnt vmcnt(17) lgkmcnt(1)
	v_fma_f64 v[119:120], v[147:148], v[119:120], v[132:133]
	buffer_load_dword v132, off, s[0:3], 0 offset:268
	s_waitcnt vmcnt(17)
	v_fma_f64 v[119:120], v[145:146], v[121:122], v[119:120]
	buffer_load_dword v134, off, s[0:3], 0 offset:276
	buffer_load_dword v139, off, s[0:3], 0 offset:296
	;; [unrolled: 1-line block ×8, first 2 shown]
	s_waitcnt vmcnt(24) lgkmcnt(0)
	v_fma_f64 v[119:120], v[141:142], v[123:124], v[119:120]
	s_waitcnt vmcnt(19)
	v_fma_f64 v[127:128], v[127:128], v[125:126], v[119:120]
	ds_read2_b64 v[119:122], v118 offset0:85 offset1:86
	ds_read2_b64 v[123:126], v118 offset0:87 offset1:88
	s_waitcnt vmcnt(18) lgkmcnt(1)
	v_fma_f64 v[119:120], v[151:152], v[119:120], v[127:128]
	s_waitcnt vmcnt(17)
	v_fma_f64 v[119:120], v[149:150], v[121:122], v[119:120]
	buffer_load_dword v128, off, s[0:3], 0 offset:308
	buffer_load_dword v141, off, s[0:3], 0 offset:328
	;; [unrolled: 1-line block ×8, first 2 shown]
	s_waitcnt vmcnt(24) lgkmcnt(0)
	v_fma_f64 v[119:120], v[143:144], v[123:124], v[119:120]
	s_waitcnt vmcnt(19)
	v_fma_f64 v[129:130], v[129:130], v[125:126], v[119:120]
	ds_read2_b64 v[119:122], v118 offset0:89 offset1:90
	ds_read2_b64 v[123:126], v118 offset0:91 offset1:92
	s_waitcnt vmcnt(18) lgkmcnt(1)
	v_fma_f64 v[119:120], v[137:138], v[119:120], v[129:130]
	s_waitcnt vmcnt(17)
	v_fma_f64 v[119:120], v[135:136], v[121:122], v[119:120]
	buffer_load_dword v130, off, s[0:3], 0 offset:340
	buffer_load_dword v135, off, s[0:3], 0 offset:360
	;; [unrolled: 1-line block ×7, first 2 shown]
	s_waitcnt vmcnt(23) lgkmcnt(0)
	v_fma_f64 v[119:120], v[131:132], v[123:124], v[119:120]
	s_waitcnt vmcnt(18)
	v_fma_f64 v[131:132], v[133:134], v[125:126], v[119:120]
	ds_read2_b64 v[119:122], v118 offset0:93 offset1:94
	ds_read2_b64 v[123:126], v118 offset0:95 offset1:96
	buffer_load_dword v136, off, s[0:3], 0 offset:364
	s_waitcnt vmcnt(18) lgkmcnt(1)
	v_fma_f64 v[119:120], v[147:148], v[119:120], v[131:132]
	s_waitcnt vmcnt(17)
	v_fma_f64 v[119:120], v[145:146], v[121:122], v[119:120]
	buffer_load_dword v132, off, s[0:3], 0 offset:372
	buffer_load_dword v133, off, s[0:3], 0 offset:392
	buffer_load_dword v145, off, s[0:3], 0 offset:384
	buffer_load_dword v147, off, s[0:3], 0 offset:376
	buffer_load_dword v131, off, s[0:3], 0 offset:368
	buffer_load_dword v148, off, s[0:3], 0 offset:380
	buffer_load_dword v146, off, s[0:3], 0 offset:388
	buffer_load_dword v134, off, s[0:3], 0 offset:396
	s_waitcnt vmcnt(24) lgkmcnt(0)
	v_fma_f64 v[119:120], v[139:140], v[123:124], v[119:120]
	s_waitcnt vmcnt(19)
	v_fma_f64 v[127:128], v[127:128], v[125:126], v[119:120]
	ds_read2_b64 v[119:122], v118 offset0:97 offset1:98
	ds_read2_b64 v[123:126], v118 offset0:99 offset1:100
	s_waitcnt vmcnt(18) lgkmcnt(1)
	v_fma_f64 v[119:120], v[151:152], v[119:120], v[127:128]
	s_waitcnt vmcnt(17)
	v_fma_f64 v[119:120], v[149:150], v[121:122], v[119:120]
	buffer_load_dword v128, off, s[0:3], 0 offset:404
	buffer_load_dword v139, off, s[0:3], 0 offset:424
	buffer_load_dword v149, off, s[0:3], 0 offset:416
	buffer_load_dword v151, off, s[0:3], 0 offset:408
	buffer_load_dword v127, off, s[0:3], 0 offset:400
	buffer_load_dword v152, off, s[0:3], 0 offset:412
	buffer_load_dword v150, off, s[0:3], 0 offset:420
	buffer_load_dword v140, off, s[0:3], 0 offset:428
	s_waitcnt vmcnt(24) lgkmcnt(0)
	v_fma_f64 v[119:120], v[141:142], v[123:124], v[119:120]
	s_waitcnt vmcnt(19)
	v_fma_f64 v[129:130], v[129:130], v[125:126], v[119:120]
	ds_read2_b64 v[119:122], v118 offset0:101 offset1:102
	ds_read2_b64 v[123:126], v118 offset0:103 offset1:104
	;; [unrolled: 18-line block ×3, first 2 shown]
	s_waitcnt vmcnt(18) lgkmcnt(1)
	v_fma_f64 v[119:120], v[147:148], v[119:120], v[131:132]
	buffer_load_dword v131, off, s[0:3], 0 offset:16
	buffer_load_dword v132, off, s[0:3], 0 offset:20
	s_waitcnt vmcnt(19)
	v_fma_f64 v[119:120], v[145:146], v[121:122], v[119:120]
	s_waitcnt vmcnt(18) lgkmcnt(0)
	v_fma_f64 v[119:120], v[133:134], v[123:124], v[119:120]
	s_waitcnt vmcnt(13)
	v_fma_f64 v[127:128], v[127:128], v[125:126], v[119:120]
	ds_read2_b64 v[119:122], v118 offset0:109 offset1:110
	ds_read2_b64 v[123:126], v118 offset0:111 offset1:112
	s_waitcnt vmcnt(12) lgkmcnt(1)
	v_fma_f64 v[119:120], v[151:152], v[119:120], v[127:128]
	s_waitcnt vmcnt(11)
	v_fma_f64 v[119:120], v[149:150], v[121:122], v[119:120]
	s_waitcnt vmcnt(10) lgkmcnt(0)
	v_fma_f64 v[119:120], v[139:140], v[123:124], v[119:120]
	s_waitcnt vmcnt(5)
	v_fma_f64 v[123:124], v[129:130], v[125:126], v[119:120]
	ds_read2_b64 v[119:122], v118 offset0:113 offset1:114
	ds_read_b64 v[125:126], v118 offset:920
	s_waitcnt vmcnt(4) lgkmcnt(1)
	v_fma_f64 v[119:120], v[143:144], v[119:120], v[123:124]
	s_waitcnt vmcnt(3)
	v_fma_f64 v[119:120], v[141:142], v[121:122], v[119:120]
	s_waitcnt vmcnt(2) lgkmcnt(0)
	v_fma_f64 v[119:120], v[137:138], v[125:126], v[119:120]
	s_waitcnt vmcnt(0)
	v_add_f64 v[119:120], v[131:132], -v[119:120]
	buffer_store_dword v120, off, s[0:3], 0 offset:20
	buffer_store_dword v119, off, s[0:3], 0 offset:16
	s_and_saveexec_b64 s[4:5], vcc
	s_cbranch_execz .LBB121_353
; %bb.352:
	buffer_load_dword v119, off, s[0:3], 0 offset:8
	buffer_load_dword v120, off, s[0:3], 0 offset:12
	s_waitcnt vmcnt(0)
	ds_write_b64 v117, v[119:120]
	buffer_store_dword v118, off, s[0:3], 0 offset:8
	buffer_store_dword v118, off, s[0:3], 0 offset:12
.LBB121_353:
	s_or_b64 exec, exec, s[4:5]
	s_waitcnt lgkmcnt(0)
	; wave barrier
	buffer_load_dword v127, off, s[0:3], 0 offset:16
	buffer_load_dword v128, off, s[0:3], 0 offset:20
	buffer_load_dword v129, off, s[0:3], 0 offset:24
	buffer_load_dword v130, off, s[0:3], 0 offset:28
	buffer_load_dword v131, off, s[0:3], 0 offset:32
	buffer_load_dword v132, off, s[0:3], 0 offset:36
	buffer_load_dword v133, off, s[0:3], 0 offset:40
	buffer_load_dword v134, off, s[0:3], 0 offset:44
	buffer_load_dword v135, off, s[0:3], 0 offset:48
	buffer_load_dword v136, off, s[0:3], 0 offset:52
	buffer_load_dword v137, off, s[0:3], 0 offset:56
	buffer_load_dword v138, off, s[0:3], 0 offset:60
	buffer_load_dword v139, off, s[0:3], 0 offset:64
	buffer_load_dword v140, off, s[0:3], 0 offset:68
	buffer_load_dword v142, off, s[0:3], 0 offset:76
	buffer_load_dword v143, off, s[0:3], 0 offset:96
	buffer_load_dword v145, off, s[0:3], 0 offset:88
	buffer_load_dword v147, off, s[0:3], 0 offset:80
	buffer_load_dword v141, off, s[0:3], 0 offset:72
	buffer_load_dword v148, off, s[0:3], 0 offset:84
	buffer_load_dword v146, off, s[0:3], 0 offset:92
	buffer_load_dword v144, off, s[0:3], 0 offset:100
	ds_read_b128 v[119:122], v118 offset:480
	ds_read_b128 v[123:126], v118 offset:496
	v_cmp_ne_u32_e32 vcc, 0, v0
	s_waitcnt vmcnt(20) lgkmcnt(1)
	v_fma_f64 v[119:120], v[127:128], v[119:120], 0
	s_waitcnt vmcnt(18)
	v_fma_f64 v[119:120], v[129:130], v[121:122], v[119:120]
	buffer_load_dword v128, off, s[0:3], 0 offset:108
	buffer_load_dword v129, off, s[0:3], 0 offset:128
	;; [unrolled: 1-line block ×7, first 2 shown]
	s_waitcnt vmcnt(23) lgkmcnt(0)
	v_fma_f64 v[119:120], v[131:132], v[123:124], v[119:120]
	s_waitcnt vmcnt(21)
	v_fma_f64 v[130:131], v[133:134], v[125:126], v[119:120]
	ds_read_b128 v[119:122], v118 offset:512
	ds_read_b128 v[123:126], v118 offset:528
	s_waitcnt vmcnt(19) lgkmcnt(1)
	v_fma_f64 v[119:120], v[135:136], v[119:120], v[130:131]
	buffer_load_dword v130, off, s[0:3], 0 offset:132
	s_waitcnt vmcnt(18)
	v_fma_f64 v[119:120], v[137:138], v[121:122], v[119:120]
	buffer_load_dword v132, off, s[0:3], 0 offset:140
	buffer_load_dword v133, off, s[0:3], 0 offset:160
	;; [unrolled: 1-line block ×7, first 2 shown]
	s_waitcnt vmcnt(23) lgkmcnt(0)
	v_fma_f64 v[119:120], v[139:140], v[123:124], v[119:120]
	s_waitcnt vmcnt(18)
	v_fma_f64 v[139:140], v[141:142], v[125:126], v[119:120]
	ds_read_b128 v[119:122], v118 offset:544
	ds_read_b128 v[123:126], v118 offset:560
	buffer_load_dword v134, off, s[0:3], 0 offset:164
	s_waitcnt vmcnt(18) lgkmcnt(1)
	v_fma_f64 v[119:120], v[147:148], v[119:120], v[139:140]
	s_waitcnt vmcnt(17)
	v_fma_f64 v[119:120], v[145:146], v[121:122], v[119:120]
	buffer_load_dword v140, off, s[0:3], 0 offset:172
	buffer_load_dword v141, off, s[0:3], 0 offset:192
	;; [unrolled: 1-line block ×8, first 2 shown]
	s_waitcnt vmcnt(24) lgkmcnt(0)
	v_fma_f64 v[119:120], v[143:144], v[123:124], v[119:120]
	s_waitcnt vmcnt(19)
	v_fma_f64 v[127:128], v[127:128], v[125:126], v[119:120]
	ds_read_b128 v[119:122], v118 offset:576
	ds_read_b128 v[123:126], v118 offset:592
	s_waitcnt vmcnt(18) lgkmcnt(1)
	v_fma_f64 v[119:120], v[151:152], v[119:120], v[127:128]
	s_waitcnt vmcnt(17)
	v_fma_f64 v[119:120], v[149:150], v[121:122], v[119:120]
	buffer_load_dword v128, off, s[0:3], 0 offset:204
	buffer_load_dword v143, off, s[0:3], 0 offset:224
	;; [unrolled: 1-line block ×8, first 2 shown]
	s_waitcnt vmcnt(24) lgkmcnt(0)
	v_fma_f64 v[119:120], v[129:130], v[123:124], v[119:120]
	s_waitcnt vmcnt(19)
	v_fma_f64 v[129:130], v[131:132], v[125:126], v[119:120]
	ds_read_b128 v[119:122], v118 offset:608
	ds_read_b128 v[123:126], v118 offset:624
	s_waitcnt vmcnt(18) lgkmcnt(1)
	v_fma_f64 v[119:120], v[137:138], v[119:120], v[129:130]
	s_waitcnt vmcnt(17)
	v_fma_f64 v[119:120], v[135:136], v[121:122], v[119:120]
	buffer_load_dword v130, off, s[0:3], 0 offset:236
	buffer_load_dword v131, off, s[0:3], 0 offset:256
	;; [unrolled: 1-line block ×7, first 2 shown]
	s_waitcnt vmcnt(23) lgkmcnt(0)
	v_fma_f64 v[119:120], v[133:134], v[123:124], v[119:120]
	s_waitcnt vmcnt(18)
	v_fma_f64 v[132:133], v[139:140], v[125:126], v[119:120]
	ds_read_b128 v[119:122], v118 offset:640
	ds_read_b128 v[123:126], v118 offset:656
	s_waitcnt vmcnt(17) lgkmcnt(1)
	v_fma_f64 v[119:120], v[147:148], v[119:120], v[132:133]
	buffer_load_dword v132, off, s[0:3], 0 offset:260
	s_waitcnt vmcnt(17)
	v_fma_f64 v[119:120], v[145:146], v[121:122], v[119:120]
	buffer_load_dword v134, off, s[0:3], 0 offset:268
	buffer_load_dword v139, off, s[0:3], 0 offset:288
	buffer_load_dword v145, off, s[0:3], 0 offset:280
	buffer_load_dword v147, off, s[0:3], 0 offset:272
	buffer_load_dword v133, off, s[0:3], 0 offset:264
	buffer_load_dword v148, off, s[0:3], 0 offset:276
	buffer_load_dword v146, off, s[0:3], 0 offset:284
	buffer_load_dword v140, off, s[0:3], 0 offset:292
	s_waitcnt vmcnt(24) lgkmcnt(0)
	v_fma_f64 v[119:120], v[141:142], v[123:124], v[119:120]
	s_waitcnt vmcnt(19)
	v_fma_f64 v[127:128], v[127:128], v[125:126], v[119:120]
	ds_read_b128 v[119:122], v118 offset:672
	ds_read_b128 v[123:126], v118 offset:688
	s_waitcnt vmcnt(18) lgkmcnt(1)
	v_fma_f64 v[119:120], v[151:152], v[119:120], v[127:128]
	s_waitcnt vmcnt(17)
	v_fma_f64 v[119:120], v[149:150], v[121:122], v[119:120]
	buffer_load_dword v128, off, s[0:3], 0 offset:300
	buffer_load_dword v141, off, s[0:3], 0 offset:320
	;; [unrolled: 1-line block ×8, first 2 shown]
	s_waitcnt vmcnt(24) lgkmcnt(0)
	v_fma_f64 v[119:120], v[143:144], v[123:124], v[119:120]
	s_waitcnt vmcnt(19)
	v_fma_f64 v[129:130], v[129:130], v[125:126], v[119:120]
	ds_read_b128 v[119:122], v118 offset:704
	ds_read_b128 v[123:126], v118 offset:720
	s_waitcnt vmcnt(18) lgkmcnt(1)
	v_fma_f64 v[119:120], v[137:138], v[119:120], v[129:130]
	s_waitcnt vmcnt(17)
	v_fma_f64 v[119:120], v[135:136], v[121:122], v[119:120]
	buffer_load_dword v130, off, s[0:3], 0 offset:332
	buffer_load_dword v135, off, s[0:3], 0 offset:352
	;; [unrolled: 1-line block ×7, first 2 shown]
	s_waitcnt vmcnt(23) lgkmcnt(0)
	v_fma_f64 v[119:120], v[131:132], v[123:124], v[119:120]
	s_waitcnt vmcnt(18)
	v_fma_f64 v[131:132], v[133:134], v[125:126], v[119:120]
	ds_read_b128 v[119:122], v118 offset:736
	ds_read_b128 v[123:126], v118 offset:752
	buffer_load_dword v136, off, s[0:3], 0 offset:356
	s_waitcnt vmcnt(18) lgkmcnt(1)
	v_fma_f64 v[119:120], v[147:148], v[119:120], v[131:132]
	s_waitcnt vmcnt(17)
	v_fma_f64 v[119:120], v[145:146], v[121:122], v[119:120]
	buffer_load_dword v132, off, s[0:3], 0 offset:364
	buffer_load_dword v133, off, s[0:3], 0 offset:384
	buffer_load_dword v145, off, s[0:3], 0 offset:376
	buffer_load_dword v147, off, s[0:3], 0 offset:368
	buffer_load_dword v131, off, s[0:3], 0 offset:360
	buffer_load_dword v148, off, s[0:3], 0 offset:372
	buffer_load_dword v146, off, s[0:3], 0 offset:380
	buffer_load_dword v134, off, s[0:3], 0 offset:388
	s_waitcnt vmcnt(24) lgkmcnt(0)
	v_fma_f64 v[119:120], v[139:140], v[123:124], v[119:120]
	s_waitcnt vmcnt(19)
	v_fma_f64 v[127:128], v[127:128], v[125:126], v[119:120]
	ds_read_b128 v[119:122], v118 offset:768
	ds_read_b128 v[123:126], v118 offset:784
	s_waitcnt vmcnt(18) lgkmcnt(1)
	v_fma_f64 v[119:120], v[151:152], v[119:120], v[127:128]
	s_waitcnt vmcnt(17)
	v_fma_f64 v[119:120], v[149:150], v[121:122], v[119:120]
	buffer_load_dword v128, off, s[0:3], 0 offset:396
	buffer_load_dword v139, off, s[0:3], 0 offset:416
	buffer_load_dword v149, off, s[0:3], 0 offset:408
	buffer_load_dword v151, off, s[0:3], 0 offset:400
	buffer_load_dword v127, off, s[0:3], 0 offset:392
	buffer_load_dword v152, off, s[0:3], 0 offset:404
	buffer_load_dword v150, off, s[0:3], 0 offset:412
	buffer_load_dword v140, off, s[0:3], 0 offset:420
	s_waitcnt vmcnt(24) lgkmcnt(0)
	v_fma_f64 v[119:120], v[141:142], v[123:124], v[119:120]
	s_waitcnt vmcnt(19)
	v_fma_f64 v[129:130], v[129:130], v[125:126], v[119:120]
	ds_read_b128 v[119:122], v118 offset:800
	ds_read_b128 v[123:126], v118 offset:816
	;; [unrolled: 18-line block ×3, first 2 shown]
	s_waitcnt vmcnt(18) lgkmcnt(1)
	v_fma_f64 v[119:120], v[147:148], v[119:120], v[131:132]
	buffer_load_dword v132, off, s[0:3], 0 offset:460
	buffer_load_dword v131, off, s[0:3], 0 offset:456
	;; [unrolled: 1-line block ×4, first 2 shown]
	s_waitcnt vmcnt(21)
	v_fma_f64 v[119:120], v[145:146], v[121:122], v[119:120]
	s_waitcnt vmcnt(20) lgkmcnt(0)
	v_fma_f64 v[119:120], v[133:134], v[123:124], v[119:120]
	s_waitcnt vmcnt(15)
	v_fma_f64 v[127:128], v[127:128], v[125:126], v[119:120]
	ds_read_b128 v[119:122], v118 offset:864
	ds_read_b128 v[123:126], v118 offset:880
	s_waitcnt vmcnt(14) lgkmcnt(1)
	v_fma_f64 v[119:120], v[151:152], v[119:120], v[127:128]
	s_waitcnt vmcnt(13)
	v_fma_f64 v[119:120], v[149:150], v[121:122], v[119:120]
	s_waitcnt vmcnt(12) lgkmcnt(0)
	v_fma_f64 v[119:120], v[139:140], v[123:124], v[119:120]
	s_waitcnt vmcnt(7)
	v_fma_f64 v[127:128], v[129:130], v[125:126], v[119:120]
	ds_read_b128 v[119:122], v118 offset:896
	ds_read_b128 v[123:126], v118 offset:912
	s_waitcnt vmcnt(6) lgkmcnt(1)
	v_fma_f64 v[118:119], v[143:144], v[119:120], v[127:128]
	s_waitcnt vmcnt(5)
	v_fma_f64 v[118:119], v[141:142], v[121:122], v[118:119]
	s_waitcnt vmcnt(4) lgkmcnt(0)
	v_fma_f64 v[118:119], v[137:138], v[123:124], v[118:119]
	s_waitcnt vmcnt(2)
	v_fma_f64 v[118:119], v[131:132], v[125:126], v[118:119]
	s_waitcnt vmcnt(0)
	v_add_f64 v[118:119], v[135:136], -v[118:119]
	buffer_store_dword v119, off, s[0:3], 0 offset:12
	buffer_store_dword v118, off, s[0:3], 0 offset:8
	s_and_saveexec_b64 s[4:5], vcc
	s_cbranch_execz .LBB121_355
; %bb.354:
	buffer_load_dword v118, off, s[0:3], 0
	buffer_load_dword v119, off, s[0:3], 0 offset:4
	v_mov_b32_e32 v0, 0
	buffer_store_dword v0, off, s[0:3], 0
	buffer_store_dword v0, off, s[0:3], 0 offset:4
	s_waitcnt vmcnt(2)
	ds_write_b64 v117, v[118:119]
.LBB121_355:
	s_or_b64 exec, exec, s[4:5]
	s_waitcnt lgkmcnt(0)
	; wave barrier
	buffer_load_dword v125, off, s[0:3], 0 offset:8
	buffer_load_dword v126, off, s[0:3], 0 offset:12
	;; [unrolled: 1-line block ×21, first 2 shown]
	v_mov_b32_e32 v0, 0
	ds_read2_b64 v[117:120], v0 offset0:59 offset1:60
	ds_read2_b64 v[121:124], v0 offset0:61 offset1:62
	buffer_load_dword v142, off, s[0:3], 0 offset:92
	s_and_b64 vcc, exec, s[14:15]
	s_waitcnt vmcnt(20) lgkmcnt(1)
	v_fma_f64 v[117:118], v[125:126], v[117:118], 0
	s_waitcnt vmcnt(18)
	v_fma_f64 v[117:118], v[127:128], v[119:120], v[117:118]
	buffer_load_dword v126, off, s[0:3], 0 offset:100
	buffer_load_dword v127, off, s[0:3], 0 offset:120
	;; [unrolled: 1-line block ×7, first 2 shown]
	s_waitcnt vmcnt(23) lgkmcnt(0)
	v_fma_f64 v[117:118], v[129:130], v[121:122], v[117:118]
	s_waitcnt vmcnt(21)
	v_fma_f64 v[128:129], v[131:132], v[123:124], v[117:118]
	ds_read2_b64 v[117:120], v0 offset0:63 offset1:64
	ds_read2_b64 v[121:124], v0 offset0:65 offset1:66
	s_waitcnt vmcnt(19) lgkmcnt(1)
	v_fma_f64 v[117:118], v[133:134], v[117:118], v[128:129]
	buffer_load_dword v128, off, s[0:3], 0 offset:124
	s_waitcnt vmcnt(18)
	v_fma_f64 v[117:118], v[135:136], v[119:120], v[117:118]
	buffer_load_dword v130, off, s[0:3], 0 offset:132
	buffer_load_dword v131, off, s[0:3], 0 offset:152
	;; [unrolled: 1-line block ×7, first 2 shown]
	s_waitcnt vmcnt(23) lgkmcnt(0)
	v_fma_f64 v[117:118], v[137:138], v[121:122], v[117:118]
	s_waitcnt vmcnt(18)
	v_fma_f64 v[137:138], v[139:140], v[123:124], v[117:118]
	ds_read2_b64 v[117:120], v0 offset0:67 offset1:68
	ds_read2_b64 v[121:124], v0 offset0:69 offset1:70
	buffer_load_dword v132, off, s[0:3], 0 offset:156
	s_waitcnt vmcnt(18) lgkmcnt(1)
	v_fma_f64 v[117:118], v[145:146], v[117:118], v[137:138]
	s_waitcnt vmcnt(17)
	v_fma_f64 v[117:118], v[143:144], v[119:120], v[117:118]
	buffer_load_dword v138, off, s[0:3], 0 offset:164
	buffer_load_dword v139, off, s[0:3], 0 offset:184
	;; [unrolled: 1-line block ×7, first 2 shown]
	s_waitcnt vmcnt(23) lgkmcnt(0)
	v_fma_f64 v[117:118], v[141:142], v[121:122], v[117:118]
	s_waitcnt vmcnt(18)
	v_fma_f64 v[125:126], v[125:126], v[123:124], v[117:118]
	ds_read2_b64 v[117:120], v0 offset0:71 offset1:72
	ds_read2_b64 v[121:124], v0 offset0:73 offset1:74
	buffer_load_dword v140, off, s[0:3], 0 offset:188
	s_waitcnt vmcnt(18) lgkmcnt(1)
	v_fma_f64 v[117:118], v[149:150], v[117:118], v[125:126]
	s_waitcnt vmcnt(17)
	v_fma_f64 v[117:118], v[147:148], v[119:120], v[117:118]
	buffer_load_dword v126, off, s[0:3], 0 offset:196
	buffer_load_dword v141, off, s[0:3], 0 offset:216
	;; [unrolled: 1-line block ×8, first 2 shown]
	s_waitcnt vmcnt(24) lgkmcnt(0)
	v_fma_f64 v[117:118], v[127:128], v[121:122], v[117:118]
	s_waitcnt vmcnt(19)
	v_fma_f64 v[127:128], v[129:130], v[123:124], v[117:118]
	ds_read2_b64 v[117:120], v0 offset0:75 offset1:76
	ds_read2_b64 v[121:124], v0 offset0:77 offset1:78
	s_waitcnt vmcnt(18) lgkmcnt(1)
	v_fma_f64 v[117:118], v[135:136], v[117:118], v[127:128]
	s_waitcnt vmcnt(17)
	v_fma_f64 v[117:118], v[133:134], v[119:120], v[117:118]
	buffer_load_dword v128, off, s[0:3], 0 offset:228
	buffer_load_dword v129, off, s[0:3], 0 offset:248
	;; [unrolled: 1-line block ×7, first 2 shown]
	s_waitcnt vmcnt(23) lgkmcnt(0)
	v_fma_f64 v[117:118], v[131:132], v[121:122], v[117:118]
	s_waitcnt vmcnt(18)
	v_fma_f64 v[130:131], v[137:138], v[123:124], v[117:118]
	ds_read2_b64 v[117:120], v0 offset0:79 offset1:80
	ds_read2_b64 v[121:124], v0 offset0:81 offset1:82
	s_waitcnt vmcnt(17) lgkmcnt(1)
	v_fma_f64 v[117:118], v[145:146], v[117:118], v[130:131]
	buffer_load_dword v130, off, s[0:3], 0 offset:252
	s_waitcnt vmcnt(17)
	v_fma_f64 v[117:118], v[143:144], v[119:120], v[117:118]
	buffer_load_dword v132, off, s[0:3], 0 offset:260
	buffer_load_dword v137, off, s[0:3], 0 offset:280
	;; [unrolled: 1-line block ×7, first 2 shown]
	s_waitcnt vmcnt(23) lgkmcnt(0)
	v_fma_f64 v[117:118], v[139:140], v[121:122], v[117:118]
	s_waitcnt vmcnt(18)
	v_fma_f64 v[125:126], v[125:126], v[123:124], v[117:118]
	ds_read2_b64 v[117:120], v0 offset0:83 offset1:84
	ds_read2_b64 v[121:124], v0 offset0:85 offset1:86
	buffer_load_dword v138, off, s[0:3], 0 offset:284
	s_waitcnt vmcnt(18) lgkmcnt(1)
	v_fma_f64 v[117:118], v[149:150], v[117:118], v[125:126]
	s_waitcnt vmcnt(17)
	v_fma_f64 v[117:118], v[147:148], v[119:120], v[117:118]
	buffer_load_dword v126, off, s[0:3], 0 offset:292
	buffer_load_dword v139, off, s[0:3], 0 offset:312
	;; [unrolled: 1-line block ×8, first 2 shown]
	s_waitcnt vmcnt(24) lgkmcnt(0)
	v_fma_f64 v[117:118], v[141:142], v[121:122], v[117:118]
	s_waitcnt vmcnt(19)
	v_fma_f64 v[127:128], v[127:128], v[123:124], v[117:118]
	ds_read2_b64 v[117:120], v0 offset0:87 offset1:88
	ds_read2_b64 v[121:124], v0 offset0:89 offset1:90
	s_waitcnt vmcnt(18) lgkmcnt(1)
	v_fma_f64 v[117:118], v[135:136], v[117:118], v[127:128]
	s_waitcnt vmcnt(17)
	v_fma_f64 v[117:118], v[133:134], v[119:120], v[117:118]
	buffer_load_dword v128, off, s[0:3], 0 offset:324
	buffer_load_dword v133, off, s[0:3], 0 offset:344
	;; [unrolled: 1-line block ×7, first 2 shown]
	s_waitcnt vmcnt(23) lgkmcnt(0)
	v_fma_f64 v[117:118], v[129:130], v[121:122], v[117:118]
	s_waitcnt vmcnt(18)
	v_fma_f64 v[129:130], v[131:132], v[123:124], v[117:118]
	ds_read2_b64 v[117:120], v0 offset0:91 offset1:92
	ds_read2_b64 v[121:124], v0 offset0:93 offset1:94
	buffer_load_dword v134, off, s[0:3], 0 offset:348
	s_waitcnt vmcnt(18) lgkmcnt(1)
	v_fma_f64 v[117:118], v[145:146], v[117:118], v[129:130]
	s_waitcnt vmcnt(17)
	v_fma_f64 v[117:118], v[143:144], v[119:120], v[117:118]
	buffer_load_dword v130, off, s[0:3], 0 offset:356
	buffer_load_dword v131, off, s[0:3], 0 offset:376
	;; [unrolled: 1-line block ×7, first 2 shown]
	s_waitcnt vmcnt(23) lgkmcnt(0)
	v_fma_f64 v[117:118], v[137:138], v[121:122], v[117:118]
	s_waitcnt vmcnt(18)
	v_fma_f64 v[125:126], v[125:126], v[123:124], v[117:118]
	ds_read2_b64 v[117:120], v0 offset0:95 offset1:96
	ds_read2_b64 v[121:124], v0 offset0:97 offset1:98
	buffer_load_dword v132, off, s[0:3], 0 offset:380
	s_waitcnt vmcnt(18) lgkmcnt(1)
	v_fma_f64 v[117:118], v[149:150], v[117:118], v[125:126]
	s_waitcnt vmcnt(17)
	v_fma_f64 v[117:118], v[147:148], v[119:120], v[117:118]
	buffer_load_dword v126, off, s[0:3], 0 offset:388
	buffer_load_dword v137, off, s[0:3], 0 offset:408
	;; [unrolled: 1-line block ×8, first 2 shown]
	s_waitcnt vmcnt(24) lgkmcnt(0)
	v_fma_f64 v[117:118], v[139:140], v[121:122], v[117:118]
	s_waitcnt vmcnt(19)
	v_fma_f64 v[127:128], v[127:128], v[123:124], v[117:118]
	ds_read2_b64 v[117:120], v0 offset0:99 offset1:100
	ds_read2_b64 v[121:124], v0 offset0:101 offset1:102
	s_waitcnt vmcnt(18) lgkmcnt(1)
	v_fma_f64 v[117:118], v[141:142], v[117:118], v[127:128]
	s_waitcnt vmcnt(17)
	v_fma_f64 v[117:118], v[135:136], v[119:120], v[117:118]
	buffer_load_dword v128, off, s[0:3], 0 offset:420
	buffer_load_dword v135, off, s[0:3], 0 offset:440
	;; [unrolled: 1-line block ×7, first 2 shown]
	s_waitcnt vmcnt(23) lgkmcnt(0)
	v_fma_f64 v[117:118], v[133:134], v[121:122], v[117:118]
	s_waitcnt vmcnt(18)
	v_fma_f64 v[129:130], v[129:130], v[123:124], v[117:118]
	ds_read2_b64 v[117:120], v0 offset0:103 offset1:104
	ds_read2_b64 v[121:124], v0 offset0:105 offset1:106
	buffer_load_dword v136, off, s[0:3], 0 offset:444
	s_waitcnt vmcnt(18) lgkmcnt(1)
	v_fma_f64 v[117:118], v[145:146], v[117:118], v[129:130]
	s_waitcnt vmcnt(17)
	v_fma_f64 v[119:120], v[143:144], v[119:120], v[117:118]
	buffer_load_dword v118, off, s[0:3], 0 offset:452
	buffer_load_dword v129, off, s[0:3], 0 offset:456
	;; [unrolled: 1-line block ×4, first 2 shown]
	s_waitcnt vmcnt(20) lgkmcnt(0)
	v_fma_f64 v[119:120], v[131:132], v[121:122], v[119:120]
	buffer_load_dword v131, off, s[0:3], 0
	buffer_load_dword v132, off, s[0:3], 0 offset:4
	s_waitcnt vmcnt(17)
	v_fma_f64 v[133:134], v[125:126], v[123:124], v[119:120]
	ds_read2_b64 v[119:122], v0 offset0:107 offset1:108
	ds_read2_b64 v[123:126], v0 offset0:109 offset1:110
	s_waitcnt vmcnt(16) lgkmcnt(1)
	v_fma_f64 v[119:120], v[149:150], v[119:120], v[133:134]
	s_waitcnt vmcnt(15)
	v_fma_f64 v[119:120], v[147:148], v[121:122], v[119:120]
	s_waitcnt vmcnt(14) lgkmcnt(0)
	v_fma_f64 v[119:120], v[137:138], v[123:124], v[119:120]
	s_waitcnt vmcnt(9)
	v_fma_f64 v[127:128], v[127:128], v[125:126], v[119:120]
	ds_read2_b64 v[119:122], v0 offset0:111 offset1:112
	ds_read2_b64 v[123:126], v0 offset0:113 offset1:114
	s_waitcnt vmcnt(8) lgkmcnt(1)
	v_fma_f64 v[119:120], v[141:142], v[119:120], v[127:128]
	s_waitcnt vmcnt(7)
	v_fma_f64 v[119:120], v[139:140], v[121:122], v[119:120]
	ds_read_b64 v[121:122], v0 offset:920
	s_waitcnt vmcnt(6) lgkmcnt(1)
	v_fma_f64 v[119:120], v[135:136], v[123:124], v[119:120]
	s_waitcnt vmcnt(3)
	v_fma_f64 v[119:120], v[117:118], v[125:126], v[119:120]
	s_waitcnt vmcnt(2) lgkmcnt(0)
	v_fma_f64 v[119:120], v[129:130], v[121:122], v[119:120]
	s_waitcnt vmcnt(0)
	v_add_f64 v[119:120], v[131:132], -v[119:120]
	buffer_store_dword v120, off, s[0:3], 0 offset:4
	buffer_store_dword v119, off, s[0:3], 0
	s_cbranch_vccz .LBB121_470
; %bb.356:
	global_load_dword v0, v0, s[12:13] offset:224
	s_waitcnt vmcnt(0)
	v_add_u32_e32 v0, -1, v0
	v_cmp_ne_u32_e32 vcc, 56, v0
	s_cbranch_vccz .LBB121_358
; %bb.357:
	v_lshlrev_b32_e32 v0, 3, v0
	buffer_load_dword v119, v0, s[0:3], 0 offen offset:4
	buffer_load_dword v120, v0, s[0:3], 0 offen
	s_waitcnt vmcnt(1)
	buffer_store_dword v119, off, s[0:3], 0 offset:452
	s_waitcnt vmcnt(1)
	buffer_store_dword v120, off, s[0:3], 0 offset:448
	buffer_store_dword v118, v0, s[0:3], 0 offen offset:4
	buffer_store_dword v117, v0, s[0:3], 0 offen
.LBB121_358:
	v_mov_b32_e32 v0, 0
	global_load_dword v117, v0, s[12:13] offset:220
	s_waitcnt vmcnt(0)
	v_add_u32_e32 v117, -1, v117
	v_cmp_eq_u32_e32 vcc, 55, v117
	s_cbranch_vccnz .LBB121_360
; %bb.359:
	v_lshlrev_b32_e32 v117, 3, v117
	buffer_load_dword v118, v117, s[0:3], 0 offen
	buffer_load_dword v119, v117, s[0:3], 0 offen offset:4
	buffer_load_dword v120, off, s[0:3], 0 offset:440
	buffer_load_dword v121, off, s[0:3], 0 offset:444
	s_waitcnt vmcnt(3)
	buffer_store_dword v118, off, s[0:3], 0 offset:440
	s_waitcnt vmcnt(3)
	buffer_store_dword v119, off, s[0:3], 0 offset:444
	s_waitcnt vmcnt(3)
	buffer_store_dword v120, v117, s[0:3], 0 offen
	s_waitcnt vmcnt(3)
	buffer_store_dword v121, v117, s[0:3], 0 offen offset:4
.LBB121_360:
	global_load_dword v0, v0, s[12:13] offset:216
	s_waitcnt vmcnt(0)
	v_add_u32_e32 v0, -1, v0
	v_cmp_eq_u32_e32 vcc, 54, v0
	s_cbranch_vccnz .LBB121_362
; %bb.361:
	v_lshlrev_b32_e32 v0, 3, v0
	buffer_load_dword v117, v0, s[0:3], 0 offen
	buffer_load_dword v118, v0, s[0:3], 0 offen offset:4
	buffer_load_dword v119, off, s[0:3], 0 offset:436
	buffer_load_dword v120, off, s[0:3], 0 offset:432
	s_waitcnt vmcnt(3)
	buffer_store_dword v117, off, s[0:3], 0 offset:432
	s_waitcnt vmcnt(3)
	buffer_store_dword v118, off, s[0:3], 0 offset:436
	s_waitcnt vmcnt(3)
	buffer_store_dword v119, v0, s[0:3], 0 offen offset:4
	s_waitcnt vmcnt(3)
	buffer_store_dword v120, v0, s[0:3], 0 offen
.LBB121_362:
	v_mov_b32_e32 v0, 0
	global_load_dword v117, v0, s[12:13] offset:212
	s_waitcnt vmcnt(0)
	v_add_u32_e32 v117, -1, v117
	v_cmp_eq_u32_e32 vcc, 53, v117
	s_cbranch_vccnz .LBB121_364
; %bb.363:
	v_lshlrev_b32_e32 v117, 3, v117
	buffer_load_dword v118, v117, s[0:3], 0 offen
	buffer_load_dword v119, v117, s[0:3], 0 offen offset:4
	buffer_load_dword v120, off, s[0:3], 0 offset:424
	buffer_load_dword v121, off, s[0:3], 0 offset:428
	s_waitcnt vmcnt(3)
	buffer_store_dword v118, off, s[0:3], 0 offset:424
	s_waitcnt vmcnt(3)
	buffer_store_dword v119, off, s[0:3], 0 offset:428
	s_waitcnt vmcnt(3)
	buffer_store_dword v120, v117, s[0:3], 0 offen
	s_waitcnt vmcnt(3)
	buffer_store_dword v121, v117, s[0:3], 0 offen offset:4
.LBB121_364:
	global_load_dword v0, v0, s[12:13] offset:208
	s_waitcnt vmcnt(0)
	v_add_u32_e32 v0, -1, v0
	v_cmp_eq_u32_e32 vcc, 52, v0
	s_cbranch_vccnz .LBB121_366
; %bb.365:
	v_lshlrev_b32_e32 v0, 3, v0
	buffer_load_dword v117, v0, s[0:3], 0 offen
	buffer_load_dword v118, v0, s[0:3], 0 offen offset:4
	buffer_load_dword v119, off, s[0:3], 0 offset:420
	buffer_load_dword v120, off, s[0:3], 0 offset:416
	s_waitcnt vmcnt(3)
	buffer_store_dword v117, off, s[0:3], 0 offset:416
	s_waitcnt vmcnt(3)
	buffer_store_dword v118, off, s[0:3], 0 offset:420
	s_waitcnt vmcnt(3)
	buffer_store_dword v119, v0, s[0:3], 0 offen offset:4
	s_waitcnt vmcnt(3)
	buffer_store_dword v120, v0, s[0:3], 0 offen
.LBB121_366:
	;; [unrolled: 41-line block ×27, first 2 shown]
	v_mov_b32_e32 v0, 0
	global_load_dword v117, v0, s[12:13] offset:4
	s_waitcnt vmcnt(0)
	v_add_u32_e32 v117, -1, v117
	v_cmp_eq_u32_e32 vcc, 1, v117
	s_cbranch_vccnz .LBB121_468
; %bb.467:
	v_lshlrev_b32_e32 v117, 3, v117
	buffer_load_dword v118, v117, s[0:3], 0 offen
	buffer_load_dword v119, v117, s[0:3], 0 offen offset:4
	buffer_load_dword v120, off, s[0:3], 0 offset:8
	buffer_load_dword v121, off, s[0:3], 0 offset:12
	s_waitcnt vmcnt(3)
	buffer_store_dword v118, off, s[0:3], 0 offset:8
	s_waitcnt vmcnt(3)
	buffer_store_dword v119, off, s[0:3], 0 offset:12
	s_waitcnt vmcnt(3)
	buffer_store_dword v120, v117, s[0:3], 0 offen
	s_waitcnt vmcnt(3)
	buffer_store_dword v121, v117, s[0:3], 0 offen offset:4
.LBB121_468:
	global_load_dword v0, v0, s[12:13]
	s_nop 0
	buffer_load_dword v119, off, s[0:3], 0
	buffer_load_dword v120, off, s[0:3], 0 offset:4
	s_waitcnt vmcnt(2)
	v_add_u32_e32 v0, -1, v0
	v_cmp_eq_u32_e32 vcc, 0, v0
	s_cbranch_vccnz .LBB121_470
; %bb.469:
	v_lshlrev_b32_e32 v0, 3, v0
	buffer_load_dword v117, v0, s[0:3], 0 offen offset:4
	buffer_load_dword v118, v0, s[0:3], 0 offen
	s_waitcnt vmcnt(1)
	buffer_store_dword v117, off, s[0:3], 0 offset:4
	s_waitcnt vmcnt(1)
	buffer_store_dword v118, off, s[0:3], 0
	buffer_store_dword v120, v0, s[0:3], 0 offen offset:4
	buffer_store_dword v119, v0, s[0:3], 0 offen
	buffer_load_dword v119, off, s[0:3], 0
	s_nop 0
	buffer_load_dword v120, off, s[0:3], 0 offset:4
.LBB121_470:
	s_waitcnt vmcnt(0)
	flat_store_dwordx2 v[1:2], v[119:120]
	buffer_load_dword v0, off, s[0:3], 0 offset:8
	s_nop 0
	buffer_load_dword v1, off, s[0:3], 0 offset:12
	s_waitcnt vmcnt(0)
	flat_store_dwordx2 v[3:4], v[0:1]
	buffer_load_dword v0, off, s[0:3], 0 offset:16
	s_nop 0
	buffer_load_dword v1, off, s[0:3], 0 offset:20
	;; [unrolled: 5-line block ×57, first 2 shown]
	s_waitcnt vmcnt(0)
	flat_store_dwordx2 v[115:116], v[0:1]
	s_endpgm
	.section	.rodata,"a",@progbits
	.p2align	6, 0x0
	.amdhsa_kernel _ZN9rocsolver6v33100L18getri_kernel_smallILi58EdPKPdEEvT1_iilPiilS6_bb
		.amdhsa_group_segment_fixed_size 936
		.amdhsa_private_segment_fixed_size 480
		.amdhsa_kernarg_size 60
		.amdhsa_user_sgpr_count 6
		.amdhsa_user_sgpr_private_segment_buffer 1
		.amdhsa_user_sgpr_dispatch_ptr 0
		.amdhsa_user_sgpr_queue_ptr 0
		.amdhsa_user_sgpr_kernarg_segment_ptr 1
		.amdhsa_user_sgpr_dispatch_id 0
		.amdhsa_user_sgpr_flat_scratch_init 0
		.amdhsa_user_sgpr_private_segment_size 0
		.amdhsa_uses_dynamic_stack 0
		.amdhsa_system_sgpr_private_segment_wavefront_offset 1
		.amdhsa_system_sgpr_workgroup_id_x 1
		.amdhsa_system_sgpr_workgroup_id_y 0
		.amdhsa_system_sgpr_workgroup_id_z 0
		.amdhsa_system_sgpr_workgroup_info 0
		.amdhsa_system_vgpr_workitem_id 0
		.amdhsa_next_free_vgpr 153
		.amdhsa_next_free_sgpr 21
		.amdhsa_reserve_vcc 1
		.amdhsa_reserve_flat_scratch 0
		.amdhsa_float_round_mode_32 0
		.amdhsa_float_round_mode_16_64 0
		.amdhsa_float_denorm_mode_32 3
		.amdhsa_float_denorm_mode_16_64 3
		.amdhsa_dx10_clamp 1
		.amdhsa_ieee_mode 1
		.amdhsa_fp16_overflow 0
		.amdhsa_exception_fp_ieee_invalid_op 0
		.amdhsa_exception_fp_denorm_src 0
		.amdhsa_exception_fp_ieee_div_zero 0
		.amdhsa_exception_fp_ieee_overflow 0
		.amdhsa_exception_fp_ieee_underflow 0
		.amdhsa_exception_fp_ieee_inexact 0
		.amdhsa_exception_int_div_zero 0
	.end_amdhsa_kernel
	.section	.text._ZN9rocsolver6v33100L18getri_kernel_smallILi58EdPKPdEEvT1_iilPiilS6_bb,"axG",@progbits,_ZN9rocsolver6v33100L18getri_kernel_smallILi58EdPKPdEEvT1_iilPiilS6_bb,comdat
.Lfunc_end121:
	.size	_ZN9rocsolver6v33100L18getri_kernel_smallILi58EdPKPdEEvT1_iilPiilS6_bb, .Lfunc_end121-_ZN9rocsolver6v33100L18getri_kernel_smallILi58EdPKPdEEvT1_iilPiilS6_bb
                                        ; -- End function
	.set _ZN9rocsolver6v33100L18getri_kernel_smallILi58EdPKPdEEvT1_iilPiilS6_bb.num_vgpr, 153
	.set _ZN9rocsolver6v33100L18getri_kernel_smallILi58EdPKPdEEvT1_iilPiilS6_bb.num_agpr, 0
	.set _ZN9rocsolver6v33100L18getri_kernel_smallILi58EdPKPdEEvT1_iilPiilS6_bb.numbered_sgpr, 21
	.set _ZN9rocsolver6v33100L18getri_kernel_smallILi58EdPKPdEEvT1_iilPiilS6_bb.num_named_barrier, 0
	.set _ZN9rocsolver6v33100L18getri_kernel_smallILi58EdPKPdEEvT1_iilPiilS6_bb.private_seg_size, 480
	.set _ZN9rocsolver6v33100L18getri_kernel_smallILi58EdPKPdEEvT1_iilPiilS6_bb.uses_vcc, 1
	.set _ZN9rocsolver6v33100L18getri_kernel_smallILi58EdPKPdEEvT1_iilPiilS6_bb.uses_flat_scratch, 0
	.set _ZN9rocsolver6v33100L18getri_kernel_smallILi58EdPKPdEEvT1_iilPiilS6_bb.has_dyn_sized_stack, 0
	.set _ZN9rocsolver6v33100L18getri_kernel_smallILi58EdPKPdEEvT1_iilPiilS6_bb.has_recursion, 0
	.set _ZN9rocsolver6v33100L18getri_kernel_smallILi58EdPKPdEEvT1_iilPiilS6_bb.has_indirect_call, 0
	.section	.AMDGPU.csdata,"",@progbits
; Kernel info:
; codeLenInByte = 81816
; TotalNumSgprs: 25
; NumVgprs: 153
; ScratchSize: 480
; MemoryBound: 1
; FloatMode: 240
; IeeeMode: 1
; LDSByteSize: 936 bytes/workgroup (compile time only)
; SGPRBlocks: 3
; VGPRBlocks: 38
; NumSGPRsForWavesPerEU: 25
; NumVGPRsForWavesPerEU: 153
; Occupancy: 1
; WaveLimiterHint : 1
; COMPUTE_PGM_RSRC2:SCRATCH_EN: 1
; COMPUTE_PGM_RSRC2:USER_SGPR: 6
; COMPUTE_PGM_RSRC2:TRAP_HANDLER: 0
; COMPUTE_PGM_RSRC2:TGID_X_EN: 1
; COMPUTE_PGM_RSRC2:TGID_Y_EN: 0
; COMPUTE_PGM_RSRC2:TGID_Z_EN: 0
; COMPUTE_PGM_RSRC2:TIDIG_COMP_CNT: 0
	.section	.text._ZN9rocsolver6v33100L18getri_kernel_smallILi59EdPKPdEEvT1_iilPiilS6_bb,"axG",@progbits,_ZN9rocsolver6v33100L18getri_kernel_smallILi59EdPKPdEEvT1_iilPiilS6_bb,comdat
	.globl	_ZN9rocsolver6v33100L18getri_kernel_smallILi59EdPKPdEEvT1_iilPiilS6_bb ; -- Begin function _ZN9rocsolver6v33100L18getri_kernel_smallILi59EdPKPdEEvT1_iilPiilS6_bb
	.p2align	8
	.type	_ZN9rocsolver6v33100L18getri_kernel_smallILi59EdPKPdEEvT1_iilPiilS6_bb,@function
_ZN9rocsolver6v33100L18getri_kernel_smallILi59EdPKPdEEvT1_iilPiilS6_bb: ; @_ZN9rocsolver6v33100L18getri_kernel_smallILi59EdPKPdEEvT1_iilPiilS6_bb
; %bb.0:
	s_add_u32 s0, s0, s7
	s_addc_u32 s1, s1, 0
	v_cmp_gt_u32_e32 vcc, 59, v0
	s_and_saveexec_b64 s[8:9], vcc
	s_cbranch_execz .LBB122_244
; %bb.1:
	s_load_dword s18, s[4:5], 0x38
	s_load_dwordx2 s[12:13], s[4:5], 0x0
	s_load_dwordx4 s[8:11], s[4:5], 0x28
	s_waitcnt lgkmcnt(0)
	s_bitcmp1_b32 s18, 8
	s_cselect_b64 s[14:15], -1, 0
	s_ashr_i32 s7, s6, 31
	s_lshl_b64 s[16:17], s[6:7], 3
	s_add_u32 s12, s12, s16
	s_addc_u32 s13, s13, s17
	s_load_dwordx2 s[16:17], s[12:13], 0x0
	s_bfe_u32 s12, s18, 0x10008
	s_cmp_eq_u32 s12, 0
                                        ; implicit-def: $sgpr12_sgpr13
	s_cbranch_scc1 .LBB122_3
; %bb.2:
	s_load_dword s12, s[4:5], 0x20
	s_load_dwordx2 s[18:19], s[4:5], 0x18
	s_mul_i32 s13, s8, s7
	s_mul_hi_u32 s20, s8, s6
	s_add_i32 s20, s20, s13
	s_mul_i32 s9, s9, s6
	s_add_i32 s9, s20, s9
	s_mul_i32 s8, s8, s6
	s_waitcnt lgkmcnt(0)
	s_ashr_i32 s13, s12, 31
	s_lshl_b64 s[8:9], s[8:9], 2
	s_add_u32 s18, s18, s8
	s_addc_u32 s19, s19, s9
	s_lshl_b64 s[8:9], s[12:13], 2
	s_add_u32 s12, s18, s8
	s_addc_u32 s13, s19, s9
.LBB122_3:
	s_load_dwordx2 s[8:9], s[4:5], 0x8
	s_load_dword s18, s[4:5], 0x38
	v_lshlrev_b32_e32 v121, 3, v0
	s_waitcnt lgkmcnt(0)
	s_ashr_i32 s5, s8, 31
	s_mov_b32 s4, s8
	s_lshl_b64 s[4:5], s[4:5], 3
	s_add_u32 s4, s16, s4
	s_addc_u32 s5, s17, s5
	v_mov_b32_e32 v2, s5
	v_add_co_u32_e32 v1, vcc, s4, v121
	v_addc_co_u32_e32 v2, vcc, 0, v2, vcc
	flat_load_dwordx2 v[5:6], v[1:2]
	s_mov_b32 s16, s9
	s_ashr_i32 s17, s9, 31
	s_lshl_b64 s[16:17], s[16:17], 3
	v_mov_b32_e32 v4, s17
	v_add_co_u32_e32 v3, vcc, s16, v1
	v_addc_co_u32_e32 v4, vcc, v2, v4, vcc
	s_add_i32 s8, s9, s9
	v_add_u32_e32 v9, s8, v0
	v_ashrrev_i32_e32 v10, 31, v9
	v_mov_b32_e32 v11, s5
	v_add_u32_e32 v12, s9, v9
	v_ashrrev_i32_e32 v13, 31, v12
	v_mov_b32_e32 v14, s5
	v_mov_b32_e32 v15, s5
	;; [unrolled: 1-line block ×55, first 2 shown]
	s_bitcmp0_b32 s18, 0
	s_waitcnt vmcnt(0) lgkmcnt(0)
	buffer_store_dword v6, off, s[0:3], 0 offset:4
	buffer_store_dword v5, off, s[0:3], 0
	flat_load_dwordx2 v[7:8], v[3:4]
	v_lshlrev_b64 v[5:6], 3, v[9:10]
	s_waitcnt vmcnt(0) lgkmcnt(0)
	buffer_store_dword v8, off, s[0:3], 0 offset:12
	buffer_store_dword v7, off, s[0:3], 0 offset:8
	v_add_co_u32_e32 v5, vcc, s4, v5
	v_addc_co_u32_e32 v6, vcc, v11, v6, vcc
	flat_load_dwordx2 v[10:11], v[5:6]
	v_lshlrev_b64 v[7:8], 3, v[12:13]
	s_waitcnt vmcnt(0) lgkmcnt(0)
	buffer_store_dword v11, off, s[0:3], 0 offset:20
	buffer_store_dword v10, off, s[0:3], 0 offset:16
	v_add_co_u32_e32 v7, vcc, s4, v7
	v_addc_co_u32_e32 v8, vcc, v14, v8, vcc
	flat_load_dwordx2 v[13:14], v[7:8]
	v_add_u32_e32 v11, s9, v12
	v_ashrrev_i32_e32 v12, 31, v11
	v_lshlrev_b64 v[9:10], 3, v[11:12]
	s_waitcnt vmcnt(0) lgkmcnt(0)
	buffer_store_dword v14, off, s[0:3], 0 offset:28
	buffer_store_dword v13, off, s[0:3], 0 offset:24
	v_add_co_u32_e32 v9, vcc, s4, v9
	v_addc_co_u32_e32 v10, vcc, v15, v10, vcc
	flat_load_dwordx2 v[13:14], v[9:10]
	v_add_u32_e32 v15, s9, v11
	v_ashrrev_i32_e32 v16, 31, v15
	v_lshlrev_b64 v[11:12], 3, v[15:16]
	v_add_u32_e32 v18, s9, v15
	v_add_co_u32_e32 v11, vcc, s4, v11
	v_addc_co_u32_e32 v12, vcc, v17, v12, vcc
	v_ashrrev_i32_e32 v19, 31, v18
	s_waitcnt vmcnt(0) lgkmcnt(0)
	buffer_store_dword v14, off, s[0:3], 0 offset:36
	buffer_store_dword v13, off, s[0:3], 0 offset:32
	flat_load_dwordx2 v[16:17], v[11:12]
	v_lshlrev_b64 v[13:14], 3, v[18:19]
	s_waitcnt vmcnt(0) lgkmcnt(0)
	buffer_store_dword v17, off, s[0:3], 0 offset:44
	buffer_store_dword v16, off, s[0:3], 0 offset:40
	v_add_co_u32_e32 v13, vcc, s4, v13
	v_addc_co_u32_e32 v14, vcc, v20, v14, vcc
	flat_load_dwordx2 v[19:20], v[13:14]
	v_add_u32_e32 v17, s9, v18
	v_ashrrev_i32_e32 v18, 31, v17
	v_lshlrev_b64 v[15:16], 3, v[17:18]
	s_waitcnt vmcnt(0) lgkmcnt(0)
	buffer_store_dword v20, off, s[0:3], 0 offset:52
	buffer_store_dword v19, off, s[0:3], 0 offset:48
	v_add_co_u32_e32 v15, vcc, s4, v15
	v_addc_co_u32_e32 v16, vcc, v21, v16, vcc
	flat_load_dwordx2 v[19:20], v[15:16]
	v_add_u32_e32 v21, s9, v17
	v_ashrrev_i32_e32 v22, 31, v21
	v_lshlrev_b64 v[17:18], 3, v[21:22]
	v_add_u32_e32 v24, s9, v21
	v_add_co_u32_e32 v17, vcc, s4, v17
	v_addc_co_u32_e32 v18, vcc, v23, v18, vcc
	v_ashrrev_i32_e32 v25, 31, v24
	s_waitcnt vmcnt(0) lgkmcnt(0)
	buffer_store_dword v20, off, s[0:3], 0 offset:60
	buffer_store_dword v19, off, s[0:3], 0 offset:56
	flat_load_dwordx2 v[22:23], v[17:18]
	v_lshlrev_b64 v[19:20], 3, v[24:25]
	s_waitcnt vmcnt(0) lgkmcnt(0)
	buffer_store_dword v23, off, s[0:3], 0 offset:68
	buffer_store_dword v22, off, s[0:3], 0 offset:64
	v_add_co_u32_e32 v19, vcc, s4, v19
	v_addc_co_u32_e32 v20, vcc, v26, v20, vcc
	flat_load_dwordx2 v[25:26], v[19:20]
	v_add_u32_e32 v23, s9, v24
	v_ashrrev_i32_e32 v24, 31, v23
	v_lshlrev_b64 v[21:22], 3, v[23:24]
	s_waitcnt vmcnt(0) lgkmcnt(0)
	buffer_store_dword v26, off, s[0:3], 0 offset:76
	buffer_store_dword v25, off, s[0:3], 0 offset:72
	v_add_co_u32_e32 v21, vcc, s4, v21
	v_addc_co_u32_e32 v22, vcc, v27, v22, vcc
	flat_load_dwordx2 v[25:26], v[21:22]
	v_add_u32_e32 v27, s9, v23
	v_ashrrev_i32_e32 v28, 31, v27
	v_lshlrev_b64 v[23:24], 3, v[27:28]
	v_add_u32_e32 v30, s9, v27
	v_add_co_u32_e32 v23, vcc, s4, v23
	v_addc_co_u32_e32 v24, vcc, v29, v24, vcc
	v_ashrrev_i32_e32 v31, 31, v30
	s_waitcnt vmcnt(0) lgkmcnt(0)
	buffer_store_dword v26, off, s[0:3], 0 offset:84
	buffer_store_dword v25, off, s[0:3], 0 offset:80
	flat_load_dwordx2 v[28:29], v[23:24]
	v_lshlrev_b64 v[25:26], 3, v[30:31]
	s_waitcnt vmcnt(0) lgkmcnt(0)
	buffer_store_dword v29, off, s[0:3], 0 offset:92
	buffer_store_dword v28, off, s[0:3], 0 offset:88
	v_add_co_u32_e32 v25, vcc, s4, v25
	v_addc_co_u32_e32 v26, vcc, v32, v26, vcc
	flat_load_dwordx2 v[31:32], v[25:26]
	v_add_u32_e32 v29, s9, v30
	v_ashrrev_i32_e32 v30, 31, v29
	v_lshlrev_b64 v[27:28], 3, v[29:30]
	s_waitcnt vmcnt(0) lgkmcnt(0)
	buffer_store_dword v32, off, s[0:3], 0 offset:100
	buffer_store_dword v31, off, s[0:3], 0 offset:96
	v_add_co_u32_e32 v27, vcc, s4, v27
	v_addc_co_u32_e32 v28, vcc, v33, v28, vcc
	flat_load_dwordx2 v[31:32], v[27:28]
	v_add_u32_e32 v33, s9, v29
	v_ashrrev_i32_e32 v34, 31, v33
	v_lshlrev_b64 v[29:30], 3, v[33:34]
	v_add_u32_e32 v36, s9, v33
	v_add_co_u32_e32 v29, vcc, s4, v29
	v_addc_co_u32_e32 v30, vcc, v35, v30, vcc
	v_ashrrev_i32_e32 v37, 31, v36
	s_waitcnt vmcnt(0) lgkmcnt(0)
	buffer_store_dword v32, off, s[0:3], 0 offset:108
	buffer_store_dword v31, off, s[0:3], 0 offset:104
	flat_load_dwordx2 v[34:35], v[29:30]
	v_lshlrev_b64 v[31:32], 3, v[36:37]
	s_waitcnt vmcnt(0) lgkmcnt(0)
	buffer_store_dword v35, off, s[0:3], 0 offset:116
	buffer_store_dword v34, off, s[0:3], 0 offset:112
	v_add_co_u32_e32 v31, vcc, s4, v31
	v_addc_co_u32_e32 v32, vcc, v38, v32, vcc
	flat_load_dwordx2 v[37:38], v[31:32]
	v_add_u32_e32 v35, s9, v36
	v_ashrrev_i32_e32 v36, 31, v35
	v_lshlrev_b64 v[33:34], 3, v[35:36]
	s_waitcnt vmcnt(0) lgkmcnt(0)
	buffer_store_dword v38, off, s[0:3], 0 offset:124
	buffer_store_dword v37, off, s[0:3], 0 offset:120
	v_add_co_u32_e32 v33, vcc, s4, v33
	v_addc_co_u32_e32 v34, vcc, v39, v34, vcc
	flat_load_dwordx2 v[37:38], v[33:34]
	v_add_u32_e32 v39, s9, v35
	v_ashrrev_i32_e32 v40, 31, v39
	v_lshlrev_b64 v[35:36], 3, v[39:40]
	v_add_u32_e32 v42, s9, v39
	v_add_co_u32_e32 v35, vcc, s4, v35
	v_addc_co_u32_e32 v36, vcc, v41, v36, vcc
	v_ashrrev_i32_e32 v43, 31, v42
	s_waitcnt vmcnt(0) lgkmcnt(0)
	buffer_store_dword v38, off, s[0:3], 0 offset:132
	buffer_store_dword v37, off, s[0:3], 0 offset:128
	flat_load_dwordx2 v[40:41], v[35:36]
	v_lshlrev_b64 v[37:38], 3, v[42:43]
	s_waitcnt vmcnt(0) lgkmcnt(0)
	buffer_store_dword v41, off, s[0:3], 0 offset:140
	buffer_store_dword v40, off, s[0:3], 0 offset:136
	v_add_co_u32_e32 v37, vcc, s4, v37
	v_addc_co_u32_e32 v38, vcc, v44, v38, vcc
	flat_load_dwordx2 v[43:44], v[37:38]
	v_add_u32_e32 v41, s9, v42
	v_ashrrev_i32_e32 v42, 31, v41
	v_lshlrev_b64 v[39:40], 3, v[41:42]
	s_waitcnt vmcnt(0) lgkmcnt(0)
	buffer_store_dword v44, off, s[0:3], 0 offset:148
	buffer_store_dword v43, off, s[0:3], 0 offset:144
	v_add_co_u32_e32 v39, vcc, s4, v39
	v_addc_co_u32_e32 v40, vcc, v45, v40, vcc
	flat_load_dwordx2 v[43:44], v[39:40]
	v_add_u32_e32 v45, s9, v41
	v_ashrrev_i32_e32 v46, 31, v45
	v_lshlrev_b64 v[41:42], 3, v[45:46]
	v_add_u32_e32 v48, s9, v45
	v_add_co_u32_e32 v41, vcc, s4, v41
	v_addc_co_u32_e32 v42, vcc, v47, v42, vcc
	v_ashrrev_i32_e32 v49, 31, v48
	s_waitcnt vmcnt(0) lgkmcnt(0)
	buffer_store_dword v44, off, s[0:3], 0 offset:156
	buffer_store_dword v43, off, s[0:3], 0 offset:152
	flat_load_dwordx2 v[46:47], v[41:42]
	v_lshlrev_b64 v[43:44], 3, v[48:49]
	s_waitcnt vmcnt(0) lgkmcnt(0)
	buffer_store_dword v47, off, s[0:3], 0 offset:164
	buffer_store_dword v46, off, s[0:3], 0 offset:160
	v_add_co_u32_e32 v43, vcc, s4, v43
	v_addc_co_u32_e32 v44, vcc, v50, v44, vcc
	flat_load_dwordx2 v[49:50], v[43:44]
	v_add_u32_e32 v47, s9, v48
	v_ashrrev_i32_e32 v48, 31, v47
	v_lshlrev_b64 v[45:46], 3, v[47:48]
	s_waitcnt vmcnt(0) lgkmcnt(0)
	buffer_store_dword v50, off, s[0:3], 0 offset:172
	buffer_store_dword v49, off, s[0:3], 0 offset:168
	v_add_co_u32_e32 v45, vcc, s4, v45
	v_addc_co_u32_e32 v46, vcc, v51, v46, vcc
	flat_load_dwordx2 v[49:50], v[45:46]
	v_add_u32_e32 v51, s9, v47
	v_ashrrev_i32_e32 v52, 31, v51
	v_lshlrev_b64 v[47:48], 3, v[51:52]
	v_add_u32_e32 v54, s9, v51
	v_add_co_u32_e32 v47, vcc, s4, v47
	v_addc_co_u32_e32 v48, vcc, v53, v48, vcc
	v_ashrrev_i32_e32 v55, 31, v54
	s_waitcnt vmcnt(0) lgkmcnt(0)
	buffer_store_dword v50, off, s[0:3], 0 offset:180
	buffer_store_dword v49, off, s[0:3], 0 offset:176
	flat_load_dwordx2 v[52:53], v[47:48]
	v_lshlrev_b64 v[49:50], 3, v[54:55]
	s_waitcnt vmcnt(0) lgkmcnt(0)
	buffer_store_dword v53, off, s[0:3], 0 offset:188
	buffer_store_dword v52, off, s[0:3], 0 offset:184
	v_add_co_u32_e32 v49, vcc, s4, v49
	v_addc_co_u32_e32 v50, vcc, v56, v50, vcc
	flat_load_dwordx2 v[55:56], v[49:50]
	v_add_u32_e32 v53, s9, v54
	v_ashrrev_i32_e32 v54, 31, v53
	v_lshlrev_b64 v[51:52], 3, v[53:54]
	s_waitcnt vmcnt(0) lgkmcnt(0)
	buffer_store_dword v56, off, s[0:3], 0 offset:196
	buffer_store_dword v55, off, s[0:3], 0 offset:192
	v_add_co_u32_e32 v51, vcc, s4, v51
	v_addc_co_u32_e32 v52, vcc, v57, v52, vcc
	flat_load_dwordx2 v[55:56], v[51:52]
	v_add_u32_e32 v57, s9, v53
	v_ashrrev_i32_e32 v58, 31, v57
	v_lshlrev_b64 v[53:54], 3, v[57:58]
	v_add_u32_e32 v60, s9, v57
	v_add_co_u32_e32 v53, vcc, s4, v53
	v_addc_co_u32_e32 v54, vcc, v59, v54, vcc
	s_waitcnt vmcnt(0) lgkmcnt(0)
	buffer_store_dword v56, off, s[0:3], 0 offset:204
	buffer_store_dword v55, off, s[0:3], 0 offset:200
	flat_load_dwordx2 v[58:59], v[53:54]
	v_ashrrev_i32_e32 v61, 31, v60
	v_lshlrev_b64 v[55:56], 3, v[60:61]
	s_waitcnt vmcnt(0) lgkmcnt(0)
	buffer_store_dword v59, off, s[0:3], 0 offset:212
	buffer_store_dword v58, off, s[0:3], 0 offset:208
	v_add_co_u32_e32 v55, vcc, s4, v55
	v_addc_co_u32_e32 v56, vcc, v62, v56, vcc
	flat_load_dwordx2 v[61:62], v[55:56]
	v_add_u32_e32 v59, s9, v60
	v_ashrrev_i32_e32 v60, 31, v59
	v_lshlrev_b64 v[57:58], 3, v[59:60]
	s_waitcnt vmcnt(0) lgkmcnt(0)
	buffer_store_dword v62, off, s[0:3], 0 offset:220
	buffer_store_dword v61, off, s[0:3], 0 offset:216
	v_add_co_u32_e32 v57, vcc, s4, v57
	v_addc_co_u32_e32 v58, vcc, v63, v58, vcc
	flat_load_dwordx2 v[61:62], v[57:58]
	v_add_u32_e32 v63, s9, v59
	;; [unrolled: 9-line block ×31, first 2 shown]
	v_ashrrev_i32_e32 v118, 31, v117
	v_lshlrev_b64 v[117:118], 3, v[117:118]
	v_mov_b32_e32 v123, s5
	v_add_co_u32_e32 v117, vcc, s4, v117
	v_addc_co_u32_e32 v118, vcc, v123, v118, vcc
	s_waitcnt vmcnt(0) lgkmcnt(0)
	buffer_store_dword v120, off, s[0:3], 0 offset:460
	buffer_store_dword v119, off, s[0:3], 0 offset:456
	flat_load_dwordx2 v[119:120], v[117:118]
	s_mov_b64 s[8:9], -1
	s_waitcnt vmcnt(0) lgkmcnt(0)
	buffer_store_dword v120, off, s[0:3], 0 offset:468
	buffer_store_dword v119, off, s[0:3], 0 offset:464
	s_cbranch_scc1 .LBB122_242
; %bb.4:
	v_cmp_eq_u32_e64 s[4:5], 0, v0
	s_and_saveexec_b64 s[8:9], s[4:5]
; %bb.5:
	v_mov_b32_e32 v119, 0
	ds_write_b32 v119, v119 offset:472
; %bb.6:
	s_or_b64 exec, exec, s[8:9]
	v_mov_b32_e32 v119, 0
	v_lshl_add_u32 v119, v0, 3, v119
	s_waitcnt lgkmcnt(0)
	; wave barrier
	buffer_load_dword v122, v119, s[0:3], 0 offen
	buffer_load_dword v123, v119, s[0:3], 0 offen offset:4
	s_waitcnt vmcnt(0)
	v_cmp_eq_f64_e32 vcc, 0, v[122:123]
	s_and_saveexec_b64 s[16:17], vcc
	s_cbranch_execz .LBB122_10
; %bb.7:
	v_mov_b32_e32 v120, 0
	ds_read_b32 v123, v120 offset:472
	v_add_u32_e32 v122, 1, v0
	s_waitcnt lgkmcnt(0)
	v_readfirstlane_b32 s8, v123
	s_cmp_eq_u32 s8, 0
	s_cselect_b64 s[18:19], -1, 0
	v_cmp_gt_i32_e32 vcc, s8, v122
	s_or_b64 s[18:19], s[18:19], vcc
	s_and_b64 exec, exec, s[18:19]
	s_cbranch_execz .LBB122_10
; %bb.8:
	s_mov_b64 s[18:19], 0
	v_mov_b32_e32 v123, s8
.LBB122_9:                              ; =>This Inner Loop Header: Depth=1
	ds_cmpst_rtn_b32 v123, v120, v123, v122 offset:472
	s_waitcnt lgkmcnt(0)
	v_cmp_ne_u32_e32 vcc, 0, v123
	v_cmp_le_i32_e64 s[8:9], v123, v122
	s_and_b64 s[8:9], vcc, s[8:9]
	s_and_b64 s[8:9], exec, s[8:9]
	s_or_b64 s[18:19], s[8:9], s[18:19]
	s_andn2_b64 exec, exec, s[18:19]
	s_cbranch_execnz .LBB122_9
.LBB122_10:
	s_or_b64 exec, exec, s[16:17]
	v_mov_b32_e32 v122, 0
	; wave barrier
	ds_read_b32 v120, v122 offset:472
	s_and_saveexec_b64 s[8:9], s[4:5]
	s_cbranch_execz .LBB122_12
; %bb.11:
	s_lshl_b64 s[16:17], s[6:7], 2
	s_add_u32 s16, s10, s16
	s_addc_u32 s17, s11, s17
	s_waitcnt lgkmcnt(0)
	global_store_dword v122, v120, s[16:17]
.LBB122_12:
	s_or_b64 exec, exec, s[8:9]
	s_waitcnt lgkmcnt(0)
	v_cmp_ne_u32_e32 vcc, 0, v120
	s_mov_b64 s[8:9], 0
	s_cbranch_vccnz .LBB122_242
; %bb.13:
	buffer_load_dword v122, v119, s[0:3], 0 offen
	buffer_load_dword v123, v119, s[0:3], 0 offen offset:4
	s_waitcnt vmcnt(0)
	v_div_scale_f64 v[124:125], s[8:9], v[122:123], v[122:123], 1.0
	v_rcp_f64_e32 v[126:127], v[124:125]
	v_fma_f64 v[128:129], -v[124:125], v[126:127], 1.0
	v_fma_f64 v[126:127], v[126:127], v[128:129], v[126:127]
	v_div_scale_f64 v[128:129], vcc, 1.0, v[122:123], 1.0
	v_fma_f64 v[130:131], -v[124:125], v[126:127], 1.0
	v_fma_f64 v[126:127], v[126:127], v[130:131], v[126:127]
	v_mul_f64 v[130:131], v[128:129], v[126:127]
	v_fma_f64 v[124:125], -v[124:125], v[130:131], v[128:129]
	v_div_fmas_f64 v[124:125], v[124:125], v[126:127], v[130:131]
	v_div_fixup_f64 v[123:124], v[124:125], v[122:123], 1.0
	v_add_u32_e32 v122, 0x1e0, v121
	buffer_store_dword v124, v119, s[0:3], 0 offen offset:4
	buffer_store_dword v123, v119, s[0:3], 0 offen
	buffer_load_dword v126, off, s[0:3], 0 offset:12
	buffer_load_dword v125, off, s[0:3], 0 offset:8
	v_xor_b32_e32 v124, 0x80000000, v124
	s_waitcnt vmcnt(0)
	ds_write2_b64 v121, v[123:124], v[125:126] offset1:60
	s_waitcnt lgkmcnt(0)
	; wave barrier
	s_and_saveexec_b64 s[8:9], s[4:5]
	s_cbranch_execz .LBB122_15
; %bb.14:
	buffer_load_dword v123, v119, s[0:3], 0 offen
	buffer_load_dword v124, v119, s[0:3], 0 offen offset:4
	ds_read_b64 v[125:126], v122
	v_mov_b32_e32 v120, 0
	ds_read_b64 v[127:128], v120 offset:8
	s_waitcnt vmcnt(0) lgkmcnt(1)
	v_fma_f64 v[123:124], v[123:124], v[125:126], 0
	s_waitcnt lgkmcnt(0)
	v_mul_f64 v[123:124], v[123:124], v[127:128]
	buffer_store_dword v123, off, s[0:3], 0 offset:8
	buffer_store_dword v124, off, s[0:3], 0 offset:12
.LBB122_15:
	s_or_b64 exec, exec, s[8:9]
	; wave barrier
	buffer_load_dword v123, off, s[0:3], 0 offset:16
	buffer_load_dword v124, off, s[0:3], 0 offset:20
	v_cmp_gt_u32_e32 vcc, 2, v0
	s_waitcnt vmcnt(0)
	ds_write_b64 v122, v[123:124]
	s_waitcnt lgkmcnt(0)
	; wave barrier
	s_and_saveexec_b64 s[8:9], vcc
	s_cbranch_execz .LBB122_17
; %bb.16:
	buffer_load_dword v123, v119, s[0:3], 0 offen
	buffer_load_dword v124, v119, s[0:3], 0 offen offset:4
                                        ; kill: killed $vgpr119
	s_nop 0
	buffer_load_dword v119, off, s[0:3], 0 offset:8
	buffer_load_dword v120, off, s[0:3], 0 offset:12
	ds_read_b64 v[125:126], v122
	s_waitcnt vmcnt(2) lgkmcnt(0)
	v_fma_f64 v[127:128], v[123:124], v[125:126], 0
	v_mov_b32_e32 v123, 0
	ds_read2_b64 v[123:126], v123 offset0:2 offset1:61
	s_waitcnt vmcnt(0) lgkmcnt(0)
	v_fma_f64 v[119:120], v[119:120], v[125:126], v[127:128]
	v_cndmask_b32_e64 v120, v128, v120, s[4:5]
	v_cndmask_b32_e64 v119, v127, v119, s[4:5]
	v_mul_f64 v[119:120], v[119:120], v[123:124]
	buffer_store_dword v120, off, s[0:3], 0 offset:20
	buffer_store_dword v119, off, s[0:3], 0 offset:16
.LBB122_17:
	s_or_b64 exec, exec, s[8:9]
	; wave barrier
	buffer_load_dword v119, off, s[0:3], 0 offset:24
	buffer_load_dword v120, off, s[0:3], 0 offset:28
	v_cmp_gt_u32_e32 vcc, 3, v0
	v_add_u32_e32 v123, -1, v0
	s_waitcnt vmcnt(0)
	ds_write_b64 v122, v[119:120]
	s_waitcnt lgkmcnt(0)
	; wave barrier
	s_and_saveexec_b64 s[4:5], vcc
	s_cbranch_execz .LBB122_21
; %bb.18:
	v_mov_b32_e32 v119, 0
	v_add_u32_e32 v124, -1, v0
	v_add_u32_e32 v125, 0x1e0, v121
	v_mov_b32_e32 v126, v121
	v_mov_b32_e32 v120, 0
	s_mov_b64 s[8:9], 0
.LBB122_19:                             ; =>This Inner Loop Header: Depth=1
	buffer_load_dword v127, v126, s[0:3], 0 offen
	buffer_load_dword v128, v126, s[0:3], 0 offen offset:4
	ds_read_b64 v[129:130], v125
	v_add_u32_e32 v124, 1, v124
	v_cmp_lt_u32_e32 vcc, 1, v124
	v_add_u32_e32 v125, 8, v125
	s_or_b64 s[8:9], vcc, s[8:9]
	v_add_u32_e32 v126, 8, v126
	s_waitcnt vmcnt(0) lgkmcnt(0)
	v_fma_f64 v[119:120], v[127:128], v[129:130], v[119:120]
	s_andn2_b64 exec, exec, s[8:9]
	s_cbranch_execnz .LBB122_19
; %bb.20:
	s_or_b64 exec, exec, s[8:9]
	v_mov_b32_e32 v124, 0
	ds_read_b64 v[124:125], v124 offset:24
	s_waitcnt lgkmcnt(0)
	v_mul_f64 v[119:120], v[119:120], v[124:125]
	buffer_store_dword v120, off, s[0:3], 0 offset:28
	buffer_store_dword v119, off, s[0:3], 0 offset:24
.LBB122_21:
	s_or_b64 exec, exec, s[4:5]
	; wave barrier
	buffer_load_dword v119, off, s[0:3], 0 offset:32
	buffer_load_dword v120, off, s[0:3], 0 offset:36
	v_cmp_gt_u32_e32 vcc, 4, v0
	s_waitcnt vmcnt(0)
	ds_write_b64 v122, v[119:120]
	s_waitcnt lgkmcnt(0)
	; wave barrier
	s_and_saveexec_b64 s[4:5], vcc
	s_cbranch_execz .LBB122_25
; %bb.22:
	v_mov_b32_e32 v119, 0
	v_add_u32_e32 v124, -1, v0
	v_add_u32_e32 v125, 0x1e0, v121
	v_mov_b32_e32 v126, v121
	v_mov_b32_e32 v120, 0
	s_mov_b64 s[8:9], 0
.LBB122_23:                             ; =>This Inner Loop Header: Depth=1
	buffer_load_dword v127, v126, s[0:3], 0 offen
	buffer_load_dword v128, v126, s[0:3], 0 offen offset:4
	ds_read_b64 v[129:130], v125
	v_add_u32_e32 v124, 1, v124
	v_cmp_lt_u32_e32 vcc, 2, v124
	v_add_u32_e32 v125, 8, v125
	s_or_b64 s[8:9], vcc, s[8:9]
	v_add_u32_e32 v126, 8, v126
	s_waitcnt vmcnt(0) lgkmcnt(0)
	v_fma_f64 v[119:120], v[127:128], v[129:130], v[119:120]
	s_andn2_b64 exec, exec, s[8:9]
	s_cbranch_execnz .LBB122_23
; %bb.24:
	s_or_b64 exec, exec, s[8:9]
	v_mov_b32_e32 v124, 0
	ds_read_b64 v[124:125], v124 offset:32
	s_waitcnt lgkmcnt(0)
	v_mul_f64 v[119:120], v[119:120], v[124:125]
	buffer_store_dword v120, off, s[0:3], 0 offset:36
	buffer_store_dword v119, off, s[0:3], 0 offset:32
.LBB122_25:
	s_or_b64 exec, exec, s[4:5]
	; wave barrier
	buffer_load_dword v119, off, s[0:3], 0 offset:40
	buffer_load_dword v120, off, s[0:3], 0 offset:44
	v_cmp_gt_u32_e32 vcc, 5, v0
	;; [unrolled: 40-line block ×21, first 2 shown]
	s_waitcnt vmcnt(0)
	ds_write_b64 v122, v[119:120]
	s_waitcnt lgkmcnt(0)
	; wave barrier
	s_and_saveexec_b64 s[4:5], vcc
	s_cbranch_execz .LBB122_105
; %bb.102:
	v_mov_b32_e32 v119, 0
	v_add_u32_e32 v124, -1, v0
	v_add_u32_e32 v125, 0x1e0, v121
	v_mov_b32_e32 v126, v121
	v_mov_b32_e32 v120, 0
	s_mov_b64 s[8:9], 0
.LBB122_103:                            ; =>This Inner Loop Header: Depth=1
	buffer_load_dword v127, v126, s[0:3], 0 offen
	buffer_load_dword v128, v126, s[0:3], 0 offen offset:4
	ds_read_b64 v[129:130], v125
	v_add_u32_e32 v124, 1, v124
	v_cmp_lt_u32_e32 vcc, 22, v124
	v_add_u32_e32 v125, 8, v125
	s_or_b64 s[8:9], vcc, s[8:9]
	v_add_u32_e32 v126, 8, v126
	s_waitcnt vmcnt(0) lgkmcnt(0)
	v_fma_f64 v[119:120], v[127:128], v[129:130], v[119:120]
	s_andn2_b64 exec, exec, s[8:9]
	s_cbranch_execnz .LBB122_103
; %bb.104:
	s_or_b64 exec, exec, s[8:9]
	v_mov_b32_e32 v124, 0
	ds_read_b64 v[124:125], v124 offset:192
	s_waitcnt lgkmcnt(0)
	v_mul_f64 v[119:120], v[119:120], v[124:125]
	buffer_store_dword v120, off, s[0:3], 0 offset:196
	buffer_store_dword v119, off, s[0:3], 0 offset:192
.LBB122_105:
	s_or_b64 exec, exec, s[4:5]
	; wave barrier
	buffer_load_dword v119, off, s[0:3], 0 offset:200
	buffer_load_dword v120, off, s[0:3], 0 offset:204
	v_cmp_gt_u32_e32 vcc, 25, v0
	s_waitcnt vmcnt(0)
	ds_write_b64 v122, v[119:120]
	s_waitcnt lgkmcnt(0)
	; wave barrier
	s_and_saveexec_b64 s[4:5], vcc
	s_cbranch_execz .LBB122_109
; %bb.106:
	v_mov_b32_e32 v119, 0
	v_add_u32_e32 v124, -1, v0
	v_add_u32_e32 v125, 0x1e0, v121
	v_mov_b32_e32 v126, v121
	v_mov_b32_e32 v120, 0
	s_mov_b64 s[8:9], 0
.LBB122_107:                            ; =>This Inner Loop Header: Depth=1
	buffer_load_dword v127, v126, s[0:3], 0 offen
	buffer_load_dword v128, v126, s[0:3], 0 offen offset:4
	ds_read_b64 v[129:130], v125
	v_add_u32_e32 v124, 1, v124
	v_cmp_lt_u32_e32 vcc, 23, v124
	v_add_u32_e32 v125, 8, v125
	s_or_b64 s[8:9], vcc, s[8:9]
	v_add_u32_e32 v126, 8, v126
	s_waitcnt vmcnt(0) lgkmcnt(0)
	v_fma_f64 v[119:120], v[127:128], v[129:130], v[119:120]
	s_andn2_b64 exec, exec, s[8:9]
	s_cbranch_execnz .LBB122_107
; %bb.108:
	s_or_b64 exec, exec, s[8:9]
	v_mov_b32_e32 v124, 0
	ds_read_b64 v[124:125], v124 offset:200
	s_waitcnt lgkmcnt(0)
	v_mul_f64 v[119:120], v[119:120], v[124:125]
	buffer_store_dword v120, off, s[0:3], 0 offset:204
	buffer_store_dword v119, off, s[0:3], 0 offset:200
.LBB122_109:
	s_or_b64 exec, exec, s[4:5]
	; wave barrier
	buffer_load_dword v119, off, s[0:3], 0 offset:208
	buffer_load_dword v120, off, s[0:3], 0 offset:212
	v_cmp_gt_u32_e32 vcc, 26, v0
	;; [unrolled: 40-line block ×33, first 2 shown]
	s_waitcnt vmcnt(0)
	ds_write_b64 v122, v[119:120]
	s_waitcnt lgkmcnt(0)
	; wave barrier
	s_and_saveexec_b64 s[4:5], vcc
	s_cbranch_execz .LBB122_237
; %bb.234:
	v_mov_b32_e32 v119, 0
	v_add_u32_e32 v124, -1, v0
	v_add_u32_e32 v125, 0x1e0, v121
	v_mov_b32_e32 v126, v121
	v_mov_b32_e32 v120, 0
	s_mov_b64 s[8:9], 0
.LBB122_235:                            ; =>This Inner Loop Header: Depth=1
	buffer_load_dword v127, v126, s[0:3], 0 offen
	buffer_load_dword v128, v126, s[0:3], 0 offen offset:4
	ds_read_b64 v[129:130], v125
	v_add_u32_e32 v124, 1, v124
	v_cmp_lt_u32_e32 vcc, 55, v124
	v_add_u32_e32 v125, 8, v125
	s_or_b64 s[8:9], vcc, s[8:9]
	v_add_u32_e32 v126, 8, v126
	s_waitcnt vmcnt(0) lgkmcnt(0)
	v_fma_f64 v[119:120], v[127:128], v[129:130], v[119:120]
	s_andn2_b64 exec, exec, s[8:9]
	s_cbranch_execnz .LBB122_235
; %bb.236:
	s_or_b64 exec, exec, s[8:9]
	v_mov_b32_e32 v124, 0
	ds_read_b64 v[124:125], v124 offset:456
	s_waitcnt lgkmcnt(0)
	v_mul_f64 v[119:120], v[119:120], v[124:125]
	buffer_store_dword v120, off, s[0:3], 0 offset:460
	buffer_store_dword v119, off, s[0:3], 0 offset:456
.LBB122_237:
	s_or_b64 exec, exec, s[4:5]
	; wave barrier
	buffer_load_dword v119, off, s[0:3], 0 offset:464
	buffer_load_dword v120, off, s[0:3], 0 offset:468
	v_cmp_ne_u32_e32 vcc, 58, v0
	s_waitcnt vmcnt(0)
	ds_write_b64 v122, v[119:120]
	s_waitcnt lgkmcnt(0)
	; wave barrier
	s_and_saveexec_b64 s[4:5], vcc
	s_cbranch_execz .LBB122_241
; %bb.238:
	v_mov_b32_e32 v119, 0
	v_add_u32_e32 v122, 0x1e0, v121
	v_mov_b32_e32 v120, 0
	s_mov_b64 s[8:9], 0
.LBB122_239:                            ; =>This Inner Loop Header: Depth=1
	buffer_load_dword v124, v121, s[0:3], 0 offen
	buffer_load_dword v125, v121, s[0:3], 0 offen offset:4
	ds_read_b64 v[126:127], v122
	v_add_u32_e32 v123, 1, v123
	v_cmp_lt_u32_e32 vcc, 56, v123
	v_add_u32_e32 v122, 8, v122
	s_or_b64 s[8:9], vcc, s[8:9]
	v_add_u32_e32 v121, 8, v121
	s_waitcnt vmcnt(0) lgkmcnt(0)
	v_fma_f64 v[119:120], v[124:125], v[126:127], v[119:120]
	s_andn2_b64 exec, exec, s[8:9]
	s_cbranch_execnz .LBB122_239
; %bb.240:
	s_or_b64 exec, exec, s[8:9]
	v_mov_b32_e32 v121, 0
	ds_read_b64 v[121:122], v121 offset:464
	s_waitcnt lgkmcnt(0)
	v_mul_f64 v[119:120], v[119:120], v[121:122]
	buffer_store_dword v120, off, s[0:3], 0 offset:468
	buffer_store_dword v119, off, s[0:3], 0 offset:464
.LBB122_241:
	s_or_b64 exec, exec, s[4:5]
	s_mov_b64 s[8:9], -1
	; wave barrier
.LBB122_242:
	s_and_b64 vcc, exec, s[8:9]
	s_cbranch_vccz .LBB122_244
; %bb.243:
	s_lshl_b64 s[4:5], s[6:7], 2
	s_add_u32 s4, s10, s4
	s_addc_u32 s5, s11, s5
	v_mov_b32_e32 v119, 0
	global_load_dword v119, v119, s[4:5]
	s_waitcnt vmcnt(0)
	v_cmp_ne_u32_e32 vcc, 0, v119
	s_cbranch_vccz .LBB122_245
.LBB122_244:
	s_endpgm
.LBB122_245:
	v_mov_b32_e32 v119, 0x1e0
	v_lshl_add_u32 v119, v0, 3, v119
	v_cmp_eq_u32_e32 vcc, 58, v0
	s_and_saveexec_b64 s[4:5], vcc
	s_cbranch_execz .LBB122_247
; %bb.246:
	buffer_load_dword v120, off, s[0:3], 0 offset:456
	buffer_load_dword v121, off, s[0:3], 0 offset:460
	v_mov_b32_e32 v122, 0
	buffer_store_dword v122, off, s[0:3], 0 offset:456
	buffer_store_dword v122, off, s[0:3], 0 offset:460
	s_waitcnt vmcnt(2)
	ds_write_b64 v119, v[120:121]
.LBB122_247:
	s_or_b64 exec, exec, s[4:5]
	s_waitcnt lgkmcnt(0)
	; wave barrier
	buffer_load_dword v121, off, s[0:3], 0 offset:464
	buffer_load_dword v122, off, s[0:3], 0 offset:468
	buffer_load_dword v123, off, s[0:3], 0 offset:456
	buffer_load_dword v124, off, s[0:3], 0 offset:460
	v_mov_b32_e32 v120, 0
	ds_read_b64 v[125:126], v120 offset:944
	v_cmp_lt_u32_e32 vcc, 56, v0
	s_waitcnt vmcnt(2) lgkmcnt(0)
	v_fma_f64 v[121:122], v[121:122], v[125:126], 0
	s_waitcnt vmcnt(0)
	v_add_f64 v[121:122], v[123:124], -v[121:122]
	buffer_store_dword v121, off, s[0:3], 0 offset:456
	buffer_store_dword v122, off, s[0:3], 0 offset:460
	s_and_saveexec_b64 s[4:5], vcc
	s_cbranch_execz .LBB122_249
; %bb.248:
	buffer_load_dword v121, off, s[0:3], 0 offset:448
	buffer_load_dword v122, off, s[0:3], 0 offset:452
	s_waitcnt vmcnt(0)
	ds_write_b64 v119, v[121:122]
	buffer_store_dword v120, off, s[0:3], 0 offset:448
	buffer_store_dword v120, off, s[0:3], 0 offset:452
.LBB122_249:
	s_or_b64 exec, exec, s[4:5]
	s_waitcnt lgkmcnt(0)
	; wave barrier
	buffer_load_dword v124, off, s[0:3], 0 offset:456
	buffer_load_dword v125, off, s[0:3], 0 offset:460
	;; [unrolled: 1-line block ×6, first 2 shown]
	ds_read2_b64 v[120:123], v120 offset0:117 offset1:118
	v_cmp_lt_u32_e32 vcc, 55, v0
	s_waitcnt vmcnt(4) lgkmcnt(0)
	v_fma_f64 v[120:121], v[124:125], v[120:121], 0
	s_waitcnt vmcnt(2)
	v_fma_f64 v[120:121], v[126:127], v[122:123], v[120:121]
	s_waitcnt vmcnt(0)
	v_add_f64 v[120:121], v[128:129], -v[120:121]
	buffer_store_dword v120, off, s[0:3], 0 offset:448
	buffer_store_dword v121, off, s[0:3], 0 offset:452
	s_and_saveexec_b64 s[4:5], vcc
	s_cbranch_execz .LBB122_251
; %bb.250:
	buffer_load_dword v120, off, s[0:3], 0 offset:440
	buffer_load_dword v121, off, s[0:3], 0 offset:444
	v_mov_b32_e32 v122, 0
	buffer_store_dword v122, off, s[0:3], 0 offset:440
	buffer_store_dword v122, off, s[0:3], 0 offset:444
	s_waitcnt vmcnt(2)
	ds_write_b64 v119, v[120:121]
.LBB122_251:
	s_or_b64 exec, exec, s[4:5]
	s_waitcnt lgkmcnt(0)
	; wave barrier
	buffer_load_dword v125, off, s[0:3], 0 offset:448
	buffer_load_dword v126, off, s[0:3], 0 offset:452
	;; [unrolled: 1-line block ×8, first 2 shown]
	v_mov_b32_e32 v120, 0
	ds_read_b128 v[121:124], v120 offset:928
	ds_read_b64 v[133:134], v120 offset:944
	v_cmp_lt_u32_e32 vcc, 54, v0
	s_waitcnt vmcnt(6) lgkmcnt(1)
	v_fma_f64 v[121:122], v[125:126], v[121:122], 0
	s_waitcnt vmcnt(4)
	v_fma_f64 v[121:122], v[127:128], v[123:124], v[121:122]
	s_waitcnt vmcnt(2) lgkmcnt(0)
	v_fma_f64 v[121:122], v[129:130], v[133:134], v[121:122]
	s_waitcnt vmcnt(0)
	v_add_f64 v[121:122], v[131:132], -v[121:122]
	buffer_store_dword v121, off, s[0:3], 0 offset:440
	buffer_store_dword v122, off, s[0:3], 0 offset:444
	s_and_saveexec_b64 s[4:5], vcc
	s_cbranch_execz .LBB122_253
; %bb.252:
	buffer_load_dword v121, off, s[0:3], 0 offset:432
	buffer_load_dword v122, off, s[0:3], 0 offset:436
	s_waitcnt vmcnt(0)
	ds_write_b64 v119, v[121:122]
	buffer_store_dword v120, off, s[0:3], 0 offset:432
	buffer_store_dword v120, off, s[0:3], 0 offset:436
.LBB122_253:
	s_or_b64 exec, exec, s[4:5]
	s_waitcnt lgkmcnt(0)
	; wave barrier
	buffer_load_dword v129, off, s[0:3], 0 offset:440
	buffer_load_dword v130, off, s[0:3], 0 offset:444
	;; [unrolled: 1-line block ×10, first 2 shown]
	ds_read2_b64 v[121:124], v120 offset0:115 offset1:116
	ds_read2_b64 v[125:128], v120 offset0:117 offset1:118
	v_cmp_lt_u32_e32 vcc, 53, v0
	s_waitcnt vmcnt(8) lgkmcnt(1)
	v_fma_f64 v[120:121], v[129:130], v[121:122], 0
	s_waitcnt vmcnt(6)
	v_fma_f64 v[120:121], v[131:132], v[123:124], v[120:121]
	s_waitcnt vmcnt(4) lgkmcnt(0)
	v_fma_f64 v[120:121], v[133:134], v[125:126], v[120:121]
	s_waitcnt vmcnt(2)
	v_fma_f64 v[120:121], v[135:136], v[127:128], v[120:121]
	s_waitcnt vmcnt(0)
	v_add_f64 v[120:121], v[137:138], -v[120:121]
	buffer_store_dword v120, off, s[0:3], 0 offset:432
	buffer_store_dword v121, off, s[0:3], 0 offset:436
	s_and_saveexec_b64 s[4:5], vcc
	s_cbranch_execz .LBB122_255
; %bb.254:
	buffer_load_dword v120, off, s[0:3], 0 offset:424
	buffer_load_dword v121, off, s[0:3], 0 offset:428
	v_mov_b32_e32 v122, 0
	buffer_store_dword v122, off, s[0:3], 0 offset:424
	buffer_store_dword v122, off, s[0:3], 0 offset:428
	s_waitcnt vmcnt(2)
	ds_write_b64 v119, v[120:121]
.LBB122_255:
	s_or_b64 exec, exec, s[4:5]
	s_waitcnt lgkmcnt(0)
	; wave barrier
	buffer_load_dword v129, off, s[0:3], 0 offset:432
	buffer_load_dword v130, off, s[0:3], 0 offset:436
	;; [unrolled: 1-line block ×12, first 2 shown]
	v_mov_b32_e32 v120, 0
	ds_read_b128 v[121:124], v120 offset:912
	ds_read_b128 v[125:128], v120 offset:928
	v_cmp_lt_u32_e32 vcc, 52, v0
	s_waitcnt vmcnt(10) lgkmcnt(1)
	v_fma_f64 v[121:122], v[129:130], v[121:122], 0
	s_waitcnt vmcnt(8)
	v_fma_f64 v[121:122], v[131:132], v[123:124], v[121:122]
	ds_read_b64 v[123:124], v120 offset:944
	s_waitcnt vmcnt(6) lgkmcnt(1)
	v_fma_f64 v[121:122], v[133:134], v[125:126], v[121:122]
	s_waitcnt vmcnt(4)
	v_fma_f64 v[121:122], v[135:136], v[127:128], v[121:122]
	s_waitcnt vmcnt(2) lgkmcnt(0)
	v_fma_f64 v[121:122], v[137:138], v[123:124], v[121:122]
	s_waitcnt vmcnt(0)
	v_add_f64 v[121:122], v[139:140], -v[121:122]
	buffer_store_dword v121, off, s[0:3], 0 offset:424
	buffer_store_dword v122, off, s[0:3], 0 offset:428
	s_and_saveexec_b64 s[4:5], vcc
	s_cbranch_execz .LBB122_257
; %bb.256:
	buffer_load_dword v121, off, s[0:3], 0 offset:416
	buffer_load_dword v122, off, s[0:3], 0 offset:420
	s_waitcnt vmcnt(0)
	ds_write_b64 v119, v[121:122]
	buffer_store_dword v120, off, s[0:3], 0 offset:416
	buffer_store_dword v120, off, s[0:3], 0 offset:420
.LBB122_257:
	s_or_b64 exec, exec, s[4:5]
	s_waitcnt lgkmcnt(0)
	; wave barrier
	buffer_load_dword v129, off, s[0:3], 0 offset:424
	buffer_load_dword v130, off, s[0:3], 0 offset:428
	;; [unrolled: 1-line block ×14, first 2 shown]
	ds_read2_b64 v[121:124], v120 offset0:113 offset1:114
	ds_read2_b64 v[125:128], v120 offset0:115 offset1:116
	v_cmp_lt_u32_e32 vcc, 51, v0
	s_waitcnt vmcnt(12) lgkmcnt(1)
	v_fma_f64 v[121:122], v[129:130], v[121:122], 0
	s_waitcnt vmcnt(10)
	v_fma_f64 v[121:122], v[131:132], v[123:124], v[121:122]
	s_waitcnt vmcnt(8) lgkmcnt(0)
	v_fma_f64 v[121:122], v[133:134], v[125:126], v[121:122]
	s_waitcnt vmcnt(6)
	v_fma_f64 v[124:125], v[135:136], v[127:128], v[121:122]
	ds_read2_b64 v[120:123], v120 offset0:117 offset1:118
	s_waitcnt vmcnt(4) lgkmcnt(0)
	v_fma_f64 v[120:121], v[137:138], v[120:121], v[124:125]
	s_waitcnt vmcnt(2)
	v_fma_f64 v[120:121], v[139:140], v[122:123], v[120:121]
	s_waitcnt vmcnt(0)
	v_add_f64 v[120:121], v[141:142], -v[120:121]
	buffer_store_dword v120, off, s[0:3], 0 offset:416
	buffer_store_dword v121, off, s[0:3], 0 offset:420
	s_and_saveexec_b64 s[4:5], vcc
	s_cbranch_execz .LBB122_259
; %bb.258:
	buffer_load_dword v120, off, s[0:3], 0 offset:408
	buffer_load_dword v121, off, s[0:3], 0 offset:412
	v_mov_b32_e32 v122, 0
	buffer_store_dword v122, off, s[0:3], 0 offset:408
	buffer_store_dword v122, off, s[0:3], 0 offset:412
	s_waitcnt vmcnt(2)
	ds_write_b64 v119, v[120:121]
.LBB122_259:
	s_or_b64 exec, exec, s[4:5]
	s_waitcnt lgkmcnt(0)
	; wave barrier
	buffer_load_dword v129, off, s[0:3], 0 offset:416
	buffer_load_dword v130, off, s[0:3], 0 offset:420
	;; [unrolled: 1-line block ×16, first 2 shown]
	v_mov_b32_e32 v120, 0
	ds_read_b128 v[121:124], v120 offset:896
	ds_read_b128 v[125:128], v120 offset:912
	v_cmp_lt_u32_e32 vcc, 50, v0
	s_waitcnt vmcnt(14) lgkmcnt(1)
	v_fma_f64 v[121:122], v[129:130], v[121:122], 0
	s_waitcnt vmcnt(12)
	v_fma_f64 v[121:122], v[131:132], v[123:124], v[121:122]
	s_waitcnt vmcnt(10) lgkmcnt(0)
	v_fma_f64 v[121:122], v[133:134], v[125:126], v[121:122]
	s_waitcnt vmcnt(8)
	v_fma_f64 v[125:126], v[135:136], v[127:128], v[121:122]
	ds_read_b128 v[121:124], v120 offset:928
	ds_read_b64 v[127:128], v120 offset:944
	s_waitcnt vmcnt(6) lgkmcnt(1)
	v_fma_f64 v[121:122], v[137:138], v[121:122], v[125:126]
	s_waitcnt vmcnt(4)
	v_fma_f64 v[121:122], v[139:140], v[123:124], v[121:122]
	s_waitcnt vmcnt(2) lgkmcnt(0)
	v_fma_f64 v[121:122], v[141:142], v[127:128], v[121:122]
	s_waitcnt vmcnt(0)
	v_add_f64 v[121:122], v[143:144], -v[121:122]
	buffer_store_dword v121, off, s[0:3], 0 offset:408
	buffer_store_dword v122, off, s[0:3], 0 offset:412
	s_and_saveexec_b64 s[4:5], vcc
	s_cbranch_execz .LBB122_261
; %bb.260:
	buffer_load_dword v121, off, s[0:3], 0 offset:400
	buffer_load_dword v122, off, s[0:3], 0 offset:404
	s_waitcnt vmcnt(0)
	ds_write_b64 v119, v[121:122]
	buffer_store_dword v120, off, s[0:3], 0 offset:400
	buffer_store_dword v120, off, s[0:3], 0 offset:404
.LBB122_261:
	s_or_b64 exec, exec, s[4:5]
	s_waitcnt lgkmcnt(0)
	; wave barrier
	buffer_load_dword v129, off, s[0:3], 0 offset:408
	buffer_load_dword v130, off, s[0:3], 0 offset:412
	;; [unrolled: 1-line block ×18, first 2 shown]
	ds_read2_b64 v[121:124], v120 offset0:111 offset1:112
	ds_read2_b64 v[125:128], v120 offset0:113 offset1:114
	v_cmp_lt_u32_e32 vcc, 49, v0
	s_waitcnt vmcnt(16) lgkmcnt(1)
	v_fma_f64 v[121:122], v[129:130], v[121:122], 0
	s_waitcnt vmcnt(14)
	v_fma_f64 v[121:122], v[131:132], v[123:124], v[121:122]
	s_waitcnt vmcnt(12) lgkmcnt(0)
	v_fma_f64 v[121:122], v[133:134], v[125:126], v[121:122]
	s_waitcnt vmcnt(10)
	v_fma_f64 v[129:130], v[135:136], v[127:128], v[121:122]
	ds_read2_b64 v[121:124], v120 offset0:115 offset1:116
	ds_read2_b64 v[125:128], v120 offset0:117 offset1:118
	s_waitcnt vmcnt(8) lgkmcnt(1)
	v_fma_f64 v[120:121], v[137:138], v[121:122], v[129:130]
	s_waitcnt vmcnt(6)
	v_fma_f64 v[120:121], v[139:140], v[123:124], v[120:121]
	s_waitcnt vmcnt(4) lgkmcnt(0)
	v_fma_f64 v[120:121], v[141:142], v[125:126], v[120:121]
	s_waitcnt vmcnt(2)
	v_fma_f64 v[120:121], v[143:144], v[127:128], v[120:121]
	s_waitcnt vmcnt(0)
	v_add_f64 v[120:121], v[145:146], -v[120:121]
	buffer_store_dword v120, off, s[0:3], 0 offset:400
	buffer_store_dword v121, off, s[0:3], 0 offset:404
	s_and_saveexec_b64 s[4:5], vcc
	s_cbranch_execz .LBB122_263
; %bb.262:
	buffer_load_dword v120, off, s[0:3], 0 offset:392
	buffer_load_dword v121, off, s[0:3], 0 offset:396
	v_mov_b32_e32 v122, 0
	buffer_store_dword v122, off, s[0:3], 0 offset:392
	buffer_store_dword v122, off, s[0:3], 0 offset:396
	s_waitcnt vmcnt(2)
	ds_write_b64 v119, v[120:121]
.LBB122_263:
	s_or_b64 exec, exec, s[4:5]
	s_waitcnt lgkmcnt(0)
	; wave barrier
	buffer_load_dword v129, off, s[0:3], 0 offset:400
	buffer_load_dword v130, off, s[0:3], 0 offset:404
	;; [unrolled: 1-line block ×20, first 2 shown]
	v_mov_b32_e32 v120, 0
	ds_read_b128 v[121:124], v120 offset:880
	ds_read_b128 v[125:128], v120 offset:896
	v_cmp_lt_u32_e32 vcc, 48, v0
	s_waitcnt vmcnt(18) lgkmcnt(1)
	v_fma_f64 v[121:122], v[129:130], v[121:122], 0
	s_waitcnt vmcnt(16)
	v_fma_f64 v[121:122], v[131:132], v[123:124], v[121:122]
	s_waitcnt vmcnt(14) lgkmcnt(0)
	v_fma_f64 v[121:122], v[133:134], v[125:126], v[121:122]
	s_waitcnt vmcnt(12)
	v_fma_f64 v[129:130], v[135:136], v[127:128], v[121:122]
	ds_read_b128 v[121:124], v120 offset:912
	ds_read_b128 v[125:128], v120 offset:928
	s_waitcnt vmcnt(10) lgkmcnt(1)
	v_fma_f64 v[121:122], v[137:138], v[121:122], v[129:130]
	s_waitcnt vmcnt(8)
	v_fma_f64 v[121:122], v[139:140], v[123:124], v[121:122]
	ds_read_b64 v[123:124], v120 offset:944
	s_waitcnt vmcnt(6) lgkmcnt(1)
	v_fma_f64 v[121:122], v[141:142], v[125:126], v[121:122]
	s_waitcnt vmcnt(3)
	v_fma_f64 v[121:122], v[143:144], v[127:128], v[121:122]
	s_waitcnt vmcnt(2) lgkmcnt(0)
	v_fma_f64 v[121:122], v[145:146], v[123:124], v[121:122]
	s_waitcnt vmcnt(0)
	v_add_f64 v[121:122], v[147:148], -v[121:122]
	buffer_store_dword v121, off, s[0:3], 0 offset:392
	buffer_store_dword v122, off, s[0:3], 0 offset:396
	s_and_saveexec_b64 s[4:5], vcc
	s_cbranch_execz .LBB122_265
; %bb.264:
	buffer_load_dword v121, off, s[0:3], 0 offset:384
	buffer_load_dword v122, off, s[0:3], 0 offset:388
	s_waitcnt vmcnt(0)
	ds_write_b64 v119, v[121:122]
	buffer_store_dword v120, off, s[0:3], 0 offset:384
	buffer_store_dword v120, off, s[0:3], 0 offset:388
.LBB122_265:
	s_or_b64 exec, exec, s[4:5]
	s_waitcnt lgkmcnt(0)
	; wave barrier
	buffer_load_dword v129, off, s[0:3], 0 offset:392
	buffer_load_dword v130, off, s[0:3], 0 offset:396
	;; [unrolled: 1-line block ×20, first 2 shown]
	ds_read2_b64 v[121:124], v120 offset0:109 offset1:110
	buffer_load_dword v149, off, s[0:3], 0 offset:384
	buffer_load_dword v150, off, s[0:3], 0 offset:388
	ds_read2_b64 v[125:128], v120 offset0:111 offset1:112
	v_cmp_lt_u32_e32 vcc, 47, v0
	s_waitcnt vmcnt(20) lgkmcnt(1)
	v_fma_f64 v[121:122], v[129:130], v[121:122], 0
	s_waitcnt vmcnt(18)
	v_fma_f64 v[121:122], v[131:132], v[123:124], v[121:122]
	s_waitcnt vmcnt(16) lgkmcnt(0)
	v_fma_f64 v[121:122], v[133:134], v[125:126], v[121:122]
	s_waitcnt vmcnt(14)
	v_fma_f64 v[129:130], v[135:136], v[127:128], v[121:122]
	ds_read2_b64 v[121:124], v120 offset0:113 offset1:114
	ds_read2_b64 v[125:128], v120 offset0:115 offset1:116
	s_waitcnt vmcnt(12) lgkmcnt(1)
	v_fma_f64 v[121:122], v[137:138], v[121:122], v[129:130]
	s_waitcnt vmcnt(10)
	v_fma_f64 v[121:122], v[139:140], v[123:124], v[121:122]
	s_waitcnt vmcnt(8) lgkmcnt(0)
	v_fma_f64 v[121:122], v[141:142], v[125:126], v[121:122]
	s_waitcnt vmcnt(4)
	v_fma_f64 v[124:125], v[143:144], v[127:128], v[121:122]
	ds_read2_b64 v[120:123], v120 offset0:117 offset1:118
	s_waitcnt vmcnt(3) lgkmcnt(0)
	v_fma_f64 v[120:121], v[147:148], v[120:121], v[124:125]
	s_waitcnt vmcnt(2)
	v_fma_f64 v[120:121], v[145:146], v[122:123], v[120:121]
	s_waitcnt vmcnt(0)
	v_add_f64 v[120:121], v[149:150], -v[120:121]
	buffer_store_dword v120, off, s[0:3], 0 offset:384
	buffer_store_dword v121, off, s[0:3], 0 offset:388
	s_and_saveexec_b64 s[4:5], vcc
	s_cbranch_execz .LBB122_267
; %bb.266:
	buffer_load_dword v120, off, s[0:3], 0 offset:376
	buffer_load_dword v121, off, s[0:3], 0 offset:380
	v_mov_b32_e32 v122, 0
	buffer_store_dword v122, off, s[0:3], 0 offset:376
	buffer_store_dword v122, off, s[0:3], 0 offset:380
	s_waitcnt vmcnt(2)
	ds_write_b64 v119, v[120:121]
.LBB122_267:
	s_or_b64 exec, exec, s[4:5]
	s_waitcnt lgkmcnt(0)
	; wave barrier
	buffer_load_dword v129, off, s[0:3], 0 offset:384
	buffer_load_dword v130, off, s[0:3], 0 offset:388
	;; [unrolled: 1-line block ×21, first 2 shown]
	v_mov_b32_e32 v120, 0
	ds_read_b128 v[121:124], v120 offset:864
	ds_read_b128 v[125:128], v120 offset:880
	buffer_load_dword v146, off, s[0:3], 0 offset:468
	v_cmp_lt_u32_e32 vcc, 46, v0
	s_waitcnt vmcnt(20) lgkmcnt(1)
	v_fma_f64 v[121:122], v[129:130], v[121:122], 0
	buffer_load_dword v129, off, s[0:3], 0 offset:376
	buffer_load_dword v130, off, s[0:3], 0 offset:380
	s_waitcnt vmcnt(20)
	v_fma_f64 v[121:122], v[131:132], v[123:124], v[121:122]
	s_waitcnt vmcnt(18) lgkmcnt(0)
	v_fma_f64 v[121:122], v[133:134], v[125:126], v[121:122]
	s_waitcnt vmcnt(16)
	v_fma_f64 v[131:132], v[135:136], v[127:128], v[121:122]
	ds_read_b128 v[121:124], v120 offset:896
	ds_read_b128 v[125:128], v120 offset:912
	s_waitcnt vmcnt(14) lgkmcnt(1)
	v_fma_f64 v[121:122], v[137:138], v[121:122], v[131:132]
	s_waitcnt vmcnt(12)
	v_fma_f64 v[121:122], v[139:140], v[123:124], v[121:122]
	s_waitcnt vmcnt(10) lgkmcnt(0)
	v_fma_f64 v[121:122], v[141:142], v[125:126], v[121:122]
	s_waitcnt vmcnt(5)
	v_fma_f64 v[125:126], v[143:144], v[127:128], v[121:122]
	ds_read_b128 v[121:124], v120 offset:928
	ds_read_b64 v[127:128], v120 offset:944
	s_waitcnt vmcnt(4) lgkmcnt(1)
	v_fma_f64 v[121:122], v[149:150], v[121:122], v[125:126]
	s_waitcnt vmcnt(3)
	v_fma_f64 v[121:122], v[147:148], v[123:124], v[121:122]
	s_waitcnt vmcnt(2) lgkmcnt(0)
	v_fma_f64 v[121:122], v[145:146], v[127:128], v[121:122]
	s_waitcnt vmcnt(0)
	v_add_f64 v[121:122], v[129:130], -v[121:122]
	buffer_store_dword v122, off, s[0:3], 0 offset:380
	buffer_store_dword v121, off, s[0:3], 0 offset:376
	s_and_saveexec_b64 s[4:5], vcc
	s_cbranch_execz .LBB122_269
; %bb.268:
	buffer_load_dword v121, off, s[0:3], 0 offset:368
	buffer_load_dword v122, off, s[0:3], 0 offset:372
	s_waitcnt vmcnt(0)
	ds_write_b64 v119, v[121:122]
	buffer_store_dword v120, off, s[0:3], 0 offset:368
	buffer_store_dword v120, off, s[0:3], 0 offset:372
.LBB122_269:
	s_or_b64 exec, exec, s[4:5]
	s_waitcnt lgkmcnt(0)
	; wave barrier
	buffer_load_dword v129, off, s[0:3], 0 offset:376
	buffer_load_dword v130, off, s[0:3], 0 offset:380
	;; [unrolled: 1-line block ×21, first 2 shown]
	ds_read2_b64 v[121:124], v120 offset0:107 offset1:108
	ds_read2_b64 v[125:128], v120 offset0:109 offset1:110
	buffer_load_dword v146, off, s[0:3], 0 offset:460
	v_cmp_lt_u32_e32 vcc, 45, v0
	s_waitcnt vmcnt(20) lgkmcnt(1)
	v_fma_f64 v[121:122], v[129:130], v[121:122], 0
	buffer_load_dword v130, off, s[0:3], 0 offset:468
	buffer_load_dword v129, off, s[0:3], 0 offset:464
	s_waitcnt vmcnt(20)
	v_fma_f64 v[121:122], v[131:132], v[123:124], v[121:122]
	buffer_load_dword v131, off, s[0:3], 0 offset:368
	buffer_load_dword v132, off, s[0:3], 0 offset:372
	s_waitcnt vmcnt(20) lgkmcnt(0)
	v_fma_f64 v[121:122], v[133:134], v[125:126], v[121:122]
	s_waitcnt vmcnt(18)
	v_fma_f64 v[133:134], v[135:136], v[127:128], v[121:122]
	ds_read2_b64 v[121:124], v120 offset0:111 offset1:112
	ds_read2_b64 v[125:128], v120 offset0:113 offset1:114
	s_waitcnt vmcnt(16) lgkmcnt(1)
	v_fma_f64 v[121:122], v[137:138], v[121:122], v[133:134]
	s_waitcnt vmcnt(14)
	v_fma_f64 v[121:122], v[139:140], v[123:124], v[121:122]
	s_waitcnt vmcnt(12) lgkmcnt(0)
	v_fma_f64 v[121:122], v[141:142], v[125:126], v[121:122]
	s_waitcnt vmcnt(7)
	v_fma_f64 v[133:134], v[143:144], v[127:128], v[121:122]
	ds_read2_b64 v[121:124], v120 offset0:115 offset1:116
	ds_read2_b64 v[125:128], v120 offset0:117 offset1:118
	s_waitcnt vmcnt(6) lgkmcnt(1)
	v_fma_f64 v[120:121], v[149:150], v[121:122], v[133:134]
	s_waitcnt vmcnt(5)
	v_fma_f64 v[120:121], v[147:148], v[123:124], v[120:121]
	s_waitcnt vmcnt(4) lgkmcnt(0)
	v_fma_f64 v[120:121], v[145:146], v[125:126], v[120:121]
	s_waitcnt vmcnt(2)
	v_fma_f64 v[120:121], v[129:130], v[127:128], v[120:121]
	s_waitcnt vmcnt(0)
	v_add_f64 v[120:121], v[131:132], -v[120:121]
	buffer_store_dword v121, off, s[0:3], 0 offset:372
	buffer_store_dword v120, off, s[0:3], 0 offset:368
	s_and_saveexec_b64 s[4:5], vcc
	s_cbranch_execz .LBB122_271
; %bb.270:
	buffer_load_dword v120, off, s[0:3], 0 offset:360
	buffer_load_dword v121, off, s[0:3], 0 offset:364
	v_mov_b32_e32 v122, 0
	buffer_store_dword v122, off, s[0:3], 0 offset:360
	buffer_store_dword v122, off, s[0:3], 0 offset:364
	s_waitcnt vmcnt(2)
	ds_write_b64 v119, v[120:121]
.LBB122_271:
	s_or_b64 exec, exec, s[4:5]
	s_waitcnt lgkmcnt(0)
	; wave barrier
	buffer_load_dword v129, off, s[0:3], 0 offset:368
	buffer_load_dword v130, off, s[0:3], 0 offset:372
	;; [unrolled: 1-line block ×21, first 2 shown]
	v_mov_b32_e32 v120, 0
	ds_read_b128 v[121:124], v120 offset:848
	ds_read_b128 v[125:128], v120 offset:864
	buffer_load_dword v146, off, s[0:3], 0 offset:452
	v_cmp_lt_u32_e32 vcc, 44, v0
	s_waitcnt vmcnt(20) lgkmcnt(1)
	v_fma_f64 v[121:122], v[129:130], v[121:122], 0
	s_waitcnt vmcnt(18)
	v_fma_f64 v[121:122], v[131:132], v[123:124], v[121:122]
	buffer_load_dword v130, off, s[0:3], 0 offset:460
	buffer_load_dword v131, off, s[0:3], 0 offset:464
	;; [unrolled: 1-line block ×4, first 2 shown]
	s_waitcnt vmcnt(20) lgkmcnt(0)
	v_fma_f64 v[121:122], v[133:134], v[125:126], v[121:122]
	buffer_load_dword v133, off, s[0:3], 0 offset:360
	buffer_load_dword v134, off, s[0:3], 0 offset:364
	s_waitcnt vmcnt(20)
	v_fma_f64 v[135:136], v[135:136], v[127:128], v[121:122]
	ds_read_b128 v[121:124], v120 offset:880
	ds_read_b128 v[125:128], v120 offset:896
	s_waitcnt vmcnt(18) lgkmcnt(1)
	v_fma_f64 v[121:122], v[137:138], v[121:122], v[135:136]
	s_waitcnt vmcnt(16)
	v_fma_f64 v[121:122], v[139:140], v[123:124], v[121:122]
	s_waitcnt vmcnt(14) lgkmcnt(0)
	v_fma_f64 v[121:122], v[141:142], v[125:126], v[121:122]
	s_waitcnt vmcnt(9)
	v_fma_f64 v[135:136], v[143:144], v[127:128], v[121:122]
	ds_read_b128 v[121:124], v120 offset:912
	ds_read_b128 v[125:128], v120 offset:928
	s_waitcnt vmcnt(8) lgkmcnt(1)
	v_fma_f64 v[121:122], v[149:150], v[121:122], v[135:136]
	s_waitcnt vmcnt(7)
	v_fma_f64 v[121:122], v[147:148], v[123:124], v[121:122]
	ds_read_b64 v[123:124], v120 offset:944
	s_waitcnt vmcnt(6) lgkmcnt(1)
	v_fma_f64 v[121:122], v[145:146], v[125:126], v[121:122]
	s_waitcnt vmcnt(3)
	v_fma_f64 v[121:122], v[129:130], v[127:128], v[121:122]
	s_waitcnt vmcnt(2) lgkmcnt(0)
	v_fma_f64 v[121:122], v[131:132], v[123:124], v[121:122]
	s_waitcnt vmcnt(0)
	v_add_f64 v[121:122], v[133:134], -v[121:122]
	buffer_store_dword v122, off, s[0:3], 0 offset:364
	buffer_store_dword v121, off, s[0:3], 0 offset:360
	s_and_saveexec_b64 s[4:5], vcc
	s_cbranch_execz .LBB122_273
; %bb.272:
	buffer_load_dword v121, off, s[0:3], 0 offset:352
	buffer_load_dword v122, off, s[0:3], 0 offset:356
	s_waitcnt vmcnt(0)
	ds_write_b64 v119, v[121:122]
	buffer_store_dword v120, off, s[0:3], 0 offset:352
	buffer_store_dword v120, off, s[0:3], 0 offset:356
.LBB122_273:
	s_or_b64 exec, exec, s[4:5]
	s_waitcnt lgkmcnt(0)
	; wave barrier
	buffer_load_dword v129, off, s[0:3], 0 offset:360
	buffer_load_dword v130, off, s[0:3], 0 offset:364
	buffer_load_dword v131, off, s[0:3], 0 offset:368
	buffer_load_dword v132, off, s[0:3], 0 offset:372
	buffer_load_dword v133, off, s[0:3], 0 offset:376
	buffer_load_dword v134, off, s[0:3], 0 offset:380
	buffer_load_dword v135, off, s[0:3], 0 offset:384
	buffer_load_dword v136, off, s[0:3], 0 offset:388
	buffer_load_dword v137, off, s[0:3], 0 offset:392
	buffer_load_dword v138, off, s[0:3], 0 offset:396
	buffer_load_dword v139, off, s[0:3], 0 offset:400
	buffer_load_dword v140, off, s[0:3], 0 offset:404
	buffer_load_dword v141, off, s[0:3], 0 offset:408
	buffer_load_dword v142, off, s[0:3], 0 offset:412
	buffer_load_dword v144, off, s[0:3], 0 offset:420
	buffer_load_dword v145, off, s[0:3], 0 offset:440
	buffer_load_dword v147, off, s[0:3], 0 offset:432
	buffer_load_dword v149, off, s[0:3], 0 offset:424
	buffer_load_dword v143, off, s[0:3], 0 offset:416
	buffer_load_dword v150, off, s[0:3], 0 offset:428
	buffer_load_dword v148, off, s[0:3], 0 offset:436
	buffer_load_dword v146, off, s[0:3], 0 offset:444
	ds_read2_b64 v[121:124], v120 offset0:105 offset1:106
	ds_read2_b64 v[125:128], v120 offset0:107 offset1:108
	v_cmp_lt_u32_e32 vcc, 43, v0
	s_waitcnt vmcnt(20) lgkmcnt(1)
	v_fma_f64 v[121:122], v[129:130], v[121:122], 0
	s_waitcnt vmcnt(18)
	v_fma_f64 v[121:122], v[131:132], v[123:124], v[121:122]
	buffer_load_dword v130, off, s[0:3], 0 offset:452
	buffer_load_dword v131, off, s[0:3], 0 offset:464
	;; [unrolled: 1-line block ×6, first 2 shown]
	s_waitcnt vmcnt(22) lgkmcnt(0)
	v_fma_f64 v[121:122], v[133:134], v[125:126], v[121:122]
	s_waitcnt vmcnt(20)
	v_fma_f64 v[133:134], v[135:136], v[127:128], v[121:122]
	ds_read2_b64 v[121:124], v120 offset0:109 offset1:110
	buffer_load_dword v135, off, s[0:3], 0 offset:352
	buffer_load_dword v136, off, s[0:3], 0 offset:356
	ds_read2_b64 v[125:128], v120 offset0:111 offset1:112
	s_waitcnt vmcnt(20) lgkmcnt(1)
	v_fma_f64 v[121:122], v[137:138], v[121:122], v[133:134]
	s_waitcnt vmcnt(18)
	v_fma_f64 v[121:122], v[139:140], v[123:124], v[121:122]
	s_waitcnt vmcnt(16) lgkmcnt(0)
	v_fma_f64 v[121:122], v[141:142], v[125:126], v[121:122]
	s_waitcnt vmcnt(11)
	v_fma_f64 v[133:134], v[143:144], v[127:128], v[121:122]
	ds_read2_b64 v[121:124], v120 offset0:113 offset1:114
	ds_read2_b64 v[125:128], v120 offset0:115 offset1:116
	s_waitcnt vmcnt(10) lgkmcnt(1)
	v_fma_f64 v[121:122], v[149:150], v[121:122], v[133:134]
	s_waitcnt vmcnt(9)
	v_fma_f64 v[121:122], v[147:148], v[123:124], v[121:122]
	s_waitcnt vmcnt(8) lgkmcnt(0)
	v_fma_f64 v[121:122], v[145:146], v[125:126], v[121:122]
	s_waitcnt vmcnt(4)
	v_fma_f64 v[124:125], v[129:130], v[127:128], v[121:122]
	ds_read2_b64 v[120:123], v120 offset0:117 offset1:118
	s_waitcnt vmcnt(3) lgkmcnt(0)
	v_fma_f64 v[120:121], v[151:152], v[120:121], v[124:125]
	s_waitcnt vmcnt(2)
	v_fma_f64 v[120:121], v[131:132], v[122:123], v[120:121]
	s_waitcnt vmcnt(0)
	v_add_f64 v[120:121], v[135:136], -v[120:121]
	buffer_store_dword v121, off, s[0:3], 0 offset:356
	buffer_store_dword v120, off, s[0:3], 0 offset:352
	s_and_saveexec_b64 s[4:5], vcc
	s_cbranch_execz .LBB122_275
; %bb.274:
	buffer_load_dword v120, off, s[0:3], 0 offset:344
	buffer_load_dword v121, off, s[0:3], 0 offset:348
	v_mov_b32_e32 v122, 0
	buffer_store_dword v122, off, s[0:3], 0 offset:344
	buffer_store_dword v122, off, s[0:3], 0 offset:348
	s_waitcnt vmcnt(2)
	ds_write_b64 v119, v[120:121]
.LBB122_275:
	s_or_b64 exec, exec, s[4:5]
	s_waitcnt lgkmcnt(0)
	; wave barrier
	buffer_load_dword v129, off, s[0:3], 0 offset:352
	buffer_load_dword v130, off, s[0:3], 0 offset:356
	;; [unrolled: 1-line block ×22, first 2 shown]
	v_mov_b32_e32 v120, 0
	ds_read_b128 v[121:124], v120 offset:832
	ds_read_b128 v[125:128], v120 offset:848
	v_cmp_lt_u32_e32 vcc, 42, v0
	s_waitcnt vmcnt(20) lgkmcnt(1)
	v_fma_f64 v[121:122], v[129:130], v[121:122], 0
	s_waitcnt vmcnt(18)
	v_fma_f64 v[121:122], v[131:132], v[123:124], v[121:122]
	buffer_load_dword v130, off, s[0:3], 0 offset:444
	buffer_load_dword v131, off, s[0:3], 0 offset:464
	;; [unrolled: 1-line block ×8, first 2 shown]
	s_waitcnt vmcnt(24) lgkmcnt(0)
	v_fma_f64 v[121:122], v[133:134], v[125:126], v[121:122]
	s_waitcnt vmcnt(22)
	v_fma_f64 v[133:134], v[135:136], v[127:128], v[121:122]
	ds_read_b128 v[121:124], v120 offset:864
	ds_read_b128 v[125:128], v120 offset:880
	s_waitcnt vmcnt(20) lgkmcnt(1)
	v_fma_f64 v[121:122], v[137:138], v[121:122], v[133:134]
	buffer_load_dword v133, off, s[0:3], 0 offset:344
	buffer_load_dword v134, off, s[0:3], 0 offset:348
	s_waitcnt vmcnt(20)
	v_fma_f64 v[121:122], v[139:140], v[123:124], v[121:122]
	s_waitcnt vmcnt(18) lgkmcnt(0)
	v_fma_f64 v[121:122], v[141:142], v[125:126], v[121:122]
	s_waitcnt vmcnt(13)
	v_fma_f64 v[135:136], v[143:144], v[127:128], v[121:122]
	ds_read_b128 v[121:124], v120 offset:896
	ds_read_b128 v[125:128], v120 offset:912
	s_waitcnt vmcnt(12) lgkmcnt(1)
	v_fma_f64 v[121:122], v[149:150], v[121:122], v[135:136]
	s_waitcnt vmcnt(11)
	v_fma_f64 v[121:122], v[147:148], v[123:124], v[121:122]
	s_waitcnt vmcnt(10) lgkmcnt(0)
	v_fma_f64 v[121:122], v[145:146], v[125:126], v[121:122]
	s_waitcnt vmcnt(5)
	v_fma_f64 v[125:126], v[129:130], v[127:128], v[121:122]
	ds_read_b128 v[121:124], v120 offset:928
	ds_read_b64 v[127:128], v120 offset:944
	s_waitcnt vmcnt(4) lgkmcnt(1)
	v_fma_f64 v[121:122], v[153:154], v[121:122], v[125:126]
	s_waitcnt vmcnt(3)
	v_fma_f64 v[121:122], v[151:152], v[123:124], v[121:122]
	s_waitcnt vmcnt(2) lgkmcnt(0)
	v_fma_f64 v[121:122], v[131:132], v[127:128], v[121:122]
	s_waitcnt vmcnt(0)
	v_add_f64 v[121:122], v[133:134], -v[121:122]
	buffer_store_dword v122, off, s[0:3], 0 offset:348
	buffer_store_dword v121, off, s[0:3], 0 offset:344
	s_and_saveexec_b64 s[4:5], vcc
	s_cbranch_execz .LBB122_277
; %bb.276:
	buffer_load_dword v121, off, s[0:3], 0 offset:336
	buffer_load_dword v122, off, s[0:3], 0 offset:340
	s_waitcnt vmcnt(0)
	ds_write_b64 v119, v[121:122]
	buffer_store_dword v120, off, s[0:3], 0 offset:336
	buffer_store_dword v120, off, s[0:3], 0 offset:340
.LBB122_277:
	s_or_b64 exec, exec, s[4:5]
	s_waitcnt lgkmcnt(0)
	; wave barrier
	buffer_load_dword v129, off, s[0:3], 0 offset:344
	buffer_load_dword v130, off, s[0:3], 0 offset:348
	;; [unrolled: 1-line block ×22, first 2 shown]
	ds_read2_b64 v[121:124], v120 offset0:103 offset1:104
	ds_read2_b64 v[125:128], v120 offset0:105 offset1:106
	v_cmp_lt_u32_e32 vcc, 41, v0
	s_waitcnt vmcnt(20) lgkmcnt(1)
	v_fma_f64 v[121:122], v[129:130], v[121:122], 0
	s_waitcnt vmcnt(18)
	v_fma_f64 v[121:122], v[131:132], v[123:124], v[121:122]
	buffer_load_dword v130, off, s[0:3], 0 offset:436
	buffer_load_dword v131, off, s[0:3], 0 offset:456
	buffer_load_dword v151, off, s[0:3], 0 offset:448
	buffer_load_dword v153, off, s[0:3], 0 offset:440
	buffer_load_dword v129, off, s[0:3], 0 offset:432
	buffer_load_dword v154, off, s[0:3], 0 offset:444
	buffer_load_dword v152, off, s[0:3], 0 offset:452
	buffer_load_dword v132, off, s[0:3], 0 offset:460
	s_waitcnt vmcnt(24) lgkmcnt(0)
	v_fma_f64 v[121:122], v[133:134], v[125:126], v[121:122]
	s_waitcnt vmcnt(22)
	v_fma_f64 v[133:134], v[135:136], v[127:128], v[121:122]
	ds_read2_b64 v[121:124], v120 offset0:107 offset1:108
	ds_read2_b64 v[125:128], v120 offset0:109 offset1:110
	s_waitcnt vmcnt(20) lgkmcnt(1)
	v_fma_f64 v[121:122], v[137:138], v[121:122], v[133:134]
	buffer_load_dword v134, off, s[0:3], 0 offset:468
	buffer_load_dword v133, off, s[0:3], 0 offset:464
	;; [unrolled: 1-line block ×4, first 2 shown]
	s_waitcnt vmcnt(22)
	v_fma_f64 v[121:122], v[139:140], v[123:124], v[121:122]
	s_waitcnt vmcnt(20) lgkmcnt(0)
	v_fma_f64 v[121:122], v[141:142], v[125:126], v[121:122]
	s_waitcnt vmcnt(15)
	v_fma_f64 v[137:138], v[143:144], v[127:128], v[121:122]
	ds_read2_b64 v[121:124], v120 offset0:111 offset1:112
	ds_read2_b64 v[125:128], v120 offset0:113 offset1:114
	s_waitcnt vmcnt(14) lgkmcnt(1)
	v_fma_f64 v[121:122], v[149:150], v[121:122], v[137:138]
	s_waitcnt vmcnt(13)
	v_fma_f64 v[121:122], v[147:148], v[123:124], v[121:122]
	s_waitcnt vmcnt(12) lgkmcnt(0)
	v_fma_f64 v[121:122], v[145:146], v[125:126], v[121:122]
	s_waitcnt vmcnt(7)
	v_fma_f64 v[129:130], v[129:130], v[127:128], v[121:122]
	ds_read2_b64 v[121:124], v120 offset0:115 offset1:116
	ds_read2_b64 v[125:128], v120 offset0:117 offset1:118
	s_waitcnt vmcnt(6) lgkmcnt(1)
	v_fma_f64 v[120:121], v[153:154], v[121:122], v[129:130]
	s_waitcnt vmcnt(5)
	v_fma_f64 v[120:121], v[151:152], v[123:124], v[120:121]
	s_waitcnt vmcnt(4) lgkmcnt(0)
	v_fma_f64 v[120:121], v[131:132], v[125:126], v[120:121]
	s_waitcnt vmcnt(2)
	v_fma_f64 v[120:121], v[133:134], v[127:128], v[120:121]
	s_waitcnt vmcnt(0)
	v_add_f64 v[120:121], v[135:136], -v[120:121]
	buffer_store_dword v121, off, s[0:3], 0 offset:340
	buffer_store_dword v120, off, s[0:3], 0 offset:336
	s_and_saveexec_b64 s[4:5], vcc
	s_cbranch_execz .LBB122_279
; %bb.278:
	buffer_load_dword v120, off, s[0:3], 0 offset:328
	buffer_load_dword v121, off, s[0:3], 0 offset:332
	v_mov_b32_e32 v122, 0
	buffer_store_dword v122, off, s[0:3], 0 offset:328
	buffer_store_dword v122, off, s[0:3], 0 offset:332
	s_waitcnt vmcnt(2)
	ds_write_b64 v119, v[120:121]
.LBB122_279:
	s_or_b64 exec, exec, s[4:5]
	s_waitcnt lgkmcnt(0)
	; wave barrier
	buffer_load_dword v129, off, s[0:3], 0 offset:336
	buffer_load_dword v130, off, s[0:3], 0 offset:340
	;; [unrolled: 1-line block ×22, first 2 shown]
	v_mov_b32_e32 v120, 0
	ds_read_b128 v[121:124], v120 offset:816
	ds_read_b128 v[125:128], v120 offset:832
	v_cmp_lt_u32_e32 vcc, 40, v0
	s_waitcnt vmcnt(20) lgkmcnt(1)
	v_fma_f64 v[121:122], v[129:130], v[121:122], 0
	s_waitcnt vmcnt(18)
	v_fma_f64 v[121:122], v[131:132], v[123:124], v[121:122]
	buffer_load_dword v130, off, s[0:3], 0 offset:428
	buffer_load_dword v131, off, s[0:3], 0 offset:448
	buffer_load_dword v151, off, s[0:3], 0 offset:440
	buffer_load_dword v153, off, s[0:3], 0 offset:432
	buffer_load_dword v129, off, s[0:3], 0 offset:424
	buffer_load_dword v154, off, s[0:3], 0 offset:436
	buffer_load_dword v152, off, s[0:3], 0 offset:444
	s_waitcnt vmcnt(23) lgkmcnt(0)
	v_fma_f64 v[121:122], v[133:134], v[125:126], v[121:122]
	s_waitcnt vmcnt(21)
	v_fma_f64 v[132:133], v[135:136], v[127:128], v[121:122]
	ds_read_b128 v[121:124], v120 offset:848
	ds_read_b128 v[125:128], v120 offset:864
	s_waitcnt vmcnt(19) lgkmcnt(1)
	v_fma_f64 v[121:122], v[137:138], v[121:122], v[132:133]
	buffer_load_dword v132, off, s[0:3], 0 offset:452
	buffer_load_dword v134, off, s[0:3], 0 offset:460
	;; [unrolled: 1-line block ×7, first 2 shown]
	s_waitcnt vmcnt(24)
	v_fma_f64 v[121:122], v[139:140], v[123:124], v[121:122]
	s_waitcnt vmcnt(22) lgkmcnt(0)
	v_fma_f64 v[121:122], v[141:142], v[125:126], v[121:122]
	s_waitcnt vmcnt(17)
	v_fma_f64 v[139:140], v[143:144], v[127:128], v[121:122]
	ds_read_b128 v[121:124], v120 offset:880
	ds_read_b128 v[125:128], v120 offset:896
	s_waitcnt vmcnt(16) lgkmcnt(1)
	v_fma_f64 v[121:122], v[149:150], v[121:122], v[139:140]
	s_waitcnt vmcnt(15)
	v_fma_f64 v[121:122], v[147:148], v[123:124], v[121:122]
	s_waitcnt vmcnt(14) lgkmcnt(0)
	v_fma_f64 v[121:122], v[145:146], v[125:126], v[121:122]
	s_waitcnt vmcnt(9)
	v_fma_f64 v[129:130], v[129:130], v[127:128], v[121:122]
	ds_read_b128 v[121:124], v120 offset:912
	ds_read_b128 v[125:128], v120 offset:928
	s_waitcnt vmcnt(8) lgkmcnt(1)
	v_fma_f64 v[121:122], v[153:154], v[121:122], v[129:130]
	s_waitcnt vmcnt(7)
	v_fma_f64 v[121:122], v[151:152], v[123:124], v[121:122]
	ds_read_b64 v[123:124], v120 offset:944
	s_waitcnt vmcnt(6) lgkmcnt(1)
	v_fma_f64 v[121:122], v[131:132], v[125:126], v[121:122]
	s_waitcnt vmcnt(3)
	v_fma_f64 v[121:122], v[133:134], v[127:128], v[121:122]
	s_waitcnt vmcnt(2) lgkmcnt(0)
	v_fma_f64 v[121:122], v[135:136], v[123:124], v[121:122]
	s_waitcnt vmcnt(0)
	v_add_f64 v[121:122], v[137:138], -v[121:122]
	buffer_store_dword v122, off, s[0:3], 0 offset:332
	buffer_store_dword v121, off, s[0:3], 0 offset:328
	s_and_saveexec_b64 s[4:5], vcc
	s_cbranch_execz .LBB122_281
; %bb.280:
	buffer_load_dword v121, off, s[0:3], 0 offset:320
	buffer_load_dword v122, off, s[0:3], 0 offset:324
	s_waitcnt vmcnt(0)
	ds_write_b64 v119, v[121:122]
	buffer_store_dword v120, off, s[0:3], 0 offset:320
	buffer_store_dword v120, off, s[0:3], 0 offset:324
.LBB122_281:
	s_or_b64 exec, exec, s[4:5]
	s_waitcnt lgkmcnt(0)
	; wave barrier
	buffer_load_dword v129, off, s[0:3], 0 offset:328
	buffer_load_dword v130, off, s[0:3], 0 offset:332
	;; [unrolled: 1-line block ×22, first 2 shown]
	ds_read2_b64 v[121:124], v120 offset0:101 offset1:102
	ds_read2_b64 v[125:128], v120 offset0:103 offset1:104
	v_cmp_lt_u32_e32 vcc, 39, v0
	s_waitcnt vmcnt(20) lgkmcnt(1)
	v_fma_f64 v[121:122], v[129:130], v[121:122], 0
	s_waitcnt vmcnt(18)
	v_fma_f64 v[121:122], v[131:132], v[123:124], v[121:122]
	buffer_load_dword v130, off, s[0:3], 0 offset:420
	buffer_load_dword v131, off, s[0:3], 0 offset:440
	;; [unrolled: 1-line block ×7, first 2 shown]
	s_waitcnt vmcnt(23) lgkmcnt(0)
	v_fma_f64 v[121:122], v[133:134], v[125:126], v[121:122]
	s_waitcnt vmcnt(21)
	v_fma_f64 v[132:133], v[135:136], v[127:128], v[121:122]
	ds_read2_b64 v[121:124], v120 offset0:105 offset1:106
	ds_read2_b64 v[125:128], v120 offset0:107 offset1:108
	s_waitcnt vmcnt(19) lgkmcnt(1)
	v_fma_f64 v[121:122], v[137:138], v[121:122], v[132:133]
	buffer_load_dword v132, off, s[0:3], 0 offset:444
	buffer_load_dword v134, off, s[0:3], 0 offset:452
	;; [unrolled: 1-line block ×7, first 2 shown]
	s_waitcnt vmcnt(24)
	v_fma_f64 v[121:122], v[139:140], v[123:124], v[121:122]
	s_waitcnt vmcnt(22) lgkmcnt(0)
	v_fma_f64 v[121:122], v[141:142], v[125:126], v[121:122]
	s_waitcnt vmcnt(17)
	v_fma_f64 v[139:140], v[143:144], v[127:128], v[121:122]
	ds_read2_b64 v[121:124], v120 offset0:109 offset1:110
	buffer_load_dword v141, off, s[0:3], 0 offset:320
	buffer_load_dword v142, off, s[0:3], 0 offset:324
	ds_read2_b64 v[125:128], v120 offset0:111 offset1:112
	s_waitcnt vmcnt(18) lgkmcnt(1)
	v_fma_f64 v[121:122], v[149:150], v[121:122], v[139:140]
	s_waitcnt vmcnt(17)
	v_fma_f64 v[121:122], v[147:148], v[123:124], v[121:122]
	s_waitcnt vmcnt(16) lgkmcnt(0)
	v_fma_f64 v[121:122], v[145:146], v[125:126], v[121:122]
	s_waitcnt vmcnt(11)
	v_fma_f64 v[129:130], v[129:130], v[127:128], v[121:122]
	ds_read2_b64 v[121:124], v120 offset0:113 offset1:114
	ds_read2_b64 v[125:128], v120 offset0:115 offset1:116
	s_waitcnt vmcnt(10) lgkmcnt(1)
	v_fma_f64 v[121:122], v[153:154], v[121:122], v[129:130]
	s_waitcnt vmcnt(9)
	v_fma_f64 v[121:122], v[151:152], v[123:124], v[121:122]
	s_waitcnt vmcnt(8) lgkmcnt(0)
	v_fma_f64 v[121:122], v[131:132], v[125:126], v[121:122]
	s_waitcnt vmcnt(4)
	v_fma_f64 v[124:125], v[133:134], v[127:128], v[121:122]
	ds_read2_b64 v[120:123], v120 offset0:117 offset1:118
	s_waitcnt vmcnt(3) lgkmcnt(0)
	v_fma_f64 v[120:121], v[137:138], v[120:121], v[124:125]
	s_waitcnt vmcnt(2)
	v_fma_f64 v[120:121], v[135:136], v[122:123], v[120:121]
	s_waitcnt vmcnt(0)
	v_add_f64 v[120:121], v[141:142], -v[120:121]
	buffer_store_dword v121, off, s[0:3], 0 offset:324
	buffer_store_dword v120, off, s[0:3], 0 offset:320
	s_and_saveexec_b64 s[4:5], vcc
	s_cbranch_execz .LBB122_283
; %bb.282:
	buffer_load_dword v120, off, s[0:3], 0 offset:312
	buffer_load_dword v121, off, s[0:3], 0 offset:316
	v_mov_b32_e32 v122, 0
	buffer_store_dword v122, off, s[0:3], 0 offset:312
	buffer_store_dword v122, off, s[0:3], 0 offset:316
	s_waitcnt vmcnt(2)
	ds_write_b64 v119, v[120:121]
.LBB122_283:
	s_or_b64 exec, exec, s[4:5]
	s_waitcnt lgkmcnt(0)
	; wave barrier
	buffer_load_dword v129, off, s[0:3], 0 offset:320
	buffer_load_dword v130, off, s[0:3], 0 offset:324
	;; [unrolled: 1-line block ×22, first 2 shown]
	v_mov_b32_e32 v120, 0
	ds_read_b128 v[121:124], v120 offset:800
	ds_read_b128 v[125:128], v120 offset:816
	v_cmp_lt_u32_e32 vcc, 38, v0
	s_waitcnt vmcnt(20) lgkmcnt(1)
	v_fma_f64 v[121:122], v[129:130], v[121:122], 0
	s_waitcnt vmcnt(18)
	v_fma_f64 v[121:122], v[131:132], v[123:124], v[121:122]
	buffer_load_dword v130, off, s[0:3], 0 offset:412
	buffer_load_dword v131, off, s[0:3], 0 offset:432
	;; [unrolled: 1-line block ×7, first 2 shown]
	s_waitcnt vmcnt(23) lgkmcnt(0)
	v_fma_f64 v[121:122], v[133:134], v[125:126], v[121:122]
	s_waitcnt vmcnt(21)
	v_fma_f64 v[132:133], v[135:136], v[127:128], v[121:122]
	ds_read_b128 v[121:124], v120 offset:832
	ds_read_b128 v[125:128], v120 offset:848
	s_waitcnt vmcnt(19) lgkmcnt(1)
	v_fma_f64 v[121:122], v[137:138], v[121:122], v[132:133]
	buffer_load_dword v132, off, s[0:3], 0 offset:436
	s_waitcnt vmcnt(18)
	v_fma_f64 v[121:122], v[139:140], v[123:124], v[121:122]
	buffer_load_dword v134, off, s[0:3], 0 offset:444
	buffer_load_dword v135, off, s[0:3], 0 offset:464
	;; [unrolled: 1-line block ×8, first 2 shown]
	s_waitcnt vmcnt(24) lgkmcnt(0)
	v_fma_f64 v[121:122], v[141:142], v[125:126], v[121:122]
	s_waitcnt vmcnt(19)
	v_fma_f64 v[141:142], v[143:144], v[127:128], v[121:122]
	ds_read_b128 v[121:124], v120 offset:864
	ds_read_b128 v[125:128], v120 offset:880
	s_waitcnt vmcnt(18) lgkmcnt(1)
	v_fma_f64 v[121:122], v[149:150], v[121:122], v[141:142]
	buffer_load_dword v141, off, s[0:3], 0 offset:312
	buffer_load_dword v142, off, s[0:3], 0 offset:316
	s_waitcnt vmcnt(19)
	v_fma_f64 v[121:122], v[147:148], v[123:124], v[121:122]
	s_waitcnt vmcnt(18) lgkmcnt(0)
	v_fma_f64 v[121:122], v[145:146], v[125:126], v[121:122]
	s_waitcnt vmcnt(13)
	v_fma_f64 v[129:130], v[129:130], v[127:128], v[121:122]
	ds_read_b128 v[121:124], v120 offset:896
	ds_read_b128 v[125:128], v120 offset:912
	s_waitcnt vmcnt(12) lgkmcnt(1)
	v_fma_f64 v[121:122], v[153:154], v[121:122], v[129:130]
	s_waitcnt vmcnt(11)
	v_fma_f64 v[121:122], v[151:152], v[123:124], v[121:122]
	s_waitcnt vmcnt(10) lgkmcnt(0)
	v_fma_f64 v[121:122], v[131:132], v[125:126], v[121:122]
	s_waitcnt vmcnt(5)
	v_fma_f64 v[125:126], v[133:134], v[127:128], v[121:122]
	ds_read_b128 v[121:124], v120 offset:928
	ds_read_b64 v[127:128], v120 offset:944
	s_waitcnt vmcnt(4) lgkmcnt(1)
	v_fma_f64 v[121:122], v[139:140], v[121:122], v[125:126]
	s_waitcnt vmcnt(3)
	v_fma_f64 v[121:122], v[137:138], v[123:124], v[121:122]
	s_waitcnt vmcnt(2) lgkmcnt(0)
	v_fma_f64 v[121:122], v[135:136], v[127:128], v[121:122]
	s_waitcnt vmcnt(0)
	v_add_f64 v[121:122], v[141:142], -v[121:122]
	buffer_store_dword v122, off, s[0:3], 0 offset:316
	buffer_store_dword v121, off, s[0:3], 0 offset:312
	s_and_saveexec_b64 s[4:5], vcc
	s_cbranch_execz .LBB122_285
; %bb.284:
	buffer_load_dword v121, off, s[0:3], 0 offset:304
	buffer_load_dword v122, off, s[0:3], 0 offset:308
	s_waitcnt vmcnt(0)
	ds_write_b64 v119, v[121:122]
	buffer_store_dword v120, off, s[0:3], 0 offset:304
	buffer_store_dword v120, off, s[0:3], 0 offset:308
.LBB122_285:
	s_or_b64 exec, exec, s[4:5]
	s_waitcnt lgkmcnt(0)
	; wave barrier
	buffer_load_dword v129, off, s[0:3], 0 offset:312
	buffer_load_dword v130, off, s[0:3], 0 offset:316
	;; [unrolled: 1-line block ×22, first 2 shown]
	ds_read2_b64 v[121:124], v120 offset0:99 offset1:100
	ds_read2_b64 v[125:128], v120 offset0:101 offset1:102
	v_cmp_lt_u32_e32 vcc, 37, v0
	s_waitcnt vmcnt(20) lgkmcnt(1)
	v_fma_f64 v[121:122], v[129:130], v[121:122], 0
	s_waitcnt vmcnt(18)
	v_fma_f64 v[121:122], v[131:132], v[123:124], v[121:122]
	buffer_load_dword v130, off, s[0:3], 0 offset:404
	buffer_load_dword v131, off, s[0:3], 0 offset:424
	buffer_load_dword v151, off, s[0:3], 0 offset:416
	buffer_load_dword v153, off, s[0:3], 0 offset:408
	buffer_load_dword v129, off, s[0:3], 0 offset:400
	buffer_load_dword v154, off, s[0:3], 0 offset:412
	buffer_load_dword v152, off, s[0:3], 0 offset:420
	s_waitcnt vmcnt(23) lgkmcnt(0)
	v_fma_f64 v[121:122], v[133:134], v[125:126], v[121:122]
	s_waitcnt vmcnt(21)
	v_fma_f64 v[132:133], v[135:136], v[127:128], v[121:122]
	ds_read2_b64 v[121:124], v120 offset0:103 offset1:104
	ds_read2_b64 v[125:128], v120 offset0:105 offset1:106
	s_waitcnt vmcnt(19) lgkmcnt(1)
	v_fma_f64 v[121:122], v[137:138], v[121:122], v[132:133]
	buffer_load_dword v132, off, s[0:3], 0 offset:428
	s_waitcnt vmcnt(18)
	v_fma_f64 v[121:122], v[139:140], v[123:124], v[121:122]
	buffer_load_dword v134, off, s[0:3], 0 offset:436
	buffer_load_dword v135, off, s[0:3], 0 offset:456
	;; [unrolled: 1-line block ×8, first 2 shown]
	s_waitcnt vmcnt(24) lgkmcnt(0)
	v_fma_f64 v[121:122], v[141:142], v[125:126], v[121:122]
	s_waitcnt vmcnt(19)
	v_fma_f64 v[141:142], v[143:144], v[127:128], v[121:122]
	ds_read2_b64 v[121:124], v120 offset0:107 offset1:108
	ds_read2_b64 v[125:128], v120 offset0:109 offset1:110
	s_waitcnt vmcnt(18) lgkmcnt(1)
	v_fma_f64 v[121:122], v[149:150], v[121:122], v[141:142]
	buffer_load_dword v142, off, s[0:3], 0 offset:468
	buffer_load_dword v141, off, s[0:3], 0 offset:464
	;; [unrolled: 1-line block ×4, first 2 shown]
	s_waitcnt vmcnt(21)
	v_fma_f64 v[121:122], v[147:148], v[123:124], v[121:122]
	s_waitcnt vmcnt(20) lgkmcnt(0)
	v_fma_f64 v[121:122], v[145:146], v[125:126], v[121:122]
	s_waitcnt vmcnt(15)
	v_fma_f64 v[129:130], v[129:130], v[127:128], v[121:122]
	ds_read2_b64 v[121:124], v120 offset0:111 offset1:112
	ds_read2_b64 v[125:128], v120 offset0:113 offset1:114
	s_waitcnt vmcnt(14) lgkmcnt(1)
	v_fma_f64 v[121:122], v[153:154], v[121:122], v[129:130]
	s_waitcnt vmcnt(13)
	v_fma_f64 v[121:122], v[151:152], v[123:124], v[121:122]
	s_waitcnt vmcnt(12) lgkmcnt(0)
	v_fma_f64 v[121:122], v[131:132], v[125:126], v[121:122]
	s_waitcnt vmcnt(7)
	v_fma_f64 v[129:130], v[133:134], v[127:128], v[121:122]
	ds_read2_b64 v[121:124], v120 offset0:115 offset1:116
	ds_read2_b64 v[125:128], v120 offset0:117 offset1:118
	s_waitcnt vmcnt(6) lgkmcnt(1)
	v_fma_f64 v[120:121], v[139:140], v[121:122], v[129:130]
	s_waitcnt vmcnt(5)
	v_fma_f64 v[120:121], v[137:138], v[123:124], v[120:121]
	s_waitcnt vmcnt(4) lgkmcnt(0)
	v_fma_f64 v[120:121], v[135:136], v[125:126], v[120:121]
	s_waitcnt vmcnt(2)
	v_fma_f64 v[120:121], v[141:142], v[127:128], v[120:121]
	s_waitcnt vmcnt(0)
	v_add_f64 v[120:121], v[143:144], -v[120:121]
	buffer_store_dword v121, off, s[0:3], 0 offset:308
	buffer_store_dword v120, off, s[0:3], 0 offset:304
	s_and_saveexec_b64 s[4:5], vcc
	s_cbranch_execz .LBB122_287
; %bb.286:
	buffer_load_dword v120, off, s[0:3], 0 offset:296
	buffer_load_dword v121, off, s[0:3], 0 offset:300
	v_mov_b32_e32 v122, 0
	buffer_store_dword v122, off, s[0:3], 0 offset:296
	buffer_store_dword v122, off, s[0:3], 0 offset:300
	s_waitcnt vmcnt(2)
	ds_write_b64 v119, v[120:121]
.LBB122_287:
	s_or_b64 exec, exec, s[4:5]
	s_waitcnt lgkmcnt(0)
	; wave barrier
	buffer_load_dword v129, off, s[0:3], 0 offset:304
	buffer_load_dword v130, off, s[0:3], 0 offset:308
	;; [unrolled: 1-line block ×21, first 2 shown]
	v_mov_b32_e32 v120, 0
	ds_read_b128 v[121:124], v120 offset:784
	ds_read_b128 v[125:128], v120 offset:800
	buffer_load_dword v146, off, s[0:3], 0 offset:388
	v_cmp_lt_u32_e32 vcc, 36, v0
	s_waitcnt vmcnt(20) lgkmcnt(1)
	v_fma_f64 v[121:122], v[129:130], v[121:122], 0
	s_waitcnt vmcnt(18)
	v_fma_f64 v[121:122], v[131:132], v[123:124], v[121:122]
	buffer_load_dword v130, off, s[0:3], 0 offset:396
	buffer_load_dword v131, off, s[0:3], 0 offset:416
	;; [unrolled: 1-line block ×7, first 2 shown]
	s_waitcnt vmcnt(23) lgkmcnt(0)
	v_fma_f64 v[121:122], v[133:134], v[125:126], v[121:122]
	s_waitcnt vmcnt(21)
	v_fma_f64 v[132:133], v[135:136], v[127:128], v[121:122]
	ds_read_b128 v[121:124], v120 offset:816
	ds_read_b128 v[125:128], v120 offset:832
	s_waitcnt vmcnt(19) lgkmcnt(1)
	v_fma_f64 v[121:122], v[137:138], v[121:122], v[132:133]
	buffer_load_dword v132, off, s[0:3], 0 offset:420
	s_waitcnt vmcnt(18)
	v_fma_f64 v[121:122], v[139:140], v[123:124], v[121:122]
	buffer_load_dword v134, off, s[0:3], 0 offset:428
	buffer_load_dword v135, off, s[0:3], 0 offset:448
	;; [unrolled: 1-line block ×7, first 2 shown]
	s_waitcnt vmcnt(23) lgkmcnt(0)
	v_fma_f64 v[121:122], v[141:142], v[125:126], v[121:122]
	s_waitcnt vmcnt(18)
	v_fma_f64 v[141:142], v[143:144], v[127:128], v[121:122]
	ds_read_b128 v[121:124], v120 offset:848
	ds_read_b128 v[125:128], v120 offset:864
	buffer_load_dword v136, off, s[0:3], 0 offset:452
	s_waitcnt vmcnt(18) lgkmcnt(1)
	v_fma_f64 v[121:122], v[149:150], v[121:122], v[141:142]
	buffer_load_dword v142, off, s[0:3], 0 offset:460
	buffer_load_dword v143, off, s[0:3], 0 offset:464
	;; [unrolled: 1-line block ×4, first 2 shown]
	s_waitcnt vmcnt(21)
	v_fma_f64 v[121:122], v[147:148], v[123:124], v[121:122]
	s_waitcnt vmcnt(20) lgkmcnt(0)
	v_fma_f64 v[121:122], v[145:146], v[125:126], v[121:122]
	buffer_load_dword v145, off, s[0:3], 0 offset:296
	buffer_load_dword v146, off, s[0:3], 0 offset:300
	s_waitcnt vmcnt(17)
	v_fma_f64 v[129:130], v[129:130], v[127:128], v[121:122]
	ds_read_b128 v[121:124], v120 offset:880
	ds_read_b128 v[125:128], v120 offset:896
	s_waitcnt vmcnt(16) lgkmcnt(1)
	v_fma_f64 v[121:122], v[153:154], v[121:122], v[129:130]
	s_waitcnt vmcnt(15)
	v_fma_f64 v[121:122], v[151:152], v[123:124], v[121:122]
	s_waitcnt vmcnt(14) lgkmcnt(0)
	v_fma_f64 v[121:122], v[131:132], v[125:126], v[121:122]
	s_waitcnt vmcnt(9)
	v_fma_f64 v[129:130], v[133:134], v[127:128], v[121:122]
	ds_read_b128 v[121:124], v120 offset:912
	ds_read_b128 v[125:128], v120 offset:928
	s_waitcnt vmcnt(8) lgkmcnt(1)
	v_fma_f64 v[121:122], v[139:140], v[121:122], v[129:130]
	s_waitcnt vmcnt(7)
	v_fma_f64 v[121:122], v[137:138], v[123:124], v[121:122]
	ds_read_b64 v[123:124], v120 offset:944
	s_waitcnt vmcnt(6) lgkmcnt(1)
	v_fma_f64 v[121:122], v[135:136], v[125:126], v[121:122]
	s_waitcnt vmcnt(3)
	v_fma_f64 v[121:122], v[141:142], v[127:128], v[121:122]
	s_waitcnt vmcnt(2) lgkmcnt(0)
	v_fma_f64 v[121:122], v[143:144], v[123:124], v[121:122]
	s_waitcnt vmcnt(0)
	v_add_f64 v[121:122], v[145:146], -v[121:122]
	buffer_store_dword v122, off, s[0:3], 0 offset:300
	buffer_store_dword v121, off, s[0:3], 0 offset:296
	s_and_saveexec_b64 s[4:5], vcc
	s_cbranch_execz .LBB122_289
; %bb.288:
	buffer_load_dword v121, off, s[0:3], 0 offset:288
	buffer_load_dword v122, off, s[0:3], 0 offset:292
	s_waitcnt vmcnt(0)
	ds_write_b64 v119, v[121:122]
	buffer_store_dword v120, off, s[0:3], 0 offset:288
	buffer_store_dword v120, off, s[0:3], 0 offset:292
.LBB122_289:
	s_or_b64 exec, exec, s[4:5]
	s_waitcnt lgkmcnt(0)
	; wave barrier
	buffer_load_dword v129, off, s[0:3], 0 offset:296
	buffer_load_dword v130, off, s[0:3], 0 offset:300
	buffer_load_dword v131, off, s[0:3], 0 offset:304
	buffer_load_dword v132, off, s[0:3], 0 offset:308
	buffer_load_dword v133, off, s[0:3], 0 offset:312
	buffer_load_dword v134, off, s[0:3], 0 offset:316
	buffer_load_dword v135, off, s[0:3], 0 offset:320
	buffer_load_dword v136, off, s[0:3], 0 offset:324
	buffer_load_dword v137, off, s[0:3], 0 offset:328
	buffer_load_dword v138, off, s[0:3], 0 offset:332
	buffer_load_dword v139, off, s[0:3], 0 offset:336
	buffer_load_dword v140, off, s[0:3], 0 offset:340
	buffer_load_dword v141, off, s[0:3], 0 offset:344
	buffer_load_dword v142, off, s[0:3], 0 offset:348
	buffer_load_dword v144, off, s[0:3], 0 offset:356
	buffer_load_dword v145, off, s[0:3], 0 offset:376
	buffer_load_dword v147, off, s[0:3], 0 offset:368
	buffer_load_dword v149, off, s[0:3], 0 offset:360
	buffer_load_dword v143, off, s[0:3], 0 offset:352
	buffer_load_dword v150, off, s[0:3], 0 offset:364
	buffer_load_dword v148, off, s[0:3], 0 offset:372
	ds_read2_b64 v[121:124], v120 offset0:97 offset1:98
	ds_read2_b64 v[125:128], v120 offset0:99 offset1:100
	buffer_load_dword v146, off, s[0:3], 0 offset:380
	v_cmp_lt_u32_e32 vcc, 35, v0
	s_waitcnt vmcnt(20) lgkmcnt(1)
	v_fma_f64 v[121:122], v[129:130], v[121:122], 0
	s_waitcnt vmcnt(18)
	v_fma_f64 v[121:122], v[131:132], v[123:124], v[121:122]
	buffer_load_dword v130, off, s[0:3], 0 offset:388
	buffer_load_dword v131, off, s[0:3], 0 offset:408
	;; [unrolled: 1-line block ×7, first 2 shown]
	s_waitcnt vmcnt(23) lgkmcnt(0)
	v_fma_f64 v[121:122], v[133:134], v[125:126], v[121:122]
	s_waitcnt vmcnt(21)
	v_fma_f64 v[132:133], v[135:136], v[127:128], v[121:122]
	ds_read2_b64 v[121:124], v120 offset0:101 offset1:102
	ds_read2_b64 v[125:128], v120 offset0:103 offset1:104
	s_waitcnt vmcnt(19) lgkmcnt(1)
	v_fma_f64 v[121:122], v[137:138], v[121:122], v[132:133]
	buffer_load_dword v132, off, s[0:3], 0 offset:412
	s_waitcnt vmcnt(18)
	v_fma_f64 v[121:122], v[139:140], v[123:124], v[121:122]
	buffer_load_dword v134, off, s[0:3], 0 offset:420
	buffer_load_dword v135, off, s[0:3], 0 offset:440
	;; [unrolled: 1-line block ×8, first 2 shown]
	s_waitcnt vmcnt(24) lgkmcnt(0)
	v_fma_f64 v[121:122], v[141:142], v[125:126], v[121:122]
	s_waitcnt vmcnt(19)
	v_fma_f64 v[141:142], v[143:144], v[127:128], v[121:122]
	ds_read2_b64 v[121:124], v120 offset0:105 offset1:106
	ds_read2_b64 v[125:128], v120 offset0:107 offset1:108
	s_waitcnt vmcnt(18) lgkmcnt(1)
	v_fma_f64 v[121:122], v[149:150], v[121:122], v[141:142]
	s_waitcnt vmcnt(17)
	v_fma_f64 v[121:122], v[147:148], v[123:124], v[121:122]
	buffer_load_dword v142, off, s[0:3], 0 offset:452
	buffer_load_dword v143, off, s[0:3], 0 offset:464
	;; [unrolled: 1-line block ×6, first 2 shown]
	s_waitcnt vmcnt(22) lgkmcnt(0)
	v_fma_f64 v[121:122], v[145:146], v[125:126], v[121:122]
	s_waitcnt vmcnt(17)
	v_fma_f64 v[129:130], v[129:130], v[127:128], v[121:122]
	ds_read2_b64 v[121:124], v120 offset0:109 offset1:110
	buffer_load_dword v145, off, s[0:3], 0 offset:288
	buffer_load_dword v146, off, s[0:3], 0 offset:292
	ds_read2_b64 v[125:128], v120 offset0:111 offset1:112
	s_waitcnt vmcnt(18) lgkmcnt(1)
	v_fma_f64 v[121:122], v[153:154], v[121:122], v[129:130]
	s_waitcnt vmcnt(17)
	v_fma_f64 v[121:122], v[151:152], v[123:124], v[121:122]
	s_waitcnt vmcnt(16) lgkmcnt(0)
	v_fma_f64 v[121:122], v[131:132], v[125:126], v[121:122]
	s_waitcnt vmcnt(11)
	v_fma_f64 v[129:130], v[133:134], v[127:128], v[121:122]
	ds_read2_b64 v[121:124], v120 offset0:113 offset1:114
	ds_read2_b64 v[125:128], v120 offset0:115 offset1:116
	s_waitcnt vmcnt(10) lgkmcnt(1)
	v_fma_f64 v[121:122], v[139:140], v[121:122], v[129:130]
	s_waitcnt vmcnt(9)
	v_fma_f64 v[121:122], v[137:138], v[123:124], v[121:122]
	s_waitcnt vmcnt(8) lgkmcnt(0)
	v_fma_f64 v[121:122], v[135:136], v[125:126], v[121:122]
	s_waitcnt vmcnt(4)
	v_fma_f64 v[124:125], v[141:142], v[127:128], v[121:122]
	ds_read2_b64 v[120:123], v120 offset0:117 offset1:118
	s_waitcnt vmcnt(3) lgkmcnt(0)
	v_fma_f64 v[120:121], v[147:148], v[120:121], v[124:125]
	s_waitcnt vmcnt(2)
	v_fma_f64 v[120:121], v[143:144], v[122:123], v[120:121]
	s_waitcnt vmcnt(0)
	v_add_f64 v[120:121], v[145:146], -v[120:121]
	buffer_store_dword v121, off, s[0:3], 0 offset:292
	buffer_store_dword v120, off, s[0:3], 0 offset:288
	s_and_saveexec_b64 s[4:5], vcc
	s_cbranch_execz .LBB122_291
; %bb.290:
	buffer_load_dword v120, off, s[0:3], 0 offset:280
	buffer_load_dword v121, off, s[0:3], 0 offset:284
	v_mov_b32_e32 v122, 0
	buffer_store_dword v122, off, s[0:3], 0 offset:280
	buffer_store_dword v122, off, s[0:3], 0 offset:284
	s_waitcnt vmcnt(2)
	ds_write_b64 v119, v[120:121]
.LBB122_291:
	s_or_b64 exec, exec, s[4:5]
	s_waitcnt lgkmcnt(0)
	; wave barrier
	buffer_load_dword v129, off, s[0:3], 0 offset:288
	buffer_load_dword v130, off, s[0:3], 0 offset:292
	buffer_load_dword v131, off, s[0:3], 0 offset:296
	buffer_load_dword v132, off, s[0:3], 0 offset:300
	buffer_load_dword v133, off, s[0:3], 0 offset:304
	buffer_load_dword v134, off, s[0:3], 0 offset:308
	buffer_load_dword v135, off, s[0:3], 0 offset:312
	buffer_load_dword v136, off, s[0:3], 0 offset:316
	buffer_load_dword v137, off, s[0:3], 0 offset:320
	buffer_load_dword v138, off, s[0:3], 0 offset:324
	buffer_load_dword v139, off, s[0:3], 0 offset:328
	buffer_load_dword v140, off, s[0:3], 0 offset:332
	buffer_load_dword v141, off, s[0:3], 0 offset:336
	buffer_load_dword v142, off, s[0:3], 0 offset:340
	buffer_load_dword v144, off, s[0:3], 0 offset:348
	buffer_load_dword v145, off, s[0:3], 0 offset:368
	buffer_load_dword v147, off, s[0:3], 0 offset:360
	buffer_load_dword v149, off, s[0:3], 0 offset:352
	buffer_load_dword v143, off, s[0:3], 0 offset:344
	buffer_load_dword v150, off, s[0:3], 0 offset:356
	buffer_load_dword v148, off, s[0:3], 0 offset:364
	v_mov_b32_e32 v120, 0
	ds_read_b128 v[121:124], v120 offset:768
	ds_read_b128 v[125:128], v120 offset:784
	buffer_load_dword v146, off, s[0:3], 0 offset:372
	v_cmp_lt_u32_e32 vcc, 34, v0
	s_waitcnt vmcnt(20) lgkmcnt(1)
	v_fma_f64 v[121:122], v[129:130], v[121:122], 0
	s_waitcnt vmcnt(18)
	v_fma_f64 v[121:122], v[131:132], v[123:124], v[121:122]
	buffer_load_dword v130, off, s[0:3], 0 offset:380
	buffer_load_dword v131, off, s[0:3], 0 offset:400
	;; [unrolled: 1-line block ×7, first 2 shown]
	s_waitcnt vmcnt(23) lgkmcnt(0)
	v_fma_f64 v[121:122], v[133:134], v[125:126], v[121:122]
	s_waitcnt vmcnt(21)
	v_fma_f64 v[132:133], v[135:136], v[127:128], v[121:122]
	ds_read_b128 v[121:124], v120 offset:800
	ds_read_b128 v[125:128], v120 offset:816
	s_waitcnt vmcnt(19) lgkmcnt(1)
	v_fma_f64 v[121:122], v[137:138], v[121:122], v[132:133]
	buffer_load_dword v132, off, s[0:3], 0 offset:404
	s_waitcnt vmcnt(18)
	v_fma_f64 v[121:122], v[139:140], v[123:124], v[121:122]
	buffer_load_dword v134, off, s[0:3], 0 offset:412
	buffer_load_dword v135, off, s[0:3], 0 offset:432
	buffer_load_dword v137, off, s[0:3], 0 offset:424
	buffer_load_dword v139, off, s[0:3], 0 offset:416
	buffer_load_dword v133, off, s[0:3], 0 offset:408
	buffer_load_dword v140, off, s[0:3], 0 offset:420
	buffer_load_dword v138, off, s[0:3], 0 offset:428
	buffer_load_dword v136, off, s[0:3], 0 offset:436
	s_waitcnt vmcnt(24) lgkmcnt(0)
	v_fma_f64 v[121:122], v[141:142], v[125:126], v[121:122]
	s_waitcnt vmcnt(19)
	v_fma_f64 v[141:142], v[143:144], v[127:128], v[121:122]
	ds_read_b128 v[121:124], v120 offset:832
	ds_read_b128 v[125:128], v120 offset:848
	s_waitcnt vmcnt(18) lgkmcnt(1)
	v_fma_f64 v[121:122], v[149:150], v[121:122], v[141:142]
	s_waitcnt vmcnt(17)
	v_fma_f64 v[121:122], v[147:148], v[123:124], v[121:122]
	buffer_load_dword v142, off, s[0:3], 0 offset:444
	buffer_load_dword v143, off, s[0:3], 0 offset:464
	;; [unrolled: 1-line block ×8, first 2 shown]
	s_waitcnt vmcnt(24) lgkmcnt(0)
	v_fma_f64 v[121:122], v[145:146], v[125:126], v[121:122]
	s_waitcnt vmcnt(19)
	v_fma_f64 v[129:130], v[129:130], v[127:128], v[121:122]
	ds_read_b128 v[121:124], v120 offset:864
	ds_read_b128 v[125:128], v120 offset:880
	s_waitcnt vmcnt(18) lgkmcnt(1)
	v_fma_f64 v[121:122], v[153:154], v[121:122], v[129:130]
	buffer_load_dword v129, off, s[0:3], 0 offset:280
	buffer_load_dword v130, off, s[0:3], 0 offset:284
	s_waitcnt vmcnt(19)
	v_fma_f64 v[121:122], v[151:152], v[123:124], v[121:122]
	s_waitcnt vmcnt(18) lgkmcnt(0)
	v_fma_f64 v[121:122], v[131:132], v[125:126], v[121:122]
	s_waitcnt vmcnt(13)
	v_fma_f64 v[131:132], v[133:134], v[127:128], v[121:122]
	ds_read_b128 v[121:124], v120 offset:896
	ds_read_b128 v[125:128], v120 offset:912
	s_waitcnt vmcnt(12) lgkmcnt(1)
	v_fma_f64 v[121:122], v[139:140], v[121:122], v[131:132]
	s_waitcnt vmcnt(11)
	v_fma_f64 v[121:122], v[137:138], v[123:124], v[121:122]
	s_waitcnt vmcnt(10) lgkmcnt(0)
	v_fma_f64 v[121:122], v[135:136], v[125:126], v[121:122]
	s_waitcnt vmcnt(5)
	v_fma_f64 v[125:126], v[141:142], v[127:128], v[121:122]
	ds_read_b128 v[121:124], v120 offset:928
	ds_read_b64 v[127:128], v120 offset:944
	s_waitcnt vmcnt(4) lgkmcnt(1)
	v_fma_f64 v[121:122], v[149:150], v[121:122], v[125:126]
	s_waitcnt vmcnt(3)
	v_fma_f64 v[121:122], v[147:148], v[123:124], v[121:122]
	s_waitcnt vmcnt(2) lgkmcnt(0)
	v_fma_f64 v[121:122], v[143:144], v[127:128], v[121:122]
	s_waitcnt vmcnt(0)
	v_add_f64 v[121:122], v[129:130], -v[121:122]
	buffer_store_dword v122, off, s[0:3], 0 offset:284
	buffer_store_dword v121, off, s[0:3], 0 offset:280
	s_and_saveexec_b64 s[4:5], vcc
	s_cbranch_execz .LBB122_293
; %bb.292:
	buffer_load_dword v121, off, s[0:3], 0 offset:272
	buffer_load_dword v122, off, s[0:3], 0 offset:276
	s_waitcnt vmcnt(0)
	ds_write_b64 v119, v[121:122]
	buffer_store_dword v120, off, s[0:3], 0 offset:272
	buffer_store_dword v120, off, s[0:3], 0 offset:276
.LBB122_293:
	s_or_b64 exec, exec, s[4:5]
	s_waitcnt lgkmcnt(0)
	; wave barrier
	buffer_load_dword v129, off, s[0:3], 0 offset:280
	buffer_load_dword v130, off, s[0:3], 0 offset:284
	;; [unrolled: 1-line block ×21, first 2 shown]
	ds_read2_b64 v[121:124], v120 offset0:95 offset1:96
	ds_read2_b64 v[125:128], v120 offset0:97 offset1:98
	buffer_load_dword v146, off, s[0:3], 0 offset:364
	v_cmp_lt_u32_e32 vcc, 33, v0
	s_waitcnt vmcnt(20) lgkmcnt(1)
	v_fma_f64 v[121:122], v[129:130], v[121:122], 0
	s_waitcnt vmcnt(18)
	v_fma_f64 v[121:122], v[131:132], v[123:124], v[121:122]
	buffer_load_dword v130, off, s[0:3], 0 offset:372
	buffer_load_dword v131, off, s[0:3], 0 offset:392
	buffer_load_dword v151, off, s[0:3], 0 offset:384
	buffer_load_dword v153, off, s[0:3], 0 offset:376
	buffer_load_dword v129, off, s[0:3], 0 offset:368
	buffer_load_dword v154, off, s[0:3], 0 offset:380
	buffer_load_dword v152, off, s[0:3], 0 offset:388
	s_waitcnt vmcnt(23) lgkmcnt(0)
	v_fma_f64 v[121:122], v[133:134], v[125:126], v[121:122]
	s_waitcnt vmcnt(21)
	v_fma_f64 v[132:133], v[135:136], v[127:128], v[121:122]
	ds_read2_b64 v[121:124], v120 offset0:99 offset1:100
	ds_read2_b64 v[125:128], v120 offset0:101 offset1:102
	s_waitcnt vmcnt(19) lgkmcnt(1)
	v_fma_f64 v[121:122], v[137:138], v[121:122], v[132:133]
	buffer_load_dword v132, off, s[0:3], 0 offset:396
	s_waitcnt vmcnt(18)
	v_fma_f64 v[121:122], v[139:140], v[123:124], v[121:122]
	buffer_load_dword v134, off, s[0:3], 0 offset:404
	buffer_load_dword v135, off, s[0:3], 0 offset:424
	buffer_load_dword v137, off, s[0:3], 0 offset:416
	buffer_load_dword v139, off, s[0:3], 0 offset:408
	buffer_load_dword v133, off, s[0:3], 0 offset:400
	buffer_load_dword v140, off, s[0:3], 0 offset:412
	buffer_load_dword v138, off, s[0:3], 0 offset:420
	buffer_load_dword v136, off, s[0:3], 0 offset:428
	s_waitcnt vmcnt(24) lgkmcnt(0)
	v_fma_f64 v[121:122], v[141:142], v[125:126], v[121:122]
	s_waitcnt vmcnt(19)
	v_fma_f64 v[141:142], v[143:144], v[127:128], v[121:122]
	ds_read2_b64 v[121:124], v120 offset0:103 offset1:104
	ds_read2_b64 v[125:128], v120 offset0:105 offset1:106
	s_waitcnt vmcnt(18) lgkmcnt(1)
	v_fma_f64 v[121:122], v[149:150], v[121:122], v[141:142]
	s_waitcnt vmcnt(17)
	v_fma_f64 v[121:122], v[147:148], v[123:124], v[121:122]
	buffer_load_dword v142, off, s[0:3], 0 offset:436
	buffer_load_dword v143, off, s[0:3], 0 offset:456
	;; [unrolled: 1-line block ×8, first 2 shown]
	s_waitcnt vmcnt(24) lgkmcnt(0)
	v_fma_f64 v[121:122], v[145:146], v[125:126], v[121:122]
	s_waitcnt vmcnt(19)
	v_fma_f64 v[129:130], v[129:130], v[127:128], v[121:122]
	ds_read2_b64 v[121:124], v120 offset0:107 offset1:108
	ds_read2_b64 v[125:128], v120 offset0:109 offset1:110
	s_waitcnt vmcnt(18) lgkmcnt(1)
	v_fma_f64 v[121:122], v[153:154], v[121:122], v[129:130]
	buffer_load_dword v130, off, s[0:3], 0 offset:468
	buffer_load_dword v129, off, s[0:3], 0 offset:464
	;; [unrolled: 1-line block ×4, first 2 shown]
	s_waitcnt vmcnt(21)
	v_fma_f64 v[121:122], v[151:152], v[123:124], v[121:122]
	s_waitcnt vmcnt(20) lgkmcnt(0)
	v_fma_f64 v[121:122], v[131:132], v[125:126], v[121:122]
	s_waitcnt vmcnt(15)
	v_fma_f64 v[131:132], v[133:134], v[127:128], v[121:122]
	ds_read2_b64 v[121:124], v120 offset0:111 offset1:112
	ds_read2_b64 v[125:128], v120 offset0:113 offset1:114
	s_waitcnt vmcnt(14) lgkmcnt(1)
	v_fma_f64 v[121:122], v[139:140], v[121:122], v[131:132]
	s_waitcnt vmcnt(13)
	v_fma_f64 v[121:122], v[137:138], v[123:124], v[121:122]
	s_waitcnt vmcnt(12) lgkmcnt(0)
	v_fma_f64 v[121:122], v[135:136], v[125:126], v[121:122]
	s_waitcnt vmcnt(7)
	v_fma_f64 v[131:132], v[141:142], v[127:128], v[121:122]
	ds_read2_b64 v[121:124], v120 offset0:115 offset1:116
	ds_read2_b64 v[125:128], v120 offset0:117 offset1:118
	s_waitcnt vmcnt(6) lgkmcnt(1)
	v_fma_f64 v[120:121], v[149:150], v[121:122], v[131:132]
	s_waitcnt vmcnt(5)
	v_fma_f64 v[120:121], v[147:148], v[123:124], v[120:121]
	s_waitcnt vmcnt(4) lgkmcnt(0)
	v_fma_f64 v[120:121], v[143:144], v[125:126], v[120:121]
	s_waitcnt vmcnt(2)
	v_fma_f64 v[120:121], v[129:130], v[127:128], v[120:121]
	s_waitcnt vmcnt(0)
	v_add_f64 v[120:121], v[145:146], -v[120:121]
	buffer_store_dword v121, off, s[0:3], 0 offset:276
	buffer_store_dword v120, off, s[0:3], 0 offset:272
	s_and_saveexec_b64 s[4:5], vcc
	s_cbranch_execz .LBB122_295
; %bb.294:
	buffer_load_dword v120, off, s[0:3], 0 offset:264
	buffer_load_dword v121, off, s[0:3], 0 offset:268
	v_mov_b32_e32 v122, 0
	buffer_store_dword v122, off, s[0:3], 0 offset:264
	buffer_store_dword v122, off, s[0:3], 0 offset:268
	s_waitcnt vmcnt(2)
	ds_write_b64 v119, v[120:121]
.LBB122_295:
	s_or_b64 exec, exec, s[4:5]
	s_waitcnt lgkmcnt(0)
	; wave barrier
	buffer_load_dword v129, off, s[0:3], 0 offset:272
	buffer_load_dword v130, off, s[0:3], 0 offset:276
	;; [unrolled: 1-line block ×21, first 2 shown]
	v_mov_b32_e32 v120, 0
	ds_read_b128 v[121:124], v120 offset:752
	ds_read_b128 v[125:128], v120 offset:768
	buffer_load_dword v146, off, s[0:3], 0 offset:356
	v_cmp_lt_u32_e32 vcc, 32, v0
	s_waitcnt vmcnt(20) lgkmcnt(1)
	v_fma_f64 v[121:122], v[129:130], v[121:122], 0
	s_waitcnt vmcnt(18)
	v_fma_f64 v[121:122], v[131:132], v[123:124], v[121:122]
	buffer_load_dword v130, off, s[0:3], 0 offset:364
	buffer_load_dword v131, off, s[0:3], 0 offset:384
	;; [unrolled: 1-line block ×7, first 2 shown]
	s_waitcnt vmcnt(23) lgkmcnt(0)
	v_fma_f64 v[121:122], v[133:134], v[125:126], v[121:122]
	s_waitcnt vmcnt(21)
	v_fma_f64 v[132:133], v[135:136], v[127:128], v[121:122]
	ds_read_b128 v[121:124], v120 offset:784
	ds_read_b128 v[125:128], v120 offset:800
	s_waitcnt vmcnt(19) lgkmcnt(1)
	v_fma_f64 v[121:122], v[137:138], v[121:122], v[132:133]
	buffer_load_dword v132, off, s[0:3], 0 offset:388
	s_waitcnt vmcnt(18)
	v_fma_f64 v[121:122], v[139:140], v[123:124], v[121:122]
	buffer_load_dword v134, off, s[0:3], 0 offset:396
	buffer_load_dword v135, off, s[0:3], 0 offset:416
	;; [unrolled: 1-line block ×8, first 2 shown]
	s_waitcnt vmcnt(24) lgkmcnt(0)
	v_fma_f64 v[121:122], v[141:142], v[125:126], v[121:122]
	s_waitcnt vmcnt(19)
	v_fma_f64 v[141:142], v[143:144], v[127:128], v[121:122]
	ds_read_b128 v[121:124], v120 offset:816
	ds_read_b128 v[125:128], v120 offset:832
	s_waitcnt vmcnt(18) lgkmcnt(1)
	v_fma_f64 v[121:122], v[149:150], v[121:122], v[141:142]
	s_waitcnt vmcnt(17)
	v_fma_f64 v[121:122], v[147:148], v[123:124], v[121:122]
	buffer_load_dword v142, off, s[0:3], 0 offset:428
	buffer_load_dword v143, off, s[0:3], 0 offset:448
	;; [unrolled: 1-line block ×7, first 2 shown]
	s_waitcnt vmcnt(23) lgkmcnt(0)
	v_fma_f64 v[121:122], v[145:146], v[125:126], v[121:122]
	s_waitcnt vmcnt(18)
	v_fma_f64 v[129:130], v[129:130], v[127:128], v[121:122]
	ds_read_b128 v[121:124], v120 offset:848
	ds_read_b128 v[125:128], v120 offset:864
	buffer_load_dword v144, off, s[0:3], 0 offset:452
	s_waitcnt vmcnt(18) lgkmcnt(1)
	v_fma_f64 v[121:122], v[153:154], v[121:122], v[129:130]
	buffer_load_dword v130, off, s[0:3], 0 offset:460
	buffer_load_dword v145, off, s[0:3], 0 offset:464
	;; [unrolled: 1-line block ×4, first 2 shown]
	s_waitcnt vmcnt(21)
	v_fma_f64 v[121:122], v[151:152], v[123:124], v[121:122]
	s_waitcnt vmcnt(20) lgkmcnt(0)
	v_fma_f64 v[121:122], v[131:132], v[125:126], v[121:122]
	buffer_load_dword v131, off, s[0:3], 0 offset:264
	buffer_load_dword v132, off, s[0:3], 0 offset:268
	s_waitcnt vmcnt(17)
	v_fma_f64 v[133:134], v[133:134], v[127:128], v[121:122]
	ds_read_b128 v[121:124], v120 offset:880
	ds_read_b128 v[125:128], v120 offset:896
	s_waitcnt vmcnt(16) lgkmcnt(1)
	v_fma_f64 v[121:122], v[139:140], v[121:122], v[133:134]
	s_waitcnt vmcnt(15)
	v_fma_f64 v[121:122], v[137:138], v[123:124], v[121:122]
	s_waitcnt vmcnt(14) lgkmcnt(0)
	v_fma_f64 v[121:122], v[135:136], v[125:126], v[121:122]
	s_waitcnt vmcnt(9)
	v_fma_f64 v[133:134], v[141:142], v[127:128], v[121:122]
	ds_read_b128 v[121:124], v120 offset:912
	ds_read_b128 v[125:128], v120 offset:928
	s_waitcnt vmcnt(8) lgkmcnt(1)
	v_fma_f64 v[121:122], v[149:150], v[121:122], v[133:134]
	s_waitcnt vmcnt(7)
	v_fma_f64 v[121:122], v[147:148], v[123:124], v[121:122]
	ds_read_b64 v[123:124], v120 offset:944
	s_waitcnt vmcnt(6) lgkmcnt(1)
	v_fma_f64 v[121:122], v[143:144], v[125:126], v[121:122]
	s_waitcnt vmcnt(3)
	v_fma_f64 v[121:122], v[129:130], v[127:128], v[121:122]
	s_waitcnt vmcnt(2) lgkmcnt(0)
	v_fma_f64 v[121:122], v[145:146], v[123:124], v[121:122]
	s_waitcnt vmcnt(0)
	v_add_f64 v[121:122], v[131:132], -v[121:122]
	buffer_store_dword v122, off, s[0:3], 0 offset:268
	buffer_store_dword v121, off, s[0:3], 0 offset:264
	s_and_saveexec_b64 s[4:5], vcc
	s_cbranch_execz .LBB122_297
; %bb.296:
	buffer_load_dword v121, off, s[0:3], 0 offset:256
	buffer_load_dword v122, off, s[0:3], 0 offset:260
	s_waitcnt vmcnt(0)
	ds_write_b64 v119, v[121:122]
	buffer_store_dword v120, off, s[0:3], 0 offset:256
	buffer_store_dword v120, off, s[0:3], 0 offset:260
.LBB122_297:
	s_or_b64 exec, exec, s[4:5]
	s_waitcnt lgkmcnt(0)
	; wave barrier
	buffer_load_dword v129, off, s[0:3], 0 offset:264
	buffer_load_dword v130, off, s[0:3], 0 offset:268
	;; [unrolled: 1-line block ×22, first 2 shown]
	ds_read2_b64 v[121:124], v120 offset0:93 offset1:94
	ds_read2_b64 v[125:128], v120 offset0:95 offset1:96
	v_cmp_lt_u32_e32 vcc, 31, v0
	s_waitcnt vmcnt(20) lgkmcnt(1)
	v_fma_f64 v[121:122], v[129:130], v[121:122], 0
	s_waitcnt vmcnt(18)
	v_fma_f64 v[121:122], v[131:132], v[123:124], v[121:122]
	buffer_load_dword v130, off, s[0:3], 0 offset:356
	buffer_load_dword v131, off, s[0:3], 0 offset:376
	;; [unrolled: 1-line block ×7, first 2 shown]
	s_waitcnt vmcnt(23) lgkmcnt(0)
	v_fma_f64 v[121:122], v[133:134], v[125:126], v[121:122]
	s_waitcnt vmcnt(21)
	v_fma_f64 v[132:133], v[135:136], v[127:128], v[121:122]
	ds_read2_b64 v[121:124], v120 offset0:97 offset1:98
	ds_read2_b64 v[125:128], v120 offset0:99 offset1:100
	s_waitcnt vmcnt(19) lgkmcnt(1)
	v_fma_f64 v[121:122], v[137:138], v[121:122], v[132:133]
	buffer_load_dword v132, off, s[0:3], 0 offset:380
	s_waitcnt vmcnt(18)
	v_fma_f64 v[121:122], v[139:140], v[123:124], v[121:122]
	buffer_load_dword v134, off, s[0:3], 0 offset:388
	buffer_load_dword v135, off, s[0:3], 0 offset:408
	;; [unrolled: 1-line block ×8, first 2 shown]
	s_waitcnt vmcnt(24) lgkmcnt(0)
	v_fma_f64 v[121:122], v[141:142], v[125:126], v[121:122]
	s_waitcnt vmcnt(19)
	v_fma_f64 v[141:142], v[143:144], v[127:128], v[121:122]
	ds_read2_b64 v[121:124], v120 offset0:101 offset1:102
	ds_read2_b64 v[125:128], v120 offset0:103 offset1:104
	s_waitcnt vmcnt(18) lgkmcnt(1)
	v_fma_f64 v[121:122], v[149:150], v[121:122], v[141:142]
	s_waitcnt vmcnt(17)
	v_fma_f64 v[121:122], v[147:148], v[123:124], v[121:122]
	buffer_load_dword v142, off, s[0:3], 0 offset:420
	buffer_load_dword v143, off, s[0:3], 0 offset:440
	;; [unrolled: 1-line block ×8, first 2 shown]
	s_waitcnt vmcnt(24) lgkmcnt(0)
	v_fma_f64 v[121:122], v[145:146], v[125:126], v[121:122]
	s_waitcnt vmcnt(19)
	v_fma_f64 v[129:130], v[129:130], v[127:128], v[121:122]
	ds_read2_b64 v[121:124], v120 offset0:105 offset1:106
	ds_read2_b64 v[125:128], v120 offset0:107 offset1:108
	s_waitcnt vmcnt(18) lgkmcnt(1)
	v_fma_f64 v[121:122], v[153:154], v[121:122], v[129:130]
	s_waitcnt vmcnt(17)
	v_fma_f64 v[121:122], v[151:152], v[123:124], v[121:122]
	buffer_load_dword v130, off, s[0:3], 0 offset:452
	buffer_load_dword v145, off, s[0:3], 0 offset:464
	;; [unrolled: 1-line block ×6, first 2 shown]
	s_waitcnt vmcnt(22) lgkmcnt(0)
	v_fma_f64 v[121:122], v[131:132], v[125:126], v[121:122]
	s_waitcnt vmcnt(17)
	v_fma_f64 v[131:132], v[133:134], v[127:128], v[121:122]
	ds_read2_b64 v[121:124], v120 offset0:109 offset1:110
	buffer_load_dword v133, off, s[0:3], 0 offset:256
	buffer_load_dword v134, off, s[0:3], 0 offset:260
	ds_read2_b64 v[125:128], v120 offset0:111 offset1:112
	s_waitcnt vmcnt(18) lgkmcnt(1)
	v_fma_f64 v[121:122], v[139:140], v[121:122], v[131:132]
	s_waitcnt vmcnt(17)
	v_fma_f64 v[121:122], v[137:138], v[123:124], v[121:122]
	s_waitcnt vmcnt(16) lgkmcnt(0)
	v_fma_f64 v[121:122], v[135:136], v[125:126], v[121:122]
	s_waitcnt vmcnt(11)
	v_fma_f64 v[131:132], v[141:142], v[127:128], v[121:122]
	ds_read2_b64 v[121:124], v120 offset0:113 offset1:114
	ds_read2_b64 v[125:128], v120 offset0:115 offset1:116
	s_waitcnt vmcnt(10) lgkmcnt(1)
	v_fma_f64 v[121:122], v[149:150], v[121:122], v[131:132]
	s_waitcnt vmcnt(9)
	v_fma_f64 v[121:122], v[147:148], v[123:124], v[121:122]
	s_waitcnt vmcnt(8) lgkmcnt(0)
	v_fma_f64 v[121:122], v[143:144], v[125:126], v[121:122]
	s_waitcnt vmcnt(4)
	v_fma_f64 v[124:125], v[129:130], v[127:128], v[121:122]
	ds_read2_b64 v[120:123], v120 offset0:117 offset1:118
	s_waitcnt vmcnt(3) lgkmcnt(0)
	v_fma_f64 v[120:121], v[151:152], v[120:121], v[124:125]
	s_waitcnt vmcnt(2)
	v_fma_f64 v[120:121], v[145:146], v[122:123], v[120:121]
	s_waitcnt vmcnt(0)
	v_add_f64 v[120:121], v[133:134], -v[120:121]
	buffer_store_dword v121, off, s[0:3], 0 offset:260
	buffer_store_dword v120, off, s[0:3], 0 offset:256
	s_and_saveexec_b64 s[4:5], vcc
	s_cbranch_execz .LBB122_299
; %bb.298:
	buffer_load_dword v120, off, s[0:3], 0 offset:248
	buffer_load_dword v121, off, s[0:3], 0 offset:252
	v_mov_b32_e32 v122, 0
	buffer_store_dword v122, off, s[0:3], 0 offset:248
	buffer_store_dword v122, off, s[0:3], 0 offset:252
	s_waitcnt vmcnt(2)
	ds_write_b64 v119, v[120:121]
.LBB122_299:
	s_or_b64 exec, exec, s[4:5]
	s_waitcnt lgkmcnt(0)
	; wave barrier
	buffer_load_dword v129, off, s[0:3], 0 offset:256
	buffer_load_dword v130, off, s[0:3], 0 offset:260
	buffer_load_dword v131, off, s[0:3], 0 offset:264
	buffer_load_dword v132, off, s[0:3], 0 offset:268
	buffer_load_dword v133, off, s[0:3], 0 offset:272
	buffer_load_dword v134, off, s[0:3], 0 offset:276
	buffer_load_dword v135, off, s[0:3], 0 offset:280
	buffer_load_dword v136, off, s[0:3], 0 offset:284
	buffer_load_dword v137, off, s[0:3], 0 offset:288
	buffer_load_dword v138, off, s[0:3], 0 offset:292
	buffer_load_dword v139, off, s[0:3], 0 offset:296
	buffer_load_dword v140, off, s[0:3], 0 offset:300
	buffer_load_dword v141, off, s[0:3], 0 offset:304
	buffer_load_dword v142, off, s[0:3], 0 offset:308
	buffer_load_dword v144, off, s[0:3], 0 offset:316
	buffer_load_dword v145, off, s[0:3], 0 offset:336
	buffer_load_dword v147, off, s[0:3], 0 offset:328
	buffer_load_dword v149, off, s[0:3], 0 offset:320
	buffer_load_dword v143, off, s[0:3], 0 offset:312
	buffer_load_dword v150, off, s[0:3], 0 offset:324
	buffer_load_dword v148, off, s[0:3], 0 offset:332
	buffer_load_dword v146, off, s[0:3], 0 offset:340
	v_mov_b32_e32 v120, 0
	ds_read_b128 v[121:124], v120 offset:736
	ds_read_b128 v[125:128], v120 offset:752
	v_cmp_lt_u32_e32 vcc, 30, v0
	s_waitcnt vmcnt(20) lgkmcnt(1)
	v_fma_f64 v[121:122], v[129:130], v[121:122], 0
	s_waitcnt vmcnt(18)
	v_fma_f64 v[121:122], v[131:132], v[123:124], v[121:122]
	buffer_load_dword v130, off, s[0:3], 0 offset:348
	buffer_load_dword v131, off, s[0:3], 0 offset:368
	;; [unrolled: 1-line block ×7, first 2 shown]
	s_waitcnt vmcnt(23) lgkmcnt(0)
	v_fma_f64 v[121:122], v[133:134], v[125:126], v[121:122]
	s_waitcnt vmcnt(21)
	v_fma_f64 v[132:133], v[135:136], v[127:128], v[121:122]
	ds_read_b128 v[121:124], v120 offset:768
	ds_read_b128 v[125:128], v120 offset:784
	s_waitcnt vmcnt(19) lgkmcnt(1)
	v_fma_f64 v[121:122], v[137:138], v[121:122], v[132:133]
	buffer_load_dword v132, off, s[0:3], 0 offset:372
	s_waitcnt vmcnt(18)
	v_fma_f64 v[121:122], v[139:140], v[123:124], v[121:122]
	buffer_load_dword v134, off, s[0:3], 0 offset:380
	buffer_load_dword v135, off, s[0:3], 0 offset:400
	buffer_load_dword v137, off, s[0:3], 0 offset:392
	buffer_load_dword v139, off, s[0:3], 0 offset:384
	buffer_load_dword v133, off, s[0:3], 0 offset:376
	buffer_load_dword v140, off, s[0:3], 0 offset:388
	buffer_load_dword v138, off, s[0:3], 0 offset:396
	buffer_load_dword v136, off, s[0:3], 0 offset:404
	s_waitcnt vmcnt(24) lgkmcnt(0)
	v_fma_f64 v[121:122], v[141:142], v[125:126], v[121:122]
	s_waitcnt vmcnt(19)
	v_fma_f64 v[141:142], v[143:144], v[127:128], v[121:122]
	ds_read_b128 v[121:124], v120 offset:800
	ds_read_b128 v[125:128], v120 offset:816
	s_waitcnt vmcnt(18) lgkmcnt(1)
	v_fma_f64 v[121:122], v[149:150], v[121:122], v[141:142]
	s_waitcnt vmcnt(17)
	v_fma_f64 v[121:122], v[147:148], v[123:124], v[121:122]
	buffer_load_dword v142, off, s[0:3], 0 offset:412
	buffer_load_dword v143, off, s[0:3], 0 offset:432
	buffer_load_dword v147, off, s[0:3], 0 offset:424
	buffer_load_dword v149, off, s[0:3], 0 offset:416
	buffer_load_dword v141, off, s[0:3], 0 offset:408
	buffer_load_dword v150, off, s[0:3], 0 offset:420
	buffer_load_dword v148, off, s[0:3], 0 offset:428
	buffer_load_dword v144, off, s[0:3], 0 offset:436
	s_waitcnt vmcnt(24) lgkmcnt(0)
	v_fma_f64 v[121:122], v[145:146], v[125:126], v[121:122]
	s_waitcnt vmcnt(19)
	v_fma_f64 v[129:130], v[129:130], v[127:128], v[121:122]
	ds_read_b128 v[121:124], v120 offset:832
	ds_read_b128 v[125:128], v120 offset:848
	s_waitcnt vmcnt(18) lgkmcnt(1)
	v_fma_f64 v[121:122], v[153:154], v[121:122], v[129:130]
	;; [unrolled: 18-line block ×3, first 2 shown]
	buffer_load_dword v131, off, s[0:3], 0 offset:248
	buffer_load_dword v132, off, s[0:3], 0 offset:252
	s_waitcnt vmcnt(19)
	v_fma_f64 v[121:122], v[137:138], v[123:124], v[121:122]
	s_waitcnt vmcnt(18) lgkmcnt(0)
	v_fma_f64 v[121:122], v[135:136], v[125:126], v[121:122]
	s_waitcnt vmcnt(13)
	v_fma_f64 v[133:134], v[141:142], v[127:128], v[121:122]
	ds_read_b128 v[121:124], v120 offset:896
	ds_read_b128 v[125:128], v120 offset:912
	s_waitcnt vmcnt(12) lgkmcnt(1)
	v_fma_f64 v[121:122], v[149:150], v[121:122], v[133:134]
	s_waitcnt vmcnt(11)
	v_fma_f64 v[121:122], v[147:148], v[123:124], v[121:122]
	s_waitcnt vmcnt(10) lgkmcnt(0)
	v_fma_f64 v[121:122], v[143:144], v[125:126], v[121:122]
	s_waitcnt vmcnt(5)
	v_fma_f64 v[125:126], v[129:130], v[127:128], v[121:122]
	ds_read_b128 v[121:124], v120 offset:928
	ds_read_b64 v[127:128], v120 offset:944
	s_waitcnt vmcnt(4) lgkmcnt(1)
	v_fma_f64 v[121:122], v[153:154], v[121:122], v[125:126]
	s_waitcnt vmcnt(3)
	v_fma_f64 v[121:122], v[151:152], v[123:124], v[121:122]
	s_waitcnt vmcnt(2) lgkmcnt(0)
	v_fma_f64 v[121:122], v[145:146], v[127:128], v[121:122]
	s_waitcnt vmcnt(0)
	v_add_f64 v[121:122], v[131:132], -v[121:122]
	buffer_store_dword v122, off, s[0:3], 0 offset:252
	buffer_store_dword v121, off, s[0:3], 0 offset:248
	s_and_saveexec_b64 s[4:5], vcc
	s_cbranch_execz .LBB122_301
; %bb.300:
	buffer_load_dword v121, off, s[0:3], 0 offset:240
	buffer_load_dword v122, off, s[0:3], 0 offset:244
	s_waitcnt vmcnt(0)
	ds_write_b64 v119, v[121:122]
	buffer_store_dword v120, off, s[0:3], 0 offset:240
	buffer_store_dword v120, off, s[0:3], 0 offset:244
.LBB122_301:
	s_or_b64 exec, exec, s[4:5]
	s_waitcnt lgkmcnt(0)
	; wave barrier
	buffer_load_dword v129, off, s[0:3], 0 offset:248
	buffer_load_dword v130, off, s[0:3], 0 offset:252
	;; [unrolled: 1-line block ×22, first 2 shown]
	ds_read2_b64 v[121:124], v120 offset0:91 offset1:92
	ds_read2_b64 v[125:128], v120 offset0:93 offset1:94
	v_cmp_lt_u32_e32 vcc, 29, v0
	s_waitcnt vmcnt(20) lgkmcnt(1)
	v_fma_f64 v[121:122], v[129:130], v[121:122], 0
	s_waitcnt vmcnt(18)
	v_fma_f64 v[121:122], v[131:132], v[123:124], v[121:122]
	buffer_load_dword v130, off, s[0:3], 0 offset:340
	buffer_load_dword v131, off, s[0:3], 0 offset:360
	;; [unrolled: 1-line block ×7, first 2 shown]
	s_waitcnt vmcnt(23) lgkmcnt(0)
	v_fma_f64 v[121:122], v[133:134], v[125:126], v[121:122]
	s_waitcnt vmcnt(21)
	v_fma_f64 v[132:133], v[135:136], v[127:128], v[121:122]
	ds_read2_b64 v[121:124], v120 offset0:95 offset1:96
	ds_read2_b64 v[125:128], v120 offset0:97 offset1:98
	s_waitcnt vmcnt(19) lgkmcnt(1)
	v_fma_f64 v[121:122], v[137:138], v[121:122], v[132:133]
	buffer_load_dword v132, off, s[0:3], 0 offset:364
	s_waitcnt vmcnt(18)
	v_fma_f64 v[121:122], v[139:140], v[123:124], v[121:122]
	buffer_load_dword v134, off, s[0:3], 0 offset:372
	buffer_load_dword v135, off, s[0:3], 0 offset:392
	buffer_load_dword v137, off, s[0:3], 0 offset:384
	buffer_load_dword v139, off, s[0:3], 0 offset:376
	buffer_load_dword v133, off, s[0:3], 0 offset:368
	buffer_load_dword v140, off, s[0:3], 0 offset:380
	buffer_load_dword v138, off, s[0:3], 0 offset:388
	buffer_load_dword v136, off, s[0:3], 0 offset:396
	s_waitcnt vmcnt(24) lgkmcnt(0)
	v_fma_f64 v[121:122], v[141:142], v[125:126], v[121:122]
	s_waitcnt vmcnt(19)
	v_fma_f64 v[141:142], v[143:144], v[127:128], v[121:122]
	ds_read2_b64 v[121:124], v120 offset0:99 offset1:100
	ds_read2_b64 v[125:128], v120 offset0:101 offset1:102
	s_waitcnt vmcnt(18) lgkmcnt(1)
	v_fma_f64 v[121:122], v[149:150], v[121:122], v[141:142]
	s_waitcnt vmcnt(17)
	v_fma_f64 v[121:122], v[147:148], v[123:124], v[121:122]
	buffer_load_dword v142, off, s[0:3], 0 offset:404
	buffer_load_dword v143, off, s[0:3], 0 offset:424
	buffer_load_dword v147, off, s[0:3], 0 offset:416
	buffer_load_dword v149, off, s[0:3], 0 offset:408
	buffer_load_dword v141, off, s[0:3], 0 offset:400
	buffer_load_dword v150, off, s[0:3], 0 offset:412
	buffer_load_dword v148, off, s[0:3], 0 offset:420
	buffer_load_dword v144, off, s[0:3], 0 offset:428
	s_waitcnt vmcnt(24) lgkmcnt(0)
	v_fma_f64 v[121:122], v[145:146], v[125:126], v[121:122]
	s_waitcnt vmcnt(19)
	v_fma_f64 v[129:130], v[129:130], v[127:128], v[121:122]
	ds_read2_b64 v[121:124], v120 offset0:103 offset1:104
	ds_read2_b64 v[125:128], v120 offset0:105 offset1:106
	s_waitcnt vmcnt(18) lgkmcnt(1)
	v_fma_f64 v[121:122], v[153:154], v[121:122], v[129:130]
	;; [unrolled: 18-line block ×3, first 2 shown]
	buffer_load_dword v132, off, s[0:3], 0 offset:468
	buffer_load_dword v131, off, s[0:3], 0 offset:464
	;; [unrolled: 1-line block ×4, first 2 shown]
	s_waitcnt vmcnt(21)
	v_fma_f64 v[121:122], v[137:138], v[123:124], v[121:122]
	s_waitcnt vmcnt(20) lgkmcnt(0)
	v_fma_f64 v[121:122], v[135:136], v[125:126], v[121:122]
	s_waitcnt vmcnt(15)
	v_fma_f64 v[135:136], v[141:142], v[127:128], v[121:122]
	ds_read2_b64 v[121:124], v120 offset0:111 offset1:112
	ds_read2_b64 v[125:128], v120 offset0:113 offset1:114
	s_waitcnt vmcnt(14) lgkmcnt(1)
	v_fma_f64 v[121:122], v[149:150], v[121:122], v[135:136]
	s_waitcnt vmcnt(13)
	v_fma_f64 v[121:122], v[147:148], v[123:124], v[121:122]
	s_waitcnt vmcnt(12) lgkmcnt(0)
	v_fma_f64 v[121:122], v[143:144], v[125:126], v[121:122]
	s_waitcnt vmcnt(7)
	v_fma_f64 v[129:130], v[129:130], v[127:128], v[121:122]
	ds_read2_b64 v[121:124], v120 offset0:115 offset1:116
	ds_read2_b64 v[125:128], v120 offset0:117 offset1:118
	s_waitcnt vmcnt(6) lgkmcnt(1)
	v_fma_f64 v[120:121], v[153:154], v[121:122], v[129:130]
	s_waitcnt vmcnt(5)
	v_fma_f64 v[120:121], v[151:152], v[123:124], v[120:121]
	s_waitcnt vmcnt(4) lgkmcnt(0)
	v_fma_f64 v[120:121], v[145:146], v[125:126], v[120:121]
	s_waitcnt vmcnt(2)
	v_fma_f64 v[120:121], v[131:132], v[127:128], v[120:121]
	s_waitcnt vmcnt(0)
	v_add_f64 v[120:121], v[133:134], -v[120:121]
	buffer_store_dword v121, off, s[0:3], 0 offset:244
	buffer_store_dword v120, off, s[0:3], 0 offset:240
	s_and_saveexec_b64 s[4:5], vcc
	s_cbranch_execz .LBB122_303
; %bb.302:
	buffer_load_dword v120, off, s[0:3], 0 offset:232
	buffer_load_dword v121, off, s[0:3], 0 offset:236
	v_mov_b32_e32 v122, 0
	buffer_store_dword v122, off, s[0:3], 0 offset:232
	buffer_store_dword v122, off, s[0:3], 0 offset:236
	s_waitcnt vmcnt(2)
	ds_write_b64 v119, v[120:121]
.LBB122_303:
	s_or_b64 exec, exec, s[4:5]
	s_waitcnt lgkmcnt(0)
	; wave barrier
	buffer_load_dword v129, off, s[0:3], 0 offset:240
	buffer_load_dword v130, off, s[0:3], 0 offset:244
	;; [unrolled: 1-line block ×22, first 2 shown]
	v_mov_b32_e32 v120, 0
	ds_read_b128 v[121:124], v120 offset:720
	ds_read_b128 v[125:128], v120 offset:736
	v_cmp_lt_u32_e32 vcc, 28, v0
	s_waitcnt vmcnt(20) lgkmcnt(1)
	v_fma_f64 v[121:122], v[129:130], v[121:122], 0
	s_waitcnt vmcnt(18)
	v_fma_f64 v[121:122], v[131:132], v[123:124], v[121:122]
	buffer_load_dword v130, off, s[0:3], 0 offset:332
	buffer_load_dword v131, off, s[0:3], 0 offset:352
	;; [unrolled: 1-line block ×7, first 2 shown]
	s_waitcnt vmcnt(23) lgkmcnt(0)
	v_fma_f64 v[121:122], v[133:134], v[125:126], v[121:122]
	s_waitcnt vmcnt(21)
	v_fma_f64 v[132:133], v[135:136], v[127:128], v[121:122]
	ds_read_b128 v[121:124], v120 offset:752
	ds_read_b128 v[125:128], v120 offset:768
	s_waitcnt vmcnt(19) lgkmcnt(1)
	v_fma_f64 v[121:122], v[137:138], v[121:122], v[132:133]
	buffer_load_dword v132, off, s[0:3], 0 offset:356
	s_waitcnt vmcnt(18)
	v_fma_f64 v[121:122], v[139:140], v[123:124], v[121:122]
	buffer_load_dword v134, off, s[0:3], 0 offset:364
	buffer_load_dword v135, off, s[0:3], 0 offset:384
	;; [unrolled: 1-line block ×7, first 2 shown]
	s_waitcnt vmcnt(23) lgkmcnt(0)
	v_fma_f64 v[121:122], v[141:142], v[125:126], v[121:122]
	s_waitcnt vmcnt(18)
	v_fma_f64 v[141:142], v[143:144], v[127:128], v[121:122]
	ds_read_b128 v[121:124], v120 offset:784
	ds_read_b128 v[125:128], v120 offset:800
	buffer_load_dword v136, off, s[0:3], 0 offset:388
	s_waitcnt vmcnt(18) lgkmcnt(1)
	v_fma_f64 v[121:122], v[149:150], v[121:122], v[141:142]
	s_waitcnt vmcnt(17)
	v_fma_f64 v[121:122], v[147:148], v[123:124], v[121:122]
	buffer_load_dword v142, off, s[0:3], 0 offset:396
	buffer_load_dword v143, off, s[0:3], 0 offset:416
	;; [unrolled: 1-line block ×8, first 2 shown]
	s_waitcnt vmcnt(24) lgkmcnt(0)
	v_fma_f64 v[121:122], v[145:146], v[125:126], v[121:122]
	s_waitcnt vmcnt(19)
	v_fma_f64 v[129:130], v[129:130], v[127:128], v[121:122]
	ds_read_b128 v[121:124], v120 offset:816
	ds_read_b128 v[125:128], v120 offset:832
	s_waitcnt vmcnt(18) lgkmcnt(1)
	v_fma_f64 v[121:122], v[153:154], v[121:122], v[129:130]
	s_waitcnt vmcnt(17)
	v_fma_f64 v[121:122], v[151:152], v[123:124], v[121:122]
	buffer_load_dword v130, off, s[0:3], 0 offset:428
	buffer_load_dword v145, off, s[0:3], 0 offset:448
	;; [unrolled: 1-line block ×7, first 2 shown]
	s_waitcnt vmcnt(23) lgkmcnt(0)
	v_fma_f64 v[121:122], v[131:132], v[125:126], v[121:122]
	s_waitcnt vmcnt(18)
	v_fma_f64 v[131:132], v[133:134], v[127:128], v[121:122]
	ds_read_b128 v[121:124], v120 offset:848
	ds_read_b128 v[125:128], v120 offset:864
	buffer_load_dword v146, off, s[0:3], 0 offset:452
	s_waitcnt vmcnt(18) lgkmcnt(1)
	v_fma_f64 v[121:122], v[139:140], v[121:122], v[131:132]
	buffer_load_dword v132, off, s[0:3], 0 offset:460
	buffer_load_dword v133, off, s[0:3], 0 offset:464
	;; [unrolled: 1-line block ×4, first 2 shown]
	s_waitcnt vmcnt(21)
	v_fma_f64 v[121:122], v[137:138], v[123:124], v[121:122]
	s_waitcnt vmcnt(20) lgkmcnt(0)
	v_fma_f64 v[121:122], v[135:136], v[125:126], v[121:122]
	buffer_load_dword v135, off, s[0:3], 0 offset:232
	buffer_load_dword v136, off, s[0:3], 0 offset:236
	s_waitcnt vmcnt(17)
	v_fma_f64 v[137:138], v[141:142], v[127:128], v[121:122]
	ds_read_b128 v[121:124], v120 offset:880
	ds_read_b128 v[125:128], v120 offset:896
	s_waitcnt vmcnt(16) lgkmcnt(1)
	v_fma_f64 v[121:122], v[149:150], v[121:122], v[137:138]
	s_waitcnt vmcnt(15)
	v_fma_f64 v[121:122], v[147:148], v[123:124], v[121:122]
	s_waitcnt vmcnt(14) lgkmcnt(0)
	v_fma_f64 v[121:122], v[143:144], v[125:126], v[121:122]
	s_waitcnt vmcnt(9)
	v_fma_f64 v[129:130], v[129:130], v[127:128], v[121:122]
	ds_read_b128 v[121:124], v120 offset:912
	ds_read_b128 v[125:128], v120 offset:928
	s_waitcnt vmcnt(8) lgkmcnt(1)
	v_fma_f64 v[121:122], v[153:154], v[121:122], v[129:130]
	s_waitcnt vmcnt(7)
	v_fma_f64 v[121:122], v[151:152], v[123:124], v[121:122]
	ds_read_b64 v[123:124], v120 offset:944
	s_waitcnt vmcnt(6) lgkmcnt(1)
	v_fma_f64 v[121:122], v[145:146], v[125:126], v[121:122]
	s_waitcnt vmcnt(3)
	v_fma_f64 v[121:122], v[131:132], v[127:128], v[121:122]
	s_waitcnt vmcnt(2) lgkmcnt(0)
	v_fma_f64 v[121:122], v[133:134], v[123:124], v[121:122]
	s_waitcnt vmcnt(0)
	v_add_f64 v[121:122], v[135:136], -v[121:122]
	buffer_store_dword v122, off, s[0:3], 0 offset:236
	buffer_store_dword v121, off, s[0:3], 0 offset:232
	s_and_saveexec_b64 s[4:5], vcc
	s_cbranch_execz .LBB122_305
; %bb.304:
	buffer_load_dword v121, off, s[0:3], 0 offset:224
	buffer_load_dword v122, off, s[0:3], 0 offset:228
	s_waitcnt vmcnt(0)
	ds_write_b64 v119, v[121:122]
	buffer_store_dword v120, off, s[0:3], 0 offset:224
	buffer_store_dword v120, off, s[0:3], 0 offset:228
.LBB122_305:
	s_or_b64 exec, exec, s[4:5]
	s_waitcnt lgkmcnt(0)
	; wave barrier
	buffer_load_dword v129, off, s[0:3], 0 offset:232
	buffer_load_dword v130, off, s[0:3], 0 offset:236
	;; [unrolled: 1-line block ×22, first 2 shown]
	ds_read2_b64 v[121:124], v120 offset0:89 offset1:90
	ds_read2_b64 v[125:128], v120 offset0:91 offset1:92
	v_cmp_lt_u32_e32 vcc, 27, v0
	s_waitcnt vmcnt(20) lgkmcnt(1)
	v_fma_f64 v[121:122], v[129:130], v[121:122], 0
	s_waitcnt vmcnt(18)
	v_fma_f64 v[121:122], v[131:132], v[123:124], v[121:122]
	buffer_load_dword v130, off, s[0:3], 0 offset:324
	buffer_load_dword v131, off, s[0:3], 0 offset:344
	;; [unrolled: 1-line block ×7, first 2 shown]
	s_waitcnt vmcnt(23) lgkmcnt(0)
	v_fma_f64 v[121:122], v[133:134], v[125:126], v[121:122]
	s_waitcnt vmcnt(21)
	v_fma_f64 v[132:133], v[135:136], v[127:128], v[121:122]
	ds_read2_b64 v[121:124], v120 offset0:93 offset1:94
	ds_read2_b64 v[125:128], v120 offset0:95 offset1:96
	s_waitcnt vmcnt(19) lgkmcnt(1)
	v_fma_f64 v[121:122], v[137:138], v[121:122], v[132:133]
	buffer_load_dword v132, off, s[0:3], 0 offset:348
	s_waitcnt vmcnt(18)
	v_fma_f64 v[121:122], v[139:140], v[123:124], v[121:122]
	buffer_load_dword v134, off, s[0:3], 0 offset:356
	buffer_load_dword v135, off, s[0:3], 0 offset:376
	;; [unrolled: 1-line block ×7, first 2 shown]
	s_waitcnt vmcnt(23) lgkmcnt(0)
	v_fma_f64 v[121:122], v[141:142], v[125:126], v[121:122]
	s_waitcnt vmcnt(18)
	v_fma_f64 v[141:142], v[143:144], v[127:128], v[121:122]
	ds_read2_b64 v[121:124], v120 offset0:97 offset1:98
	ds_read2_b64 v[125:128], v120 offset0:99 offset1:100
	buffer_load_dword v136, off, s[0:3], 0 offset:380
	s_waitcnt vmcnt(18) lgkmcnt(1)
	v_fma_f64 v[121:122], v[149:150], v[121:122], v[141:142]
	s_waitcnt vmcnt(17)
	v_fma_f64 v[121:122], v[147:148], v[123:124], v[121:122]
	buffer_load_dword v142, off, s[0:3], 0 offset:388
	buffer_load_dword v143, off, s[0:3], 0 offset:408
	;; [unrolled: 1-line block ×8, first 2 shown]
	s_waitcnt vmcnt(24) lgkmcnt(0)
	v_fma_f64 v[121:122], v[145:146], v[125:126], v[121:122]
	s_waitcnt vmcnt(19)
	v_fma_f64 v[129:130], v[129:130], v[127:128], v[121:122]
	ds_read2_b64 v[121:124], v120 offset0:101 offset1:102
	ds_read2_b64 v[125:128], v120 offset0:103 offset1:104
	s_waitcnt vmcnt(18) lgkmcnt(1)
	v_fma_f64 v[121:122], v[153:154], v[121:122], v[129:130]
	s_waitcnt vmcnt(17)
	v_fma_f64 v[121:122], v[151:152], v[123:124], v[121:122]
	buffer_load_dword v130, off, s[0:3], 0 offset:420
	buffer_load_dword v145, off, s[0:3], 0 offset:440
	;; [unrolled: 1-line block ×8, first 2 shown]
	s_waitcnt vmcnt(24) lgkmcnt(0)
	v_fma_f64 v[121:122], v[131:132], v[125:126], v[121:122]
	s_waitcnt vmcnt(19)
	v_fma_f64 v[131:132], v[133:134], v[127:128], v[121:122]
	ds_read2_b64 v[121:124], v120 offset0:105 offset1:106
	ds_read2_b64 v[125:128], v120 offset0:107 offset1:108
	s_waitcnt vmcnt(18) lgkmcnt(1)
	v_fma_f64 v[121:122], v[139:140], v[121:122], v[131:132]
	s_waitcnt vmcnt(17)
	v_fma_f64 v[121:122], v[137:138], v[123:124], v[121:122]
	buffer_load_dword v132, off, s[0:3], 0 offset:452
	buffer_load_dword v133, off, s[0:3], 0 offset:464
	buffer_load_dword v137, off, s[0:3], 0 offset:456
	buffer_load_dword v131, off, s[0:3], 0 offset:448
	buffer_load_dword v138, off, s[0:3], 0 offset:460
	buffer_load_dword v134, off, s[0:3], 0 offset:468
	s_waitcnt vmcnt(22) lgkmcnt(0)
	v_fma_f64 v[121:122], v[135:136], v[125:126], v[121:122]
	s_waitcnt vmcnt(17)
	v_fma_f64 v[135:136], v[141:142], v[127:128], v[121:122]
	ds_read2_b64 v[121:124], v120 offset0:109 offset1:110
	buffer_load_dword v139, off, s[0:3], 0 offset:224
	buffer_load_dword v140, off, s[0:3], 0 offset:228
	ds_read2_b64 v[125:128], v120 offset0:111 offset1:112
	s_waitcnt vmcnt(18) lgkmcnt(1)
	v_fma_f64 v[121:122], v[149:150], v[121:122], v[135:136]
	s_waitcnt vmcnt(17)
	v_fma_f64 v[121:122], v[147:148], v[123:124], v[121:122]
	s_waitcnt vmcnt(16) lgkmcnt(0)
	v_fma_f64 v[121:122], v[143:144], v[125:126], v[121:122]
	s_waitcnt vmcnt(11)
	v_fma_f64 v[129:130], v[129:130], v[127:128], v[121:122]
	ds_read2_b64 v[121:124], v120 offset0:113 offset1:114
	ds_read2_b64 v[125:128], v120 offset0:115 offset1:116
	s_waitcnt vmcnt(10) lgkmcnt(1)
	v_fma_f64 v[121:122], v[153:154], v[121:122], v[129:130]
	s_waitcnt vmcnt(9)
	v_fma_f64 v[121:122], v[151:152], v[123:124], v[121:122]
	s_waitcnt vmcnt(8) lgkmcnt(0)
	v_fma_f64 v[121:122], v[145:146], v[125:126], v[121:122]
	s_waitcnt vmcnt(4)
	v_fma_f64 v[124:125], v[131:132], v[127:128], v[121:122]
	ds_read2_b64 v[120:123], v120 offset0:117 offset1:118
	s_waitcnt vmcnt(3) lgkmcnt(0)
	v_fma_f64 v[120:121], v[137:138], v[120:121], v[124:125]
	s_waitcnt vmcnt(2)
	v_fma_f64 v[120:121], v[133:134], v[122:123], v[120:121]
	s_waitcnt vmcnt(0)
	v_add_f64 v[120:121], v[139:140], -v[120:121]
	buffer_store_dword v121, off, s[0:3], 0 offset:228
	buffer_store_dword v120, off, s[0:3], 0 offset:224
	s_and_saveexec_b64 s[4:5], vcc
	s_cbranch_execz .LBB122_307
; %bb.306:
	buffer_load_dword v120, off, s[0:3], 0 offset:216
	buffer_load_dword v121, off, s[0:3], 0 offset:220
	v_mov_b32_e32 v122, 0
	buffer_store_dword v122, off, s[0:3], 0 offset:216
	buffer_store_dword v122, off, s[0:3], 0 offset:220
	s_waitcnt vmcnt(2)
	ds_write_b64 v119, v[120:121]
.LBB122_307:
	s_or_b64 exec, exec, s[4:5]
	s_waitcnt lgkmcnt(0)
	; wave barrier
	buffer_load_dword v129, off, s[0:3], 0 offset:224
	buffer_load_dword v130, off, s[0:3], 0 offset:228
	;; [unrolled: 1-line block ×22, first 2 shown]
	v_mov_b32_e32 v120, 0
	ds_read_b128 v[121:124], v120 offset:704
	ds_read_b128 v[125:128], v120 offset:720
	v_cmp_lt_u32_e32 vcc, 26, v0
	s_waitcnt vmcnt(20) lgkmcnt(1)
	v_fma_f64 v[121:122], v[129:130], v[121:122], 0
	s_waitcnt vmcnt(18)
	v_fma_f64 v[121:122], v[131:132], v[123:124], v[121:122]
	buffer_load_dword v130, off, s[0:3], 0 offset:316
	buffer_load_dword v131, off, s[0:3], 0 offset:336
	;; [unrolled: 1-line block ×7, first 2 shown]
	s_waitcnt vmcnt(23) lgkmcnt(0)
	v_fma_f64 v[121:122], v[133:134], v[125:126], v[121:122]
	s_waitcnt vmcnt(21)
	v_fma_f64 v[132:133], v[135:136], v[127:128], v[121:122]
	ds_read_b128 v[121:124], v120 offset:736
	ds_read_b128 v[125:128], v120 offset:752
	s_waitcnt vmcnt(19) lgkmcnt(1)
	v_fma_f64 v[121:122], v[137:138], v[121:122], v[132:133]
	buffer_load_dword v132, off, s[0:3], 0 offset:340
	s_waitcnt vmcnt(18)
	v_fma_f64 v[121:122], v[139:140], v[123:124], v[121:122]
	buffer_load_dword v134, off, s[0:3], 0 offset:348
	buffer_load_dword v135, off, s[0:3], 0 offset:368
	;; [unrolled: 1-line block ×7, first 2 shown]
	s_waitcnt vmcnt(23) lgkmcnt(0)
	v_fma_f64 v[121:122], v[141:142], v[125:126], v[121:122]
	s_waitcnt vmcnt(18)
	v_fma_f64 v[141:142], v[143:144], v[127:128], v[121:122]
	ds_read_b128 v[121:124], v120 offset:768
	ds_read_b128 v[125:128], v120 offset:784
	buffer_load_dword v136, off, s[0:3], 0 offset:372
	s_waitcnt vmcnt(18) lgkmcnt(1)
	v_fma_f64 v[121:122], v[149:150], v[121:122], v[141:142]
	s_waitcnt vmcnt(17)
	v_fma_f64 v[121:122], v[147:148], v[123:124], v[121:122]
	buffer_load_dword v142, off, s[0:3], 0 offset:380
	buffer_load_dword v143, off, s[0:3], 0 offset:400
	buffer_load_dword v147, off, s[0:3], 0 offset:392
	buffer_load_dword v149, off, s[0:3], 0 offset:384
	buffer_load_dword v141, off, s[0:3], 0 offset:376
	buffer_load_dword v150, off, s[0:3], 0 offset:388
	buffer_load_dword v148, off, s[0:3], 0 offset:396
	buffer_load_dword v144, off, s[0:3], 0 offset:404
	s_waitcnt vmcnt(24) lgkmcnt(0)
	v_fma_f64 v[121:122], v[145:146], v[125:126], v[121:122]
	s_waitcnt vmcnt(19)
	v_fma_f64 v[129:130], v[129:130], v[127:128], v[121:122]
	ds_read_b128 v[121:124], v120 offset:800
	ds_read_b128 v[125:128], v120 offset:816
	s_waitcnt vmcnt(18) lgkmcnt(1)
	v_fma_f64 v[121:122], v[153:154], v[121:122], v[129:130]
	s_waitcnt vmcnt(17)
	v_fma_f64 v[121:122], v[151:152], v[123:124], v[121:122]
	buffer_load_dword v130, off, s[0:3], 0 offset:412
	buffer_load_dword v145, off, s[0:3], 0 offset:432
	buffer_load_dword v151, off, s[0:3], 0 offset:424
	buffer_load_dword v153, off, s[0:3], 0 offset:416
	buffer_load_dword v129, off, s[0:3], 0 offset:408
	buffer_load_dword v154, off, s[0:3], 0 offset:420
	buffer_load_dword v152, off, s[0:3], 0 offset:428
	buffer_load_dword v146, off, s[0:3], 0 offset:436
	s_waitcnt vmcnt(24) lgkmcnt(0)
	v_fma_f64 v[121:122], v[131:132], v[125:126], v[121:122]
	s_waitcnt vmcnt(19)
	v_fma_f64 v[131:132], v[133:134], v[127:128], v[121:122]
	ds_read_b128 v[121:124], v120 offset:832
	ds_read_b128 v[125:128], v120 offset:848
	;; [unrolled: 18-line block ×3, first 2 shown]
	s_waitcnt vmcnt(18) lgkmcnt(1)
	v_fma_f64 v[121:122], v[149:150], v[121:122], v[135:136]
	buffer_load_dword v135, off, s[0:3], 0 offset:216
	buffer_load_dword v136, off, s[0:3], 0 offset:220
	s_waitcnt vmcnt(19)
	v_fma_f64 v[121:122], v[147:148], v[123:124], v[121:122]
	s_waitcnt vmcnt(18) lgkmcnt(0)
	v_fma_f64 v[121:122], v[143:144], v[125:126], v[121:122]
	s_waitcnt vmcnt(13)
	v_fma_f64 v[129:130], v[129:130], v[127:128], v[121:122]
	ds_read_b128 v[121:124], v120 offset:896
	ds_read_b128 v[125:128], v120 offset:912
	s_waitcnt vmcnt(12) lgkmcnt(1)
	v_fma_f64 v[121:122], v[153:154], v[121:122], v[129:130]
	s_waitcnt vmcnt(11)
	v_fma_f64 v[121:122], v[151:152], v[123:124], v[121:122]
	s_waitcnt vmcnt(10) lgkmcnt(0)
	v_fma_f64 v[121:122], v[145:146], v[125:126], v[121:122]
	s_waitcnt vmcnt(5)
	v_fma_f64 v[125:126], v[131:132], v[127:128], v[121:122]
	ds_read_b128 v[121:124], v120 offset:928
	ds_read_b64 v[127:128], v120 offset:944
	s_waitcnt vmcnt(4) lgkmcnt(1)
	v_fma_f64 v[121:122], v[139:140], v[121:122], v[125:126]
	s_waitcnt vmcnt(3)
	v_fma_f64 v[121:122], v[137:138], v[123:124], v[121:122]
	s_waitcnt vmcnt(2) lgkmcnt(0)
	v_fma_f64 v[121:122], v[133:134], v[127:128], v[121:122]
	s_waitcnt vmcnt(0)
	v_add_f64 v[121:122], v[135:136], -v[121:122]
	buffer_store_dword v122, off, s[0:3], 0 offset:220
	buffer_store_dword v121, off, s[0:3], 0 offset:216
	s_and_saveexec_b64 s[4:5], vcc
	s_cbranch_execz .LBB122_309
; %bb.308:
	buffer_load_dword v121, off, s[0:3], 0 offset:208
	buffer_load_dword v122, off, s[0:3], 0 offset:212
	s_waitcnt vmcnt(0)
	ds_write_b64 v119, v[121:122]
	buffer_store_dword v120, off, s[0:3], 0 offset:208
	buffer_store_dword v120, off, s[0:3], 0 offset:212
.LBB122_309:
	s_or_b64 exec, exec, s[4:5]
	s_waitcnt lgkmcnt(0)
	; wave barrier
	buffer_load_dword v129, off, s[0:3], 0 offset:216
	buffer_load_dword v130, off, s[0:3], 0 offset:220
	;; [unrolled: 1-line block ×22, first 2 shown]
	ds_read2_b64 v[121:124], v120 offset0:87 offset1:88
	ds_read2_b64 v[125:128], v120 offset0:89 offset1:90
	v_cmp_lt_u32_e32 vcc, 25, v0
	s_waitcnt vmcnt(20) lgkmcnt(1)
	v_fma_f64 v[121:122], v[129:130], v[121:122], 0
	s_waitcnt vmcnt(18)
	v_fma_f64 v[121:122], v[131:132], v[123:124], v[121:122]
	buffer_load_dword v130, off, s[0:3], 0 offset:308
	buffer_load_dword v131, off, s[0:3], 0 offset:328
	buffer_load_dword v151, off, s[0:3], 0 offset:320
	buffer_load_dword v153, off, s[0:3], 0 offset:312
	buffer_load_dword v129, off, s[0:3], 0 offset:304
	buffer_load_dword v154, off, s[0:3], 0 offset:316
	buffer_load_dword v152, off, s[0:3], 0 offset:324
	s_waitcnt vmcnt(23) lgkmcnt(0)
	v_fma_f64 v[121:122], v[133:134], v[125:126], v[121:122]
	s_waitcnt vmcnt(21)
	v_fma_f64 v[132:133], v[135:136], v[127:128], v[121:122]
	ds_read2_b64 v[121:124], v120 offset0:91 offset1:92
	ds_read2_b64 v[125:128], v120 offset0:93 offset1:94
	s_waitcnt vmcnt(19) lgkmcnt(1)
	v_fma_f64 v[121:122], v[137:138], v[121:122], v[132:133]
	buffer_load_dword v132, off, s[0:3], 0 offset:332
	s_waitcnt vmcnt(18)
	v_fma_f64 v[121:122], v[139:140], v[123:124], v[121:122]
	buffer_load_dword v134, off, s[0:3], 0 offset:340
	buffer_load_dword v135, off, s[0:3], 0 offset:360
	;; [unrolled: 1-line block ×7, first 2 shown]
	s_waitcnt vmcnt(23) lgkmcnt(0)
	v_fma_f64 v[121:122], v[141:142], v[125:126], v[121:122]
	s_waitcnt vmcnt(18)
	v_fma_f64 v[141:142], v[143:144], v[127:128], v[121:122]
	ds_read2_b64 v[121:124], v120 offset0:95 offset1:96
	ds_read2_b64 v[125:128], v120 offset0:97 offset1:98
	buffer_load_dword v136, off, s[0:3], 0 offset:364
	s_waitcnt vmcnt(18) lgkmcnt(1)
	v_fma_f64 v[121:122], v[149:150], v[121:122], v[141:142]
	s_waitcnt vmcnt(17)
	v_fma_f64 v[121:122], v[147:148], v[123:124], v[121:122]
	buffer_load_dword v142, off, s[0:3], 0 offset:372
	buffer_load_dword v143, off, s[0:3], 0 offset:392
	buffer_load_dword v147, off, s[0:3], 0 offset:384
	buffer_load_dword v149, off, s[0:3], 0 offset:376
	buffer_load_dword v141, off, s[0:3], 0 offset:368
	buffer_load_dword v150, off, s[0:3], 0 offset:380
	buffer_load_dword v148, off, s[0:3], 0 offset:388
	buffer_load_dword v144, off, s[0:3], 0 offset:396
	s_waitcnt vmcnt(24) lgkmcnt(0)
	v_fma_f64 v[121:122], v[145:146], v[125:126], v[121:122]
	s_waitcnt vmcnt(19)
	v_fma_f64 v[129:130], v[129:130], v[127:128], v[121:122]
	ds_read2_b64 v[121:124], v120 offset0:99 offset1:100
	ds_read2_b64 v[125:128], v120 offset0:101 offset1:102
	s_waitcnt vmcnt(18) lgkmcnt(1)
	v_fma_f64 v[121:122], v[153:154], v[121:122], v[129:130]
	s_waitcnt vmcnt(17)
	v_fma_f64 v[121:122], v[151:152], v[123:124], v[121:122]
	buffer_load_dword v130, off, s[0:3], 0 offset:404
	buffer_load_dword v145, off, s[0:3], 0 offset:424
	buffer_load_dword v151, off, s[0:3], 0 offset:416
	buffer_load_dword v153, off, s[0:3], 0 offset:408
	buffer_load_dword v129, off, s[0:3], 0 offset:400
	buffer_load_dword v154, off, s[0:3], 0 offset:412
	buffer_load_dword v152, off, s[0:3], 0 offset:420
	buffer_load_dword v146, off, s[0:3], 0 offset:428
	s_waitcnt vmcnt(24) lgkmcnt(0)
	v_fma_f64 v[121:122], v[131:132], v[125:126], v[121:122]
	s_waitcnt vmcnt(19)
	v_fma_f64 v[131:132], v[133:134], v[127:128], v[121:122]
	ds_read2_b64 v[121:124], v120 offset0:103 offset1:104
	ds_read2_b64 v[125:128], v120 offset0:105 offset1:106
	;; [unrolled: 18-line block ×3, first 2 shown]
	s_waitcnt vmcnt(18) lgkmcnt(1)
	v_fma_f64 v[121:122], v[149:150], v[121:122], v[135:136]
	buffer_load_dword v136, off, s[0:3], 0 offset:468
	buffer_load_dword v135, off, s[0:3], 0 offset:464
	;; [unrolled: 1-line block ×4, first 2 shown]
	s_waitcnt vmcnt(21)
	v_fma_f64 v[121:122], v[147:148], v[123:124], v[121:122]
	s_waitcnt vmcnt(20) lgkmcnt(0)
	v_fma_f64 v[121:122], v[143:144], v[125:126], v[121:122]
	s_waitcnt vmcnt(15)
	v_fma_f64 v[129:130], v[129:130], v[127:128], v[121:122]
	ds_read2_b64 v[121:124], v120 offset0:111 offset1:112
	ds_read2_b64 v[125:128], v120 offset0:113 offset1:114
	s_waitcnt vmcnt(14) lgkmcnt(1)
	v_fma_f64 v[121:122], v[153:154], v[121:122], v[129:130]
	s_waitcnt vmcnt(13)
	v_fma_f64 v[121:122], v[151:152], v[123:124], v[121:122]
	s_waitcnt vmcnt(12) lgkmcnt(0)
	v_fma_f64 v[121:122], v[145:146], v[125:126], v[121:122]
	s_waitcnt vmcnt(7)
	v_fma_f64 v[129:130], v[131:132], v[127:128], v[121:122]
	ds_read2_b64 v[121:124], v120 offset0:115 offset1:116
	ds_read2_b64 v[125:128], v120 offset0:117 offset1:118
	s_waitcnt vmcnt(6) lgkmcnt(1)
	v_fma_f64 v[120:121], v[139:140], v[121:122], v[129:130]
	s_waitcnt vmcnt(5)
	v_fma_f64 v[120:121], v[137:138], v[123:124], v[120:121]
	s_waitcnt vmcnt(4) lgkmcnt(0)
	v_fma_f64 v[120:121], v[133:134], v[125:126], v[120:121]
	s_waitcnt vmcnt(2)
	v_fma_f64 v[120:121], v[135:136], v[127:128], v[120:121]
	s_waitcnt vmcnt(0)
	v_add_f64 v[120:121], v[141:142], -v[120:121]
	buffer_store_dword v121, off, s[0:3], 0 offset:212
	buffer_store_dword v120, off, s[0:3], 0 offset:208
	s_and_saveexec_b64 s[4:5], vcc
	s_cbranch_execz .LBB122_311
; %bb.310:
	buffer_load_dword v120, off, s[0:3], 0 offset:200
	buffer_load_dword v121, off, s[0:3], 0 offset:204
	v_mov_b32_e32 v122, 0
	buffer_store_dword v122, off, s[0:3], 0 offset:200
	buffer_store_dword v122, off, s[0:3], 0 offset:204
	s_waitcnt vmcnt(2)
	ds_write_b64 v119, v[120:121]
.LBB122_311:
	s_or_b64 exec, exec, s[4:5]
	s_waitcnt lgkmcnt(0)
	; wave barrier
	buffer_load_dword v129, off, s[0:3], 0 offset:208
	buffer_load_dword v130, off, s[0:3], 0 offset:212
	;; [unrolled: 1-line block ×21, first 2 shown]
	v_mov_b32_e32 v120, 0
	ds_read_b128 v[121:124], v120 offset:688
	ds_read_b128 v[125:128], v120 offset:704
	buffer_load_dword v146, off, s[0:3], 0 offset:292
	v_cmp_lt_u32_e32 vcc, 24, v0
	s_waitcnt vmcnt(20) lgkmcnt(1)
	v_fma_f64 v[121:122], v[129:130], v[121:122], 0
	s_waitcnt vmcnt(18)
	v_fma_f64 v[121:122], v[131:132], v[123:124], v[121:122]
	buffer_load_dword v130, off, s[0:3], 0 offset:300
	buffer_load_dword v131, off, s[0:3], 0 offset:320
	;; [unrolled: 1-line block ×7, first 2 shown]
	s_waitcnt vmcnt(23) lgkmcnt(0)
	v_fma_f64 v[121:122], v[133:134], v[125:126], v[121:122]
	s_waitcnt vmcnt(21)
	v_fma_f64 v[132:133], v[135:136], v[127:128], v[121:122]
	ds_read_b128 v[121:124], v120 offset:720
	ds_read_b128 v[125:128], v120 offset:736
	s_waitcnt vmcnt(19) lgkmcnt(1)
	v_fma_f64 v[121:122], v[137:138], v[121:122], v[132:133]
	buffer_load_dword v132, off, s[0:3], 0 offset:324
	s_waitcnt vmcnt(18)
	v_fma_f64 v[121:122], v[139:140], v[123:124], v[121:122]
	buffer_load_dword v134, off, s[0:3], 0 offset:332
	buffer_load_dword v135, off, s[0:3], 0 offset:352
	;; [unrolled: 1-line block ×7, first 2 shown]
	s_waitcnt vmcnt(23) lgkmcnt(0)
	v_fma_f64 v[121:122], v[141:142], v[125:126], v[121:122]
	s_waitcnt vmcnt(18)
	v_fma_f64 v[141:142], v[143:144], v[127:128], v[121:122]
	ds_read_b128 v[121:124], v120 offset:752
	ds_read_b128 v[125:128], v120 offset:768
	buffer_load_dword v136, off, s[0:3], 0 offset:356
	s_waitcnt vmcnt(18) lgkmcnt(1)
	v_fma_f64 v[121:122], v[149:150], v[121:122], v[141:142]
	s_waitcnt vmcnt(17)
	v_fma_f64 v[121:122], v[147:148], v[123:124], v[121:122]
	buffer_load_dword v142, off, s[0:3], 0 offset:364
	buffer_load_dword v143, off, s[0:3], 0 offset:384
	;; [unrolled: 1-line block ×7, first 2 shown]
	s_waitcnt vmcnt(23) lgkmcnt(0)
	v_fma_f64 v[121:122], v[145:146], v[125:126], v[121:122]
	s_waitcnt vmcnt(18)
	v_fma_f64 v[129:130], v[129:130], v[127:128], v[121:122]
	ds_read_b128 v[121:124], v120 offset:784
	ds_read_b128 v[125:128], v120 offset:800
	buffer_load_dword v144, off, s[0:3], 0 offset:388
	s_waitcnt vmcnt(18) lgkmcnt(1)
	v_fma_f64 v[121:122], v[153:154], v[121:122], v[129:130]
	s_waitcnt vmcnt(17)
	v_fma_f64 v[121:122], v[151:152], v[123:124], v[121:122]
	buffer_load_dword v130, off, s[0:3], 0 offset:396
	buffer_load_dword v145, off, s[0:3], 0 offset:416
	;; [unrolled: 1-line block ×8, first 2 shown]
	s_waitcnt vmcnt(24) lgkmcnt(0)
	v_fma_f64 v[121:122], v[131:132], v[125:126], v[121:122]
	s_waitcnt vmcnt(19)
	v_fma_f64 v[131:132], v[133:134], v[127:128], v[121:122]
	ds_read_b128 v[121:124], v120 offset:816
	ds_read_b128 v[125:128], v120 offset:832
	s_waitcnt vmcnt(18) lgkmcnt(1)
	v_fma_f64 v[121:122], v[139:140], v[121:122], v[131:132]
	s_waitcnt vmcnt(17)
	v_fma_f64 v[121:122], v[137:138], v[123:124], v[121:122]
	buffer_load_dword v132, off, s[0:3], 0 offset:428
	buffer_load_dword v133, off, s[0:3], 0 offset:448
	;; [unrolled: 1-line block ×7, first 2 shown]
	s_waitcnt vmcnt(23) lgkmcnt(0)
	v_fma_f64 v[121:122], v[135:136], v[125:126], v[121:122]
	s_waitcnt vmcnt(18)
	v_fma_f64 v[134:135], v[141:142], v[127:128], v[121:122]
	ds_read_b128 v[121:124], v120 offset:848
	ds_read_b128 v[125:128], v120 offset:864
	s_waitcnt vmcnt(17) lgkmcnt(1)
	v_fma_f64 v[121:122], v[149:150], v[121:122], v[134:135]
	buffer_load_dword v134, off, s[0:3], 0 offset:452
	buffer_load_dword v136, off, s[0:3], 0 offset:460
	;; [unrolled: 1-line block ×5, first 2 shown]
	s_waitcnt vmcnt(21)
	v_fma_f64 v[121:122], v[147:148], v[123:124], v[121:122]
	s_waitcnt vmcnt(20) lgkmcnt(0)
	v_fma_f64 v[121:122], v[143:144], v[125:126], v[121:122]
	buffer_load_dword v143, off, s[0:3], 0 offset:200
	buffer_load_dword v144, off, s[0:3], 0 offset:204
	s_waitcnt vmcnt(17)
	v_fma_f64 v[129:130], v[129:130], v[127:128], v[121:122]
	ds_read_b128 v[121:124], v120 offset:880
	ds_read_b128 v[125:128], v120 offset:896
	s_waitcnt vmcnt(16) lgkmcnt(1)
	v_fma_f64 v[121:122], v[153:154], v[121:122], v[129:130]
	s_waitcnt vmcnt(15)
	v_fma_f64 v[121:122], v[151:152], v[123:124], v[121:122]
	s_waitcnt vmcnt(14) lgkmcnt(0)
	v_fma_f64 v[121:122], v[145:146], v[125:126], v[121:122]
	s_waitcnt vmcnt(9)
	v_fma_f64 v[129:130], v[131:132], v[127:128], v[121:122]
	ds_read_b128 v[121:124], v120 offset:912
	ds_read_b128 v[125:128], v120 offset:928
	s_waitcnt vmcnt(8) lgkmcnt(1)
	v_fma_f64 v[121:122], v[139:140], v[121:122], v[129:130]
	s_waitcnt vmcnt(7)
	v_fma_f64 v[121:122], v[137:138], v[123:124], v[121:122]
	ds_read_b64 v[123:124], v120 offset:944
	s_waitcnt vmcnt(6) lgkmcnt(1)
	v_fma_f64 v[121:122], v[133:134], v[125:126], v[121:122]
	s_waitcnt vmcnt(3)
	v_fma_f64 v[121:122], v[135:136], v[127:128], v[121:122]
	s_waitcnt vmcnt(2) lgkmcnt(0)
	v_fma_f64 v[121:122], v[141:142], v[123:124], v[121:122]
	s_waitcnt vmcnt(0)
	v_add_f64 v[121:122], v[143:144], -v[121:122]
	buffer_store_dword v122, off, s[0:3], 0 offset:204
	buffer_store_dword v121, off, s[0:3], 0 offset:200
	s_and_saveexec_b64 s[4:5], vcc
	s_cbranch_execz .LBB122_313
; %bb.312:
	buffer_load_dword v121, off, s[0:3], 0 offset:192
	buffer_load_dword v122, off, s[0:3], 0 offset:196
	s_waitcnt vmcnt(0)
	ds_write_b64 v119, v[121:122]
	buffer_store_dword v120, off, s[0:3], 0 offset:192
	buffer_store_dword v120, off, s[0:3], 0 offset:196
.LBB122_313:
	s_or_b64 exec, exec, s[4:5]
	s_waitcnt lgkmcnt(0)
	; wave barrier
	buffer_load_dword v129, off, s[0:3], 0 offset:200
	buffer_load_dword v130, off, s[0:3], 0 offset:204
	;; [unrolled: 1-line block ×21, first 2 shown]
	ds_read2_b64 v[121:124], v120 offset0:85 offset1:86
	ds_read2_b64 v[125:128], v120 offset0:87 offset1:88
	buffer_load_dword v146, off, s[0:3], 0 offset:284
	v_cmp_lt_u32_e32 vcc, 23, v0
	s_waitcnt vmcnt(20) lgkmcnt(1)
	v_fma_f64 v[121:122], v[129:130], v[121:122], 0
	s_waitcnt vmcnt(18)
	v_fma_f64 v[121:122], v[131:132], v[123:124], v[121:122]
	buffer_load_dword v130, off, s[0:3], 0 offset:292
	buffer_load_dword v131, off, s[0:3], 0 offset:312
	;; [unrolled: 1-line block ×7, first 2 shown]
	s_waitcnt vmcnt(23) lgkmcnt(0)
	v_fma_f64 v[121:122], v[133:134], v[125:126], v[121:122]
	s_waitcnt vmcnt(21)
	v_fma_f64 v[132:133], v[135:136], v[127:128], v[121:122]
	ds_read2_b64 v[121:124], v120 offset0:89 offset1:90
	ds_read2_b64 v[125:128], v120 offset0:91 offset1:92
	s_waitcnt vmcnt(19) lgkmcnt(1)
	v_fma_f64 v[121:122], v[137:138], v[121:122], v[132:133]
	buffer_load_dword v132, off, s[0:3], 0 offset:316
	s_waitcnt vmcnt(18)
	v_fma_f64 v[121:122], v[139:140], v[123:124], v[121:122]
	buffer_load_dword v134, off, s[0:3], 0 offset:324
	buffer_load_dword v135, off, s[0:3], 0 offset:344
	;; [unrolled: 1-line block ×8, first 2 shown]
	s_waitcnt vmcnt(24) lgkmcnt(0)
	v_fma_f64 v[121:122], v[141:142], v[125:126], v[121:122]
	s_waitcnt vmcnt(19)
	v_fma_f64 v[141:142], v[143:144], v[127:128], v[121:122]
	ds_read2_b64 v[121:124], v120 offset0:93 offset1:94
	ds_read2_b64 v[125:128], v120 offset0:95 offset1:96
	s_waitcnt vmcnt(18) lgkmcnt(1)
	v_fma_f64 v[121:122], v[149:150], v[121:122], v[141:142]
	s_waitcnt vmcnt(17)
	v_fma_f64 v[121:122], v[147:148], v[123:124], v[121:122]
	buffer_load_dword v142, off, s[0:3], 0 offset:356
	buffer_load_dword v143, off, s[0:3], 0 offset:376
	;; [unrolled: 1-line block ×7, first 2 shown]
	s_waitcnt vmcnt(23) lgkmcnt(0)
	v_fma_f64 v[121:122], v[145:146], v[125:126], v[121:122]
	s_waitcnt vmcnt(18)
	v_fma_f64 v[129:130], v[129:130], v[127:128], v[121:122]
	ds_read2_b64 v[121:124], v120 offset0:97 offset1:98
	ds_read2_b64 v[125:128], v120 offset0:99 offset1:100
	buffer_load_dword v144, off, s[0:3], 0 offset:380
	s_waitcnt vmcnt(18) lgkmcnt(1)
	v_fma_f64 v[121:122], v[153:154], v[121:122], v[129:130]
	s_waitcnt vmcnt(17)
	v_fma_f64 v[121:122], v[151:152], v[123:124], v[121:122]
	buffer_load_dword v130, off, s[0:3], 0 offset:388
	buffer_load_dword v145, off, s[0:3], 0 offset:408
	;; [unrolled: 1-line block ×8, first 2 shown]
	s_waitcnt vmcnt(24) lgkmcnt(0)
	v_fma_f64 v[121:122], v[131:132], v[125:126], v[121:122]
	s_waitcnt vmcnt(19)
	v_fma_f64 v[131:132], v[133:134], v[127:128], v[121:122]
	ds_read2_b64 v[121:124], v120 offset0:101 offset1:102
	ds_read2_b64 v[125:128], v120 offset0:103 offset1:104
	s_waitcnt vmcnt(18) lgkmcnt(1)
	v_fma_f64 v[121:122], v[139:140], v[121:122], v[131:132]
	s_waitcnt vmcnt(17)
	v_fma_f64 v[121:122], v[137:138], v[123:124], v[121:122]
	buffer_load_dword v132, off, s[0:3], 0 offset:420
	buffer_load_dword v133, off, s[0:3], 0 offset:440
	;; [unrolled: 1-line block ×7, first 2 shown]
	s_waitcnt vmcnt(23) lgkmcnt(0)
	v_fma_f64 v[121:122], v[135:136], v[125:126], v[121:122]
	s_waitcnt vmcnt(18)
	v_fma_f64 v[134:135], v[141:142], v[127:128], v[121:122]
	ds_read2_b64 v[121:124], v120 offset0:105 offset1:106
	ds_read2_b64 v[125:128], v120 offset0:107 offset1:108
	s_waitcnt vmcnt(17) lgkmcnt(1)
	v_fma_f64 v[121:122], v[149:150], v[121:122], v[134:135]
	buffer_load_dword v134, off, s[0:3], 0 offset:444
	s_waitcnt vmcnt(17)
	v_fma_f64 v[121:122], v[147:148], v[123:124], v[121:122]
	buffer_load_dword v136, off, s[0:3], 0 offset:452
	buffer_load_dword v141, off, s[0:3], 0 offset:464
	;; [unrolled: 1-line block ×6, first 2 shown]
	s_waitcnt vmcnt(22) lgkmcnt(0)
	v_fma_f64 v[121:122], v[143:144], v[125:126], v[121:122]
	s_waitcnt vmcnt(17)
	v_fma_f64 v[129:130], v[129:130], v[127:128], v[121:122]
	ds_read2_b64 v[121:124], v120 offset0:109 offset1:110
	buffer_load_dword v143, off, s[0:3], 0 offset:192
	buffer_load_dword v144, off, s[0:3], 0 offset:196
	ds_read2_b64 v[125:128], v120 offset0:111 offset1:112
	s_waitcnt vmcnt(18) lgkmcnt(1)
	v_fma_f64 v[121:122], v[153:154], v[121:122], v[129:130]
	s_waitcnt vmcnt(17)
	v_fma_f64 v[121:122], v[151:152], v[123:124], v[121:122]
	s_waitcnt vmcnt(16) lgkmcnt(0)
	v_fma_f64 v[121:122], v[145:146], v[125:126], v[121:122]
	s_waitcnt vmcnt(11)
	v_fma_f64 v[129:130], v[131:132], v[127:128], v[121:122]
	ds_read2_b64 v[121:124], v120 offset0:113 offset1:114
	ds_read2_b64 v[125:128], v120 offset0:115 offset1:116
	s_waitcnt vmcnt(10) lgkmcnt(1)
	v_fma_f64 v[121:122], v[139:140], v[121:122], v[129:130]
	s_waitcnt vmcnt(9)
	v_fma_f64 v[121:122], v[137:138], v[123:124], v[121:122]
	s_waitcnt vmcnt(8) lgkmcnt(0)
	v_fma_f64 v[121:122], v[133:134], v[125:126], v[121:122]
	s_waitcnt vmcnt(4)
	v_fma_f64 v[124:125], v[135:136], v[127:128], v[121:122]
	ds_read2_b64 v[120:123], v120 offset0:117 offset1:118
	s_waitcnt vmcnt(3) lgkmcnt(0)
	v_fma_f64 v[120:121], v[147:148], v[120:121], v[124:125]
	s_waitcnt vmcnt(2)
	v_fma_f64 v[120:121], v[141:142], v[122:123], v[120:121]
	s_waitcnt vmcnt(0)
	v_add_f64 v[120:121], v[143:144], -v[120:121]
	buffer_store_dword v121, off, s[0:3], 0 offset:196
	buffer_store_dword v120, off, s[0:3], 0 offset:192
	s_and_saveexec_b64 s[4:5], vcc
	s_cbranch_execz .LBB122_315
; %bb.314:
	buffer_load_dword v120, off, s[0:3], 0 offset:184
	buffer_load_dword v121, off, s[0:3], 0 offset:188
	v_mov_b32_e32 v122, 0
	buffer_store_dword v122, off, s[0:3], 0 offset:184
	buffer_store_dword v122, off, s[0:3], 0 offset:188
	s_waitcnt vmcnt(2)
	ds_write_b64 v119, v[120:121]
.LBB122_315:
	s_or_b64 exec, exec, s[4:5]
	s_waitcnt lgkmcnt(0)
	; wave barrier
	buffer_load_dword v129, off, s[0:3], 0 offset:192
	buffer_load_dword v130, off, s[0:3], 0 offset:196
	;; [unrolled: 1-line block ×21, first 2 shown]
	v_mov_b32_e32 v120, 0
	ds_read_b128 v[121:124], v120 offset:672
	ds_read_b128 v[125:128], v120 offset:688
	buffer_load_dword v146, off, s[0:3], 0 offset:276
	v_cmp_lt_u32_e32 vcc, 22, v0
	s_waitcnt vmcnt(20) lgkmcnt(1)
	v_fma_f64 v[121:122], v[129:130], v[121:122], 0
	s_waitcnt vmcnt(18)
	v_fma_f64 v[121:122], v[131:132], v[123:124], v[121:122]
	buffer_load_dword v130, off, s[0:3], 0 offset:284
	buffer_load_dword v131, off, s[0:3], 0 offset:304
	;; [unrolled: 1-line block ×7, first 2 shown]
	s_waitcnt vmcnt(23) lgkmcnt(0)
	v_fma_f64 v[121:122], v[133:134], v[125:126], v[121:122]
	s_waitcnt vmcnt(21)
	v_fma_f64 v[132:133], v[135:136], v[127:128], v[121:122]
	ds_read_b128 v[121:124], v120 offset:704
	ds_read_b128 v[125:128], v120 offset:720
	s_waitcnt vmcnt(19) lgkmcnt(1)
	v_fma_f64 v[121:122], v[137:138], v[121:122], v[132:133]
	buffer_load_dword v132, off, s[0:3], 0 offset:308
	s_waitcnt vmcnt(18)
	v_fma_f64 v[121:122], v[139:140], v[123:124], v[121:122]
	buffer_load_dword v134, off, s[0:3], 0 offset:316
	buffer_load_dword v135, off, s[0:3], 0 offset:336
	;; [unrolled: 1-line block ×8, first 2 shown]
	s_waitcnt vmcnt(24) lgkmcnt(0)
	v_fma_f64 v[121:122], v[141:142], v[125:126], v[121:122]
	s_waitcnt vmcnt(19)
	v_fma_f64 v[141:142], v[143:144], v[127:128], v[121:122]
	ds_read_b128 v[121:124], v120 offset:736
	ds_read_b128 v[125:128], v120 offset:752
	s_waitcnt vmcnt(18) lgkmcnt(1)
	v_fma_f64 v[121:122], v[149:150], v[121:122], v[141:142]
	s_waitcnt vmcnt(17)
	v_fma_f64 v[121:122], v[147:148], v[123:124], v[121:122]
	buffer_load_dword v142, off, s[0:3], 0 offset:348
	buffer_load_dword v143, off, s[0:3], 0 offset:368
	;; [unrolled: 1-line block ×7, first 2 shown]
	s_waitcnt vmcnt(23) lgkmcnt(0)
	v_fma_f64 v[121:122], v[145:146], v[125:126], v[121:122]
	s_waitcnt vmcnt(18)
	v_fma_f64 v[129:130], v[129:130], v[127:128], v[121:122]
	ds_read_b128 v[121:124], v120 offset:768
	ds_read_b128 v[125:128], v120 offset:784
	buffer_load_dword v144, off, s[0:3], 0 offset:372
	s_waitcnt vmcnt(18) lgkmcnt(1)
	v_fma_f64 v[121:122], v[153:154], v[121:122], v[129:130]
	s_waitcnt vmcnt(17)
	v_fma_f64 v[121:122], v[151:152], v[123:124], v[121:122]
	buffer_load_dword v130, off, s[0:3], 0 offset:380
	buffer_load_dword v145, off, s[0:3], 0 offset:400
	;; [unrolled: 1-line block ×8, first 2 shown]
	s_waitcnt vmcnt(24) lgkmcnt(0)
	v_fma_f64 v[121:122], v[131:132], v[125:126], v[121:122]
	s_waitcnt vmcnt(19)
	v_fma_f64 v[131:132], v[133:134], v[127:128], v[121:122]
	ds_read_b128 v[121:124], v120 offset:800
	ds_read_b128 v[125:128], v120 offset:816
	s_waitcnt vmcnt(18) lgkmcnt(1)
	v_fma_f64 v[121:122], v[139:140], v[121:122], v[131:132]
	s_waitcnt vmcnt(17)
	v_fma_f64 v[121:122], v[137:138], v[123:124], v[121:122]
	buffer_load_dword v132, off, s[0:3], 0 offset:412
	buffer_load_dword v133, off, s[0:3], 0 offset:432
	buffer_load_dword v137, off, s[0:3], 0 offset:424
	buffer_load_dword v139, off, s[0:3], 0 offset:416
	buffer_load_dword v131, off, s[0:3], 0 offset:408
	buffer_load_dword v140, off, s[0:3], 0 offset:420
	buffer_load_dword v138, off, s[0:3], 0 offset:428
	s_waitcnt vmcnt(23) lgkmcnt(0)
	v_fma_f64 v[121:122], v[135:136], v[125:126], v[121:122]
	s_waitcnt vmcnt(18)
	v_fma_f64 v[134:135], v[141:142], v[127:128], v[121:122]
	ds_read_b128 v[121:124], v120 offset:832
	ds_read_b128 v[125:128], v120 offset:848
	s_waitcnt vmcnt(17) lgkmcnt(1)
	v_fma_f64 v[121:122], v[149:150], v[121:122], v[134:135]
	buffer_load_dword v134, off, s[0:3], 0 offset:436
	s_waitcnt vmcnt(17)
	v_fma_f64 v[121:122], v[147:148], v[123:124], v[121:122]
	buffer_load_dword v136, off, s[0:3], 0 offset:444
	buffer_load_dword v141, off, s[0:3], 0 offset:464
	;; [unrolled: 1-line block ×8, first 2 shown]
	s_waitcnt vmcnt(24) lgkmcnt(0)
	v_fma_f64 v[121:122], v[143:144], v[125:126], v[121:122]
	s_waitcnt vmcnt(19)
	v_fma_f64 v[129:130], v[129:130], v[127:128], v[121:122]
	ds_read_b128 v[121:124], v120 offset:864
	ds_read_b128 v[125:128], v120 offset:880
	s_waitcnt vmcnt(18) lgkmcnt(1)
	v_fma_f64 v[121:122], v[153:154], v[121:122], v[129:130]
	buffer_load_dword v129, off, s[0:3], 0 offset:184
	buffer_load_dword v130, off, s[0:3], 0 offset:188
	s_waitcnt vmcnt(19)
	v_fma_f64 v[121:122], v[151:152], v[123:124], v[121:122]
	s_waitcnt vmcnt(18) lgkmcnt(0)
	v_fma_f64 v[121:122], v[145:146], v[125:126], v[121:122]
	s_waitcnt vmcnt(13)
	v_fma_f64 v[131:132], v[131:132], v[127:128], v[121:122]
	ds_read_b128 v[121:124], v120 offset:896
	ds_read_b128 v[125:128], v120 offset:912
	s_waitcnt vmcnt(12) lgkmcnt(1)
	v_fma_f64 v[121:122], v[139:140], v[121:122], v[131:132]
	s_waitcnt vmcnt(11)
	v_fma_f64 v[121:122], v[137:138], v[123:124], v[121:122]
	s_waitcnt vmcnt(10) lgkmcnt(0)
	v_fma_f64 v[121:122], v[133:134], v[125:126], v[121:122]
	s_waitcnt vmcnt(5)
	v_fma_f64 v[125:126], v[135:136], v[127:128], v[121:122]
	ds_read_b128 v[121:124], v120 offset:928
	ds_read_b64 v[127:128], v120 offset:944
	s_waitcnt vmcnt(4) lgkmcnt(1)
	v_fma_f64 v[121:122], v[149:150], v[121:122], v[125:126]
	s_waitcnt vmcnt(3)
	v_fma_f64 v[121:122], v[147:148], v[123:124], v[121:122]
	s_waitcnt vmcnt(2) lgkmcnt(0)
	v_fma_f64 v[121:122], v[141:142], v[127:128], v[121:122]
	s_waitcnt vmcnt(0)
	v_add_f64 v[121:122], v[129:130], -v[121:122]
	buffer_store_dword v122, off, s[0:3], 0 offset:188
	buffer_store_dword v121, off, s[0:3], 0 offset:184
	s_and_saveexec_b64 s[4:5], vcc
	s_cbranch_execz .LBB122_317
; %bb.316:
	buffer_load_dword v121, off, s[0:3], 0 offset:176
	buffer_load_dword v122, off, s[0:3], 0 offset:180
	s_waitcnt vmcnt(0)
	ds_write_b64 v119, v[121:122]
	buffer_store_dword v120, off, s[0:3], 0 offset:176
	buffer_store_dword v120, off, s[0:3], 0 offset:180
.LBB122_317:
	s_or_b64 exec, exec, s[4:5]
	s_waitcnt lgkmcnt(0)
	; wave barrier
	buffer_load_dword v129, off, s[0:3], 0 offset:184
	buffer_load_dword v130, off, s[0:3], 0 offset:188
	;; [unrolled: 1-line block ×21, first 2 shown]
	ds_read2_b64 v[121:124], v120 offset0:83 offset1:84
	ds_read2_b64 v[125:128], v120 offset0:85 offset1:86
	buffer_load_dword v146, off, s[0:3], 0 offset:268
	v_cmp_lt_u32_e32 vcc, 21, v0
	s_waitcnt vmcnt(20) lgkmcnt(1)
	v_fma_f64 v[121:122], v[129:130], v[121:122], 0
	s_waitcnt vmcnt(18)
	v_fma_f64 v[121:122], v[131:132], v[123:124], v[121:122]
	buffer_load_dword v130, off, s[0:3], 0 offset:276
	buffer_load_dword v131, off, s[0:3], 0 offset:296
	;; [unrolled: 1-line block ×7, first 2 shown]
	s_waitcnt vmcnt(23) lgkmcnt(0)
	v_fma_f64 v[121:122], v[133:134], v[125:126], v[121:122]
	s_waitcnt vmcnt(21)
	v_fma_f64 v[132:133], v[135:136], v[127:128], v[121:122]
	ds_read2_b64 v[121:124], v120 offset0:87 offset1:88
	ds_read2_b64 v[125:128], v120 offset0:89 offset1:90
	s_waitcnt vmcnt(19) lgkmcnt(1)
	v_fma_f64 v[121:122], v[137:138], v[121:122], v[132:133]
	buffer_load_dword v132, off, s[0:3], 0 offset:300
	s_waitcnt vmcnt(18)
	v_fma_f64 v[121:122], v[139:140], v[123:124], v[121:122]
	buffer_load_dword v134, off, s[0:3], 0 offset:308
	buffer_load_dword v135, off, s[0:3], 0 offset:328
	;; [unrolled: 1-line block ×8, first 2 shown]
	s_waitcnt vmcnt(24) lgkmcnt(0)
	v_fma_f64 v[121:122], v[141:142], v[125:126], v[121:122]
	s_waitcnt vmcnt(19)
	v_fma_f64 v[141:142], v[143:144], v[127:128], v[121:122]
	ds_read2_b64 v[121:124], v120 offset0:91 offset1:92
	ds_read2_b64 v[125:128], v120 offset0:93 offset1:94
	s_waitcnt vmcnt(18) lgkmcnt(1)
	v_fma_f64 v[121:122], v[149:150], v[121:122], v[141:142]
	s_waitcnt vmcnt(17)
	v_fma_f64 v[121:122], v[147:148], v[123:124], v[121:122]
	buffer_load_dword v142, off, s[0:3], 0 offset:340
	buffer_load_dword v143, off, s[0:3], 0 offset:360
	;; [unrolled: 1-line block ×7, first 2 shown]
	s_waitcnt vmcnt(23) lgkmcnt(0)
	v_fma_f64 v[121:122], v[145:146], v[125:126], v[121:122]
	s_waitcnt vmcnt(18)
	v_fma_f64 v[129:130], v[129:130], v[127:128], v[121:122]
	ds_read2_b64 v[121:124], v120 offset0:95 offset1:96
	ds_read2_b64 v[125:128], v120 offset0:97 offset1:98
	buffer_load_dword v144, off, s[0:3], 0 offset:364
	s_waitcnt vmcnt(18) lgkmcnt(1)
	v_fma_f64 v[121:122], v[153:154], v[121:122], v[129:130]
	s_waitcnt vmcnt(17)
	v_fma_f64 v[121:122], v[151:152], v[123:124], v[121:122]
	buffer_load_dword v130, off, s[0:3], 0 offset:372
	buffer_load_dword v145, off, s[0:3], 0 offset:392
	;; [unrolled: 1-line block ×8, first 2 shown]
	s_waitcnt vmcnt(24) lgkmcnt(0)
	v_fma_f64 v[121:122], v[131:132], v[125:126], v[121:122]
	s_waitcnt vmcnt(19)
	v_fma_f64 v[131:132], v[133:134], v[127:128], v[121:122]
	ds_read2_b64 v[121:124], v120 offset0:99 offset1:100
	ds_read2_b64 v[125:128], v120 offset0:101 offset1:102
	s_waitcnt vmcnt(18) lgkmcnt(1)
	v_fma_f64 v[121:122], v[139:140], v[121:122], v[131:132]
	s_waitcnt vmcnt(17)
	v_fma_f64 v[121:122], v[137:138], v[123:124], v[121:122]
	buffer_load_dword v132, off, s[0:3], 0 offset:404
	buffer_load_dword v133, off, s[0:3], 0 offset:424
	buffer_load_dword v137, off, s[0:3], 0 offset:416
	buffer_load_dword v139, off, s[0:3], 0 offset:408
	buffer_load_dword v131, off, s[0:3], 0 offset:400
	buffer_load_dword v140, off, s[0:3], 0 offset:412
	buffer_load_dword v138, off, s[0:3], 0 offset:420
	s_waitcnt vmcnt(23) lgkmcnt(0)
	v_fma_f64 v[121:122], v[135:136], v[125:126], v[121:122]
	s_waitcnt vmcnt(18)
	v_fma_f64 v[134:135], v[141:142], v[127:128], v[121:122]
	ds_read2_b64 v[121:124], v120 offset0:103 offset1:104
	ds_read2_b64 v[125:128], v120 offset0:105 offset1:106
	s_waitcnt vmcnt(17) lgkmcnt(1)
	v_fma_f64 v[121:122], v[149:150], v[121:122], v[134:135]
	buffer_load_dword v134, off, s[0:3], 0 offset:428
	s_waitcnt vmcnt(17)
	v_fma_f64 v[121:122], v[147:148], v[123:124], v[121:122]
	buffer_load_dword v136, off, s[0:3], 0 offset:436
	buffer_load_dword v141, off, s[0:3], 0 offset:456
	;; [unrolled: 1-line block ×8, first 2 shown]
	s_waitcnt vmcnt(24) lgkmcnt(0)
	v_fma_f64 v[121:122], v[143:144], v[125:126], v[121:122]
	s_waitcnt vmcnt(19)
	v_fma_f64 v[129:130], v[129:130], v[127:128], v[121:122]
	ds_read2_b64 v[121:124], v120 offset0:107 offset1:108
	ds_read2_b64 v[125:128], v120 offset0:109 offset1:110
	s_waitcnt vmcnt(18) lgkmcnt(1)
	v_fma_f64 v[121:122], v[153:154], v[121:122], v[129:130]
	buffer_load_dword v130, off, s[0:3], 0 offset:468
	buffer_load_dword v129, off, s[0:3], 0 offset:464
	;; [unrolled: 1-line block ×4, first 2 shown]
	s_waitcnt vmcnt(21)
	v_fma_f64 v[121:122], v[151:152], v[123:124], v[121:122]
	s_waitcnt vmcnt(20) lgkmcnt(0)
	v_fma_f64 v[121:122], v[145:146], v[125:126], v[121:122]
	s_waitcnt vmcnt(15)
	v_fma_f64 v[131:132], v[131:132], v[127:128], v[121:122]
	ds_read2_b64 v[121:124], v120 offset0:111 offset1:112
	ds_read2_b64 v[125:128], v120 offset0:113 offset1:114
	s_waitcnt vmcnt(14) lgkmcnt(1)
	v_fma_f64 v[121:122], v[139:140], v[121:122], v[131:132]
	s_waitcnt vmcnt(13)
	v_fma_f64 v[121:122], v[137:138], v[123:124], v[121:122]
	s_waitcnt vmcnt(12) lgkmcnt(0)
	v_fma_f64 v[121:122], v[133:134], v[125:126], v[121:122]
	s_waitcnt vmcnt(7)
	v_fma_f64 v[131:132], v[135:136], v[127:128], v[121:122]
	ds_read2_b64 v[121:124], v120 offset0:115 offset1:116
	ds_read2_b64 v[125:128], v120 offset0:117 offset1:118
	s_waitcnt vmcnt(6) lgkmcnt(1)
	v_fma_f64 v[120:121], v[149:150], v[121:122], v[131:132]
	s_waitcnt vmcnt(5)
	v_fma_f64 v[120:121], v[147:148], v[123:124], v[120:121]
	s_waitcnt vmcnt(4) lgkmcnt(0)
	v_fma_f64 v[120:121], v[141:142], v[125:126], v[120:121]
	s_waitcnt vmcnt(2)
	v_fma_f64 v[120:121], v[129:130], v[127:128], v[120:121]
	s_waitcnt vmcnt(0)
	v_add_f64 v[120:121], v[143:144], -v[120:121]
	buffer_store_dword v121, off, s[0:3], 0 offset:180
	buffer_store_dword v120, off, s[0:3], 0 offset:176
	s_and_saveexec_b64 s[4:5], vcc
	s_cbranch_execz .LBB122_319
; %bb.318:
	buffer_load_dword v120, off, s[0:3], 0 offset:168
	buffer_load_dword v121, off, s[0:3], 0 offset:172
	v_mov_b32_e32 v122, 0
	buffer_store_dword v122, off, s[0:3], 0 offset:168
	buffer_store_dword v122, off, s[0:3], 0 offset:172
	s_waitcnt vmcnt(2)
	ds_write_b64 v119, v[120:121]
.LBB122_319:
	s_or_b64 exec, exec, s[4:5]
	s_waitcnt lgkmcnt(0)
	; wave barrier
	buffer_load_dword v129, off, s[0:3], 0 offset:176
	buffer_load_dword v130, off, s[0:3], 0 offset:180
	;; [unrolled: 1-line block ×21, first 2 shown]
	v_mov_b32_e32 v120, 0
	ds_read_b128 v[121:124], v120 offset:656
	ds_read_b128 v[125:128], v120 offset:672
	buffer_load_dword v146, off, s[0:3], 0 offset:260
	v_cmp_lt_u32_e32 vcc, 20, v0
	s_waitcnt vmcnt(20) lgkmcnt(1)
	v_fma_f64 v[121:122], v[129:130], v[121:122], 0
	s_waitcnt vmcnt(18)
	v_fma_f64 v[121:122], v[131:132], v[123:124], v[121:122]
	buffer_load_dword v130, off, s[0:3], 0 offset:268
	buffer_load_dword v131, off, s[0:3], 0 offset:288
	;; [unrolled: 1-line block ×7, first 2 shown]
	s_waitcnt vmcnt(23) lgkmcnt(0)
	v_fma_f64 v[121:122], v[133:134], v[125:126], v[121:122]
	s_waitcnt vmcnt(21)
	v_fma_f64 v[132:133], v[135:136], v[127:128], v[121:122]
	ds_read_b128 v[121:124], v120 offset:688
	ds_read_b128 v[125:128], v120 offset:704
	s_waitcnt vmcnt(19) lgkmcnt(1)
	v_fma_f64 v[121:122], v[137:138], v[121:122], v[132:133]
	buffer_load_dword v132, off, s[0:3], 0 offset:292
	s_waitcnt vmcnt(18)
	v_fma_f64 v[121:122], v[139:140], v[123:124], v[121:122]
	buffer_load_dword v134, off, s[0:3], 0 offset:300
	buffer_load_dword v135, off, s[0:3], 0 offset:320
	;; [unrolled: 1-line block ×8, first 2 shown]
	s_waitcnt vmcnt(24) lgkmcnt(0)
	v_fma_f64 v[121:122], v[141:142], v[125:126], v[121:122]
	s_waitcnt vmcnt(19)
	v_fma_f64 v[141:142], v[143:144], v[127:128], v[121:122]
	ds_read_b128 v[121:124], v120 offset:720
	ds_read_b128 v[125:128], v120 offset:736
	s_waitcnt vmcnt(18) lgkmcnt(1)
	v_fma_f64 v[121:122], v[149:150], v[121:122], v[141:142]
	s_waitcnt vmcnt(17)
	v_fma_f64 v[121:122], v[147:148], v[123:124], v[121:122]
	buffer_load_dword v142, off, s[0:3], 0 offset:332
	buffer_load_dword v143, off, s[0:3], 0 offset:352
	;; [unrolled: 1-line block ×7, first 2 shown]
	s_waitcnt vmcnt(23) lgkmcnt(0)
	v_fma_f64 v[121:122], v[145:146], v[125:126], v[121:122]
	s_waitcnt vmcnt(18)
	v_fma_f64 v[129:130], v[129:130], v[127:128], v[121:122]
	ds_read_b128 v[121:124], v120 offset:752
	ds_read_b128 v[125:128], v120 offset:768
	buffer_load_dword v144, off, s[0:3], 0 offset:356
	s_waitcnt vmcnt(18) lgkmcnt(1)
	v_fma_f64 v[121:122], v[153:154], v[121:122], v[129:130]
	s_waitcnt vmcnt(17)
	v_fma_f64 v[121:122], v[151:152], v[123:124], v[121:122]
	buffer_load_dword v130, off, s[0:3], 0 offset:364
	buffer_load_dword v145, off, s[0:3], 0 offset:384
	;; [unrolled: 1-line block ×7, first 2 shown]
	s_waitcnt vmcnt(23) lgkmcnt(0)
	v_fma_f64 v[121:122], v[131:132], v[125:126], v[121:122]
	s_waitcnt vmcnt(18)
	v_fma_f64 v[131:132], v[133:134], v[127:128], v[121:122]
	ds_read_b128 v[121:124], v120 offset:784
	ds_read_b128 v[125:128], v120 offset:800
	buffer_load_dword v146, off, s[0:3], 0 offset:388
	s_waitcnt vmcnt(18) lgkmcnt(1)
	v_fma_f64 v[121:122], v[139:140], v[121:122], v[131:132]
	s_waitcnt vmcnt(17)
	v_fma_f64 v[121:122], v[137:138], v[123:124], v[121:122]
	buffer_load_dword v132, off, s[0:3], 0 offset:396
	buffer_load_dword v133, off, s[0:3], 0 offset:416
	;; [unrolled: 1-line block ×7, first 2 shown]
	s_waitcnt vmcnt(23) lgkmcnt(0)
	v_fma_f64 v[121:122], v[135:136], v[125:126], v[121:122]
	s_waitcnt vmcnt(18)
	v_fma_f64 v[134:135], v[141:142], v[127:128], v[121:122]
	ds_read_b128 v[121:124], v120 offset:816
	ds_read_b128 v[125:128], v120 offset:832
	s_waitcnt vmcnt(17) lgkmcnt(1)
	v_fma_f64 v[121:122], v[149:150], v[121:122], v[134:135]
	buffer_load_dword v134, off, s[0:3], 0 offset:420
	s_waitcnt vmcnt(17)
	v_fma_f64 v[121:122], v[147:148], v[123:124], v[121:122]
	buffer_load_dword v136, off, s[0:3], 0 offset:428
	buffer_load_dword v141, off, s[0:3], 0 offset:448
	buffer_load_dword v147, off, s[0:3], 0 offset:440
	buffer_load_dword v149, off, s[0:3], 0 offset:432
	buffer_load_dword v135, off, s[0:3], 0 offset:424
	buffer_load_dword v150, off, s[0:3], 0 offset:436
	buffer_load_dword v148, off, s[0:3], 0 offset:444
	s_waitcnt vmcnt(23) lgkmcnt(0)
	v_fma_f64 v[121:122], v[143:144], v[125:126], v[121:122]
	s_waitcnt vmcnt(18)
	v_fma_f64 v[129:130], v[129:130], v[127:128], v[121:122]
	ds_read_b128 v[121:124], v120 offset:848
	ds_read_b128 v[125:128], v120 offset:864
	buffer_load_dword v142, off, s[0:3], 0 offset:452
	s_waitcnt vmcnt(18) lgkmcnt(1)
	v_fma_f64 v[121:122], v[153:154], v[121:122], v[129:130]
	buffer_load_dword v130, off, s[0:3], 0 offset:460
	buffer_load_dword v143, off, s[0:3], 0 offset:464
	;; [unrolled: 1-line block ×4, first 2 shown]
	s_waitcnt vmcnt(21)
	v_fma_f64 v[121:122], v[151:152], v[123:124], v[121:122]
	s_waitcnt vmcnt(20) lgkmcnt(0)
	v_fma_f64 v[121:122], v[145:146], v[125:126], v[121:122]
	buffer_load_dword v145, off, s[0:3], 0 offset:168
	buffer_load_dword v146, off, s[0:3], 0 offset:172
	s_waitcnt vmcnt(17)
	v_fma_f64 v[131:132], v[131:132], v[127:128], v[121:122]
	ds_read_b128 v[121:124], v120 offset:880
	ds_read_b128 v[125:128], v120 offset:896
	s_waitcnt vmcnt(16) lgkmcnt(1)
	v_fma_f64 v[121:122], v[139:140], v[121:122], v[131:132]
	s_waitcnt vmcnt(15)
	v_fma_f64 v[121:122], v[137:138], v[123:124], v[121:122]
	s_waitcnt vmcnt(14) lgkmcnt(0)
	v_fma_f64 v[121:122], v[133:134], v[125:126], v[121:122]
	s_waitcnt vmcnt(9)
	v_fma_f64 v[131:132], v[135:136], v[127:128], v[121:122]
	ds_read_b128 v[121:124], v120 offset:912
	ds_read_b128 v[125:128], v120 offset:928
	s_waitcnt vmcnt(8) lgkmcnt(1)
	v_fma_f64 v[121:122], v[149:150], v[121:122], v[131:132]
	s_waitcnt vmcnt(7)
	v_fma_f64 v[121:122], v[147:148], v[123:124], v[121:122]
	ds_read_b64 v[123:124], v120 offset:944
	s_waitcnt vmcnt(6) lgkmcnt(1)
	v_fma_f64 v[121:122], v[141:142], v[125:126], v[121:122]
	s_waitcnt vmcnt(3)
	v_fma_f64 v[121:122], v[129:130], v[127:128], v[121:122]
	s_waitcnt vmcnt(2) lgkmcnt(0)
	v_fma_f64 v[121:122], v[143:144], v[123:124], v[121:122]
	s_waitcnt vmcnt(0)
	v_add_f64 v[121:122], v[145:146], -v[121:122]
	buffer_store_dword v122, off, s[0:3], 0 offset:172
	buffer_store_dword v121, off, s[0:3], 0 offset:168
	s_and_saveexec_b64 s[4:5], vcc
	s_cbranch_execz .LBB122_321
; %bb.320:
	buffer_load_dword v121, off, s[0:3], 0 offset:160
	buffer_load_dword v122, off, s[0:3], 0 offset:164
	s_waitcnt vmcnt(0)
	ds_write_b64 v119, v[121:122]
	buffer_store_dword v120, off, s[0:3], 0 offset:160
	buffer_store_dword v120, off, s[0:3], 0 offset:164
.LBB122_321:
	s_or_b64 exec, exec, s[4:5]
	s_waitcnt lgkmcnt(0)
	; wave barrier
	buffer_load_dword v129, off, s[0:3], 0 offset:168
	buffer_load_dword v130, off, s[0:3], 0 offset:172
	;; [unrolled: 1-line block ×22, first 2 shown]
	ds_read2_b64 v[121:124], v120 offset0:81 offset1:82
	ds_read2_b64 v[125:128], v120 offset0:83 offset1:84
	v_cmp_lt_u32_e32 vcc, 19, v0
	s_waitcnt vmcnt(20) lgkmcnt(1)
	v_fma_f64 v[121:122], v[129:130], v[121:122], 0
	s_waitcnt vmcnt(18)
	v_fma_f64 v[121:122], v[131:132], v[123:124], v[121:122]
	buffer_load_dword v130, off, s[0:3], 0 offset:260
	buffer_load_dword v131, off, s[0:3], 0 offset:280
	;; [unrolled: 1-line block ×7, first 2 shown]
	s_waitcnt vmcnt(23) lgkmcnt(0)
	v_fma_f64 v[121:122], v[133:134], v[125:126], v[121:122]
	s_waitcnt vmcnt(21)
	v_fma_f64 v[132:133], v[135:136], v[127:128], v[121:122]
	ds_read2_b64 v[121:124], v120 offset0:85 offset1:86
	ds_read2_b64 v[125:128], v120 offset0:87 offset1:88
	s_waitcnt vmcnt(19) lgkmcnt(1)
	v_fma_f64 v[121:122], v[137:138], v[121:122], v[132:133]
	buffer_load_dword v132, off, s[0:3], 0 offset:284
	s_waitcnt vmcnt(18)
	v_fma_f64 v[121:122], v[139:140], v[123:124], v[121:122]
	buffer_load_dword v134, off, s[0:3], 0 offset:292
	buffer_load_dword v135, off, s[0:3], 0 offset:312
	;; [unrolled: 1-line block ×8, first 2 shown]
	s_waitcnt vmcnt(24) lgkmcnt(0)
	v_fma_f64 v[121:122], v[141:142], v[125:126], v[121:122]
	s_waitcnt vmcnt(19)
	v_fma_f64 v[141:142], v[143:144], v[127:128], v[121:122]
	ds_read2_b64 v[121:124], v120 offset0:89 offset1:90
	ds_read2_b64 v[125:128], v120 offset0:91 offset1:92
	s_waitcnt vmcnt(18) lgkmcnt(1)
	v_fma_f64 v[121:122], v[149:150], v[121:122], v[141:142]
	s_waitcnt vmcnt(17)
	v_fma_f64 v[121:122], v[147:148], v[123:124], v[121:122]
	buffer_load_dword v142, off, s[0:3], 0 offset:324
	buffer_load_dword v143, off, s[0:3], 0 offset:344
	;; [unrolled: 1-line block ×8, first 2 shown]
	s_waitcnt vmcnt(24) lgkmcnt(0)
	v_fma_f64 v[121:122], v[145:146], v[125:126], v[121:122]
	s_waitcnt vmcnt(19)
	v_fma_f64 v[129:130], v[129:130], v[127:128], v[121:122]
	ds_read2_b64 v[121:124], v120 offset0:93 offset1:94
	ds_read2_b64 v[125:128], v120 offset0:95 offset1:96
	s_waitcnt vmcnt(18) lgkmcnt(1)
	v_fma_f64 v[121:122], v[153:154], v[121:122], v[129:130]
	s_waitcnt vmcnt(17)
	v_fma_f64 v[121:122], v[151:152], v[123:124], v[121:122]
	buffer_load_dword v130, off, s[0:3], 0 offset:356
	buffer_load_dword v145, off, s[0:3], 0 offset:376
	;; [unrolled: 1-line block ×7, first 2 shown]
	s_waitcnt vmcnt(23) lgkmcnt(0)
	v_fma_f64 v[121:122], v[131:132], v[125:126], v[121:122]
	s_waitcnt vmcnt(18)
	v_fma_f64 v[131:132], v[133:134], v[127:128], v[121:122]
	ds_read2_b64 v[121:124], v120 offset0:97 offset1:98
	ds_read2_b64 v[125:128], v120 offset0:99 offset1:100
	buffer_load_dword v146, off, s[0:3], 0 offset:380
	s_waitcnt vmcnt(18) lgkmcnt(1)
	v_fma_f64 v[121:122], v[139:140], v[121:122], v[131:132]
	s_waitcnt vmcnt(17)
	v_fma_f64 v[121:122], v[137:138], v[123:124], v[121:122]
	buffer_load_dword v132, off, s[0:3], 0 offset:388
	buffer_load_dword v133, off, s[0:3], 0 offset:408
	buffer_load_dword v137, off, s[0:3], 0 offset:400
	buffer_load_dword v139, off, s[0:3], 0 offset:392
	buffer_load_dword v131, off, s[0:3], 0 offset:384
	buffer_load_dword v140, off, s[0:3], 0 offset:396
	buffer_load_dword v138, off, s[0:3], 0 offset:404
	s_waitcnt vmcnt(23) lgkmcnt(0)
	v_fma_f64 v[121:122], v[135:136], v[125:126], v[121:122]
	s_waitcnt vmcnt(18)
	v_fma_f64 v[134:135], v[141:142], v[127:128], v[121:122]
	ds_read2_b64 v[121:124], v120 offset0:101 offset1:102
	ds_read2_b64 v[125:128], v120 offset0:103 offset1:104
	s_waitcnt vmcnt(17) lgkmcnt(1)
	v_fma_f64 v[121:122], v[149:150], v[121:122], v[134:135]
	buffer_load_dword v134, off, s[0:3], 0 offset:412
	s_waitcnt vmcnt(17)
	v_fma_f64 v[121:122], v[147:148], v[123:124], v[121:122]
	buffer_load_dword v136, off, s[0:3], 0 offset:420
	buffer_load_dword v141, off, s[0:3], 0 offset:440
	;; [unrolled: 1-line block ×8, first 2 shown]
	s_waitcnt vmcnt(24) lgkmcnt(0)
	v_fma_f64 v[121:122], v[143:144], v[125:126], v[121:122]
	s_waitcnt vmcnt(19)
	v_fma_f64 v[129:130], v[129:130], v[127:128], v[121:122]
	ds_read2_b64 v[121:124], v120 offset0:105 offset1:106
	ds_read2_b64 v[125:128], v120 offset0:107 offset1:108
	s_waitcnt vmcnt(18) lgkmcnt(1)
	v_fma_f64 v[121:122], v[153:154], v[121:122], v[129:130]
	s_waitcnt vmcnt(17)
	v_fma_f64 v[121:122], v[151:152], v[123:124], v[121:122]
	buffer_load_dword v130, off, s[0:3], 0 offset:452
	buffer_load_dword v143, off, s[0:3], 0 offset:464
	buffer_load_dword v151, off, s[0:3], 0 offset:456
	buffer_load_dword v129, off, s[0:3], 0 offset:448
	buffer_load_dword v152, off, s[0:3], 0 offset:460
	buffer_load_dword v144, off, s[0:3], 0 offset:468
	s_waitcnt vmcnt(22) lgkmcnt(0)
	v_fma_f64 v[121:122], v[145:146], v[125:126], v[121:122]
	s_waitcnt vmcnt(17)
	v_fma_f64 v[131:132], v[131:132], v[127:128], v[121:122]
	ds_read2_b64 v[121:124], v120 offset0:109 offset1:110
	buffer_load_dword v145, off, s[0:3], 0 offset:160
	buffer_load_dword v146, off, s[0:3], 0 offset:164
	ds_read2_b64 v[125:128], v120 offset0:111 offset1:112
	s_waitcnt vmcnt(18) lgkmcnt(1)
	v_fma_f64 v[121:122], v[139:140], v[121:122], v[131:132]
	s_waitcnt vmcnt(17)
	v_fma_f64 v[121:122], v[137:138], v[123:124], v[121:122]
	s_waitcnt vmcnt(16) lgkmcnt(0)
	v_fma_f64 v[121:122], v[133:134], v[125:126], v[121:122]
	s_waitcnt vmcnt(11)
	v_fma_f64 v[131:132], v[135:136], v[127:128], v[121:122]
	ds_read2_b64 v[121:124], v120 offset0:113 offset1:114
	ds_read2_b64 v[125:128], v120 offset0:115 offset1:116
	s_waitcnt vmcnt(10) lgkmcnt(1)
	v_fma_f64 v[121:122], v[149:150], v[121:122], v[131:132]
	s_waitcnt vmcnt(9)
	v_fma_f64 v[121:122], v[147:148], v[123:124], v[121:122]
	s_waitcnt vmcnt(8) lgkmcnt(0)
	v_fma_f64 v[121:122], v[141:142], v[125:126], v[121:122]
	s_waitcnt vmcnt(4)
	v_fma_f64 v[124:125], v[129:130], v[127:128], v[121:122]
	ds_read2_b64 v[120:123], v120 offset0:117 offset1:118
	s_waitcnt vmcnt(3) lgkmcnt(0)
	v_fma_f64 v[120:121], v[151:152], v[120:121], v[124:125]
	s_waitcnt vmcnt(2)
	v_fma_f64 v[120:121], v[143:144], v[122:123], v[120:121]
	s_waitcnt vmcnt(0)
	v_add_f64 v[120:121], v[145:146], -v[120:121]
	buffer_store_dword v121, off, s[0:3], 0 offset:164
	buffer_store_dword v120, off, s[0:3], 0 offset:160
	s_and_saveexec_b64 s[4:5], vcc
	s_cbranch_execz .LBB122_323
; %bb.322:
	buffer_load_dword v120, off, s[0:3], 0 offset:152
	buffer_load_dword v121, off, s[0:3], 0 offset:156
	v_mov_b32_e32 v122, 0
	buffer_store_dword v122, off, s[0:3], 0 offset:152
	buffer_store_dword v122, off, s[0:3], 0 offset:156
	s_waitcnt vmcnt(2)
	ds_write_b64 v119, v[120:121]
.LBB122_323:
	s_or_b64 exec, exec, s[4:5]
	s_waitcnt lgkmcnt(0)
	; wave barrier
	buffer_load_dword v129, off, s[0:3], 0 offset:160
	buffer_load_dword v130, off, s[0:3], 0 offset:164
	buffer_load_dword v131, off, s[0:3], 0 offset:168
	buffer_load_dword v132, off, s[0:3], 0 offset:172
	buffer_load_dword v133, off, s[0:3], 0 offset:176
	buffer_load_dword v134, off, s[0:3], 0 offset:180
	buffer_load_dword v135, off, s[0:3], 0 offset:184
	buffer_load_dword v136, off, s[0:3], 0 offset:188
	buffer_load_dword v137, off, s[0:3], 0 offset:192
	buffer_load_dword v138, off, s[0:3], 0 offset:196
	buffer_load_dword v139, off, s[0:3], 0 offset:200
	buffer_load_dword v140, off, s[0:3], 0 offset:204
	buffer_load_dword v141, off, s[0:3], 0 offset:208
	buffer_load_dword v142, off, s[0:3], 0 offset:212
	buffer_load_dword v144, off, s[0:3], 0 offset:220
	buffer_load_dword v145, off, s[0:3], 0 offset:240
	buffer_load_dword v147, off, s[0:3], 0 offset:232
	buffer_load_dword v149, off, s[0:3], 0 offset:224
	buffer_load_dword v143, off, s[0:3], 0 offset:216
	buffer_load_dword v150, off, s[0:3], 0 offset:228
	buffer_load_dword v148, off, s[0:3], 0 offset:236
	buffer_load_dword v146, off, s[0:3], 0 offset:244
	v_mov_b32_e32 v120, 0
	ds_read_b128 v[121:124], v120 offset:640
	ds_read_b128 v[125:128], v120 offset:656
	v_cmp_lt_u32_e32 vcc, 18, v0
	s_waitcnt vmcnt(20) lgkmcnt(1)
	v_fma_f64 v[121:122], v[129:130], v[121:122], 0
	s_waitcnt vmcnt(18)
	v_fma_f64 v[121:122], v[131:132], v[123:124], v[121:122]
	buffer_load_dword v130, off, s[0:3], 0 offset:252
	buffer_load_dword v131, off, s[0:3], 0 offset:272
	;; [unrolled: 1-line block ×7, first 2 shown]
	s_waitcnt vmcnt(23) lgkmcnt(0)
	v_fma_f64 v[121:122], v[133:134], v[125:126], v[121:122]
	s_waitcnt vmcnt(21)
	v_fma_f64 v[132:133], v[135:136], v[127:128], v[121:122]
	ds_read_b128 v[121:124], v120 offset:672
	ds_read_b128 v[125:128], v120 offset:688
	s_waitcnt vmcnt(19) lgkmcnt(1)
	v_fma_f64 v[121:122], v[137:138], v[121:122], v[132:133]
	buffer_load_dword v132, off, s[0:3], 0 offset:276
	s_waitcnt vmcnt(18)
	v_fma_f64 v[121:122], v[139:140], v[123:124], v[121:122]
	buffer_load_dword v134, off, s[0:3], 0 offset:284
	buffer_load_dword v135, off, s[0:3], 0 offset:304
	;; [unrolled: 1-line block ×8, first 2 shown]
	s_waitcnt vmcnt(24) lgkmcnt(0)
	v_fma_f64 v[121:122], v[141:142], v[125:126], v[121:122]
	s_waitcnt vmcnt(19)
	v_fma_f64 v[141:142], v[143:144], v[127:128], v[121:122]
	ds_read_b128 v[121:124], v120 offset:704
	ds_read_b128 v[125:128], v120 offset:720
	s_waitcnt vmcnt(18) lgkmcnt(1)
	v_fma_f64 v[121:122], v[149:150], v[121:122], v[141:142]
	s_waitcnt vmcnt(17)
	v_fma_f64 v[121:122], v[147:148], v[123:124], v[121:122]
	buffer_load_dword v142, off, s[0:3], 0 offset:316
	buffer_load_dword v143, off, s[0:3], 0 offset:336
	;; [unrolled: 1-line block ×8, first 2 shown]
	s_waitcnt vmcnt(24) lgkmcnt(0)
	v_fma_f64 v[121:122], v[145:146], v[125:126], v[121:122]
	s_waitcnt vmcnt(19)
	v_fma_f64 v[129:130], v[129:130], v[127:128], v[121:122]
	ds_read_b128 v[121:124], v120 offset:736
	ds_read_b128 v[125:128], v120 offset:752
	s_waitcnt vmcnt(18) lgkmcnt(1)
	v_fma_f64 v[121:122], v[153:154], v[121:122], v[129:130]
	s_waitcnt vmcnt(17)
	v_fma_f64 v[121:122], v[151:152], v[123:124], v[121:122]
	buffer_load_dword v130, off, s[0:3], 0 offset:348
	buffer_load_dword v145, off, s[0:3], 0 offset:368
	;; [unrolled: 1-line block ×7, first 2 shown]
	s_waitcnt vmcnt(23) lgkmcnt(0)
	v_fma_f64 v[121:122], v[131:132], v[125:126], v[121:122]
	s_waitcnt vmcnt(18)
	v_fma_f64 v[131:132], v[133:134], v[127:128], v[121:122]
	ds_read_b128 v[121:124], v120 offset:768
	ds_read_b128 v[125:128], v120 offset:784
	buffer_load_dword v146, off, s[0:3], 0 offset:372
	s_waitcnt vmcnt(18) lgkmcnt(1)
	v_fma_f64 v[121:122], v[139:140], v[121:122], v[131:132]
	s_waitcnt vmcnt(17)
	v_fma_f64 v[121:122], v[137:138], v[123:124], v[121:122]
	buffer_load_dword v132, off, s[0:3], 0 offset:380
	buffer_load_dword v133, off, s[0:3], 0 offset:400
	;; [unrolled: 1-line block ×7, first 2 shown]
	s_waitcnt vmcnt(23) lgkmcnt(0)
	v_fma_f64 v[121:122], v[135:136], v[125:126], v[121:122]
	s_waitcnt vmcnt(18)
	v_fma_f64 v[134:135], v[141:142], v[127:128], v[121:122]
	ds_read_b128 v[121:124], v120 offset:800
	ds_read_b128 v[125:128], v120 offset:816
	s_waitcnt vmcnt(17) lgkmcnt(1)
	v_fma_f64 v[121:122], v[149:150], v[121:122], v[134:135]
	buffer_load_dword v134, off, s[0:3], 0 offset:404
	s_waitcnt vmcnt(17)
	v_fma_f64 v[121:122], v[147:148], v[123:124], v[121:122]
	buffer_load_dword v136, off, s[0:3], 0 offset:412
	buffer_load_dword v141, off, s[0:3], 0 offset:432
	;; [unrolled: 1-line block ×8, first 2 shown]
	s_waitcnt vmcnt(24) lgkmcnt(0)
	v_fma_f64 v[121:122], v[143:144], v[125:126], v[121:122]
	s_waitcnt vmcnt(19)
	v_fma_f64 v[129:130], v[129:130], v[127:128], v[121:122]
	ds_read_b128 v[121:124], v120 offset:832
	ds_read_b128 v[125:128], v120 offset:848
	s_waitcnt vmcnt(18) lgkmcnt(1)
	v_fma_f64 v[121:122], v[153:154], v[121:122], v[129:130]
	s_waitcnt vmcnt(17)
	v_fma_f64 v[121:122], v[151:152], v[123:124], v[121:122]
	buffer_load_dword v130, off, s[0:3], 0 offset:444
	buffer_load_dword v143, off, s[0:3], 0 offset:464
	;; [unrolled: 1-line block ×8, first 2 shown]
	s_waitcnt vmcnt(24) lgkmcnt(0)
	v_fma_f64 v[121:122], v[145:146], v[125:126], v[121:122]
	s_waitcnt vmcnt(19)
	v_fma_f64 v[131:132], v[131:132], v[127:128], v[121:122]
	ds_read_b128 v[121:124], v120 offset:864
	ds_read_b128 v[125:128], v120 offset:880
	s_waitcnt vmcnt(18) lgkmcnt(1)
	v_fma_f64 v[121:122], v[139:140], v[121:122], v[131:132]
	buffer_load_dword v131, off, s[0:3], 0 offset:152
	buffer_load_dword v132, off, s[0:3], 0 offset:156
	s_waitcnt vmcnt(19)
	v_fma_f64 v[121:122], v[137:138], v[123:124], v[121:122]
	s_waitcnt vmcnt(18) lgkmcnt(0)
	v_fma_f64 v[121:122], v[133:134], v[125:126], v[121:122]
	s_waitcnt vmcnt(13)
	v_fma_f64 v[133:134], v[135:136], v[127:128], v[121:122]
	ds_read_b128 v[121:124], v120 offset:896
	ds_read_b128 v[125:128], v120 offset:912
	s_waitcnt vmcnt(12) lgkmcnt(1)
	v_fma_f64 v[121:122], v[149:150], v[121:122], v[133:134]
	s_waitcnt vmcnt(11)
	v_fma_f64 v[121:122], v[147:148], v[123:124], v[121:122]
	s_waitcnt vmcnt(10) lgkmcnt(0)
	v_fma_f64 v[121:122], v[141:142], v[125:126], v[121:122]
	s_waitcnt vmcnt(5)
	v_fma_f64 v[125:126], v[129:130], v[127:128], v[121:122]
	ds_read_b128 v[121:124], v120 offset:928
	ds_read_b64 v[127:128], v120 offset:944
	s_waitcnt vmcnt(4) lgkmcnt(1)
	v_fma_f64 v[121:122], v[153:154], v[121:122], v[125:126]
	s_waitcnt vmcnt(3)
	v_fma_f64 v[121:122], v[151:152], v[123:124], v[121:122]
	s_waitcnt vmcnt(2) lgkmcnt(0)
	v_fma_f64 v[121:122], v[143:144], v[127:128], v[121:122]
	s_waitcnt vmcnt(0)
	v_add_f64 v[121:122], v[131:132], -v[121:122]
	buffer_store_dword v122, off, s[0:3], 0 offset:156
	buffer_store_dword v121, off, s[0:3], 0 offset:152
	s_and_saveexec_b64 s[4:5], vcc
	s_cbranch_execz .LBB122_325
; %bb.324:
	buffer_load_dword v121, off, s[0:3], 0 offset:144
	buffer_load_dword v122, off, s[0:3], 0 offset:148
	s_waitcnt vmcnt(0)
	ds_write_b64 v119, v[121:122]
	buffer_store_dword v120, off, s[0:3], 0 offset:144
	buffer_store_dword v120, off, s[0:3], 0 offset:148
.LBB122_325:
	s_or_b64 exec, exec, s[4:5]
	s_waitcnt lgkmcnt(0)
	; wave barrier
	buffer_load_dword v129, off, s[0:3], 0 offset:152
	buffer_load_dword v130, off, s[0:3], 0 offset:156
	;; [unrolled: 1-line block ×22, first 2 shown]
	ds_read2_b64 v[121:124], v120 offset0:79 offset1:80
	ds_read2_b64 v[125:128], v120 offset0:81 offset1:82
	v_cmp_lt_u32_e32 vcc, 17, v0
	s_waitcnt vmcnt(20) lgkmcnt(1)
	v_fma_f64 v[121:122], v[129:130], v[121:122], 0
	s_waitcnt vmcnt(18)
	v_fma_f64 v[121:122], v[131:132], v[123:124], v[121:122]
	buffer_load_dword v130, off, s[0:3], 0 offset:244
	buffer_load_dword v131, off, s[0:3], 0 offset:264
	;; [unrolled: 1-line block ×7, first 2 shown]
	s_waitcnt vmcnt(23) lgkmcnt(0)
	v_fma_f64 v[121:122], v[133:134], v[125:126], v[121:122]
	s_waitcnt vmcnt(21)
	v_fma_f64 v[132:133], v[135:136], v[127:128], v[121:122]
	ds_read2_b64 v[121:124], v120 offset0:83 offset1:84
	ds_read2_b64 v[125:128], v120 offset0:85 offset1:86
	s_waitcnt vmcnt(19) lgkmcnt(1)
	v_fma_f64 v[121:122], v[137:138], v[121:122], v[132:133]
	buffer_load_dword v132, off, s[0:3], 0 offset:268
	s_waitcnt vmcnt(18)
	v_fma_f64 v[121:122], v[139:140], v[123:124], v[121:122]
	buffer_load_dword v134, off, s[0:3], 0 offset:276
	buffer_load_dword v135, off, s[0:3], 0 offset:296
	;; [unrolled: 1-line block ×8, first 2 shown]
	s_waitcnt vmcnt(24) lgkmcnt(0)
	v_fma_f64 v[121:122], v[141:142], v[125:126], v[121:122]
	s_waitcnt vmcnt(19)
	v_fma_f64 v[141:142], v[143:144], v[127:128], v[121:122]
	ds_read2_b64 v[121:124], v120 offset0:87 offset1:88
	ds_read2_b64 v[125:128], v120 offset0:89 offset1:90
	s_waitcnt vmcnt(18) lgkmcnt(1)
	v_fma_f64 v[121:122], v[149:150], v[121:122], v[141:142]
	s_waitcnt vmcnt(17)
	v_fma_f64 v[121:122], v[147:148], v[123:124], v[121:122]
	buffer_load_dword v142, off, s[0:3], 0 offset:308
	buffer_load_dword v143, off, s[0:3], 0 offset:328
	;; [unrolled: 1-line block ×8, first 2 shown]
	s_waitcnt vmcnt(24) lgkmcnt(0)
	v_fma_f64 v[121:122], v[145:146], v[125:126], v[121:122]
	s_waitcnt vmcnt(19)
	v_fma_f64 v[129:130], v[129:130], v[127:128], v[121:122]
	ds_read2_b64 v[121:124], v120 offset0:91 offset1:92
	ds_read2_b64 v[125:128], v120 offset0:93 offset1:94
	s_waitcnt vmcnt(18) lgkmcnt(1)
	v_fma_f64 v[121:122], v[153:154], v[121:122], v[129:130]
	s_waitcnt vmcnt(17)
	v_fma_f64 v[121:122], v[151:152], v[123:124], v[121:122]
	buffer_load_dword v130, off, s[0:3], 0 offset:340
	buffer_load_dword v145, off, s[0:3], 0 offset:360
	;; [unrolled: 1-line block ×7, first 2 shown]
	s_waitcnt vmcnt(23) lgkmcnt(0)
	v_fma_f64 v[121:122], v[131:132], v[125:126], v[121:122]
	s_waitcnt vmcnt(18)
	v_fma_f64 v[131:132], v[133:134], v[127:128], v[121:122]
	ds_read2_b64 v[121:124], v120 offset0:95 offset1:96
	ds_read2_b64 v[125:128], v120 offset0:97 offset1:98
	buffer_load_dword v146, off, s[0:3], 0 offset:364
	s_waitcnt vmcnt(18) lgkmcnt(1)
	v_fma_f64 v[121:122], v[139:140], v[121:122], v[131:132]
	s_waitcnt vmcnt(17)
	v_fma_f64 v[121:122], v[137:138], v[123:124], v[121:122]
	buffer_load_dword v132, off, s[0:3], 0 offset:372
	buffer_load_dword v133, off, s[0:3], 0 offset:392
	;; [unrolled: 1-line block ×7, first 2 shown]
	s_waitcnt vmcnt(23) lgkmcnt(0)
	v_fma_f64 v[121:122], v[135:136], v[125:126], v[121:122]
	s_waitcnt vmcnt(18)
	v_fma_f64 v[134:135], v[141:142], v[127:128], v[121:122]
	ds_read2_b64 v[121:124], v120 offset0:99 offset1:100
	ds_read2_b64 v[125:128], v120 offset0:101 offset1:102
	s_waitcnt vmcnt(17) lgkmcnt(1)
	v_fma_f64 v[121:122], v[149:150], v[121:122], v[134:135]
	buffer_load_dword v134, off, s[0:3], 0 offset:396
	s_waitcnt vmcnt(17)
	v_fma_f64 v[121:122], v[147:148], v[123:124], v[121:122]
	buffer_load_dword v136, off, s[0:3], 0 offset:404
	buffer_load_dword v141, off, s[0:3], 0 offset:424
	;; [unrolled: 1-line block ×8, first 2 shown]
	s_waitcnt vmcnt(24) lgkmcnt(0)
	v_fma_f64 v[121:122], v[143:144], v[125:126], v[121:122]
	s_waitcnt vmcnt(19)
	v_fma_f64 v[129:130], v[129:130], v[127:128], v[121:122]
	ds_read2_b64 v[121:124], v120 offset0:103 offset1:104
	ds_read2_b64 v[125:128], v120 offset0:105 offset1:106
	s_waitcnt vmcnt(18) lgkmcnt(1)
	v_fma_f64 v[121:122], v[153:154], v[121:122], v[129:130]
	s_waitcnt vmcnt(17)
	v_fma_f64 v[121:122], v[151:152], v[123:124], v[121:122]
	buffer_load_dword v130, off, s[0:3], 0 offset:436
	buffer_load_dword v143, off, s[0:3], 0 offset:456
	;; [unrolled: 1-line block ×8, first 2 shown]
	s_waitcnt vmcnt(24) lgkmcnt(0)
	v_fma_f64 v[121:122], v[145:146], v[125:126], v[121:122]
	s_waitcnt vmcnt(19)
	v_fma_f64 v[131:132], v[131:132], v[127:128], v[121:122]
	ds_read2_b64 v[121:124], v120 offset0:107 offset1:108
	ds_read2_b64 v[125:128], v120 offset0:109 offset1:110
	s_waitcnt vmcnt(18) lgkmcnt(1)
	v_fma_f64 v[121:122], v[139:140], v[121:122], v[131:132]
	buffer_load_dword v132, off, s[0:3], 0 offset:468
	buffer_load_dword v131, off, s[0:3], 0 offset:464
	s_waitcnt vmcnt(19)
	v_fma_f64 v[121:122], v[137:138], v[123:124], v[121:122]
	buffer_load_dword v137, off, s[0:3], 0 offset:144
	buffer_load_dword v138, off, s[0:3], 0 offset:148
	s_waitcnt vmcnt(20) lgkmcnt(0)
	v_fma_f64 v[121:122], v[133:134], v[125:126], v[121:122]
	s_waitcnt vmcnt(15)
	v_fma_f64 v[133:134], v[135:136], v[127:128], v[121:122]
	ds_read2_b64 v[121:124], v120 offset0:111 offset1:112
	ds_read2_b64 v[125:128], v120 offset0:113 offset1:114
	s_waitcnt vmcnt(14) lgkmcnt(1)
	v_fma_f64 v[121:122], v[149:150], v[121:122], v[133:134]
	s_waitcnt vmcnt(13)
	v_fma_f64 v[121:122], v[147:148], v[123:124], v[121:122]
	s_waitcnt vmcnt(12) lgkmcnt(0)
	v_fma_f64 v[121:122], v[141:142], v[125:126], v[121:122]
	s_waitcnt vmcnt(7)
	v_fma_f64 v[129:130], v[129:130], v[127:128], v[121:122]
	ds_read2_b64 v[121:124], v120 offset0:115 offset1:116
	ds_read2_b64 v[125:128], v120 offset0:117 offset1:118
	s_waitcnt vmcnt(6) lgkmcnt(1)
	v_fma_f64 v[120:121], v[153:154], v[121:122], v[129:130]
	s_waitcnt vmcnt(5)
	v_fma_f64 v[120:121], v[151:152], v[123:124], v[120:121]
	s_waitcnt vmcnt(4) lgkmcnt(0)
	v_fma_f64 v[120:121], v[143:144], v[125:126], v[120:121]
	s_waitcnt vmcnt(2)
	v_fma_f64 v[120:121], v[131:132], v[127:128], v[120:121]
	s_waitcnt vmcnt(0)
	v_add_f64 v[120:121], v[137:138], -v[120:121]
	buffer_store_dword v121, off, s[0:3], 0 offset:148
	buffer_store_dword v120, off, s[0:3], 0 offset:144
	s_and_saveexec_b64 s[4:5], vcc
	s_cbranch_execz .LBB122_327
; %bb.326:
	buffer_load_dword v120, off, s[0:3], 0 offset:136
	buffer_load_dword v121, off, s[0:3], 0 offset:140
	v_mov_b32_e32 v122, 0
	buffer_store_dword v122, off, s[0:3], 0 offset:136
	buffer_store_dword v122, off, s[0:3], 0 offset:140
	s_waitcnt vmcnt(2)
	ds_write_b64 v119, v[120:121]
.LBB122_327:
	s_or_b64 exec, exec, s[4:5]
	s_waitcnt lgkmcnt(0)
	; wave barrier
	buffer_load_dword v129, off, s[0:3], 0 offset:144
	buffer_load_dword v130, off, s[0:3], 0 offset:148
	;; [unrolled: 1-line block ×22, first 2 shown]
	v_mov_b32_e32 v120, 0
	ds_read_b128 v[121:124], v120 offset:624
	ds_read_b128 v[125:128], v120 offset:640
	v_cmp_lt_u32_e32 vcc, 16, v0
	s_waitcnt vmcnt(20) lgkmcnt(1)
	v_fma_f64 v[121:122], v[129:130], v[121:122], 0
	s_waitcnt vmcnt(18)
	v_fma_f64 v[121:122], v[131:132], v[123:124], v[121:122]
	buffer_load_dword v130, off, s[0:3], 0 offset:236
	buffer_load_dword v131, off, s[0:3], 0 offset:256
	;; [unrolled: 1-line block ×7, first 2 shown]
	s_waitcnt vmcnt(23) lgkmcnt(0)
	v_fma_f64 v[121:122], v[133:134], v[125:126], v[121:122]
	s_waitcnt vmcnt(21)
	v_fma_f64 v[132:133], v[135:136], v[127:128], v[121:122]
	ds_read_b128 v[121:124], v120 offset:656
	ds_read_b128 v[125:128], v120 offset:672
	s_waitcnt vmcnt(19) lgkmcnt(1)
	v_fma_f64 v[121:122], v[137:138], v[121:122], v[132:133]
	buffer_load_dword v132, off, s[0:3], 0 offset:260
	s_waitcnt vmcnt(18)
	v_fma_f64 v[121:122], v[139:140], v[123:124], v[121:122]
	buffer_load_dword v134, off, s[0:3], 0 offset:268
	buffer_load_dword v135, off, s[0:3], 0 offset:288
	;; [unrolled: 1-line block ×7, first 2 shown]
	s_waitcnt vmcnt(23) lgkmcnt(0)
	v_fma_f64 v[121:122], v[141:142], v[125:126], v[121:122]
	s_waitcnt vmcnt(18)
	v_fma_f64 v[141:142], v[143:144], v[127:128], v[121:122]
	ds_read_b128 v[121:124], v120 offset:688
	ds_read_b128 v[125:128], v120 offset:704
	buffer_load_dword v136, off, s[0:3], 0 offset:292
	s_waitcnt vmcnt(18) lgkmcnt(1)
	v_fma_f64 v[121:122], v[149:150], v[121:122], v[141:142]
	s_waitcnt vmcnt(17)
	v_fma_f64 v[121:122], v[147:148], v[123:124], v[121:122]
	buffer_load_dword v142, off, s[0:3], 0 offset:300
	buffer_load_dword v143, off, s[0:3], 0 offset:320
	;; [unrolled: 1-line block ×8, first 2 shown]
	s_waitcnt vmcnt(24) lgkmcnt(0)
	v_fma_f64 v[121:122], v[145:146], v[125:126], v[121:122]
	s_waitcnt vmcnt(19)
	v_fma_f64 v[129:130], v[129:130], v[127:128], v[121:122]
	ds_read_b128 v[121:124], v120 offset:720
	ds_read_b128 v[125:128], v120 offset:736
	s_waitcnt vmcnt(18) lgkmcnt(1)
	v_fma_f64 v[121:122], v[153:154], v[121:122], v[129:130]
	s_waitcnt vmcnt(17)
	v_fma_f64 v[121:122], v[151:152], v[123:124], v[121:122]
	buffer_load_dword v130, off, s[0:3], 0 offset:332
	buffer_load_dword v145, off, s[0:3], 0 offset:352
	;; [unrolled: 1-line block ×7, first 2 shown]
	s_waitcnt vmcnt(23) lgkmcnt(0)
	v_fma_f64 v[121:122], v[131:132], v[125:126], v[121:122]
	s_waitcnt vmcnt(18)
	v_fma_f64 v[131:132], v[133:134], v[127:128], v[121:122]
	ds_read_b128 v[121:124], v120 offset:752
	ds_read_b128 v[125:128], v120 offset:768
	buffer_load_dword v146, off, s[0:3], 0 offset:356
	s_waitcnt vmcnt(18) lgkmcnt(1)
	v_fma_f64 v[121:122], v[139:140], v[121:122], v[131:132]
	s_waitcnt vmcnt(17)
	v_fma_f64 v[121:122], v[137:138], v[123:124], v[121:122]
	buffer_load_dword v132, off, s[0:3], 0 offset:364
	buffer_load_dword v133, off, s[0:3], 0 offset:384
	;; [unrolled: 1-line block ×7, first 2 shown]
	s_waitcnt vmcnt(23) lgkmcnt(0)
	v_fma_f64 v[121:122], v[135:136], v[125:126], v[121:122]
	s_waitcnt vmcnt(18)
	v_fma_f64 v[134:135], v[141:142], v[127:128], v[121:122]
	ds_read_b128 v[121:124], v120 offset:784
	ds_read_b128 v[125:128], v120 offset:800
	s_waitcnt vmcnt(17) lgkmcnt(1)
	v_fma_f64 v[121:122], v[149:150], v[121:122], v[134:135]
	buffer_load_dword v134, off, s[0:3], 0 offset:388
	s_waitcnt vmcnt(17)
	v_fma_f64 v[121:122], v[147:148], v[123:124], v[121:122]
	buffer_load_dword v136, off, s[0:3], 0 offset:396
	buffer_load_dword v141, off, s[0:3], 0 offset:416
	;; [unrolled: 1-line block ×8, first 2 shown]
	s_waitcnt vmcnt(24) lgkmcnt(0)
	v_fma_f64 v[121:122], v[143:144], v[125:126], v[121:122]
	s_waitcnt vmcnt(19)
	v_fma_f64 v[129:130], v[129:130], v[127:128], v[121:122]
	ds_read_b128 v[121:124], v120 offset:816
	ds_read_b128 v[125:128], v120 offset:832
	s_waitcnt vmcnt(18) lgkmcnt(1)
	v_fma_f64 v[121:122], v[153:154], v[121:122], v[129:130]
	s_waitcnt vmcnt(17)
	v_fma_f64 v[121:122], v[151:152], v[123:124], v[121:122]
	buffer_load_dword v130, off, s[0:3], 0 offset:428
	buffer_load_dword v143, off, s[0:3], 0 offset:448
	;; [unrolled: 1-line block ×7, first 2 shown]
	s_waitcnt vmcnt(23) lgkmcnt(0)
	v_fma_f64 v[121:122], v[145:146], v[125:126], v[121:122]
	s_waitcnt vmcnt(18)
	v_fma_f64 v[131:132], v[131:132], v[127:128], v[121:122]
	ds_read_b128 v[121:124], v120 offset:848
	ds_read_b128 v[125:128], v120 offset:864
	buffer_load_dword v144, off, s[0:3], 0 offset:452
	s_waitcnt vmcnt(18) lgkmcnt(1)
	v_fma_f64 v[121:122], v[139:140], v[121:122], v[131:132]
	s_waitcnt vmcnt(17)
	v_fma_f64 v[121:122], v[137:138], v[123:124], v[121:122]
	buffer_load_dword v132, off, s[0:3], 0 offset:460
	buffer_load_dword v137, off, s[0:3], 0 offset:464
	;; [unrolled: 1-line block ×4, first 2 shown]
	s_waitcnt vmcnt(20) lgkmcnt(0)
	v_fma_f64 v[121:122], v[133:134], v[125:126], v[121:122]
	buffer_load_dword v133, off, s[0:3], 0 offset:136
	buffer_load_dword v134, off, s[0:3], 0 offset:140
	s_waitcnt vmcnt(17)
	v_fma_f64 v[135:136], v[135:136], v[127:128], v[121:122]
	ds_read_b128 v[121:124], v120 offset:880
	ds_read_b128 v[125:128], v120 offset:896
	s_waitcnt vmcnt(16) lgkmcnt(1)
	v_fma_f64 v[121:122], v[149:150], v[121:122], v[135:136]
	s_waitcnt vmcnt(15)
	v_fma_f64 v[121:122], v[147:148], v[123:124], v[121:122]
	s_waitcnt vmcnt(14) lgkmcnt(0)
	v_fma_f64 v[121:122], v[141:142], v[125:126], v[121:122]
	s_waitcnt vmcnt(9)
	v_fma_f64 v[129:130], v[129:130], v[127:128], v[121:122]
	ds_read_b128 v[121:124], v120 offset:912
	ds_read_b128 v[125:128], v120 offset:928
	s_waitcnt vmcnt(8) lgkmcnt(1)
	v_fma_f64 v[121:122], v[153:154], v[121:122], v[129:130]
	s_waitcnt vmcnt(7)
	v_fma_f64 v[121:122], v[151:152], v[123:124], v[121:122]
	ds_read_b64 v[123:124], v120 offset:944
	s_waitcnt vmcnt(6) lgkmcnt(1)
	v_fma_f64 v[121:122], v[143:144], v[125:126], v[121:122]
	s_waitcnt vmcnt(3)
	v_fma_f64 v[121:122], v[131:132], v[127:128], v[121:122]
	s_waitcnt vmcnt(2) lgkmcnt(0)
	v_fma_f64 v[121:122], v[137:138], v[123:124], v[121:122]
	s_waitcnt vmcnt(0)
	v_add_f64 v[121:122], v[133:134], -v[121:122]
	buffer_store_dword v122, off, s[0:3], 0 offset:140
	buffer_store_dword v121, off, s[0:3], 0 offset:136
	s_and_saveexec_b64 s[4:5], vcc
	s_cbranch_execz .LBB122_329
; %bb.328:
	buffer_load_dword v121, off, s[0:3], 0 offset:128
	buffer_load_dword v122, off, s[0:3], 0 offset:132
	s_waitcnt vmcnt(0)
	ds_write_b64 v119, v[121:122]
	buffer_store_dword v120, off, s[0:3], 0 offset:128
	buffer_store_dword v120, off, s[0:3], 0 offset:132
.LBB122_329:
	s_or_b64 exec, exec, s[4:5]
	s_waitcnt lgkmcnt(0)
	; wave barrier
	buffer_load_dword v129, off, s[0:3], 0 offset:136
	buffer_load_dword v130, off, s[0:3], 0 offset:140
	;; [unrolled: 1-line block ×22, first 2 shown]
	ds_read2_b64 v[121:124], v120 offset0:77 offset1:78
	ds_read2_b64 v[125:128], v120 offset0:79 offset1:80
	v_cmp_lt_u32_e32 vcc, 15, v0
	s_waitcnt vmcnt(20) lgkmcnt(1)
	v_fma_f64 v[121:122], v[129:130], v[121:122], 0
	s_waitcnt vmcnt(18)
	v_fma_f64 v[121:122], v[131:132], v[123:124], v[121:122]
	buffer_load_dword v130, off, s[0:3], 0 offset:228
	buffer_load_dword v131, off, s[0:3], 0 offset:248
	;; [unrolled: 1-line block ×7, first 2 shown]
	s_waitcnt vmcnt(23) lgkmcnt(0)
	v_fma_f64 v[121:122], v[133:134], v[125:126], v[121:122]
	s_waitcnt vmcnt(21)
	v_fma_f64 v[132:133], v[135:136], v[127:128], v[121:122]
	ds_read2_b64 v[121:124], v120 offset0:81 offset1:82
	ds_read2_b64 v[125:128], v120 offset0:83 offset1:84
	s_waitcnt vmcnt(19) lgkmcnt(1)
	v_fma_f64 v[121:122], v[137:138], v[121:122], v[132:133]
	buffer_load_dword v132, off, s[0:3], 0 offset:252
	s_waitcnt vmcnt(18)
	v_fma_f64 v[121:122], v[139:140], v[123:124], v[121:122]
	buffer_load_dword v134, off, s[0:3], 0 offset:260
	buffer_load_dword v135, off, s[0:3], 0 offset:280
	;; [unrolled: 1-line block ×7, first 2 shown]
	s_waitcnt vmcnt(23) lgkmcnt(0)
	v_fma_f64 v[121:122], v[141:142], v[125:126], v[121:122]
	s_waitcnt vmcnt(18)
	v_fma_f64 v[141:142], v[143:144], v[127:128], v[121:122]
	ds_read2_b64 v[121:124], v120 offset0:85 offset1:86
	ds_read2_b64 v[125:128], v120 offset0:87 offset1:88
	buffer_load_dword v136, off, s[0:3], 0 offset:284
	s_waitcnt vmcnt(18) lgkmcnt(1)
	v_fma_f64 v[121:122], v[149:150], v[121:122], v[141:142]
	s_waitcnt vmcnt(17)
	v_fma_f64 v[121:122], v[147:148], v[123:124], v[121:122]
	buffer_load_dword v142, off, s[0:3], 0 offset:292
	buffer_load_dword v143, off, s[0:3], 0 offset:312
	;; [unrolled: 1-line block ×8, first 2 shown]
	s_waitcnt vmcnt(24) lgkmcnt(0)
	v_fma_f64 v[121:122], v[145:146], v[125:126], v[121:122]
	s_waitcnt vmcnt(19)
	v_fma_f64 v[129:130], v[129:130], v[127:128], v[121:122]
	ds_read2_b64 v[121:124], v120 offset0:89 offset1:90
	ds_read2_b64 v[125:128], v120 offset0:91 offset1:92
	s_waitcnt vmcnt(18) lgkmcnt(1)
	v_fma_f64 v[121:122], v[153:154], v[121:122], v[129:130]
	s_waitcnt vmcnt(17)
	v_fma_f64 v[121:122], v[151:152], v[123:124], v[121:122]
	buffer_load_dword v130, off, s[0:3], 0 offset:324
	buffer_load_dword v145, off, s[0:3], 0 offset:344
	;; [unrolled: 1-line block ×8, first 2 shown]
	s_waitcnt vmcnt(24) lgkmcnt(0)
	v_fma_f64 v[121:122], v[131:132], v[125:126], v[121:122]
	s_waitcnt vmcnt(19)
	v_fma_f64 v[131:132], v[133:134], v[127:128], v[121:122]
	ds_read2_b64 v[121:124], v120 offset0:93 offset1:94
	ds_read2_b64 v[125:128], v120 offset0:95 offset1:96
	s_waitcnt vmcnt(18) lgkmcnt(1)
	v_fma_f64 v[121:122], v[139:140], v[121:122], v[131:132]
	s_waitcnt vmcnt(17)
	v_fma_f64 v[121:122], v[137:138], v[123:124], v[121:122]
	buffer_load_dword v132, off, s[0:3], 0 offset:356
	buffer_load_dword v133, off, s[0:3], 0 offset:376
	;; [unrolled: 1-line block ×7, first 2 shown]
	s_waitcnt vmcnt(23) lgkmcnt(0)
	v_fma_f64 v[121:122], v[135:136], v[125:126], v[121:122]
	s_waitcnt vmcnt(18)
	v_fma_f64 v[134:135], v[141:142], v[127:128], v[121:122]
	ds_read2_b64 v[121:124], v120 offset0:97 offset1:98
	ds_read2_b64 v[125:128], v120 offset0:99 offset1:100
	s_waitcnt vmcnt(17) lgkmcnt(1)
	v_fma_f64 v[121:122], v[149:150], v[121:122], v[134:135]
	buffer_load_dword v134, off, s[0:3], 0 offset:380
	s_waitcnt vmcnt(17)
	v_fma_f64 v[121:122], v[147:148], v[123:124], v[121:122]
	buffer_load_dword v136, off, s[0:3], 0 offset:388
	buffer_load_dword v141, off, s[0:3], 0 offset:408
	;; [unrolled: 1-line block ×8, first 2 shown]
	s_waitcnt vmcnt(24) lgkmcnt(0)
	v_fma_f64 v[121:122], v[143:144], v[125:126], v[121:122]
	s_waitcnt vmcnt(19)
	v_fma_f64 v[129:130], v[129:130], v[127:128], v[121:122]
	ds_read2_b64 v[121:124], v120 offset0:101 offset1:102
	ds_read2_b64 v[125:128], v120 offset0:103 offset1:104
	s_waitcnt vmcnt(18) lgkmcnt(1)
	v_fma_f64 v[121:122], v[153:154], v[121:122], v[129:130]
	s_waitcnt vmcnt(17)
	v_fma_f64 v[121:122], v[151:152], v[123:124], v[121:122]
	buffer_load_dword v130, off, s[0:3], 0 offset:420
	buffer_load_dword v143, off, s[0:3], 0 offset:440
	;; [unrolled: 1-line block ×8, first 2 shown]
	s_waitcnt vmcnt(24) lgkmcnt(0)
	v_fma_f64 v[121:122], v[145:146], v[125:126], v[121:122]
	s_waitcnt vmcnt(19)
	v_fma_f64 v[131:132], v[131:132], v[127:128], v[121:122]
	ds_read2_b64 v[121:124], v120 offset0:105 offset1:106
	ds_read2_b64 v[125:128], v120 offset0:107 offset1:108
	s_waitcnt vmcnt(18) lgkmcnt(1)
	v_fma_f64 v[121:122], v[139:140], v[121:122], v[131:132]
	s_waitcnt vmcnt(17)
	v_fma_f64 v[121:122], v[137:138], v[123:124], v[121:122]
	buffer_load_dword v132, off, s[0:3], 0 offset:452
	buffer_load_dword v137, off, s[0:3], 0 offset:464
	;; [unrolled: 1-line block ×6, first 2 shown]
	s_waitcnt vmcnt(22) lgkmcnt(0)
	v_fma_f64 v[121:122], v[133:134], v[125:126], v[121:122]
	s_waitcnt vmcnt(17)
	v_fma_f64 v[133:134], v[135:136], v[127:128], v[121:122]
	ds_read2_b64 v[121:124], v120 offset0:109 offset1:110
	buffer_load_dword v135, off, s[0:3], 0 offset:128
	buffer_load_dword v136, off, s[0:3], 0 offset:132
	ds_read2_b64 v[125:128], v120 offset0:111 offset1:112
	s_waitcnt vmcnt(18) lgkmcnt(1)
	v_fma_f64 v[121:122], v[149:150], v[121:122], v[133:134]
	s_waitcnt vmcnt(17)
	v_fma_f64 v[121:122], v[147:148], v[123:124], v[121:122]
	s_waitcnt vmcnt(16) lgkmcnt(0)
	v_fma_f64 v[121:122], v[141:142], v[125:126], v[121:122]
	s_waitcnt vmcnt(11)
	v_fma_f64 v[129:130], v[129:130], v[127:128], v[121:122]
	ds_read2_b64 v[121:124], v120 offset0:113 offset1:114
	ds_read2_b64 v[125:128], v120 offset0:115 offset1:116
	s_waitcnt vmcnt(10) lgkmcnt(1)
	v_fma_f64 v[121:122], v[153:154], v[121:122], v[129:130]
	s_waitcnt vmcnt(9)
	v_fma_f64 v[121:122], v[151:152], v[123:124], v[121:122]
	s_waitcnt vmcnt(8) lgkmcnt(0)
	v_fma_f64 v[121:122], v[143:144], v[125:126], v[121:122]
	s_waitcnt vmcnt(4)
	v_fma_f64 v[124:125], v[131:132], v[127:128], v[121:122]
	ds_read2_b64 v[120:123], v120 offset0:117 offset1:118
	s_waitcnt vmcnt(3) lgkmcnt(0)
	v_fma_f64 v[120:121], v[139:140], v[120:121], v[124:125]
	s_waitcnt vmcnt(2)
	v_fma_f64 v[120:121], v[137:138], v[122:123], v[120:121]
	s_waitcnt vmcnt(0)
	v_add_f64 v[120:121], v[135:136], -v[120:121]
	buffer_store_dword v121, off, s[0:3], 0 offset:132
	buffer_store_dword v120, off, s[0:3], 0 offset:128
	s_and_saveexec_b64 s[4:5], vcc
	s_cbranch_execz .LBB122_331
; %bb.330:
	buffer_load_dword v120, off, s[0:3], 0 offset:120
	buffer_load_dword v121, off, s[0:3], 0 offset:124
	v_mov_b32_e32 v122, 0
	buffer_store_dword v122, off, s[0:3], 0 offset:120
	buffer_store_dword v122, off, s[0:3], 0 offset:124
	s_waitcnt vmcnt(2)
	ds_write_b64 v119, v[120:121]
.LBB122_331:
	s_or_b64 exec, exec, s[4:5]
	s_waitcnt lgkmcnt(0)
	; wave barrier
	buffer_load_dword v129, off, s[0:3], 0 offset:128
	buffer_load_dword v130, off, s[0:3], 0 offset:132
	;; [unrolled: 1-line block ×22, first 2 shown]
	v_mov_b32_e32 v120, 0
	ds_read_b128 v[121:124], v120 offset:608
	ds_read_b128 v[125:128], v120 offset:624
	v_cmp_lt_u32_e32 vcc, 14, v0
	s_waitcnt vmcnt(20) lgkmcnt(1)
	v_fma_f64 v[121:122], v[129:130], v[121:122], 0
	s_waitcnt vmcnt(18)
	v_fma_f64 v[121:122], v[131:132], v[123:124], v[121:122]
	buffer_load_dword v130, off, s[0:3], 0 offset:220
	buffer_load_dword v131, off, s[0:3], 0 offset:240
	;; [unrolled: 1-line block ×7, first 2 shown]
	s_waitcnt vmcnt(23) lgkmcnt(0)
	v_fma_f64 v[121:122], v[133:134], v[125:126], v[121:122]
	s_waitcnt vmcnt(21)
	v_fma_f64 v[132:133], v[135:136], v[127:128], v[121:122]
	ds_read_b128 v[121:124], v120 offset:640
	ds_read_b128 v[125:128], v120 offset:656
	s_waitcnt vmcnt(19) lgkmcnt(1)
	v_fma_f64 v[121:122], v[137:138], v[121:122], v[132:133]
	buffer_load_dword v132, off, s[0:3], 0 offset:244
	s_waitcnt vmcnt(18)
	v_fma_f64 v[121:122], v[139:140], v[123:124], v[121:122]
	buffer_load_dword v134, off, s[0:3], 0 offset:252
	buffer_load_dword v135, off, s[0:3], 0 offset:272
	;; [unrolled: 1-line block ×7, first 2 shown]
	s_waitcnt vmcnt(23) lgkmcnt(0)
	v_fma_f64 v[121:122], v[141:142], v[125:126], v[121:122]
	s_waitcnt vmcnt(18)
	v_fma_f64 v[141:142], v[143:144], v[127:128], v[121:122]
	ds_read_b128 v[121:124], v120 offset:672
	ds_read_b128 v[125:128], v120 offset:688
	buffer_load_dword v136, off, s[0:3], 0 offset:276
	s_waitcnt vmcnt(18) lgkmcnt(1)
	v_fma_f64 v[121:122], v[149:150], v[121:122], v[141:142]
	s_waitcnt vmcnt(17)
	v_fma_f64 v[121:122], v[147:148], v[123:124], v[121:122]
	buffer_load_dword v142, off, s[0:3], 0 offset:284
	buffer_load_dword v143, off, s[0:3], 0 offset:304
	;; [unrolled: 1-line block ×8, first 2 shown]
	s_waitcnt vmcnt(24) lgkmcnt(0)
	v_fma_f64 v[121:122], v[145:146], v[125:126], v[121:122]
	s_waitcnt vmcnt(19)
	v_fma_f64 v[129:130], v[129:130], v[127:128], v[121:122]
	ds_read_b128 v[121:124], v120 offset:704
	ds_read_b128 v[125:128], v120 offset:720
	s_waitcnt vmcnt(18) lgkmcnt(1)
	v_fma_f64 v[121:122], v[153:154], v[121:122], v[129:130]
	s_waitcnt vmcnt(17)
	v_fma_f64 v[121:122], v[151:152], v[123:124], v[121:122]
	buffer_load_dword v130, off, s[0:3], 0 offset:316
	buffer_load_dword v145, off, s[0:3], 0 offset:336
	;; [unrolled: 1-line block ×8, first 2 shown]
	s_waitcnt vmcnt(24) lgkmcnt(0)
	v_fma_f64 v[121:122], v[131:132], v[125:126], v[121:122]
	s_waitcnt vmcnt(19)
	v_fma_f64 v[131:132], v[133:134], v[127:128], v[121:122]
	ds_read_b128 v[121:124], v120 offset:736
	ds_read_b128 v[125:128], v120 offset:752
	s_waitcnt vmcnt(18) lgkmcnt(1)
	v_fma_f64 v[121:122], v[139:140], v[121:122], v[131:132]
	s_waitcnt vmcnt(17)
	v_fma_f64 v[121:122], v[137:138], v[123:124], v[121:122]
	buffer_load_dword v132, off, s[0:3], 0 offset:348
	buffer_load_dword v133, off, s[0:3], 0 offset:368
	;; [unrolled: 1-line block ×7, first 2 shown]
	s_waitcnt vmcnt(23) lgkmcnt(0)
	v_fma_f64 v[121:122], v[135:136], v[125:126], v[121:122]
	s_waitcnt vmcnt(18)
	v_fma_f64 v[134:135], v[141:142], v[127:128], v[121:122]
	ds_read_b128 v[121:124], v120 offset:768
	ds_read_b128 v[125:128], v120 offset:784
	s_waitcnt vmcnt(17) lgkmcnt(1)
	v_fma_f64 v[121:122], v[149:150], v[121:122], v[134:135]
	buffer_load_dword v134, off, s[0:3], 0 offset:372
	s_waitcnt vmcnt(17)
	v_fma_f64 v[121:122], v[147:148], v[123:124], v[121:122]
	buffer_load_dword v136, off, s[0:3], 0 offset:380
	buffer_load_dword v141, off, s[0:3], 0 offset:400
	buffer_load_dword v147, off, s[0:3], 0 offset:392
	buffer_load_dword v149, off, s[0:3], 0 offset:384
	buffer_load_dword v135, off, s[0:3], 0 offset:376
	buffer_load_dword v150, off, s[0:3], 0 offset:388
	buffer_load_dword v148, off, s[0:3], 0 offset:396
	buffer_load_dword v142, off, s[0:3], 0 offset:404
	s_waitcnt vmcnt(24) lgkmcnt(0)
	v_fma_f64 v[121:122], v[143:144], v[125:126], v[121:122]
	s_waitcnt vmcnt(19)
	v_fma_f64 v[129:130], v[129:130], v[127:128], v[121:122]
	ds_read_b128 v[121:124], v120 offset:800
	ds_read_b128 v[125:128], v120 offset:816
	s_waitcnt vmcnt(18) lgkmcnt(1)
	v_fma_f64 v[121:122], v[153:154], v[121:122], v[129:130]
	s_waitcnt vmcnt(17)
	v_fma_f64 v[121:122], v[151:152], v[123:124], v[121:122]
	buffer_load_dword v130, off, s[0:3], 0 offset:412
	buffer_load_dword v143, off, s[0:3], 0 offset:432
	buffer_load_dword v151, off, s[0:3], 0 offset:424
	buffer_load_dword v153, off, s[0:3], 0 offset:416
	buffer_load_dword v129, off, s[0:3], 0 offset:408
	buffer_load_dword v154, off, s[0:3], 0 offset:420
	buffer_load_dword v152, off, s[0:3], 0 offset:428
	buffer_load_dword v144, off, s[0:3], 0 offset:436
	s_waitcnt vmcnt(24) lgkmcnt(0)
	v_fma_f64 v[121:122], v[145:146], v[125:126], v[121:122]
	s_waitcnt vmcnt(19)
	v_fma_f64 v[131:132], v[131:132], v[127:128], v[121:122]
	ds_read_b128 v[121:124], v120 offset:832
	ds_read_b128 v[125:128], v120 offset:848
	s_waitcnt vmcnt(18) lgkmcnt(1)
	v_fma_f64 v[121:122], v[139:140], v[121:122], v[131:132]
	;; [unrolled: 18-line block ×3, first 2 shown]
	buffer_load_dword v133, off, s[0:3], 0 offset:120
	buffer_load_dword v134, off, s[0:3], 0 offset:124
	s_waitcnt vmcnt(19)
	v_fma_f64 v[121:122], v[147:148], v[123:124], v[121:122]
	s_waitcnt vmcnt(18) lgkmcnt(0)
	v_fma_f64 v[121:122], v[141:142], v[125:126], v[121:122]
	s_waitcnt vmcnt(13)
	v_fma_f64 v[129:130], v[129:130], v[127:128], v[121:122]
	ds_read_b128 v[121:124], v120 offset:896
	ds_read_b128 v[125:128], v120 offset:912
	s_waitcnt vmcnt(12) lgkmcnt(1)
	v_fma_f64 v[121:122], v[153:154], v[121:122], v[129:130]
	s_waitcnt vmcnt(11)
	v_fma_f64 v[121:122], v[151:152], v[123:124], v[121:122]
	s_waitcnt vmcnt(10) lgkmcnt(0)
	v_fma_f64 v[121:122], v[143:144], v[125:126], v[121:122]
	s_waitcnt vmcnt(5)
	v_fma_f64 v[125:126], v[131:132], v[127:128], v[121:122]
	ds_read_b128 v[121:124], v120 offset:928
	ds_read_b64 v[127:128], v120 offset:944
	s_waitcnt vmcnt(4) lgkmcnt(1)
	v_fma_f64 v[121:122], v[145:146], v[121:122], v[125:126]
	s_waitcnt vmcnt(3)
	v_fma_f64 v[121:122], v[139:140], v[123:124], v[121:122]
	s_waitcnt vmcnt(2) lgkmcnt(0)
	v_fma_f64 v[121:122], v[137:138], v[127:128], v[121:122]
	s_waitcnt vmcnt(0)
	v_add_f64 v[121:122], v[133:134], -v[121:122]
	buffer_store_dword v122, off, s[0:3], 0 offset:124
	buffer_store_dword v121, off, s[0:3], 0 offset:120
	s_and_saveexec_b64 s[4:5], vcc
	s_cbranch_execz .LBB122_333
; %bb.332:
	buffer_load_dword v121, off, s[0:3], 0 offset:112
	buffer_load_dword v122, off, s[0:3], 0 offset:116
	s_waitcnt vmcnt(0)
	ds_write_b64 v119, v[121:122]
	buffer_store_dword v120, off, s[0:3], 0 offset:112
	buffer_store_dword v120, off, s[0:3], 0 offset:116
.LBB122_333:
	s_or_b64 exec, exec, s[4:5]
	s_waitcnt lgkmcnt(0)
	; wave barrier
	buffer_load_dword v129, off, s[0:3], 0 offset:120
	buffer_load_dword v130, off, s[0:3], 0 offset:124
	;; [unrolled: 1-line block ×22, first 2 shown]
	ds_read2_b64 v[121:124], v120 offset0:75 offset1:76
	ds_read2_b64 v[125:128], v120 offset0:77 offset1:78
	v_cmp_lt_u32_e32 vcc, 13, v0
	s_waitcnt vmcnt(20) lgkmcnt(1)
	v_fma_f64 v[121:122], v[129:130], v[121:122], 0
	s_waitcnt vmcnt(18)
	v_fma_f64 v[121:122], v[131:132], v[123:124], v[121:122]
	buffer_load_dword v130, off, s[0:3], 0 offset:212
	buffer_load_dword v131, off, s[0:3], 0 offset:232
	;; [unrolled: 1-line block ×7, first 2 shown]
	s_waitcnt vmcnt(23) lgkmcnt(0)
	v_fma_f64 v[121:122], v[133:134], v[125:126], v[121:122]
	s_waitcnt vmcnt(21)
	v_fma_f64 v[132:133], v[135:136], v[127:128], v[121:122]
	ds_read2_b64 v[121:124], v120 offset0:79 offset1:80
	ds_read2_b64 v[125:128], v120 offset0:81 offset1:82
	s_waitcnt vmcnt(19) lgkmcnt(1)
	v_fma_f64 v[121:122], v[137:138], v[121:122], v[132:133]
	buffer_load_dword v132, off, s[0:3], 0 offset:236
	s_waitcnt vmcnt(18)
	v_fma_f64 v[121:122], v[139:140], v[123:124], v[121:122]
	buffer_load_dword v134, off, s[0:3], 0 offset:244
	buffer_load_dword v135, off, s[0:3], 0 offset:264
	;; [unrolled: 1-line block ×7, first 2 shown]
	s_waitcnt vmcnt(23) lgkmcnt(0)
	v_fma_f64 v[121:122], v[141:142], v[125:126], v[121:122]
	s_waitcnt vmcnt(18)
	v_fma_f64 v[141:142], v[143:144], v[127:128], v[121:122]
	ds_read2_b64 v[121:124], v120 offset0:83 offset1:84
	ds_read2_b64 v[125:128], v120 offset0:85 offset1:86
	buffer_load_dword v136, off, s[0:3], 0 offset:268
	s_waitcnt vmcnt(18) lgkmcnt(1)
	v_fma_f64 v[121:122], v[149:150], v[121:122], v[141:142]
	s_waitcnt vmcnt(17)
	v_fma_f64 v[121:122], v[147:148], v[123:124], v[121:122]
	buffer_load_dword v142, off, s[0:3], 0 offset:276
	buffer_load_dword v143, off, s[0:3], 0 offset:296
	;; [unrolled: 1-line block ×8, first 2 shown]
	s_waitcnt vmcnt(24) lgkmcnt(0)
	v_fma_f64 v[121:122], v[145:146], v[125:126], v[121:122]
	s_waitcnt vmcnt(19)
	v_fma_f64 v[129:130], v[129:130], v[127:128], v[121:122]
	ds_read2_b64 v[121:124], v120 offset0:87 offset1:88
	ds_read2_b64 v[125:128], v120 offset0:89 offset1:90
	s_waitcnt vmcnt(18) lgkmcnt(1)
	v_fma_f64 v[121:122], v[153:154], v[121:122], v[129:130]
	s_waitcnt vmcnt(17)
	v_fma_f64 v[121:122], v[151:152], v[123:124], v[121:122]
	buffer_load_dword v130, off, s[0:3], 0 offset:308
	buffer_load_dword v145, off, s[0:3], 0 offset:328
	;; [unrolled: 1-line block ×8, first 2 shown]
	s_waitcnt vmcnt(24) lgkmcnt(0)
	v_fma_f64 v[121:122], v[131:132], v[125:126], v[121:122]
	s_waitcnt vmcnt(19)
	v_fma_f64 v[131:132], v[133:134], v[127:128], v[121:122]
	ds_read2_b64 v[121:124], v120 offset0:91 offset1:92
	ds_read2_b64 v[125:128], v120 offset0:93 offset1:94
	s_waitcnt vmcnt(18) lgkmcnt(1)
	v_fma_f64 v[121:122], v[139:140], v[121:122], v[131:132]
	s_waitcnt vmcnt(17)
	v_fma_f64 v[121:122], v[137:138], v[123:124], v[121:122]
	buffer_load_dword v132, off, s[0:3], 0 offset:340
	buffer_load_dword v133, off, s[0:3], 0 offset:360
	;; [unrolled: 1-line block ×7, first 2 shown]
	s_waitcnt vmcnt(23) lgkmcnt(0)
	v_fma_f64 v[121:122], v[135:136], v[125:126], v[121:122]
	s_waitcnt vmcnt(18)
	v_fma_f64 v[134:135], v[141:142], v[127:128], v[121:122]
	ds_read2_b64 v[121:124], v120 offset0:95 offset1:96
	ds_read2_b64 v[125:128], v120 offset0:97 offset1:98
	s_waitcnt vmcnt(17) lgkmcnt(1)
	v_fma_f64 v[121:122], v[149:150], v[121:122], v[134:135]
	buffer_load_dword v134, off, s[0:3], 0 offset:364
	s_waitcnt vmcnt(17)
	v_fma_f64 v[121:122], v[147:148], v[123:124], v[121:122]
	buffer_load_dword v136, off, s[0:3], 0 offset:372
	buffer_load_dword v141, off, s[0:3], 0 offset:392
	buffer_load_dword v147, off, s[0:3], 0 offset:384
	buffer_load_dword v149, off, s[0:3], 0 offset:376
	buffer_load_dword v135, off, s[0:3], 0 offset:368
	buffer_load_dword v150, off, s[0:3], 0 offset:380
	buffer_load_dword v148, off, s[0:3], 0 offset:388
	buffer_load_dword v142, off, s[0:3], 0 offset:396
	s_waitcnt vmcnt(24) lgkmcnt(0)
	v_fma_f64 v[121:122], v[143:144], v[125:126], v[121:122]
	s_waitcnt vmcnt(19)
	v_fma_f64 v[129:130], v[129:130], v[127:128], v[121:122]
	ds_read2_b64 v[121:124], v120 offset0:99 offset1:100
	ds_read2_b64 v[125:128], v120 offset0:101 offset1:102
	s_waitcnt vmcnt(18) lgkmcnt(1)
	v_fma_f64 v[121:122], v[153:154], v[121:122], v[129:130]
	s_waitcnt vmcnt(17)
	v_fma_f64 v[121:122], v[151:152], v[123:124], v[121:122]
	buffer_load_dword v130, off, s[0:3], 0 offset:404
	buffer_load_dword v143, off, s[0:3], 0 offset:424
	buffer_load_dword v151, off, s[0:3], 0 offset:416
	buffer_load_dword v153, off, s[0:3], 0 offset:408
	buffer_load_dword v129, off, s[0:3], 0 offset:400
	buffer_load_dword v154, off, s[0:3], 0 offset:412
	buffer_load_dword v152, off, s[0:3], 0 offset:420
	buffer_load_dword v144, off, s[0:3], 0 offset:428
	s_waitcnt vmcnt(24) lgkmcnt(0)
	v_fma_f64 v[121:122], v[145:146], v[125:126], v[121:122]
	s_waitcnt vmcnt(19)
	v_fma_f64 v[131:132], v[131:132], v[127:128], v[121:122]
	ds_read2_b64 v[121:124], v120 offset0:103 offset1:104
	ds_read2_b64 v[125:128], v120 offset0:105 offset1:106
	s_waitcnt vmcnt(18) lgkmcnt(1)
	v_fma_f64 v[121:122], v[139:140], v[121:122], v[131:132]
	;; [unrolled: 18-line block ×3, first 2 shown]
	buffer_load_dword v134, off, s[0:3], 0 offset:468
	buffer_load_dword v133, off, s[0:3], 0 offset:464
	;; [unrolled: 1-line block ×4, first 2 shown]
	s_waitcnt vmcnt(21)
	v_fma_f64 v[121:122], v[147:148], v[123:124], v[121:122]
	s_waitcnt vmcnt(20) lgkmcnt(0)
	v_fma_f64 v[121:122], v[141:142], v[125:126], v[121:122]
	s_waitcnt vmcnt(15)
	v_fma_f64 v[129:130], v[129:130], v[127:128], v[121:122]
	ds_read2_b64 v[121:124], v120 offset0:111 offset1:112
	ds_read2_b64 v[125:128], v120 offset0:113 offset1:114
	s_waitcnt vmcnt(14) lgkmcnt(1)
	v_fma_f64 v[121:122], v[153:154], v[121:122], v[129:130]
	s_waitcnt vmcnt(13)
	v_fma_f64 v[121:122], v[151:152], v[123:124], v[121:122]
	s_waitcnt vmcnt(12) lgkmcnt(0)
	v_fma_f64 v[121:122], v[143:144], v[125:126], v[121:122]
	s_waitcnt vmcnt(7)
	v_fma_f64 v[129:130], v[131:132], v[127:128], v[121:122]
	ds_read2_b64 v[121:124], v120 offset0:115 offset1:116
	ds_read2_b64 v[125:128], v120 offset0:117 offset1:118
	s_waitcnt vmcnt(6) lgkmcnt(1)
	v_fma_f64 v[120:121], v[145:146], v[121:122], v[129:130]
	s_waitcnt vmcnt(5)
	v_fma_f64 v[120:121], v[139:140], v[123:124], v[120:121]
	s_waitcnt vmcnt(4) lgkmcnt(0)
	v_fma_f64 v[120:121], v[137:138], v[125:126], v[120:121]
	s_waitcnt vmcnt(2)
	v_fma_f64 v[120:121], v[133:134], v[127:128], v[120:121]
	s_waitcnt vmcnt(0)
	v_add_f64 v[120:121], v[135:136], -v[120:121]
	buffer_store_dword v121, off, s[0:3], 0 offset:116
	buffer_store_dword v120, off, s[0:3], 0 offset:112
	s_and_saveexec_b64 s[4:5], vcc
	s_cbranch_execz .LBB122_335
; %bb.334:
	buffer_load_dword v120, off, s[0:3], 0 offset:104
	buffer_load_dword v121, off, s[0:3], 0 offset:108
	v_mov_b32_e32 v122, 0
	buffer_store_dword v122, off, s[0:3], 0 offset:104
	buffer_store_dword v122, off, s[0:3], 0 offset:108
	s_waitcnt vmcnt(2)
	ds_write_b64 v119, v[120:121]
.LBB122_335:
	s_or_b64 exec, exec, s[4:5]
	s_waitcnt lgkmcnt(0)
	; wave barrier
	buffer_load_dword v129, off, s[0:3], 0 offset:112
	buffer_load_dword v130, off, s[0:3], 0 offset:116
	;; [unrolled: 1-line block ×21, first 2 shown]
	v_mov_b32_e32 v120, 0
	ds_read_b128 v[121:124], v120 offset:592
	ds_read_b128 v[125:128], v120 offset:608
	buffer_load_dword v146, off, s[0:3], 0 offset:196
	v_cmp_lt_u32_e32 vcc, 12, v0
	s_waitcnt vmcnt(20) lgkmcnt(1)
	v_fma_f64 v[121:122], v[129:130], v[121:122], 0
	s_waitcnt vmcnt(18)
	v_fma_f64 v[121:122], v[131:132], v[123:124], v[121:122]
	buffer_load_dword v130, off, s[0:3], 0 offset:204
	buffer_load_dword v131, off, s[0:3], 0 offset:224
	buffer_load_dword v151, off, s[0:3], 0 offset:216
	buffer_load_dword v153, off, s[0:3], 0 offset:208
	buffer_load_dword v129, off, s[0:3], 0 offset:200
	buffer_load_dword v154, off, s[0:3], 0 offset:212
	buffer_load_dword v152, off, s[0:3], 0 offset:220
	s_waitcnt vmcnt(23) lgkmcnt(0)
	v_fma_f64 v[121:122], v[133:134], v[125:126], v[121:122]
	s_waitcnt vmcnt(21)
	v_fma_f64 v[132:133], v[135:136], v[127:128], v[121:122]
	ds_read_b128 v[121:124], v120 offset:624
	ds_read_b128 v[125:128], v120 offset:640
	s_waitcnt vmcnt(19) lgkmcnt(1)
	v_fma_f64 v[121:122], v[137:138], v[121:122], v[132:133]
	buffer_load_dword v132, off, s[0:3], 0 offset:228
	s_waitcnt vmcnt(18)
	v_fma_f64 v[121:122], v[139:140], v[123:124], v[121:122]
	buffer_load_dword v134, off, s[0:3], 0 offset:236
	buffer_load_dword v135, off, s[0:3], 0 offset:256
	;; [unrolled: 1-line block ×7, first 2 shown]
	s_waitcnt vmcnt(23) lgkmcnt(0)
	v_fma_f64 v[121:122], v[141:142], v[125:126], v[121:122]
	s_waitcnt vmcnt(18)
	v_fma_f64 v[141:142], v[143:144], v[127:128], v[121:122]
	ds_read_b128 v[121:124], v120 offset:656
	ds_read_b128 v[125:128], v120 offset:672
	buffer_load_dword v136, off, s[0:3], 0 offset:260
	s_waitcnt vmcnt(18) lgkmcnt(1)
	v_fma_f64 v[121:122], v[149:150], v[121:122], v[141:142]
	s_waitcnt vmcnt(17)
	v_fma_f64 v[121:122], v[147:148], v[123:124], v[121:122]
	buffer_load_dword v142, off, s[0:3], 0 offset:268
	buffer_load_dword v143, off, s[0:3], 0 offset:288
	;; [unrolled: 1-line block ×7, first 2 shown]
	s_waitcnt vmcnt(23) lgkmcnt(0)
	v_fma_f64 v[121:122], v[145:146], v[125:126], v[121:122]
	s_waitcnt vmcnt(18)
	v_fma_f64 v[129:130], v[129:130], v[127:128], v[121:122]
	ds_read_b128 v[121:124], v120 offset:688
	ds_read_b128 v[125:128], v120 offset:704
	buffer_load_dword v144, off, s[0:3], 0 offset:292
	s_waitcnt vmcnt(18) lgkmcnt(1)
	v_fma_f64 v[121:122], v[153:154], v[121:122], v[129:130]
	s_waitcnt vmcnt(17)
	v_fma_f64 v[121:122], v[151:152], v[123:124], v[121:122]
	buffer_load_dword v130, off, s[0:3], 0 offset:300
	buffer_load_dword v145, off, s[0:3], 0 offset:320
	buffer_load_dword v151, off, s[0:3], 0 offset:312
	buffer_load_dword v153, off, s[0:3], 0 offset:304
	buffer_load_dword v129, off, s[0:3], 0 offset:296
	buffer_load_dword v154, off, s[0:3], 0 offset:308
	buffer_load_dword v152, off, s[0:3], 0 offset:316
	buffer_load_dword v146, off, s[0:3], 0 offset:324
	s_waitcnt vmcnt(24) lgkmcnt(0)
	v_fma_f64 v[121:122], v[131:132], v[125:126], v[121:122]
	s_waitcnt vmcnt(19)
	v_fma_f64 v[131:132], v[133:134], v[127:128], v[121:122]
	ds_read_b128 v[121:124], v120 offset:720
	ds_read_b128 v[125:128], v120 offset:736
	s_waitcnt vmcnt(18) lgkmcnt(1)
	v_fma_f64 v[121:122], v[139:140], v[121:122], v[131:132]
	s_waitcnt vmcnt(17)
	v_fma_f64 v[121:122], v[137:138], v[123:124], v[121:122]
	buffer_load_dword v132, off, s[0:3], 0 offset:332
	buffer_load_dword v133, off, s[0:3], 0 offset:352
	buffer_load_dword v137, off, s[0:3], 0 offset:344
	buffer_load_dword v139, off, s[0:3], 0 offset:336
	buffer_load_dword v131, off, s[0:3], 0 offset:328
	buffer_load_dword v140, off, s[0:3], 0 offset:340
	buffer_load_dword v138, off, s[0:3], 0 offset:348
	s_waitcnt vmcnt(23) lgkmcnt(0)
	v_fma_f64 v[121:122], v[135:136], v[125:126], v[121:122]
	s_waitcnt vmcnt(18)
	v_fma_f64 v[134:135], v[141:142], v[127:128], v[121:122]
	ds_read_b128 v[121:124], v120 offset:752
	ds_read_b128 v[125:128], v120 offset:768
	s_waitcnt vmcnt(17) lgkmcnt(1)
	v_fma_f64 v[121:122], v[149:150], v[121:122], v[134:135]
	buffer_load_dword v134, off, s[0:3], 0 offset:356
	s_waitcnt vmcnt(17)
	v_fma_f64 v[121:122], v[147:148], v[123:124], v[121:122]
	buffer_load_dword v136, off, s[0:3], 0 offset:364
	buffer_load_dword v141, off, s[0:3], 0 offset:384
	;; [unrolled: 1-line block ×7, first 2 shown]
	s_waitcnt vmcnt(23) lgkmcnt(0)
	v_fma_f64 v[121:122], v[143:144], v[125:126], v[121:122]
	s_waitcnt vmcnt(18)
	v_fma_f64 v[129:130], v[129:130], v[127:128], v[121:122]
	ds_read_b128 v[121:124], v120 offset:784
	ds_read_b128 v[125:128], v120 offset:800
	buffer_load_dword v142, off, s[0:3], 0 offset:388
	s_waitcnt vmcnt(18) lgkmcnt(1)
	v_fma_f64 v[121:122], v[153:154], v[121:122], v[129:130]
	s_waitcnt vmcnt(17)
	v_fma_f64 v[121:122], v[151:152], v[123:124], v[121:122]
	buffer_load_dword v130, off, s[0:3], 0 offset:396
	buffer_load_dword v143, off, s[0:3], 0 offset:416
	;; [unrolled: 1-line block ×8, first 2 shown]
	s_waitcnt vmcnt(24) lgkmcnt(0)
	v_fma_f64 v[121:122], v[145:146], v[125:126], v[121:122]
	s_waitcnt vmcnt(19)
	v_fma_f64 v[131:132], v[131:132], v[127:128], v[121:122]
	ds_read_b128 v[121:124], v120 offset:816
	ds_read_b128 v[125:128], v120 offset:832
	s_waitcnt vmcnt(18) lgkmcnt(1)
	v_fma_f64 v[121:122], v[139:140], v[121:122], v[131:132]
	s_waitcnt vmcnt(17)
	v_fma_f64 v[121:122], v[137:138], v[123:124], v[121:122]
	buffer_load_dword v132, off, s[0:3], 0 offset:428
	buffer_load_dword v137, off, s[0:3], 0 offset:448
	;; [unrolled: 1-line block ×7, first 2 shown]
	s_waitcnt vmcnt(23) lgkmcnt(0)
	v_fma_f64 v[121:122], v[133:134], v[125:126], v[121:122]
	s_waitcnt vmcnt(18)
	v_fma_f64 v[133:134], v[135:136], v[127:128], v[121:122]
	ds_read_b128 v[121:124], v120 offset:848
	ds_read_b128 v[125:128], v120 offset:864
	buffer_load_dword v138, off, s[0:3], 0 offset:452
	s_waitcnt vmcnt(18) lgkmcnt(1)
	v_fma_f64 v[121:122], v[149:150], v[121:122], v[133:134]
	buffer_load_dword v134, off, s[0:3], 0 offset:460
	buffer_load_dword v135, off, s[0:3], 0 offset:464
	;; [unrolled: 1-line block ×4, first 2 shown]
	s_waitcnt vmcnt(21)
	v_fma_f64 v[121:122], v[147:148], v[123:124], v[121:122]
	s_waitcnt vmcnt(20) lgkmcnt(0)
	v_fma_f64 v[121:122], v[141:142], v[125:126], v[121:122]
	buffer_load_dword v141, off, s[0:3], 0 offset:104
	buffer_load_dword v142, off, s[0:3], 0 offset:108
	s_waitcnt vmcnt(17)
	v_fma_f64 v[129:130], v[129:130], v[127:128], v[121:122]
	ds_read_b128 v[121:124], v120 offset:880
	ds_read_b128 v[125:128], v120 offset:896
	s_waitcnt vmcnt(16) lgkmcnt(1)
	v_fma_f64 v[121:122], v[153:154], v[121:122], v[129:130]
	s_waitcnt vmcnt(15)
	v_fma_f64 v[121:122], v[151:152], v[123:124], v[121:122]
	s_waitcnt vmcnt(14) lgkmcnt(0)
	v_fma_f64 v[121:122], v[143:144], v[125:126], v[121:122]
	s_waitcnt vmcnt(9)
	v_fma_f64 v[129:130], v[131:132], v[127:128], v[121:122]
	ds_read_b128 v[121:124], v120 offset:912
	ds_read_b128 v[125:128], v120 offset:928
	s_waitcnt vmcnt(8) lgkmcnt(1)
	v_fma_f64 v[121:122], v[145:146], v[121:122], v[129:130]
	s_waitcnt vmcnt(7)
	v_fma_f64 v[121:122], v[139:140], v[123:124], v[121:122]
	ds_read_b64 v[123:124], v120 offset:944
	s_waitcnt vmcnt(6) lgkmcnt(1)
	v_fma_f64 v[121:122], v[137:138], v[125:126], v[121:122]
	s_waitcnt vmcnt(3)
	v_fma_f64 v[121:122], v[133:134], v[127:128], v[121:122]
	s_waitcnt vmcnt(2) lgkmcnt(0)
	v_fma_f64 v[121:122], v[135:136], v[123:124], v[121:122]
	s_waitcnt vmcnt(0)
	v_add_f64 v[121:122], v[141:142], -v[121:122]
	buffer_store_dword v122, off, s[0:3], 0 offset:108
	buffer_store_dword v121, off, s[0:3], 0 offset:104
	s_and_saveexec_b64 s[4:5], vcc
	s_cbranch_execz .LBB122_337
; %bb.336:
	buffer_load_dword v121, off, s[0:3], 0 offset:96
	buffer_load_dword v122, off, s[0:3], 0 offset:100
	s_waitcnt vmcnt(0)
	ds_write_b64 v119, v[121:122]
	buffer_store_dword v120, off, s[0:3], 0 offset:96
	buffer_store_dword v120, off, s[0:3], 0 offset:100
.LBB122_337:
	s_or_b64 exec, exec, s[4:5]
	s_waitcnt lgkmcnt(0)
	; wave barrier
	buffer_load_dword v129, off, s[0:3], 0 offset:104
	buffer_load_dword v130, off, s[0:3], 0 offset:108
	;; [unrolled: 1-line block ×21, first 2 shown]
	ds_read2_b64 v[121:124], v120 offset0:73 offset1:74
	ds_read2_b64 v[125:128], v120 offset0:75 offset1:76
	buffer_load_dword v146, off, s[0:3], 0 offset:188
	v_cmp_lt_u32_e32 vcc, 11, v0
	s_waitcnt vmcnt(20) lgkmcnt(1)
	v_fma_f64 v[121:122], v[129:130], v[121:122], 0
	s_waitcnt vmcnt(18)
	v_fma_f64 v[121:122], v[131:132], v[123:124], v[121:122]
	buffer_load_dword v130, off, s[0:3], 0 offset:196
	buffer_load_dword v131, off, s[0:3], 0 offset:216
	;; [unrolled: 1-line block ×7, first 2 shown]
	s_waitcnt vmcnt(23) lgkmcnt(0)
	v_fma_f64 v[121:122], v[133:134], v[125:126], v[121:122]
	s_waitcnt vmcnt(21)
	v_fma_f64 v[132:133], v[135:136], v[127:128], v[121:122]
	ds_read2_b64 v[121:124], v120 offset0:77 offset1:78
	ds_read2_b64 v[125:128], v120 offset0:79 offset1:80
	s_waitcnt vmcnt(19) lgkmcnt(1)
	v_fma_f64 v[121:122], v[137:138], v[121:122], v[132:133]
	buffer_load_dword v132, off, s[0:3], 0 offset:220
	s_waitcnt vmcnt(18)
	v_fma_f64 v[121:122], v[139:140], v[123:124], v[121:122]
	buffer_load_dword v134, off, s[0:3], 0 offset:228
	buffer_load_dword v135, off, s[0:3], 0 offset:248
	;; [unrolled: 1-line block ×8, first 2 shown]
	s_waitcnt vmcnt(24) lgkmcnt(0)
	v_fma_f64 v[121:122], v[141:142], v[125:126], v[121:122]
	s_waitcnt vmcnt(19)
	v_fma_f64 v[141:142], v[143:144], v[127:128], v[121:122]
	ds_read2_b64 v[121:124], v120 offset0:81 offset1:82
	ds_read2_b64 v[125:128], v120 offset0:83 offset1:84
	s_waitcnt vmcnt(18) lgkmcnt(1)
	v_fma_f64 v[121:122], v[149:150], v[121:122], v[141:142]
	s_waitcnt vmcnt(17)
	v_fma_f64 v[121:122], v[147:148], v[123:124], v[121:122]
	buffer_load_dword v142, off, s[0:3], 0 offset:260
	buffer_load_dword v143, off, s[0:3], 0 offset:280
	;; [unrolled: 1-line block ×7, first 2 shown]
	s_waitcnt vmcnt(23) lgkmcnt(0)
	v_fma_f64 v[121:122], v[145:146], v[125:126], v[121:122]
	s_waitcnt vmcnt(18)
	v_fma_f64 v[129:130], v[129:130], v[127:128], v[121:122]
	ds_read2_b64 v[121:124], v120 offset0:85 offset1:86
	ds_read2_b64 v[125:128], v120 offset0:87 offset1:88
	buffer_load_dword v144, off, s[0:3], 0 offset:284
	s_waitcnt vmcnt(18) lgkmcnt(1)
	v_fma_f64 v[121:122], v[153:154], v[121:122], v[129:130]
	s_waitcnt vmcnt(17)
	v_fma_f64 v[121:122], v[151:152], v[123:124], v[121:122]
	buffer_load_dword v130, off, s[0:3], 0 offset:292
	buffer_load_dword v145, off, s[0:3], 0 offset:312
	;; [unrolled: 1-line block ×8, first 2 shown]
	s_waitcnt vmcnt(24) lgkmcnt(0)
	v_fma_f64 v[121:122], v[131:132], v[125:126], v[121:122]
	s_waitcnt vmcnt(19)
	v_fma_f64 v[131:132], v[133:134], v[127:128], v[121:122]
	ds_read2_b64 v[121:124], v120 offset0:89 offset1:90
	ds_read2_b64 v[125:128], v120 offset0:91 offset1:92
	s_waitcnt vmcnt(18) lgkmcnt(1)
	v_fma_f64 v[121:122], v[139:140], v[121:122], v[131:132]
	s_waitcnt vmcnt(17)
	v_fma_f64 v[121:122], v[137:138], v[123:124], v[121:122]
	buffer_load_dword v132, off, s[0:3], 0 offset:324
	buffer_load_dword v133, off, s[0:3], 0 offset:344
	;; [unrolled: 1-line block ×7, first 2 shown]
	s_waitcnt vmcnt(23) lgkmcnt(0)
	v_fma_f64 v[121:122], v[135:136], v[125:126], v[121:122]
	s_waitcnt vmcnt(18)
	v_fma_f64 v[134:135], v[141:142], v[127:128], v[121:122]
	ds_read2_b64 v[121:124], v120 offset0:93 offset1:94
	ds_read2_b64 v[125:128], v120 offset0:95 offset1:96
	s_waitcnt vmcnt(17) lgkmcnt(1)
	v_fma_f64 v[121:122], v[149:150], v[121:122], v[134:135]
	buffer_load_dword v134, off, s[0:3], 0 offset:348
	s_waitcnt vmcnt(17)
	v_fma_f64 v[121:122], v[147:148], v[123:124], v[121:122]
	buffer_load_dword v136, off, s[0:3], 0 offset:356
	buffer_load_dword v141, off, s[0:3], 0 offset:376
	;; [unrolled: 1-line block ×7, first 2 shown]
	s_waitcnt vmcnt(23) lgkmcnt(0)
	v_fma_f64 v[121:122], v[143:144], v[125:126], v[121:122]
	s_waitcnt vmcnt(18)
	v_fma_f64 v[129:130], v[129:130], v[127:128], v[121:122]
	ds_read2_b64 v[121:124], v120 offset0:97 offset1:98
	ds_read2_b64 v[125:128], v120 offset0:99 offset1:100
	buffer_load_dword v142, off, s[0:3], 0 offset:380
	s_waitcnt vmcnt(18) lgkmcnt(1)
	v_fma_f64 v[121:122], v[153:154], v[121:122], v[129:130]
	s_waitcnt vmcnt(17)
	v_fma_f64 v[121:122], v[151:152], v[123:124], v[121:122]
	buffer_load_dword v130, off, s[0:3], 0 offset:388
	buffer_load_dword v143, off, s[0:3], 0 offset:408
	;; [unrolled: 1-line block ×8, first 2 shown]
	s_waitcnt vmcnt(24) lgkmcnt(0)
	v_fma_f64 v[121:122], v[145:146], v[125:126], v[121:122]
	s_waitcnt vmcnt(19)
	v_fma_f64 v[131:132], v[131:132], v[127:128], v[121:122]
	ds_read2_b64 v[121:124], v120 offset0:101 offset1:102
	ds_read2_b64 v[125:128], v120 offset0:103 offset1:104
	s_waitcnt vmcnt(18) lgkmcnt(1)
	v_fma_f64 v[121:122], v[139:140], v[121:122], v[131:132]
	s_waitcnt vmcnt(17)
	v_fma_f64 v[121:122], v[137:138], v[123:124], v[121:122]
	buffer_load_dword v132, off, s[0:3], 0 offset:420
	buffer_load_dword v137, off, s[0:3], 0 offset:440
	buffer_load_dword v139, off, s[0:3], 0 offset:432
	buffer_load_dword v145, off, s[0:3], 0 offset:424
	buffer_load_dword v131, off, s[0:3], 0 offset:416
	buffer_load_dword v146, off, s[0:3], 0 offset:428
	buffer_load_dword v140, off, s[0:3], 0 offset:436
	buffer_load_dword v138, off, s[0:3], 0 offset:444
	s_waitcnt vmcnt(24) lgkmcnt(0)
	v_fma_f64 v[121:122], v[133:134], v[125:126], v[121:122]
	s_waitcnt vmcnt(19)
	v_fma_f64 v[133:134], v[135:136], v[127:128], v[121:122]
	ds_read2_b64 v[121:124], v120 offset0:105 offset1:106
	ds_read2_b64 v[125:128], v120 offset0:107 offset1:108
	s_waitcnt vmcnt(18) lgkmcnt(1)
	v_fma_f64 v[121:122], v[149:150], v[121:122], v[133:134]
	s_waitcnt vmcnt(17)
	v_fma_f64 v[121:122], v[147:148], v[123:124], v[121:122]
	buffer_load_dword v134, off, s[0:3], 0 offset:452
	buffer_load_dword v135, off, s[0:3], 0 offset:464
	;; [unrolled: 1-line block ×6, first 2 shown]
	s_waitcnt vmcnt(22) lgkmcnt(0)
	v_fma_f64 v[121:122], v[141:142], v[125:126], v[121:122]
	s_waitcnt vmcnt(17)
	v_fma_f64 v[129:130], v[129:130], v[127:128], v[121:122]
	ds_read2_b64 v[121:124], v120 offset0:109 offset1:110
	buffer_load_dword v141, off, s[0:3], 0 offset:96
	buffer_load_dword v142, off, s[0:3], 0 offset:100
	ds_read2_b64 v[125:128], v120 offset0:111 offset1:112
	s_waitcnt vmcnt(18) lgkmcnt(1)
	v_fma_f64 v[121:122], v[153:154], v[121:122], v[129:130]
	s_waitcnt vmcnt(17)
	v_fma_f64 v[121:122], v[151:152], v[123:124], v[121:122]
	s_waitcnt vmcnt(16) lgkmcnt(0)
	v_fma_f64 v[121:122], v[143:144], v[125:126], v[121:122]
	s_waitcnt vmcnt(11)
	v_fma_f64 v[129:130], v[131:132], v[127:128], v[121:122]
	ds_read2_b64 v[121:124], v120 offset0:113 offset1:114
	ds_read2_b64 v[125:128], v120 offset0:115 offset1:116
	s_waitcnt vmcnt(10) lgkmcnt(1)
	v_fma_f64 v[121:122], v[145:146], v[121:122], v[129:130]
	s_waitcnt vmcnt(9)
	v_fma_f64 v[121:122], v[139:140], v[123:124], v[121:122]
	s_waitcnt vmcnt(8) lgkmcnt(0)
	v_fma_f64 v[121:122], v[137:138], v[125:126], v[121:122]
	s_waitcnt vmcnt(4)
	v_fma_f64 v[124:125], v[133:134], v[127:128], v[121:122]
	ds_read2_b64 v[120:123], v120 offset0:117 offset1:118
	s_waitcnt vmcnt(3) lgkmcnt(0)
	v_fma_f64 v[120:121], v[147:148], v[120:121], v[124:125]
	s_waitcnt vmcnt(2)
	v_fma_f64 v[120:121], v[135:136], v[122:123], v[120:121]
	s_waitcnt vmcnt(0)
	v_add_f64 v[120:121], v[141:142], -v[120:121]
	buffer_store_dword v121, off, s[0:3], 0 offset:100
	buffer_store_dword v120, off, s[0:3], 0 offset:96
	s_and_saveexec_b64 s[4:5], vcc
	s_cbranch_execz .LBB122_339
; %bb.338:
	buffer_load_dword v120, off, s[0:3], 0 offset:88
	buffer_load_dword v121, off, s[0:3], 0 offset:92
	v_mov_b32_e32 v122, 0
	buffer_store_dword v122, off, s[0:3], 0 offset:88
	buffer_store_dword v122, off, s[0:3], 0 offset:92
	s_waitcnt vmcnt(2)
	ds_write_b64 v119, v[120:121]
.LBB122_339:
	s_or_b64 exec, exec, s[4:5]
	s_waitcnt lgkmcnt(0)
	; wave barrier
	buffer_load_dword v129, off, s[0:3], 0 offset:96
	buffer_load_dword v130, off, s[0:3], 0 offset:100
	;; [unrolled: 1-line block ×21, first 2 shown]
	v_mov_b32_e32 v120, 0
	ds_read_b128 v[121:124], v120 offset:576
	ds_read_b128 v[125:128], v120 offset:592
	buffer_load_dword v146, off, s[0:3], 0 offset:180
	v_cmp_lt_u32_e32 vcc, 10, v0
	s_waitcnt vmcnt(20) lgkmcnt(1)
	v_fma_f64 v[121:122], v[129:130], v[121:122], 0
	s_waitcnt vmcnt(18)
	v_fma_f64 v[121:122], v[131:132], v[123:124], v[121:122]
	buffer_load_dword v130, off, s[0:3], 0 offset:188
	buffer_load_dword v131, off, s[0:3], 0 offset:208
	;; [unrolled: 1-line block ×7, first 2 shown]
	s_waitcnt vmcnt(23) lgkmcnt(0)
	v_fma_f64 v[121:122], v[133:134], v[125:126], v[121:122]
	s_waitcnt vmcnt(21)
	v_fma_f64 v[132:133], v[135:136], v[127:128], v[121:122]
	ds_read_b128 v[121:124], v120 offset:608
	ds_read_b128 v[125:128], v120 offset:624
	s_waitcnt vmcnt(19) lgkmcnt(1)
	v_fma_f64 v[121:122], v[137:138], v[121:122], v[132:133]
	buffer_load_dword v132, off, s[0:3], 0 offset:212
	s_waitcnt vmcnt(18)
	v_fma_f64 v[121:122], v[139:140], v[123:124], v[121:122]
	buffer_load_dword v134, off, s[0:3], 0 offset:220
	buffer_load_dword v135, off, s[0:3], 0 offset:240
	;; [unrolled: 1-line block ×8, first 2 shown]
	s_waitcnt vmcnt(24) lgkmcnt(0)
	v_fma_f64 v[121:122], v[141:142], v[125:126], v[121:122]
	s_waitcnt vmcnt(19)
	v_fma_f64 v[141:142], v[143:144], v[127:128], v[121:122]
	ds_read_b128 v[121:124], v120 offset:640
	ds_read_b128 v[125:128], v120 offset:656
	s_waitcnt vmcnt(18) lgkmcnt(1)
	v_fma_f64 v[121:122], v[149:150], v[121:122], v[141:142]
	s_waitcnt vmcnt(17)
	v_fma_f64 v[121:122], v[147:148], v[123:124], v[121:122]
	buffer_load_dword v142, off, s[0:3], 0 offset:252
	buffer_load_dword v143, off, s[0:3], 0 offset:272
	;; [unrolled: 1-line block ×7, first 2 shown]
	s_waitcnt vmcnt(23) lgkmcnt(0)
	v_fma_f64 v[121:122], v[145:146], v[125:126], v[121:122]
	s_waitcnt vmcnt(18)
	v_fma_f64 v[129:130], v[129:130], v[127:128], v[121:122]
	ds_read_b128 v[121:124], v120 offset:672
	ds_read_b128 v[125:128], v120 offset:688
	buffer_load_dword v144, off, s[0:3], 0 offset:276
	s_waitcnt vmcnt(18) lgkmcnt(1)
	v_fma_f64 v[121:122], v[153:154], v[121:122], v[129:130]
	s_waitcnt vmcnt(17)
	v_fma_f64 v[121:122], v[151:152], v[123:124], v[121:122]
	buffer_load_dword v130, off, s[0:3], 0 offset:284
	buffer_load_dword v145, off, s[0:3], 0 offset:304
	;; [unrolled: 1-line block ×8, first 2 shown]
	s_waitcnt vmcnt(24) lgkmcnt(0)
	v_fma_f64 v[121:122], v[131:132], v[125:126], v[121:122]
	s_waitcnt vmcnt(19)
	v_fma_f64 v[131:132], v[133:134], v[127:128], v[121:122]
	ds_read_b128 v[121:124], v120 offset:704
	ds_read_b128 v[125:128], v120 offset:720
	s_waitcnt vmcnt(18) lgkmcnt(1)
	v_fma_f64 v[121:122], v[139:140], v[121:122], v[131:132]
	s_waitcnt vmcnt(17)
	v_fma_f64 v[121:122], v[137:138], v[123:124], v[121:122]
	buffer_load_dword v132, off, s[0:3], 0 offset:316
	buffer_load_dword v133, off, s[0:3], 0 offset:336
	;; [unrolled: 1-line block ×7, first 2 shown]
	s_waitcnt vmcnt(23) lgkmcnt(0)
	v_fma_f64 v[121:122], v[135:136], v[125:126], v[121:122]
	s_waitcnt vmcnt(18)
	v_fma_f64 v[134:135], v[141:142], v[127:128], v[121:122]
	ds_read_b128 v[121:124], v120 offset:736
	ds_read_b128 v[125:128], v120 offset:752
	s_waitcnt vmcnt(17) lgkmcnt(1)
	v_fma_f64 v[121:122], v[149:150], v[121:122], v[134:135]
	buffer_load_dword v134, off, s[0:3], 0 offset:340
	s_waitcnt vmcnt(17)
	v_fma_f64 v[121:122], v[147:148], v[123:124], v[121:122]
	buffer_load_dword v136, off, s[0:3], 0 offset:348
	buffer_load_dword v141, off, s[0:3], 0 offset:368
	;; [unrolled: 1-line block ×7, first 2 shown]
	s_waitcnt vmcnt(23) lgkmcnt(0)
	v_fma_f64 v[121:122], v[143:144], v[125:126], v[121:122]
	s_waitcnt vmcnt(18)
	v_fma_f64 v[129:130], v[129:130], v[127:128], v[121:122]
	ds_read_b128 v[121:124], v120 offset:768
	ds_read_b128 v[125:128], v120 offset:784
	buffer_load_dword v142, off, s[0:3], 0 offset:372
	s_waitcnt vmcnt(18) lgkmcnt(1)
	v_fma_f64 v[121:122], v[153:154], v[121:122], v[129:130]
	s_waitcnt vmcnt(17)
	v_fma_f64 v[121:122], v[151:152], v[123:124], v[121:122]
	buffer_load_dword v130, off, s[0:3], 0 offset:380
	buffer_load_dword v143, off, s[0:3], 0 offset:400
	buffer_load_dword v151, off, s[0:3], 0 offset:392
	buffer_load_dword v153, off, s[0:3], 0 offset:384
	buffer_load_dword v129, off, s[0:3], 0 offset:376
	buffer_load_dword v154, off, s[0:3], 0 offset:388
	buffer_load_dword v152, off, s[0:3], 0 offset:396
	buffer_load_dword v144, off, s[0:3], 0 offset:404
	s_waitcnt vmcnt(24) lgkmcnt(0)
	v_fma_f64 v[121:122], v[145:146], v[125:126], v[121:122]
	s_waitcnt vmcnt(19)
	v_fma_f64 v[131:132], v[131:132], v[127:128], v[121:122]
	ds_read_b128 v[121:124], v120 offset:800
	ds_read_b128 v[125:128], v120 offset:816
	s_waitcnt vmcnt(18) lgkmcnt(1)
	v_fma_f64 v[121:122], v[139:140], v[121:122], v[131:132]
	s_waitcnt vmcnt(17)
	v_fma_f64 v[121:122], v[137:138], v[123:124], v[121:122]
	buffer_load_dword v132, off, s[0:3], 0 offset:412
	buffer_load_dword v137, off, s[0:3], 0 offset:432
	buffer_load_dword v139, off, s[0:3], 0 offset:424
	buffer_load_dword v145, off, s[0:3], 0 offset:416
	buffer_load_dword v131, off, s[0:3], 0 offset:408
	buffer_load_dword v146, off, s[0:3], 0 offset:420
	buffer_load_dword v140, off, s[0:3], 0 offset:428
	buffer_load_dword v138, off, s[0:3], 0 offset:436
	s_waitcnt vmcnt(24) lgkmcnt(0)
	v_fma_f64 v[121:122], v[133:134], v[125:126], v[121:122]
	s_waitcnt vmcnt(19)
	v_fma_f64 v[133:134], v[135:136], v[127:128], v[121:122]
	ds_read_b128 v[121:124], v120 offset:832
	ds_read_b128 v[125:128], v120 offset:848
	;; [unrolled: 18-line block ×3, first 2 shown]
	s_waitcnt vmcnt(18) lgkmcnt(1)
	v_fma_f64 v[121:122], v[153:154], v[121:122], v[129:130]
	buffer_load_dword v129, off, s[0:3], 0 offset:88
	buffer_load_dword v130, off, s[0:3], 0 offset:92
	s_waitcnt vmcnt(19)
	v_fma_f64 v[121:122], v[151:152], v[123:124], v[121:122]
	s_waitcnt vmcnt(18) lgkmcnt(0)
	v_fma_f64 v[121:122], v[143:144], v[125:126], v[121:122]
	s_waitcnt vmcnt(13)
	v_fma_f64 v[131:132], v[131:132], v[127:128], v[121:122]
	ds_read_b128 v[121:124], v120 offset:896
	ds_read_b128 v[125:128], v120 offset:912
	s_waitcnt vmcnt(12) lgkmcnt(1)
	v_fma_f64 v[121:122], v[145:146], v[121:122], v[131:132]
	s_waitcnt vmcnt(11)
	v_fma_f64 v[121:122], v[139:140], v[123:124], v[121:122]
	s_waitcnt vmcnt(10) lgkmcnt(0)
	v_fma_f64 v[121:122], v[137:138], v[125:126], v[121:122]
	s_waitcnt vmcnt(5)
	v_fma_f64 v[125:126], v[133:134], v[127:128], v[121:122]
	ds_read_b128 v[121:124], v120 offset:928
	ds_read_b64 v[127:128], v120 offset:944
	s_waitcnt vmcnt(4) lgkmcnt(1)
	v_fma_f64 v[121:122], v[149:150], v[121:122], v[125:126]
	s_waitcnt vmcnt(3)
	v_fma_f64 v[121:122], v[147:148], v[123:124], v[121:122]
	s_waitcnt vmcnt(2) lgkmcnt(0)
	v_fma_f64 v[121:122], v[135:136], v[127:128], v[121:122]
	s_waitcnt vmcnt(0)
	v_add_f64 v[121:122], v[129:130], -v[121:122]
	buffer_store_dword v122, off, s[0:3], 0 offset:92
	buffer_store_dword v121, off, s[0:3], 0 offset:88
	s_and_saveexec_b64 s[4:5], vcc
	s_cbranch_execz .LBB122_341
; %bb.340:
	buffer_load_dword v121, off, s[0:3], 0 offset:80
	buffer_load_dword v122, off, s[0:3], 0 offset:84
	s_waitcnt vmcnt(0)
	ds_write_b64 v119, v[121:122]
	buffer_store_dword v120, off, s[0:3], 0 offset:80
	buffer_store_dword v120, off, s[0:3], 0 offset:84
.LBB122_341:
	s_or_b64 exec, exec, s[4:5]
	s_waitcnt lgkmcnt(0)
	; wave barrier
	buffer_load_dword v129, off, s[0:3], 0 offset:88
	buffer_load_dword v130, off, s[0:3], 0 offset:92
	;; [unrolled: 1-line block ×21, first 2 shown]
	ds_read2_b64 v[121:124], v120 offset0:71 offset1:72
	ds_read2_b64 v[125:128], v120 offset0:73 offset1:74
	buffer_load_dword v146, off, s[0:3], 0 offset:172
	v_cmp_lt_u32_e32 vcc, 9, v0
	s_waitcnt vmcnt(20) lgkmcnt(1)
	v_fma_f64 v[121:122], v[129:130], v[121:122], 0
	s_waitcnt vmcnt(18)
	v_fma_f64 v[121:122], v[131:132], v[123:124], v[121:122]
	buffer_load_dword v130, off, s[0:3], 0 offset:180
	buffer_load_dword v131, off, s[0:3], 0 offset:200
	;; [unrolled: 1-line block ×7, first 2 shown]
	s_waitcnt vmcnt(23) lgkmcnt(0)
	v_fma_f64 v[121:122], v[133:134], v[125:126], v[121:122]
	s_waitcnt vmcnt(21)
	v_fma_f64 v[132:133], v[135:136], v[127:128], v[121:122]
	ds_read2_b64 v[121:124], v120 offset0:75 offset1:76
	ds_read2_b64 v[125:128], v120 offset0:77 offset1:78
	s_waitcnt vmcnt(19) lgkmcnt(1)
	v_fma_f64 v[121:122], v[137:138], v[121:122], v[132:133]
	buffer_load_dword v132, off, s[0:3], 0 offset:204
	s_waitcnt vmcnt(18)
	v_fma_f64 v[121:122], v[139:140], v[123:124], v[121:122]
	buffer_load_dword v134, off, s[0:3], 0 offset:212
	buffer_load_dword v135, off, s[0:3], 0 offset:232
	;; [unrolled: 1-line block ×8, first 2 shown]
	s_waitcnt vmcnt(24) lgkmcnt(0)
	v_fma_f64 v[121:122], v[141:142], v[125:126], v[121:122]
	s_waitcnt vmcnt(19)
	v_fma_f64 v[141:142], v[143:144], v[127:128], v[121:122]
	ds_read2_b64 v[121:124], v120 offset0:79 offset1:80
	ds_read2_b64 v[125:128], v120 offset0:81 offset1:82
	s_waitcnt vmcnt(18) lgkmcnt(1)
	v_fma_f64 v[121:122], v[149:150], v[121:122], v[141:142]
	s_waitcnt vmcnt(17)
	v_fma_f64 v[121:122], v[147:148], v[123:124], v[121:122]
	buffer_load_dword v142, off, s[0:3], 0 offset:244
	buffer_load_dword v143, off, s[0:3], 0 offset:264
	;; [unrolled: 1-line block ×7, first 2 shown]
	s_waitcnt vmcnt(23) lgkmcnt(0)
	v_fma_f64 v[121:122], v[145:146], v[125:126], v[121:122]
	s_waitcnt vmcnt(18)
	v_fma_f64 v[129:130], v[129:130], v[127:128], v[121:122]
	ds_read2_b64 v[121:124], v120 offset0:83 offset1:84
	ds_read2_b64 v[125:128], v120 offset0:85 offset1:86
	buffer_load_dword v144, off, s[0:3], 0 offset:268
	s_waitcnt vmcnt(18) lgkmcnt(1)
	v_fma_f64 v[121:122], v[153:154], v[121:122], v[129:130]
	s_waitcnt vmcnt(17)
	v_fma_f64 v[121:122], v[151:152], v[123:124], v[121:122]
	buffer_load_dword v130, off, s[0:3], 0 offset:276
	buffer_load_dword v145, off, s[0:3], 0 offset:296
	;; [unrolled: 1-line block ×8, first 2 shown]
	s_waitcnt vmcnt(24) lgkmcnt(0)
	v_fma_f64 v[121:122], v[131:132], v[125:126], v[121:122]
	s_waitcnt vmcnt(19)
	v_fma_f64 v[131:132], v[133:134], v[127:128], v[121:122]
	ds_read2_b64 v[121:124], v120 offset0:87 offset1:88
	ds_read2_b64 v[125:128], v120 offset0:89 offset1:90
	s_waitcnt vmcnt(18) lgkmcnt(1)
	v_fma_f64 v[121:122], v[139:140], v[121:122], v[131:132]
	s_waitcnt vmcnt(17)
	v_fma_f64 v[121:122], v[137:138], v[123:124], v[121:122]
	buffer_load_dword v132, off, s[0:3], 0 offset:308
	buffer_load_dword v133, off, s[0:3], 0 offset:328
	;; [unrolled: 1-line block ×7, first 2 shown]
	s_waitcnt vmcnt(23) lgkmcnt(0)
	v_fma_f64 v[121:122], v[135:136], v[125:126], v[121:122]
	s_waitcnt vmcnt(18)
	v_fma_f64 v[134:135], v[141:142], v[127:128], v[121:122]
	ds_read2_b64 v[121:124], v120 offset0:91 offset1:92
	ds_read2_b64 v[125:128], v120 offset0:93 offset1:94
	s_waitcnt vmcnt(17) lgkmcnt(1)
	v_fma_f64 v[121:122], v[149:150], v[121:122], v[134:135]
	buffer_load_dword v134, off, s[0:3], 0 offset:332
	s_waitcnt vmcnt(17)
	v_fma_f64 v[121:122], v[147:148], v[123:124], v[121:122]
	buffer_load_dword v136, off, s[0:3], 0 offset:340
	buffer_load_dword v141, off, s[0:3], 0 offset:360
	;; [unrolled: 1-line block ×7, first 2 shown]
	s_waitcnt vmcnt(23) lgkmcnt(0)
	v_fma_f64 v[121:122], v[143:144], v[125:126], v[121:122]
	s_waitcnt vmcnt(18)
	v_fma_f64 v[129:130], v[129:130], v[127:128], v[121:122]
	ds_read2_b64 v[121:124], v120 offset0:95 offset1:96
	ds_read2_b64 v[125:128], v120 offset0:97 offset1:98
	buffer_load_dword v142, off, s[0:3], 0 offset:364
	s_waitcnt vmcnt(18) lgkmcnt(1)
	v_fma_f64 v[121:122], v[153:154], v[121:122], v[129:130]
	s_waitcnt vmcnt(17)
	v_fma_f64 v[121:122], v[151:152], v[123:124], v[121:122]
	buffer_load_dword v130, off, s[0:3], 0 offset:372
	buffer_load_dword v143, off, s[0:3], 0 offset:392
	buffer_load_dword v151, off, s[0:3], 0 offset:384
	buffer_load_dword v153, off, s[0:3], 0 offset:376
	buffer_load_dword v129, off, s[0:3], 0 offset:368
	buffer_load_dword v154, off, s[0:3], 0 offset:380
	buffer_load_dword v152, off, s[0:3], 0 offset:388
	buffer_load_dword v144, off, s[0:3], 0 offset:396
	s_waitcnt vmcnt(24) lgkmcnt(0)
	v_fma_f64 v[121:122], v[145:146], v[125:126], v[121:122]
	s_waitcnt vmcnt(19)
	v_fma_f64 v[131:132], v[131:132], v[127:128], v[121:122]
	ds_read2_b64 v[121:124], v120 offset0:99 offset1:100
	ds_read2_b64 v[125:128], v120 offset0:101 offset1:102
	s_waitcnt vmcnt(18) lgkmcnt(1)
	v_fma_f64 v[121:122], v[139:140], v[121:122], v[131:132]
	s_waitcnt vmcnt(17)
	v_fma_f64 v[121:122], v[137:138], v[123:124], v[121:122]
	buffer_load_dword v132, off, s[0:3], 0 offset:404
	buffer_load_dword v137, off, s[0:3], 0 offset:424
	buffer_load_dword v139, off, s[0:3], 0 offset:416
	buffer_load_dword v145, off, s[0:3], 0 offset:408
	buffer_load_dword v131, off, s[0:3], 0 offset:400
	buffer_load_dword v146, off, s[0:3], 0 offset:412
	buffer_load_dword v140, off, s[0:3], 0 offset:420
	buffer_load_dword v138, off, s[0:3], 0 offset:428
	s_waitcnt vmcnt(24) lgkmcnt(0)
	v_fma_f64 v[121:122], v[133:134], v[125:126], v[121:122]
	s_waitcnt vmcnt(19)
	v_fma_f64 v[133:134], v[135:136], v[127:128], v[121:122]
	ds_read2_b64 v[121:124], v120 offset0:103 offset1:104
	ds_read2_b64 v[125:128], v120 offset0:105 offset1:106
	s_waitcnt vmcnt(18) lgkmcnt(1)
	v_fma_f64 v[121:122], v[149:150], v[121:122], v[133:134]
	s_waitcnt vmcnt(17)
	v_fma_f64 v[121:122], v[147:148], v[123:124], v[121:122]
	buffer_load_dword v134, off, s[0:3], 0 offset:436
	buffer_load_dword v135, off, s[0:3], 0 offset:456
	buffer_load_dword v147, off, s[0:3], 0 offset:448
	buffer_load_dword v149, off, s[0:3], 0 offset:440
	buffer_load_dword v133, off, s[0:3], 0 offset:432
	buffer_load_dword v150, off, s[0:3], 0 offset:444
	buffer_load_dword v148, off, s[0:3], 0 offset:452
	buffer_load_dword v136, off, s[0:3], 0 offset:460
	s_waitcnt vmcnt(24) lgkmcnt(0)
	v_fma_f64 v[121:122], v[141:142], v[125:126], v[121:122]
	s_waitcnt vmcnt(19)
	v_fma_f64 v[129:130], v[129:130], v[127:128], v[121:122]
	ds_read2_b64 v[121:124], v120 offset0:107 offset1:108
	ds_read2_b64 v[125:128], v120 offset0:109 offset1:110
	s_waitcnt vmcnt(18) lgkmcnt(1)
	v_fma_f64 v[121:122], v[153:154], v[121:122], v[129:130]
	buffer_load_dword v130, off, s[0:3], 0 offset:468
	buffer_load_dword v129, off, s[0:3], 0 offset:464
	;; [unrolled: 1-line block ×4, first 2 shown]
	s_waitcnt vmcnt(21)
	v_fma_f64 v[121:122], v[151:152], v[123:124], v[121:122]
	s_waitcnt vmcnt(20) lgkmcnt(0)
	v_fma_f64 v[121:122], v[143:144], v[125:126], v[121:122]
	s_waitcnt vmcnt(15)
	v_fma_f64 v[131:132], v[131:132], v[127:128], v[121:122]
	ds_read2_b64 v[121:124], v120 offset0:111 offset1:112
	ds_read2_b64 v[125:128], v120 offset0:113 offset1:114
	s_waitcnt vmcnt(14) lgkmcnt(1)
	v_fma_f64 v[121:122], v[145:146], v[121:122], v[131:132]
	s_waitcnt vmcnt(13)
	v_fma_f64 v[121:122], v[139:140], v[123:124], v[121:122]
	s_waitcnt vmcnt(12) lgkmcnt(0)
	v_fma_f64 v[121:122], v[137:138], v[125:126], v[121:122]
	s_waitcnt vmcnt(7)
	v_fma_f64 v[131:132], v[133:134], v[127:128], v[121:122]
	ds_read2_b64 v[121:124], v120 offset0:115 offset1:116
	ds_read2_b64 v[125:128], v120 offset0:117 offset1:118
	s_waitcnt vmcnt(6) lgkmcnt(1)
	v_fma_f64 v[120:121], v[149:150], v[121:122], v[131:132]
	s_waitcnt vmcnt(5)
	v_fma_f64 v[120:121], v[147:148], v[123:124], v[120:121]
	s_waitcnt vmcnt(4) lgkmcnt(0)
	v_fma_f64 v[120:121], v[135:136], v[125:126], v[120:121]
	s_waitcnt vmcnt(2)
	v_fma_f64 v[120:121], v[129:130], v[127:128], v[120:121]
	s_waitcnt vmcnt(0)
	v_add_f64 v[120:121], v[141:142], -v[120:121]
	buffer_store_dword v121, off, s[0:3], 0 offset:84
	buffer_store_dword v120, off, s[0:3], 0 offset:80
	s_and_saveexec_b64 s[4:5], vcc
	s_cbranch_execz .LBB122_343
; %bb.342:
	buffer_load_dword v120, off, s[0:3], 0 offset:72
	buffer_load_dword v121, off, s[0:3], 0 offset:76
	v_mov_b32_e32 v122, 0
	buffer_store_dword v122, off, s[0:3], 0 offset:72
	buffer_store_dword v122, off, s[0:3], 0 offset:76
	s_waitcnt vmcnt(2)
	ds_write_b64 v119, v[120:121]
.LBB122_343:
	s_or_b64 exec, exec, s[4:5]
	s_waitcnt lgkmcnt(0)
	; wave barrier
	buffer_load_dword v129, off, s[0:3], 0 offset:80
	buffer_load_dword v130, off, s[0:3], 0 offset:84
	;; [unrolled: 1-line block ×21, first 2 shown]
	v_mov_b32_e32 v120, 0
	ds_read_b128 v[121:124], v120 offset:560
	ds_read_b128 v[125:128], v120 offset:576
	buffer_load_dword v146, off, s[0:3], 0 offset:164
	v_cmp_lt_u32_e32 vcc, 8, v0
	s_waitcnt vmcnt(20) lgkmcnt(1)
	v_fma_f64 v[121:122], v[129:130], v[121:122], 0
	s_waitcnt vmcnt(18)
	v_fma_f64 v[121:122], v[131:132], v[123:124], v[121:122]
	buffer_load_dword v130, off, s[0:3], 0 offset:172
	buffer_load_dword v131, off, s[0:3], 0 offset:192
	;; [unrolled: 1-line block ×7, first 2 shown]
	s_waitcnt vmcnt(23) lgkmcnt(0)
	v_fma_f64 v[121:122], v[133:134], v[125:126], v[121:122]
	s_waitcnt vmcnt(21)
	v_fma_f64 v[132:133], v[135:136], v[127:128], v[121:122]
	ds_read_b128 v[121:124], v120 offset:592
	ds_read_b128 v[125:128], v120 offset:608
	s_waitcnt vmcnt(19) lgkmcnt(1)
	v_fma_f64 v[121:122], v[137:138], v[121:122], v[132:133]
	buffer_load_dword v132, off, s[0:3], 0 offset:196
	s_waitcnt vmcnt(18)
	v_fma_f64 v[121:122], v[139:140], v[123:124], v[121:122]
	buffer_load_dword v134, off, s[0:3], 0 offset:204
	buffer_load_dword v135, off, s[0:3], 0 offset:224
	;; [unrolled: 1-line block ×8, first 2 shown]
	s_waitcnt vmcnt(24) lgkmcnt(0)
	v_fma_f64 v[121:122], v[141:142], v[125:126], v[121:122]
	s_waitcnt vmcnt(19)
	v_fma_f64 v[141:142], v[143:144], v[127:128], v[121:122]
	ds_read_b128 v[121:124], v120 offset:624
	ds_read_b128 v[125:128], v120 offset:640
	s_waitcnt vmcnt(18) lgkmcnt(1)
	v_fma_f64 v[121:122], v[149:150], v[121:122], v[141:142]
	s_waitcnt vmcnt(17)
	v_fma_f64 v[121:122], v[147:148], v[123:124], v[121:122]
	buffer_load_dword v142, off, s[0:3], 0 offset:236
	buffer_load_dword v143, off, s[0:3], 0 offset:256
	;; [unrolled: 1-line block ×7, first 2 shown]
	s_waitcnt vmcnt(23) lgkmcnt(0)
	v_fma_f64 v[121:122], v[145:146], v[125:126], v[121:122]
	s_waitcnt vmcnt(18)
	v_fma_f64 v[129:130], v[129:130], v[127:128], v[121:122]
	ds_read_b128 v[121:124], v120 offset:656
	ds_read_b128 v[125:128], v120 offset:672
	buffer_load_dword v144, off, s[0:3], 0 offset:260
	s_waitcnt vmcnt(18) lgkmcnt(1)
	v_fma_f64 v[121:122], v[153:154], v[121:122], v[129:130]
	s_waitcnt vmcnt(17)
	v_fma_f64 v[121:122], v[151:152], v[123:124], v[121:122]
	buffer_load_dword v130, off, s[0:3], 0 offset:268
	buffer_load_dword v145, off, s[0:3], 0 offset:288
	;; [unrolled: 1-line block ×7, first 2 shown]
	s_waitcnt vmcnt(23) lgkmcnt(0)
	v_fma_f64 v[121:122], v[131:132], v[125:126], v[121:122]
	s_waitcnt vmcnt(18)
	v_fma_f64 v[131:132], v[133:134], v[127:128], v[121:122]
	ds_read_b128 v[121:124], v120 offset:688
	ds_read_b128 v[125:128], v120 offset:704
	buffer_load_dword v146, off, s[0:3], 0 offset:292
	s_waitcnt vmcnt(18) lgkmcnt(1)
	v_fma_f64 v[121:122], v[139:140], v[121:122], v[131:132]
	s_waitcnt vmcnt(17)
	v_fma_f64 v[121:122], v[137:138], v[123:124], v[121:122]
	buffer_load_dword v132, off, s[0:3], 0 offset:300
	buffer_load_dword v133, off, s[0:3], 0 offset:320
	;; [unrolled: 1-line block ×7, first 2 shown]
	s_waitcnt vmcnt(23) lgkmcnt(0)
	v_fma_f64 v[121:122], v[135:136], v[125:126], v[121:122]
	s_waitcnt vmcnt(18)
	v_fma_f64 v[134:135], v[141:142], v[127:128], v[121:122]
	ds_read_b128 v[121:124], v120 offset:720
	ds_read_b128 v[125:128], v120 offset:736
	s_waitcnt vmcnt(17) lgkmcnt(1)
	v_fma_f64 v[121:122], v[149:150], v[121:122], v[134:135]
	buffer_load_dword v134, off, s[0:3], 0 offset:324
	s_waitcnt vmcnt(17)
	v_fma_f64 v[121:122], v[147:148], v[123:124], v[121:122]
	buffer_load_dword v136, off, s[0:3], 0 offset:332
	buffer_load_dword v141, off, s[0:3], 0 offset:352
	;; [unrolled: 1-line block ×7, first 2 shown]
	s_waitcnt vmcnt(23) lgkmcnt(0)
	v_fma_f64 v[121:122], v[143:144], v[125:126], v[121:122]
	s_waitcnt vmcnt(18)
	v_fma_f64 v[129:130], v[129:130], v[127:128], v[121:122]
	ds_read_b128 v[121:124], v120 offset:752
	ds_read_b128 v[125:128], v120 offset:768
	buffer_load_dword v142, off, s[0:3], 0 offset:356
	s_waitcnt vmcnt(18) lgkmcnt(1)
	v_fma_f64 v[121:122], v[153:154], v[121:122], v[129:130]
	s_waitcnt vmcnt(17)
	v_fma_f64 v[121:122], v[151:152], v[123:124], v[121:122]
	buffer_load_dword v130, off, s[0:3], 0 offset:364
	buffer_load_dword v143, off, s[0:3], 0 offset:384
	buffer_load_dword v151, off, s[0:3], 0 offset:376
	buffer_load_dword v153, off, s[0:3], 0 offset:368
	buffer_load_dword v129, off, s[0:3], 0 offset:360
	buffer_load_dword v154, off, s[0:3], 0 offset:372
	buffer_load_dword v152, off, s[0:3], 0 offset:380
	s_waitcnt vmcnt(23) lgkmcnt(0)
	v_fma_f64 v[121:122], v[145:146], v[125:126], v[121:122]
	s_waitcnt vmcnt(18)
	v_fma_f64 v[131:132], v[131:132], v[127:128], v[121:122]
	ds_read_b128 v[121:124], v120 offset:784
	ds_read_b128 v[125:128], v120 offset:800
	buffer_load_dword v144, off, s[0:3], 0 offset:388
	s_waitcnt vmcnt(18) lgkmcnt(1)
	v_fma_f64 v[121:122], v[139:140], v[121:122], v[131:132]
	s_waitcnt vmcnt(17)
	v_fma_f64 v[121:122], v[137:138], v[123:124], v[121:122]
	buffer_load_dword v132, off, s[0:3], 0 offset:396
	buffer_load_dword v137, off, s[0:3], 0 offset:416
	;; [unrolled: 1-line block ×8, first 2 shown]
	s_waitcnt vmcnt(24) lgkmcnt(0)
	v_fma_f64 v[121:122], v[133:134], v[125:126], v[121:122]
	s_waitcnt vmcnt(19)
	v_fma_f64 v[133:134], v[135:136], v[127:128], v[121:122]
	ds_read_b128 v[121:124], v120 offset:816
	ds_read_b128 v[125:128], v120 offset:832
	s_waitcnt vmcnt(18) lgkmcnt(1)
	v_fma_f64 v[121:122], v[149:150], v[121:122], v[133:134]
	s_waitcnt vmcnt(17)
	v_fma_f64 v[121:122], v[147:148], v[123:124], v[121:122]
	buffer_load_dword v134, off, s[0:3], 0 offset:428
	buffer_load_dword v135, off, s[0:3], 0 offset:448
	;; [unrolled: 1-line block ×7, first 2 shown]
	s_waitcnt vmcnt(23) lgkmcnt(0)
	v_fma_f64 v[121:122], v[141:142], v[125:126], v[121:122]
	s_waitcnt vmcnt(18)
	v_fma_f64 v[129:130], v[129:130], v[127:128], v[121:122]
	ds_read_b128 v[121:124], v120 offset:848
	ds_read_b128 v[125:128], v120 offset:864
	buffer_load_dword v136, off, s[0:3], 0 offset:452
	s_waitcnt vmcnt(18) lgkmcnt(1)
	v_fma_f64 v[121:122], v[153:154], v[121:122], v[129:130]
	buffer_load_dword v130, off, s[0:3], 0 offset:460
	buffer_load_dword v141, off, s[0:3], 0 offset:464
	;; [unrolled: 1-line block ×4, first 2 shown]
	s_waitcnt vmcnt(21)
	v_fma_f64 v[121:122], v[151:152], v[123:124], v[121:122]
	s_waitcnt vmcnt(20) lgkmcnt(0)
	v_fma_f64 v[121:122], v[143:144], v[125:126], v[121:122]
	buffer_load_dword v143, off, s[0:3], 0 offset:72
	buffer_load_dword v144, off, s[0:3], 0 offset:76
	s_waitcnt vmcnt(17)
	v_fma_f64 v[131:132], v[131:132], v[127:128], v[121:122]
	ds_read_b128 v[121:124], v120 offset:880
	ds_read_b128 v[125:128], v120 offset:896
	s_waitcnt vmcnt(16) lgkmcnt(1)
	v_fma_f64 v[121:122], v[145:146], v[121:122], v[131:132]
	s_waitcnt vmcnt(15)
	v_fma_f64 v[121:122], v[139:140], v[123:124], v[121:122]
	s_waitcnt vmcnt(14) lgkmcnt(0)
	v_fma_f64 v[121:122], v[137:138], v[125:126], v[121:122]
	s_waitcnt vmcnt(9)
	v_fma_f64 v[131:132], v[133:134], v[127:128], v[121:122]
	ds_read_b128 v[121:124], v120 offset:912
	ds_read_b128 v[125:128], v120 offset:928
	s_waitcnt vmcnt(8) lgkmcnt(1)
	v_fma_f64 v[121:122], v[149:150], v[121:122], v[131:132]
	s_waitcnt vmcnt(7)
	v_fma_f64 v[121:122], v[147:148], v[123:124], v[121:122]
	ds_read_b64 v[123:124], v120 offset:944
	s_waitcnt vmcnt(6) lgkmcnt(1)
	v_fma_f64 v[121:122], v[135:136], v[125:126], v[121:122]
	s_waitcnt vmcnt(3)
	v_fma_f64 v[121:122], v[129:130], v[127:128], v[121:122]
	s_waitcnt vmcnt(2) lgkmcnt(0)
	v_fma_f64 v[121:122], v[141:142], v[123:124], v[121:122]
	s_waitcnt vmcnt(0)
	v_add_f64 v[121:122], v[143:144], -v[121:122]
	buffer_store_dword v122, off, s[0:3], 0 offset:76
	buffer_store_dword v121, off, s[0:3], 0 offset:72
	s_and_saveexec_b64 s[4:5], vcc
	s_cbranch_execz .LBB122_345
; %bb.344:
	buffer_load_dword v121, off, s[0:3], 0 offset:64
	buffer_load_dword v122, off, s[0:3], 0 offset:68
	s_waitcnt vmcnt(0)
	ds_write_b64 v119, v[121:122]
	buffer_store_dword v120, off, s[0:3], 0 offset:64
	buffer_store_dword v120, off, s[0:3], 0 offset:68
.LBB122_345:
	s_or_b64 exec, exec, s[4:5]
	s_waitcnt lgkmcnt(0)
	; wave barrier
	buffer_load_dword v129, off, s[0:3], 0 offset:72
	buffer_load_dword v130, off, s[0:3], 0 offset:76
	;; [unrolled: 1-line block ×22, first 2 shown]
	ds_read2_b64 v[121:124], v120 offset0:69 offset1:70
	ds_read2_b64 v[125:128], v120 offset0:71 offset1:72
	v_cmp_lt_u32_e32 vcc, 7, v0
	s_waitcnt vmcnt(20) lgkmcnt(1)
	v_fma_f64 v[121:122], v[129:130], v[121:122], 0
	s_waitcnt vmcnt(18)
	v_fma_f64 v[121:122], v[131:132], v[123:124], v[121:122]
	buffer_load_dword v130, off, s[0:3], 0 offset:164
	buffer_load_dword v131, off, s[0:3], 0 offset:184
	;; [unrolled: 1-line block ×7, first 2 shown]
	s_waitcnt vmcnt(23) lgkmcnt(0)
	v_fma_f64 v[121:122], v[133:134], v[125:126], v[121:122]
	s_waitcnt vmcnt(21)
	v_fma_f64 v[132:133], v[135:136], v[127:128], v[121:122]
	ds_read2_b64 v[121:124], v120 offset0:73 offset1:74
	ds_read2_b64 v[125:128], v120 offset0:75 offset1:76
	s_waitcnt vmcnt(19) lgkmcnt(1)
	v_fma_f64 v[121:122], v[137:138], v[121:122], v[132:133]
	buffer_load_dword v132, off, s[0:3], 0 offset:188
	s_waitcnt vmcnt(18)
	v_fma_f64 v[121:122], v[139:140], v[123:124], v[121:122]
	buffer_load_dword v134, off, s[0:3], 0 offset:196
	buffer_load_dword v135, off, s[0:3], 0 offset:216
	;; [unrolled: 1-line block ×8, first 2 shown]
	s_waitcnt vmcnt(24) lgkmcnt(0)
	v_fma_f64 v[121:122], v[141:142], v[125:126], v[121:122]
	s_waitcnt vmcnt(19)
	v_fma_f64 v[141:142], v[143:144], v[127:128], v[121:122]
	ds_read2_b64 v[121:124], v120 offset0:77 offset1:78
	ds_read2_b64 v[125:128], v120 offset0:79 offset1:80
	s_waitcnt vmcnt(18) lgkmcnt(1)
	v_fma_f64 v[121:122], v[149:150], v[121:122], v[141:142]
	s_waitcnt vmcnt(17)
	v_fma_f64 v[121:122], v[147:148], v[123:124], v[121:122]
	buffer_load_dword v142, off, s[0:3], 0 offset:228
	buffer_load_dword v143, off, s[0:3], 0 offset:248
	;; [unrolled: 1-line block ×8, first 2 shown]
	s_waitcnt vmcnt(24) lgkmcnt(0)
	v_fma_f64 v[121:122], v[145:146], v[125:126], v[121:122]
	s_waitcnt vmcnt(19)
	v_fma_f64 v[129:130], v[129:130], v[127:128], v[121:122]
	ds_read2_b64 v[121:124], v120 offset0:81 offset1:82
	ds_read2_b64 v[125:128], v120 offset0:83 offset1:84
	s_waitcnt vmcnt(18) lgkmcnt(1)
	v_fma_f64 v[121:122], v[153:154], v[121:122], v[129:130]
	s_waitcnt vmcnt(17)
	v_fma_f64 v[121:122], v[151:152], v[123:124], v[121:122]
	buffer_load_dword v130, off, s[0:3], 0 offset:260
	buffer_load_dword v145, off, s[0:3], 0 offset:280
	;; [unrolled: 1-line block ×7, first 2 shown]
	s_waitcnt vmcnt(23) lgkmcnt(0)
	v_fma_f64 v[121:122], v[131:132], v[125:126], v[121:122]
	s_waitcnt vmcnt(18)
	v_fma_f64 v[131:132], v[133:134], v[127:128], v[121:122]
	ds_read2_b64 v[121:124], v120 offset0:85 offset1:86
	ds_read2_b64 v[125:128], v120 offset0:87 offset1:88
	buffer_load_dword v146, off, s[0:3], 0 offset:284
	s_waitcnt vmcnt(18) lgkmcnt(1)
	v_fma_f64 v[121:122], v[139:140], v[121:122], v[131:132]
	s_waitcnt vmcnt(17)
	v_fma_f64 v[121:122], v[137:138], v[123:124], v[121:122]
	buffer_load_dword v132, off, s[0:3], 0 offset:292
	buffer_load_dword v133, off, s[0:3], 0 offset:312
	;; [unrolled: 1-line block ×7, first 2 shown]
	s_waitcnt vmcnt(23) lgkmcnt(0)
	v_fma_f64 v[121:122], v[135:136], v[125:126], v[121:122]
	s_waitcnt vmcnt(18)
	v_fma_f64 v[134:135], v[141:142], v[127:128], v[121:122]
	ds_read2_b64 v[121:124], v120 offset0:89 offset1:90
	ds_read2_b64 v[125:128], v120 offset0:91 offset1:92
	s_waitcnt vmcnt(17) lgkmcnt(1)
	v_fma_f64 v[121:122], v[149:150], v[121:122], v[134:135]
	buffer_load_dword v134, off, s[0:3], 0 offset:316
	s_waitcnt vmcnt(17)
	v_fma_f64 v[121:122], v[147:148], v[123:124], v[121:122]
	buffer_load_dword v136, off, s[0:3], 0 offset:324
	buffer_load_dword v141, off, s[0:3], 0 offset:344
	;; [unrolled: 1-line block ×8, first 2 shown]
	s_waitcnt vmcnt(24) lgkmcnt(0)
	v_fma_f64 v[121:122], v[143:144], v[125:126], v[121:122]
	s_waitcnt vmcnt(19)
	v_fma_f64 v[129:130], v[129:130], v[127:128], v[121:122]
	ds_read2_b64 v[121:124], v120 offset0:93 offset1:94
	ds_read2_b64 v[125:128], v120 offset0:95 offset1:96
	s_waitcnt vmcnt(18) lgkmcnt(1)
	v_fma_f64 v[121:122], v[153:154], v[121:122], v[129:130]
	s_waitcnt vmcnt(17)
	v_fma_f64 v[121:122], v[151:152], v[123:124], v[121:122]
	buffer_load_dword v130, off, s[0:3], 0 offset:356
	buffer_load_dword v143, off, s[0:3], 0 offset:376
	;; [unrolled: 1-line block ×7, first 2 shown]
	s_waitcnt vmcnt(23) lgkmcnt(0)
	v_fma_f64 v[121:122], v[145:146], v[125:126], v[121:122]
	s_waitcnt vmcnt(18)
	v_fma_f64 v[131:132], v[131:132], v[127:128], v[121:122]
	ds_read2_b64 v[121:124], v120 offset0:97 offset1:98
	ds_read2_b64 v[125:128], v120 offset0:99 offset1:100
	buffer_load_dword v144, off, s[0:3], 0 offset:380
	s_waitcnt vmcnt(18) lgkmcnt(1)
	v_fma_f64 v[121:122], v[139:140], v[121:122], v[131:132]
	s_waitcnt vmcnt(17)
	v_fma_f64 v[121:122], v[137:138], v[123:124], v[121:122]
	buffer_load_dword v132, off, s[0:3], 0 offset:388
	buffer_load_dword v137, off, s[0:3], 0 offset:408
	;; [unrolled: 1-line block ×8, first 2 shown]
	s_waitcnt vmcnt(24) lgkmcnt(0)
	v_fma_f64 v[121:122], v[133:134], v[125:126], v[121:122]
	s_waitcnt vmcnt(19)
	v_fma_f64 v[133:134], v[135:136], v[127:128], v[121:122]
	ds_read2_b64 v[121:124], v120 offset0:101 offset1:102
	ds_read2_b64 v[125:128], v120 offset0:103 offset1:104
	s_waitcnt vmcnt(18) lgkmcnt(1)
	v_fma_f64 v[121:122], v[149:150], v[121:122], v[133:134]
	s_waitcnt vmcnt(17)
	v_fma_f64 v[121:122], v[147:148], v[123:124], v[121:122]
	buffer_load_dword v134, off, s[0:3], 0 offset:420
	buffer_load_dword v135, off, s[0:3], 0 offset:440
	;; [unrolled: 1-line block ×8, first 2 shown]
	s_waitcnt vmcnt(24) lgkmcnt(0)
	v_fma_f64 v[121:122], v[141:142], v[125:126], v[121:122]
	s_waitcnt vmcnt(19)
	v_fma_f64 v[129:130], v[129:130], v[127:128], v[121:122]
	ds_read2_b64 v[121:124], v120 offset0:105 offset1:106
	ds_read2_b64 v[125:128], v120 offset0:107 offset1:108
	s_waitcnt vmcnt(18) lgkmcnt(1)
	v_fma_f64 v[121:122], v[153:154], v[121:122], v[129:130]
	s_waitcnt vmcnt(17)
	v_fma_f64 v[121:122], v[151:152], v[123:124], v[121:122]
	buffer_load_dword v130, off, s[0:3], 0 offset:452
	buffer_load_dword v141, off, s[0:3], 0 offset:464
	;; [unrolled: 1-line block ×6, first 2 shown]
	s_waitcnt vmcnt(22) lgkmcnt(0)
	v_fma_f64 v[121:122], v[143:144], v[125:126], v[121:122]
	s_waitcnt vmcnt(17)
	v_fma_f64 v[131:132], v[131:132], v[127:128], v[121:122]
	ds_read2_b64 v[121:124], v120 offset0:109 offset1:110
	buffer_load_dword v143, off, s[0:3], 0 offset:64
	buffer_load_dword v144, off, s[0:3], 0 offset:68
	ds_read2_b64 v[125:128], v120 offset0:111 offset1:112
	s_waitcnt vmcnt(18) lgkmcnt(1)
	v_fma_f64 v[121:122], v[145:146], v[121:122], v[131:132]
	s_waitcnt vmcnt(17)
	v_fma_f64 v[121:122], v[139:140], v[123:124], v[121:122]
	s_waitcnt vmcnt(16) lgkmcnt(0)
	v_fma_f64 v[121:122], v[137:138], v[125:126], v[121:122]
	s_waitcnt vmcnt(11)
	v_fma_f64 v[131:132], v[133:134], v[127:128], v[121:122]
	ds_read2_b64 v[121:124], v120 offset0:113 offset1:114
	ds_read2_b64 v[125:128], v120 offset0:115 offset1:116
	s_waitcnt vmcnt(10) lgkmcnt(1)
	v_fma_f64 v[121:122], v[149:150], v[121:122], v[131:132]
	s_waitcnt vmcnt(9)
	v_fma_f64 v[121:122], v[147:148], v[123:124], v[121:122]
	s_waitcnt vmcnt(8) lgkmcnt(0)
	v_fma_f64 v[121:122], v[135:136], v[125:126], v[121:122]
	s_waitcnt vmcnt(4)
	v_fma_f64 v[124:125], v[129:130], v[127:128], v[121:122]
	ds_read2_b64 v[120:123], v120 offset0:117 offset1:118
	s_waitcnt vmcnt(3) lgkmcnt(0)
	v_fma_f64 v[120:121], v[151:152], v[120:121], v[124:125]
	s_waitcnt vmcnt(2)
	v_fma_f64 v[120:121], v[141:142], v[122:123], v[120:121]
	s_waitcnt vmcnt(0)
	v_add_f64 v[120:121], v[143:144], -v[120:121]
	buffer_store_dword v121, off, s[0:3], 0 offset:68
	buffer_store_dword v120, off, s[0:3], 0 offset:64
	s_and_saveexec_b64 s[4:5], vcc
	s_cbranch_execz .LBB122_347
; %bb.346:
	buffer_load_dword v120, off, s[0:3], 0 offset:56
	buffer_load_dword v121, off, s[0:3], 0 offset:60
	v_mov_b32_e32 v122, 0
	buffer_store_dword v122, off, s[0:3], 0 offset:56
	buffer_store_dword v122, off, s[0:3], 0 offset:60
	s_waitcnt vmcnt(2)
	ds_write_b64 v119, v[120:121]
.LBB122_347:
	s_or_b64 exec, exec, s[4:5]
	s_waitcnt lgkmcnt(0)
	; wave barrier
	buffer_load_dword v129, off, s[0:3], 0 offset:64
	buffer_load_dword v130, off, s[0:3], 0 offset:68
	;; [unrolled: 1-line block ×22, first 2 shown]
	v_mov_b32_e32 v120, 0
	ds_read_b128 v[121:124], v120 offset:544
	ds_read_b128 v[125:128], v120 offset:560
	v_cmp_lt_u32_e32 vcc, 6, v0
	s_waitcnt vmcnt(20) lgkmcnt(1)
	v_fma_f64 v[121:122], v[129:130], v[121:122], 0
	s_waitcnt vmcnt(18)
	v_fma_f64 v[121:122], v[131:132], v[123:124], v[121:122]
	buffer_load_dword v130, off, s[0:3], 0 offset:156
	buffer_load_dword v131, off, s[0:3], 0 offset:176
	;; [unrolled: 1-line block ×7, first 2 shown]
	s_waitcnt vmcnt(23) lgkmcnt(0)
	v_fma_f64 v[121:122], v[133:134], v[125:126], v[121:122]
	s_waitcnt vmcnt(21)
	v_fma_f64 v[132:133], v[135:136], v[127:128], v[121:122]
	ds_read_b128 v[121:124], v120 offset:576
	ds_read_b128 v[125:128], v120 offset:592
	s_waitcnt vmcnt(19) lgkmcnt(1)
	v_fma_f64 v[121:122], v[137:138], v[121:122], v[132:133]
	buffer_load_dword v132, off, s[0:3], 0 offset:180
	s_waitcnt vmcnt(18)
	v_fma_f64 v[121:122], v[139:140], v[123:124], v[121:122]
	buffer_load_dword v134, off, s[0:3], 0 offset:188
	buffer_load_dword v135, off, s[0:3], 0 offset:208
	;; [unrolled: 1-line block ×8, first 2 shown]
	s_waitcnt vmcnt(24) lgkmcnt(0)
	v_fma_f64 v[121:122], v[141:142], v[125:126], v[121:122]
	s_waitcnt vmcnt(19)
	v_fma_f64 v[141:142], v[143:144], v[127:128], v[121:122]
	ds_read_b128 v[121:124], v120 offset:608
	ds_read_b128 v[125:128], v120 offset:624
	s_waitcnt vmcnt(18) lgkmcnt(1)
	v_fma_f64 v[121:122], v[149:150], v[121:122], v[141:142]
	s_waitcnt vmcnt(17)
	v_fma_f64 v[121:122], v[147:148], v[123:124], v[121:122]
	buffer_load_dword v142, off, s[0:3], 0 offset:220
	buffer_load_dword v143, off, s[0:3], 0 offset:240
	;; [unrolled: 1-line block ×8, first 2 shown]
	s_waitcnt vmcnt(24) lgkmcnt(0)
	v_fma_f64 v[121:122], v[145:146], v[125:126], v[121:122]
	s_waitcnt vmcnt(19)
	v_fma_f64 v[129:130], v[129:130], v[127:128], v[121:122]
	ds_read_b128 v[121:124], v120 offset:640
	ds_read_b128 v[125:128], v120 offset:656
	s_waitcnt vmcnt(18) lgkmcnt(1)
	v_fma_f64 v[121:122], v[153:154], v[121:122], v[129:130]
	s_waitcnt vmcnt(17)
	v_fma_f64 v[121:122], v[151:152], v[123:124], v[121:122]
	buffer_load_dword v130, off, s[0:3], 0 offset:252
	buffer_load_dword v145, off, s[0:3], 0 offset:272
	;; [unrolled: 1-line block ×7, first 2 shown]
	s_waitcnt vmcnt(23) lgkmcnt(0)
	v_fma_f64 v[121:122], v[131:132], v[125:126], v[121:122]
	s_waitcnt vmcnt(18)
	v_fma_f64 v[131:132], v[133:134], v[127:128], v[121:122]
	ds_read_b128 v[121:124], v120 offset:672
	ds_read_b128 v[125:128], v120 offset:688
	buffer_load_dword v146, off, s[0:3], 0 offset:276
	s_waitcnt vmcnt(18) lgkmcnt(1)
	v_fma_f64 v[121:122], v[139:140], v[121:122], v[131:132]
	s_waitcnt vmcnt(17)
	v_fma_f64 v[121:122], v[137:138], v[123:124], v[121:122]
	buffer_load_dword v132, off, s[0:3], 0 offset:284
	buffer_load_dword v133, off, s[0:3], 0 offset:304
	;; [unrolled: 1-line block ×7, first 2 shown]
	s_waitcnt vmcnt(23) lgkmcnt(0)
	v_fma_f64 v[121:122], v[135:136], v[125:126], v[121:122]
	s_waitcnt vmcnt(18)
	v_fma_f64 v[134:135], v[141:142], v[127:128], v[121:122]
	ds_read_b128 v[121:124], v120 offset:704
	ds_read_b128 v[125:128], v120 offset:720
	s_waitcnt vmcnt(17) lgkmcnt(1)
	v_fma_f64 v[121:122], v[149:150], v[121:122], v[134:135]
	buffer_load_dword v134, off, s[0:3], 0 offset:308
	s_waitcnt vmcnt(17)
	v_fma_f64 v[121:122], v[147:148], v[123:124], v[121:122]
	buffer_load_dword v136, off, s[0:3], 0 offset:316
	buffer_load_dword v141, off, s[0:3], 0 offset:336
	;; [unrolled: 1-line block ×8, first 2 shown]
	s_waitcnt vmcnt(24) lgkmcnt(0)
	v_fma_f64 v[121:122], v[143:144], v[125:126], v[121:122]
	s_waitcnt vmcnt(19)
	v_fma_f64 v[129:130], v[129:130], v[127:128], v[121:122]
	ds_read_b128 v[121:124], v120 offset:736
	ds_read_b128 v[125:128], v120 offset:752
	s_waitcnt vmcnt(18) lgkmcnt(1)
	v_fma_f64 v[121:122], v[153:154], v[121:122], v[129:130]
	s_waitcnt vmcnt(17)
	v_fma_f64 v[121:122], v[151:152], v[123:124], v[121:122]
	buffer_load_dword v130, off, s[0:3], 0 offset:348
	buffer_load_dword v143, off, s[0:3], 0 offset:368
	;; [unrolled: 1-line block ×7, first 2 shown]
	s_waitcnt vmcnt(23) lgkmcnt(0)
	v_fma_f64 v[121:122], v[145:146], v[125:126], v[121:122]
	s_waitcnt vmcnt(18)
	v_fma_f64 v[131:132], v[131:132], v[127:128], v[121:122]
	ds_read_b128 v[121:124], v120 offset:768
	ds_read_b128 v[125:128], v120 offset:784
	buffer_load_dword v144, off, s[0:3], 0 offset:372
	s_waitcnt vmcnt(18) lgkmcnt(1)
	v_fma_f64 v[121:122], v[139:140], v[121:122], v[131:132]
	s_waitcnt vmcnt(17)
	v_fma_f64 v[121:122], v[137:138], v[123:124], v[121:122]
	buffer_load_dword v132, off, s[0:3], 0 offset:380
	buffer_load_dword v137, off, s[0:3], 0 offset:400
	buffer_load_dword v139, off, s[0:3], 0 offset:392
	buffer_load_dword v145, off, s[0:3], 0 offset:384
	buffer_load_dword v131, off, s[0:3], 0 offset:376
	buffer_load_dword v146, off, s[0:3], 0 offset:388
	buffer_load_dword v140, off, s[0:3], 0 offset:396
	buffer_load_dword v138, off, s[0:3], 0 offset:404
	s_waitcnt vmcnt(24) lgkmcnt(0)
	v_fma_f64 v[121:122], v[133:134], v[125:126], v[121:122]
	s_waitcnt vmcnt(19)
	v_fma_f64 v[133:134], v[135:136], v[127:128], v[121:122]
	ds_read_b128 v[121:124], v120 offset:800
	ds_read_b128 v[125:128], v120 offset:816
	s_waitcnt vmcnt(18) lgkmcnt(1)
	v_fma_f64 v[121:122], v[149:150], v[121:122], v[133:134]
	s_waitcnt vmcnt(17)
	v_fma_f64 v[121:122], v[147:148], v[123:124], v[121:122]
	buffer_load_dword v134, off, s[0:3], 0 offset:412
	buffer_load_dword v135, off, s[0:3], 0 offset:432
	buffer_load_dword v147, off, s[0:3], 0 offset:424
	buffer_load_dword v149, off, s[0:3], 0 offset:416
	buffer_load_dword v133, off, s[0:3], 0 offset:408
	buffer_load_dword v150, off, s[0:3], 0 offset:420
	buffer_load_dword v148, off, s[0:3], 0 offset:428
	buffer_load_dword v136, off, s[0:3], 0 offset:436
	s_waitcnt vmcnt(24) lgkmcnt(0)
	v_fma_f64 v[121:122], v[141:142], v[125:126], v[121:122]
	s_waitcnt vmcnt(19)
	v_fma_f64 v[129:130], v[129:130], v[127:128], v[121:122]
	ds_read_b128 v[121:124], v120 offset:832
	ds_read_b128 v[125:128], v120 offset:848
	;; [unrolled: 18-line block ×3, first 2 shown]
	s_waitcnt vmcnt(18) lgkmcnt(1)
	v_fma_f64 v[121:122], v[145:146], v[121:122], v[131:132]
	buffer_load_dword v131, off, s[0:3], 0 offset:56
	buffer_load_dword v132, off, s[0:3], 0 offset:60
	s_waitcnt vmcnt(19)
	v_fma_f64 v[121:122], v[139:140], v[123:124], v[121:122]
	s_waitcnt vmcnt(18) lgkmcnt(0)
	v_fma_f64 v[121:122], v[137:138], v[125:126], v[121:122]
	s_waitcnt vmcnt(13)
	v_fma_f64 v[133:134], v[133:134], v[127:128], v[121:122]
	ds_read_b128 v[121:124], v120 offset:896
	ds_read_b128 v[125:128], v120 offset:912
	s_waitcnt vmcnt(12) lgkmcnt(1)
	v_fma_f64 v[121:122], v[149:150], v[121:122], v[133:134]
	s_waitcnt vmcnt(11)
	v_fma_f64 v[121:122], v[147:148], v[123:124], v[121:122]
	s_waitcnt vmcnt(10) lgkmcnt(0)
	v_fma_f64 v[121:122], v[135:136], v[125:126], v[121:122]
	s_waitcnt vmcnt(5)
	v_fma_f64 v[125:126], v[129:130], v[127:128], v[121:122]
	ds_read_b128 v[121:124], v120 offset:928
	ds_read_b64 v[127:128], v120 offset:944
	s_waitcnt vmcnt(4) lgkmcnt(1)
	v_fma_f64 v[121:122], v[153:154], v[121:122], v[125:126]
	s_waitcnt vmcnt(3)
	v_fma_f64 v[121:122], v[151:152], v[123:124], v[121:122]
	s_waitcnt vmcnt(2) lgkmcnt(0)
	v_fma_f64 v[121:122], v[141:142], v[127:128], v[121:122]
	s_waitcnt vmcnt(0)
	v_add_f64 v[121:122], v[131:132], -v[121:122]
	buffer_store_dword v122, off, s[0:3], 0 offset:60
	buffer_store_dword v121, off, s[0:3], 0 offset:56
	s_and_saveexec_b64 s[4:5], vcc
	s_cbranch_execz .LBB122_349
; %bb.348:
	buffer_load_dword v121, off, s[0:3], 0 offset:48
	buffer_load_dword v122, off, s[0:3], 0 offset:52
	s_waitcnt vmcnt(0)
	ds_write_b64 v119, v[121:122]
	buffer_store_dword v120, off, s[0:3], 0 offset:48
	buffer_store_dword v120, off, s[0:3], 0 offset:52
.LBB122_349:
	s_or_b64 exec, exec, s[4:5]
	s_waitcnt lgkmcnt(0)
	; wave barrier
	buffer_load_dword v129, off, s[0:3], 0 offset:56
	buffer_load_dword v130, off, s[0:3], 0 offset:60
	;; [unrolled: 1-line block ×22, first 2 shown]
	ds_read2_b64 v[121:124], v120 offset0:67 offset1:68
	ds_read2_b64 v[125:128], v120 offset0:69 offset1:70
	v_cmp_lt_u32_e32 vcc, 5, v0
	s_waitcnt vmcnt(20) lgkmcnt(1)
	v_fma_f64 v[121:122], v[129:130], v[121:122], 0
	s_waitcnt vmcnt(18)
	v_fma_f64 v[121:122], v[131:132], v[123:124], v[121:122]
	buffer_load_dword v130, off, s[0:3], 0 offset:148
	buffer_load_dword v131, off, s[0:3], 0 offset:168
	;; [unrolled: 1-line block ×7, first 2 shown]
	s_waitcnt vmcnt(23) lgkmcnt(0)
	v_fma_f64 v[121:122], v[133:134], v[125:126], v[121:122]
	s_waitcnt vmcnt(21)
	v_fma_f64 v[132:133], v[135:136], v[127:128], v[121:122]
	ds_read2_b64 v[121:124], v120 offset0:71 offset1:72
	ds_read2_b64 v[125:128], v120 offset0:73 offset1:74
	s_waitcnt vmcnt(19) lgkmcnt(1)
	v_fma_f64 v[121:122], v[137:138], v[121:122], v[132:133]
	buffer_load_dword v132, off, s[0:3], 0 offset:172
	s_waitcnt vmcnt(18)
	v_fma_f64 v[121:122], v[139:140], v[123:124], v[121:122]
	buffer_load_dword v134, off, s[0:3], 0 offset:180
	buffer_load_dword v135, off, s[0:3], 0 offset:200
	;; [unrolled: 1-line block ×8, first 2 shown]
	s_waitcnt vmcnt(24) lgkmcnt(0)
	v_fma_f64 v[121:122], v[141:142], v[125:126], v[121:122]
	s_waitcnt vmcnt(19)
	v_fma_f64 v[141:142], v[143:144], v[127:128], v[121:122]
	ds_read2_b64 v[121:124], v120 offset0:75 offset1:76
	ds_read2_b64 v[125:128], v120 offset0:77 offset1:78
	s_waitcnt vmcnt(18) lgkmcnt(1)
	v_fma_f64 v[121:122], v[149:150], v[121:122], v[141:142]
	s_waitcnt vmcnt(17)
	v_fma_f64 v[121:122], v[147:148], v[123:124], v[121:122]
	buffer_load_dword v142, off, s[0:3], 0 offset:212
	buffer_load_dword v143, off, s[0:3], 0 offset:232
	;; [unrolled: 1-line block ×8, first 2 shown]
	s_waitcnt vmcnt(24) lgkmcnt(0)
	v_fma_f64 v[121:122], v[145:146], v[125:126], v[121:122]
	s_waitcnt vmcnt(19)
	v_fma_f64 v[129:130], v[129:130], v[127:128], v[121:122]
	ds_read2_b64 v[121:124], v120 offset0:79 offset1:80
	ds_read2_b64 v[125:128], v120 offset0:81 offset1:82
	s_waitcnt vmcnt(18) lgkmcnt(1)
	v_fma_f64 v[121:122], v[153:154], v[121:122], v[129:130]
	s_waitcnt vmcnt(17)
	v_fma_f64 v[121:122], v[151:152], v[123:124], v[121:122]
	buffer_load_dword v130, off, s[0:3], 0 offset:244
	buffer_load_dword v145, off, s[0:3], 0 offset:264
	;; [unrolled: 1-line block ×7, first 2 shown]
	s_waitcnt vmcnt(23) lgkmcnt(0)
	v_fma_f64 v[121:122], v[131:132], v[125:126], v[121:122]
	s_waitcnt vmcnt(18)
	v_fma_f64 v[131:132], v[133:134], v[127:128], v[121:122]
	ds_read2_b64 v[121:124], v120 offset0:83 offset1:84
	ds_read2_b64 v[125:128], v120 offset0:85 offset1:86
	buffer_load_dword v146, off, s[0:3], 0 offset:268
	s_waitcnt vmcnt(18) lgkmcnt(1)
	v_fma_f64 v[121:122], v[139:140], v[121:122], v[131:132]
	s_waitcnt vmcnt(17)
	v_fma_f64 v[121:122], v[137:138], v[123:124], v[121:122]
	buffer_load_dword v132, off, s[0:3], 0 offset:276
	buffer_load_dword v133, off, s[0:3], 0 offset:296
	;; [unrolled: 1-line block ×7, first 2 shown]
	s_waitcnt vmcnt(23) lgkmcnt(0)
	v_fma_f64 v[121:122], v[135:136], v[125:126], v[121:122]
	s_waitcnt vmcnt(18)
	v_fma_f64 v[134:135], v[141:142], v[127:128], v[121:122]
	ds_read2_b64 v[121:124], v120 offset0:87 offset1:88
	ds_read2_b64 v[125:128], v120 offset0:89 offset1:90
	s_waitcnt vmcnt(17) lgkmcnt(1)
	v_fma_f64 v[121:122], v[149:150], v[121:122], v[134:135]
	buffer_load_dword v134, off, s[0:3], 0 offset:300
	s_waitcnt vmcnt(17)
	v_fma_f64 v[121:122], v[147:148], v[123:124], v[121:122]
	buffer_load_dword v136, off, s[0:3], 0 offset:308
	buffer_load_dword v141, off, s[0:3], 0 offset:328
	buffer_load_dword v147, off, s[0:3], 0 offset:320
	buffer_load_dword v149, off, s[0:3], 0 offset:312
	buffer_load_dword v135, off, s[0:3], 0 offset:304
	buffer_load_dword v150, off, s[0:3], 0 offset:316
	buffer_load_dword v148, off, s[0:3], 0 offset:324
	buffer_load_dword v142, off, s[0:3], 0 offset:332
	s_waitcnt vmcnt(24) lgkmcnt(0)
	v_fma_f64 v[121:122], v[143:144], v[125:126], v[121:122]
	s_waitcnt vmcnt(19)
	v_fma_f64 v[129:130], v[129:130], v[127:128], v[121:122]
	ds_read2_b64 v[121:124], v120 offset0:91 offset1:92
	ds_read2_b64 v[125:128], v120 offset0:93 offset1:94
	s_waitcnt vmcnt(18) lgkmcnt(1)
	v_fma_f64 v[121:122], v[153:154], v[121:122], v[129:130]
	s_waitcnt vmcnt(17)
	v_fma_f64 v[121:122], v[151:152], v[123:124], v[121:122]
	buffer_load_dword v130, off, s[0:3], 0 offset:340
	buffer_load_dword v143, off, s[0:3], 0 offset:360
	;; [unrolled: 1-line block ×7, first 2 shown]
	s_waitcnt vmcnt(23) lgkmcnt(0)
	v_fma_f64 v[121:122], v[145:146], v[125:126], v[121:122]
	s_waitcnt vmcnt(18)
	v_fma_f64 v[131:132], v[131:132], v[127:128], v[121:122]
	ds_read2_b64 v[121:124], v120 offset0:95 offset1:96
	ds_read2_b64 v[125:128], v120 offset0:97 offset1:98
	buffer_load_dword v144, off, s[0:3], 0 offset:364
	s_waitcnt vmcnt(18) lgkmcnt(1)
	v_fma_f64 v[121:122], v[139:140], v[121:122], v[131:132]
	s_waitcnt vmcnt(17)
	v_fma_f64 v[121:122], v[137:138], v[123:124], v[121:122]
	buffer_load_dword v132, off, s[0:3], 0 offset:372
	buffer_load_dword v137, off, s[0:3], 0 offset:392
	buffer_load_dword v139, off, s[0:3], 0 offset:384
	buffer_load_dword v145, off, s[0:3], 0 offset:376
	buffer_load_dword v131, off, s[0:3], 0 offset:368
	buffer_load_dword v146, off, s[0:3], 0 offset:380
	buffer_load_dword v140, off, s[0:3], 0 offset:388
	buffer_load_dword v138, off, s[0:3], 0 offset:396
	s_waitcnt vmcnt(24) lgkmcnt(0)
	v_fma_f64 v[121:122], v[133:134], v[125:126], v[121:122]
	s_waitcnt vmcnt(19)
	v_fma_f64 v[133:134], v[135:136], v[127:128], v[121:122]
	ds_read2_b64 v[121:124], v120 offset0:99 offset1:100
	ds_read2_b64 v[125:128], v120 offset0:101 offset1:102
	s_waitcnt vmcnt(18) lgkmcnt(1)
	v_fma_f64 v[121:122], v[149:150], v[121:122], v[133:134]
	s_waitcnt vmcnt(17)
	v_fma_f64 v[121:122], v[147:148], v[123:124], v[121:122]
	buffer_load_dword v134, off, s[0:3], 0 offset:404
	buffer_load_dword v135, off, s[0:3], 0 offset:424
	buffer_load_dword v147, off, s[0:3], 0 offset:416
	buffer_load_dword v149, off, s[0:3], 0 offset:408
	buffer_load_dword v133, off, s[0:3], 0 offset:400
	buffer_load_dword v150, off, s[0:3], 0 offset:412
	buffer_load_dword v148, off, s[0:3], 0 offset:420
	buffer_load_dword v136, off, s[0:3], 0 offset:428
	s_waitcnt vmcnt(24) lgkmcnt(0)
	v_fma_f64 v[121:122], v[141:142], v[125:126], v[121:122]
	s_waitcnt vmcnt(19)
	v_fma_f64 v[129:130], v[129:130], v[127:128], v[121:122]
	ds_read2_b64 v[121:124], v120 offset0:103 offset1:104
	ds_read2_b64 v[125:128], v120 offset0:105 offset1:106
	;; [unrolled: 18-line block ×3, first 2 shown]
	s_waitcnt vmcnt(18) lgkmcnt(1)
	v_fma_f64 v[121:122], v[145:146], v[121:122], v[131:132]
	buffer_load_dword v132, off, s[0:3], 0 offset:468
	buffer_load_dword v131, off, s[0:3], 0 offset:464
	s_waitcnt vmcnt(19)
	v_fma_f64 v[121:122], v[139:140], v[123:124], v[121:122]
	buffer_load_dword v139, off, s[0:3], 0 offset:48
	buffer_load_dword v140, off, s[0:3], 0 offset:52
	s_waitcnt vmcnt(20) lgkmcnt(0)
	v_fma_f64 v[121:122], v[137:138], v[125:126], v[121:122]
	s_waitcnt vmcnt(15)
	v_fma_f64 v[133:134], v[133:134], v[127:128], v[121:122]
	ds_read2_b64 v[121:124], v120 offset0:111 offset1:112
	ds_read2_b64 v[125:128], v120 offset0:113 offset1:114
	s_waitcnt vmcnt(14) lgkmcnt(1)
	v_fma_f64 v[121:122], v[149:150], v[121:122], v[133:134]
	s_waitcnt vmcnt(13)
	v_fma_f64 v[121:122], v[147:148], v[123:124], v[121:122]
	s_waitcnt vmcnt(12) lgkmcnt(0)
	v_fma_f64 v[121:122], v[135:136], v[125:126], v[121:122]
	s_waitcnt vmcnt(7)
	v_fma_f64 v[129:130], v[129:130], v[127:128], v[121:122]
	ds_read2_b64 v[121:124], v120 offset0:115 offset1:116
	ds_read2_b64 v[125:128], v120 offset0:117 offset1:118
	s_waitcnt vmcnt(6) lgkmcnt(1)
	v_fma_f64 v[120:121], v[153:154], v[121:122], v[129:130]
	s_waitcnt vmcnt(5)
	v_fma_f64 v[120:121], v[151:152], v[123:124], v[120:121]
	s_waitcnt vmcnt(4) lgkmcnt(0)
	v_fma_f64 v[120:121], v[141:142], v[125:126], v[120:121]
	s_waitcnt vmcnt(2)
	v_fma_f64 v[120:121], v[131:132], v[127:128], v[120:121]
	s_waitcnt vmcnt(0)
	v_add_f64 v[120:121], v[139:140], -v[120:121]
	buffer_store_dword v121, off, s[0:3], 0 offset:52
	buffer_store_dword v120, off, s[0:3], 0 offset:48
	s_and_saveexec_b64 s[4:5], vcc
	s_cbranch_execz .LBB122_351
; %bb.350:
	buffer_load_dword v120, off, s[0:3], 0 offset:40
	buffer_load_dword v121, off, s[0:3], 0 offset:44
	v_mov_b32_e32 v122, 0
	buffer_store_dword v122, off, s[0:3], 0 offset:40
	buffer_store_dword v122, off, s[0:3], 0 offset:44
	s_waitcnt vmcnt(2)
	ds_write_b64 v119, v[120:121]
.LBB122_351:
	s_or_b64 exec, exec, s[4:5]
	s_waitcnt lgkmcnt(0)
	; wave barrier
	buffer_load_dword v129, off, s[0:3], 0 offset:48
	buffer_load_dword v130, off, s[0:3], 0 offset:52
	buffer_load_dword v131, off, s[0:3], 0 offset:56
	buffer_load_dword v132, off, s[0:3], 0 offset:60
	buffer_load_dword v133, off, s[0:3], 0 offset:64
	buffer_load_dword v134, off, s[0:3], 0 offset:68
	buffer_load_dword v135, off, s[0:3], 0 offset:72
	buffer_load_dword v136, off, s[0:3], 0 offset:76
	buffer_load_dword v137, off, s[0:3], 0 offset:80
	buffer_load_dword v138, off, s[0:3], 0 offset:84
	buffer_load_dword v139, off, s[0:3], 0 offset:88
	buffer_load_dword v140, off, s[0:3], 0 offset:92
	buffer_load_dword v141, off, s[0:3], 0 offset:96
	buffer_load_dword v142, off, s[0:3], 0 offset:100
	buffer_load_dword v144, off, s[0:3], 0 offset:108
	buffer_load_dword v145, off, s[0:3], 0 offset:128
	buffer_load_dword v147, off, s[0:3], 0 offset:120
	buffer_load_dword v149, off, s[0:3], 0 offset:112
	buffer_load_dword v143, off, s[0:3], 0 offset:104
	buffer_load_dword v150, off, s[0:3], 0 offset:116
	buffer_load_dword v148, off, s[0:3], 0 offset:124
	buffer_load_dword v146, off, s[0:3], 0 offset:132
	v_mov_b32_e32 v120, 0
	ds_read_b128 v[121:124], v120 offset:528
	ds_read_b128 v[125:128], v120 offset:544
	v_cmp_lt_u32_e32 vcc, 4, v0
	s_waitcnt vmcnt(20) lgkmcnt(1)
	v_fma_f64 v[121:122], v[129:130], v[121:122], 0
	s_waitcnt vmcnt(18)
	v_fma_f64 v[121:122], v[131:132], v[123:124], v[121:122]
	buffer_load_dword v130, off, s[0:3], 0 offset:140
	buffer_load_dword v131, off, s[0:3], 0 offset:160
	buffer_load_dword v151, off, s[0:3], 0 offset:152
	buffer_load_dword v153, off, s[0:3], 0 offset:144
	buffer_load_dword v129, off, s[0:3], 0 offset:136
	buffer_load_dword v154, off, s[0:3], 0 offset:148
	buffer_load_dword v152, off, s[0:3], 0 offset:156
	s_waitcnt vmcnt(23) lgkmcnt(0)
	v_fma_f64 v[121:122], v[133:134], v[125:126], v[121:122]
	s_waitcnt vmcnt(21)
	v_fma_f64 v[132:133], v[135:136], v[127:128], v[121:122]
	ds_read_b128 v[121:124], v120 offset:560
	ds_read_b128 v[125:128], v120 offset:576
	s_waitcnt vmcnt(19) lgkmcnt(1)
	v_fma_f64 v[121:122], v[137:138], v[121:122], v[132:133]
	buffer_load_dword v132, off, s[0:3], 0 offset:164
	s_waitcnt vmcnt(18)
	v_fma_f64 v[121:122], v[139:140], v[123:124], v[121:122]
	buffer_load_dword v134, off, s[0:3], 0 offset:172
	buffer_load_dword v135, off, s[0:3], 0 offset:192
	buffer_load_dword v137, off, s[0:3], 0 offset:184
	buffer_load_dword v139, off, s[0:3], 0 offset:176
	buffer_load_dword v133, off, s[0:3], 0 offset:168
	buffer_load_dword v140, off, s[0:3], 0 offset:180
	buffer_load_dword v138, off, s[0:3], 0 offset:188
	s_waitcnt vmcnt(23) lgkmcnt(0)
	v_fma_f64 v[121:122], v[141:142], v[125:126], v[121:122]
	s_waitcnt vmcnt(18)
	v_fma_f64 v[141:142], v[143:144], v[127:128], v[121:122]
	ds_read_b128 v[121:124], v120 offset:592
	ds_read_b128 v[125:128], v120 offset:608
	buffer_load_dword v136, off, s[0:3], 0 offset:196
	s_waitcnt vmcnt(18) lgkmcnt(1)
	v_fma_f64 v[121:122], v[149:150], v[121:122], v[141:142]
	s_waitcnt vmcnt(17)
	v_fma_f64 v[121:122], v[147:148], v[123:124], v[121:122]
	buffer_load_dword v142, off, s[0:3], 0 offset:204
	buffer_load_dword v143, off, s[0:3], 0 offset:224
	;; [unrolled: 1-line block ×8, first 2 shown]
	s_waitcnt vmcnt(24) lgkmcnt(0)
	v_fma_f64 v[121:122], v[145:146], v[125:126], v[121:122]
	s_waitcnt vmcnt(19)
	v_fma_f64 v[129:130], v[129:130], v[127:128], v[121:122]
	ds_read_b128 v[121:124], v120 offset:624
	ds_read_b128 v[125:128], v120 offset:640
	s_waitcnt vmcnt(18) lgkmcnt(1)
	v_fma_f64 v[121:122], v[153:154], v[121:122], v[129:130]
	s_waitcnt vmcnt(17)
	v_fma_f64 v[121:122], v[151:152], v[123:124], v[121:122]
	buffer_load_dword v130, off, s[0:3], 0 offset:236
	buffer_load_dword v145, off, s[0:3], 0 offset:256
	buffer_load_dword v151, off, s[0:3], 0 offset:248
	buffer_load_dword v153, off, s[0:3], 0 offset:240
	buffer_load_dword v129, off, s[0:3], 0 offset:232
	buffer_load_dword v154, off, s[0:3], 0 offset:244
	buffer_load_dword v152, off, s[0:3], 0 offset:252
	s_waitcnt vmcnt(23) lgkmcnt(0)
	v_fma_f64 v[121:122], v[131:132], v[125:126], v[121:122]
	s_waitcnt vmcnt(18)
	v_fma_f64 v[131:132], v[133:134], v[127:128], v[121:122]
	ds_read_b128 v[121:124], v120 offset:656
	ds_read_b128 v[125:128], v120 offset:672
	buffer_load_dword v146, off, s[0:3], 0 offset:260
	s_waitcnt vmcnt(18) lgkmcnt(1)
	v_fma_f64 v[121:122], v[139:140], v[121:122], v[131:132]
	s_waitcnt vmcnt(17)
	v_fma_f64 v[121:122], v[137:138], v[123:124], v[121:122]
	buffer_load_dword v132, off, s[0:3], 0 offset:268
	buffer_load_dword v133, off, s[0:3], 0 offset:288
	;; [unrolled: 1-line block ×7, first 2 shown]
	s_waitcnt vmcnt(23) lgkmcnt(0)
	v_fma_f64 v[121:122], v[135:136], v[125:126], v[121:122]
	s_waitcnt vmcnt(18)
	v_fma_f64 v[134:135], v[141:142], v[127:128], v[121:122]
	ds_read_b128 v[121:124], v120 offset:688
	ds_read_b128 v[125:128], v120 offset:704
	s_waitcnt vmcnt(17) lgkmcnt(1)
	v_fma_f64 v[121:122], v[149:150], v[121:122], v[134:135]
	buffer_load_dword v134, off, s[0:3], 0 offset:292
	s_waitcnt vmcnt(17)
	v_fma_f64 v[121:122], v[147:148], v[123:124], v[121:122]
	buffer_load_dword v136, off, s[0:3], 0 offset:300
	buffer_load_dword v141, off, s[0:3], 0 offset:320
	;; [unrolled: 1-line block ×8, first 2 shown]
	s_waitcnt vmcnt(24) lgkmcnt(0)
	v_fma_f64 v[121:122], v[143:144], v[125:126], v[121:122]
	s_waitcnt vmcnt(19)
	v_fma_f64 v[129:130], v[129:130], v[127:128], v[121:122]
	ds_read_b128 v[121:124], v120 offset:720
	ds_read_b128 v[125:128], v120 offset:736
	s_waitcnt vmcnt(18) lgkmcnt(1)
	v_fma_f64 v[121:122], v[153:154], v[121:122], v[129:130]
	s_waitcnt vmcnt(17)
	v_fma_f64 v[121:122], v[151:152], v[123:124], v[121:122]
	buffer_load_dword v130, off, s[0:3], 0 offset:332
	buffer_load_dword v143, off, s[0:3], 0 offset:352
	buffer_load_dword v151, off, s[0:3], 0 offset:344
	buffer_load_dword v153, off, s[0:3], 0 offset:336
	buffer_load_dword v129, off, s[0:3], 0 offset:328
	buffer_load_dword v154, off, s[0:3], 0 offset:340
	buffer_load_dword v152, off, s[0:3], 0 offset:348
	s_waitcnt vmcnt(23) lgkmcnt(0)
	v_fma_f64 v[121:122], v[145:146], v[125:126], v[121:122]
	s_waitcnt vmcnt(18)
	v_fma_f64 v[131:132], v[131:132], v[127:128], v[121:122]
	ds_read_b128 v[121:124], v120 offset:752
	ds_read_b128 v[125:128], v120 offset:768
	buffer_load_dword v144, off, s[0:3], 0 offset:356
	s_waitcnt vmcnt(18) lgkmcnt(1)
	v_fma_f64 v[121:122], v[139:140], v[121:122], v[131:132]
	s_waitcnt vmcnt(17)
	v_fma_f64 v[121:122], v[137:138], v[123:124], v[121:122]
	buffer_load_dword v132, off, s[0:3], 0 offset:364
	buffer_load_dword v137, off, s[0:3], 0 offset:384
	;; [unrolled: 1-line block ×7, first 2 shown]
	s_waitcnt vmcnt(23) lgkmcnt(0)
	v_fma_f64 v[121:122], v[133:134], v[125:126], v[121:122]
	s_waitcnt vmcnt(18)
	v_fma_f64 v[133:134], v[135:136], v[127:128], v[121:122]
	ds_read_b128 v[121:124], v120 offset:784
	ds_read_b128 v[125:128], v120 offset:800
	buffer_load_dword v138, off, s[0:3], 0 offset:388
	s_waitcnt vmcnt(18) lgkmcnt(1)
	v_fma_f64 v[121:122], v[149:150], v[121:122], v[133:134]
	s_waitcnt vmcnt(17)
	v_fma_f64 v[121:122], v[147:148], v[123:124], v[121:122]
	buffer_load_dword v134, off, s[0:3], 0 offset:396
	buffer_load_dword v135, off, s[0:3], 0 offset:416
	;; [unrolled: 1-line block ×8, first 2 shown]
	s_waitcnt vmcnt(24) lgkmcnt(0)
	v_fma_f64 v[121:122], v[141:142], v[125:126], v[121:122]
	s_waitcnt vmcnt(19)
	v_fma_f64 v[129:130], v[129:130], v[127:128], v[121:122]
	ds_read_b128 v[121:124], v120 offset:816
	ds_read_b128 v[125:128], v120 offset:832
	s_waitcnt vmcnt(18) lgkmcnt(1)
	v_fma_f64 v[121:122], v[153:154], v[121:122], v[129:130]
	s_waitcnt vmcnt(17)
	v_fma_f64 v[121:122], v[151:152], v[123:124], v[121:122]
	buffer_load_dword v130, off, s[0:3], 0 offset:428
	buffer_load_dword v141, off, s[0:3], 0 offset:448
	;; [unrolled: 1-line block ×7, first 2 shown]
	s_waitcnt vmcnt(23) lgkmcnt(0)
	v_fma_f64 v[121:122], v[143:144], v[125:126], v[121:122]
	s_waitcnt vmcnt(18)
	v_fma_f64 v[131:132], v[131:132], v[127:128], v[121:122]
	ds_read_b128 v[121:124], v120 offset:848
	ds_read_b128 v[125:128], v120 offset:864
	buffer_load_dword v142, off, s[0:3], 0 offset:452
	s_waitcnt vmcnt(18) lgkmcnt(1)
	v_fma_f64 v[121:122], v[145:146], v[121:122], v[131:132]
	s_waitcnt vmcnt(17)
	v_fma_f64 v[121:122], v[139:140], v[123:124], v[121:122]
	buffer_load_dword v132, off, s[0:3], 0 offset:460
	buffer_load_dword v139, off, s[0:3], 0 offset:464
	;; [unrolled: 1-line block ×4, first 2 shown]
	s_waitcnt vmcnt(20) lgkmcnt(0)
	v_fma_f64 v[121:122], v[137:138], v[125:126], v[121:122]
	buffer_load_dword v137, off, s[0:3], 0 offset:40
	buffer_load_dword v138, off, s[0:3], 0 offset:44
	s_waitcnt vmcnt(17)
	v_fma_f64 v[133:134], v[133:134], v[127:128], v[121:122]
	ds_read_b128 v[121:124], v120 offset:880
	ds_read_b128 v[125:128], v120 offset:896
	s_waitcnt vmcnt(16) lgkmcnt(1)
	v_fma_f64 v[121:122], v[149:150], v[121:122], v[133:134]
	s_waitcnt vmcnt(15)
	v_fma_f64 v[121:122], v[147:148], v[123:124], v[121:122]
	s_waitcnt vmcnt(14) lgkmcnt(0)
	v_fma_f64 v[121:122], v[135:136], v[125:126], v[121:122]
	s_waitcnt vmcnt(9)
	v_fma_f64 v[129:130], v[129:130], v[127:128], v[121:122]
	ds_read_b128 v[121:124], v120 offset:912
	ds_read_b128 v[125:128], v120 offset:928
	s_waitcnt vmcnt(8) lgkmcnt(1)
	v_fma_f64 v[121:122], v[153:154], v[121:122], v[129:130]
	s_waitcnt vmcnt(7)
	v_fma_f64 v[121:122], v[151:152], v[123:124], v[121:122]
	ds_read_b64 v[123:124], v120 offset:944
	s_waitcnt vmcnt(6) lgkmcnt(1)
	v_fma_f64 v[121:122], v[141:142], v[125:126], v[121:122]
	s_waitcnt vmcnt(3)
	v_fma_f64 v[121:122], v[131:132], v[127:128], v[121:122]
	s_waitcnt vmcnt(2) lgkmcnt(0)
	v_fma_f64 v[121:122], v[139:140], v[123:124], v[121:122]
	s_waitcnt vmcnt(0)
	v_add_f64 v[121:122], v[137:138], -v[121:122]
	buffer_store_dword v122, off, s[0:3], 0 offset:44
	buffer_store_dword v121, off, s[0:3], 0 offset:40
	s_and_saveexec_b64 s[4:5], vcc
	s_cbranch_execz .LBB122_353
; %bb.352:
	buffer_load_dword v121, off, s[0:3], 0 offset:32
	buffer_load_dword v122, off, s[0:3], 0 offset:36
	s_waitcnt vmcnt(0)
	ds_write_b64 v119, v[121:122]
	buffer_store_dword v120, off, s[0:3], 0 offset:32
	buffer_store_dword v120, off, s[0:3], 0 offset:36
.LBB122_353:
	s_or_b64 exec, exec, s[4:5]
	s_waitcnt lgkmcnt(0)
	; wave barrier
	buffer_load_dword v129, off, s[0:3], 0 offset:40
	buffer_load_dword v130, off, s[0:3], 0 offset:44
	;; [unrolled: 1-line block ×22, first 2 shown]
	ds_read2_b64 v[121:124], v120 offset0:65 offset1:66
	ds_read2_b64 v[125:128], v120 offset0:67 offset1:68
	v_cmp_lt_u32_e32 vcc, 3, v0
	s_waitcnt vmcnt(20) lgkmcnt(1)
	v_fma_f64 v[121:122], v[129:130], v[121:122], 0
	s_waitcnt vmcnt(18)
	v_fma_f64 v[121:122], v[131:132], v[123:124], v[121:122]
	buffer_load_dword v130, off, s[0:3], 0 offset:132
	buffer_load_dword v131, off, s[0:3], 0 offset:152
	;; [unrolled: 1-line block ×7, first 2 shown]
	s_waitcnt vmcnt(23) lgkmcnt(0)
	v_fma_f64 v[121:122], v[133:134], v[125:126], v[121:122]
	s_waitcnt vmcnt(21)
	v_fma_f64 v[132:133], v[135:136], v[127:128], v[121:122]
	ds_read2_b64 v[121:124], v120 offset0:69 offset1:70
	ds_read2_b64 v[125:128], v120 offset0:71 offset1:72
	s_waitcnt vmcnt(19) lgkmcnt(1)
	v_fma_f64 v[121:122], v[137:138], v[121:122], v[132:133]
	buffer_load_dword v132, off, s[0:3], 0 offset:156
	s_waitcnt vmcnt(18)
	v_fma_f64 v[121:122], v[139:140], v[123:124], v[121:122]
	buffer_load_dword v134, off, s[0:3], 0 offset:164
	buffer_load_dword v135, off, s[0:3], 0 offset:184
	;; [unrolled: 1-line block ×7, first 2 shown]
	s_waitcnt vmcnt(23) lgkmcnt(0)
	v_fma_f64 v[121:122], v[141:142], v[125:126], v[121:122]
	s_waitcnt vmcnt(18)
	v_fma_f64 v[141:142], v[143:144], v[127:128], v[121:122]
	ds_read2_b64 v[121:124], v120 offset0:73 offset1:74
	ds_read2_b64 v[125:128], v120 offset0:75 offset1:76
	buffer_load_dword v136, off, s[0:3], 0 offset:188
	s_waitcnt vmcnt(18) lgkmcnt(1)
	v_fma_f64 v[121:122], v[149:150], v[121:122], v[141:142]
	s_waitcnt vmcnt(17)
	v_fma_f64 v[121:122], v[147:148], v[123:124], v[121:122]
	buffer_load_dword v142, off, s[0:3], 0 offset:196
	buffer_load_dword v143, off, s[0:3], 0 offset:216
	buffer_load_dword v147, off, s[0:3], 0 offset:208
	buffer_load_dword v149, off, s[0:3], 0 offset:200
	buffer_load_dword v141, off, s[0:3], 0 offset:192
	buffer_load_dword v150, off, s[0:3], 0 offset:204
	buffer_load_dword v148, off, s[0:3], 0 offset:212
	buffer_load_dword v144, off, s[0:3], 0 offset:220
	s_waitcnt vmcnt(24) lgkmcnt(0)
	v_fma_f64 v[121:122], v[145:146], v[125:126], v[121:122]
	s_waitcnt vmcnt(19)
	v_fma_f64 v[129:130], v[129:130], v[127:128], v[121:122]
	ds_read2_b64 v[121:124], v120 offset0:77 offset1:78
	ds_read2_b64 v[125:128], v120 offset0:79 offset1:80
	s_waitcnt vmcnt(18) lgkmcnt(1)
	v_fma_f64 v[121:122], v[153:154], v[121:122], v[129:130]
	s_waitcnt vmcnt(17)
	v_fma_f64 v[121:122], v[151:152], v[123:124], v[121:122]
	buffer_load_dword v130, off, s[0:3], 0 offset:228
	buffer_load_dword v145, off, s[0:3], 0 offset:248
	;; [unrolled: 1-line block ×8, first 2 shown]
	s_waitcnt vmcnt(24) lgkmcnt(0)
	v_fma_f64 v[121:122], v[131:132], v[125:126], v[121:122]
	s_waitcnt vmcnt(19)
	v_fma_f64 v[131:132], v[133:134], v[127:128], v[121:122]
	ds_read2_b64 v[121:124], v120 offset0:81 offset1:82
	ds_read2_b64 v[125:128], v120 offset0:83 offset1:84
	s_waitcnt vmcnt(18) lgkmcnt(1)
	v_fma_f64 v[121:122], v[139:140], v[121:122], v[131:132]
	s_waitcnt vmcnt(17)
	v_fma_f64 v[121:122], v[137:138], v[123:124], v[121:122]
	buffer_load_dword v132, off, s[0:3], 0 offset:260
	buffer_load_dword v133, off, s[0:3], 0 offset:280
	;; [unrolled: 1-line block ×7, first 2 shown]
	s_waitcnt vmcnt(23) lgkmcnt(0)
	v_fma_f64 v[121:122], v[135:136], v[125:126], v[121:122]
	s_waitcnt vmcnt(18)
	v_fma_f64 v[134:135], v[141:142], v[127:128], v[121:122]
	ds_read2_b64 v[121:124], v120 offset0:85 offset1:86
	ds_read2_b64 v[125:128], v120 offset0:87 offset1:88
	s_waitcnt vmcnt(17) lgkmcnt(1)
	v_fma_f64 v[121:122], v[149:150], v[121:122], v[134:135]
	buffer_load_dword v134, off, s[0:3], 0 offset:284
	s_waitcnt vmcnt(17)
	v_fma_f64 v[121:122], v[147:148], v[123:124], v[121:122]
	buffer_load_dword v136, off, s[0:3], 0 offset:292
	buffer_load_dword v141, off, s[0:3], 0 offset:312
	;; [unrolled: 1-line block ×8, first 2 shown]
	s_waitcnt vmcnt(24) lgkmcnt(0)
	v_fma_f64 v[121:122], v[143:144], v[125:126], v[121:122]
	s_waitcnt vmcnt(19)
	v_fma_f64 v[129:130], v[129:130], v[127:128], v[121:122]
	ds_read2_b64 v[121:124], v120 offset0:89 offset1:90
	ds_read2_b64 v[125:128], v120 offset0:91 offset1:92
	s_waitcnt vmcnt(18) lgkmcnt(1)
	v_fma_f64 v[121:122], v[153:154], v[121:122], v[129:130]
	s_waitcnt vmcnt(17)
	v_fma_f64 v[121:122], v[151:152], v[123:124], v[121:122]
	buffer_load_dword v130, off, s[0:3], 0 offset:324
	buffer_load_dword v143, off, s[0:3], 0 offset:344
	;; [unrolled: 1-line block ×8, first 2 shown]
	s_waitcnt vmcnt(24) lgkmcnt(0)
	v_fma_f64 v[121:122], v[145:146], v[125:126], v[121:122]
	s_waitcnt vmcnt(19)
	v_fma_f64 v[131:132], v[131:132], v[127:128], v[121:122]
	ds_read2_b64 v[121:124], v120 offset0:93 offset1:94
	ds_read2_b64 v[125:128], v120 offset0:95 offset1:96
	s_waitcnt vmcnt(18) lgkmcnt(1)
	v_fma_f64 v[121:122], v[139:140], v[121:122], v[131:132]
	s_waitcnt vmcnt(17)
	v_fma_f64 v[121:122], v[137:138], v[123:124], v[121:122]
	buffer_load_dword v132, off, s[0:3], 0 offset:356
	buffer_load_dword v137, off, s[0:3], 0 offset:376
	buffer_load_dword v139, off, s[0:3], 0 offset:368
	buffer_load_dword v145, off, s[0:3], 0 offset:360
	buffer_load_dword v131, off, s[0:3], 0 offset:352
	buffer_load_dword v146, off, s[0:3], 0 offset:364
	buffer_load_dword v140, off, s[0:3], 0 offset:372
	s_waitcnt vmcnt(23) lgkmcnt(0)
	v_fma_f64 v[121:122], v[133:134], v[125:126], v[121:122]
	s_waitcnt vmcnt(18)
	v_fma_f64 v[133:134], v[135:136], v[127:128], v[121:122]
	ds_read2_b64 v[121:124], v120 offset0:97 offset1:98
	ds_read2_b64 v[125:128], v120 offset0:99 offset1:100
	buffer_load_dword v138, off, s[0:3], 0 offset:380
	s_waitcnt vmcnt(18) lgkmcnt(1)
	v_fma_f64 v[121:122], v[149:150], v[121:122], v[133:134]
	s_waitcnt vmcnt(17)
	v_fma_f64 v[121:122], v[147:148], v[123:124], v[121:122]
	buffer_load_dword v134, off, s[0:3], 0 offset:388
	buffer_load_dword v135, off, s[0:3], 0 offset:408
	;; [unrolled: 1-line block ×8, first 2 shown]
	s_waitcnt vmcnt(24) lgkmcnt(0)
	v_fma_f64 v[121:122], v[141:142], v[125:126], v[121:122]
	s_waitcnt vmcnt(19)
	v_fma_f64 v[129:130], v[129:130], v[127:128], v[121:122]
	ds_read2_b64 v[121:124], v120 offset0:101 offset1:102
	ds_read2_b64 v[125:128], v120 offset0:103 offset1:104
	s_waitcnt vmcnt(18) lgkmcnt(1)
	v_fma_f64 v[121:122], v[153:154], v[121:122], v[129:130]
	s_waitcnt vmcnt(17)
	v_fma_f64 v[121:122], v[151:152], v[123:124], v[121:122]
	buffer_load_dword v130, off, s[0:3], 0 offset:420
	buffer_load_dword v141, off, s[0:3], 0 offset:440
	;; [unrolled: 1-line block ×8, first 2 shown]
	s_waitcnt vmcnt(24) lgkmcnt(0)
	v_fma_f64 v[121:122], v[143:144], v[125:126], v[121:122]
	s_waitcnt vmcnt(19)
	v_fma_f64 v[131:132], v[131:132], v[127:128], v[121:122]
	ds_read2_b64 v[121:124], v120 offset0:105 offset1:106
	ds_read2_b64 v[125:128], v120 offset0:107 offset1:108
	s_waitcnt vmcnt(18) lgkmcnt(1)
	v_fma_f64 v[121:122], v[145:146], v[121:122], v[131:132]
	s_waitcnt vmcnt(17)
	v_fma_f64 v[121:122], v[139:140], v[123:124], v[121:122]
	buffer_load_dword v132, off, s[0:3], 0 offset:452
	buffer_load_dword v139, off, s[0:3], 0 offset:464
	;; [unrolled: 1-line block ×6, first 2 shown]
	s_waitcnt vmcnt(22) lgkmcnt(0)
	v_fma_f64 v[121:122], v[137:138], v[125:126], v[121:122]
	s_waitcnt vmcnt(17)
	v_fma_f64 v[133:134], v[133:134], v[127:128], v[121:122]
	ds_read2_b64 v[121:124], v120 offset0:109 offset1:110
	buffer_load_dword v137, off, s[0:3], 0 offset:32
	buffer_load_dword v138, off, s[0:3], 0 offset:36
	ds_read2_b64 v[125:128], v120 offset0:111 offset1:112
	s_waitcnt vmcnt(18) lgkmcnt(1)
	v_fma_f64 v[121:122], v[149:150], v[121:122], v[133:134]
	s_waitcnt vmcnt(17)
	v_fma_f64 v[121:122], v[147:148], v[123:124], v[121:122]
	s_waitcnt vmcnt(16) lgkmcnt(0)
	v_fma_f64 v[121:122], v[135:136], v[125:126], v[121:122]
	s_waitcnt vmcnt(11)
	v_fma_f64 v[129:130], v[129:130], v[127:128], v[121:122]
	ds_read2_b64 v[121:124], v120 offset0:113 offset1:114
	ds_read2_b64 v[125:128], v120 offset0:115 offset1:116
	s_waitcnt vmcnt(10) lgkmcnt(1)
	v_fma_f64 v[121:122], v[153:154], v[121:122], v[129:130]
	s_waitcnt vmcnt(9)
	v_fma_f64 v[121:122], v[151:152], v[123:124], v[121:122]
	s_waitcnt vmcnt(8) lgkmcnt(0)
	v_fma_f64 v[121:122], v[141:142], v[125:126], v[121:122]
	s_waitcnt vmcnt(4)
	v_fma_f64 v[124:125], v[131:132], v[127:128], v[121:122]
	ds_read2_b64 v[120:123], v120 offset0:117 offset1:118
	s_waitcnt vmcnt(3) lgkmcnt(0)
	v_fma_f64 v[120:121], v[143:144], v[120:121], v[124:125]
	s_waitcnt vmcnt(2)
	v_fma_f64 v[120:121], v[139:140], v[122:123], v[120:121]
	s_waitcnt vmcnt(0)
	v_add_f64 v[120:121], v[137:138], -v[120:121]
	buffer_store_dword v121, off, s[0:3], 0 offset:36
	buffer_store_dword v120, off, s[0:3], 0 offset:32
	s_and_saveexec_b64 s[4:5], vcc
	s_cbranch_execz .LBB122_355
; %bb.354:
	buffer_load_dword v120, off, s[0:3], 0 offset:24
	buffer_load_dword v121, off, s[0:3], 0 offset:28
	v_mov_b32_e32 v122, 0
	buffer_store_dword v122, off, s[0:3], 0 offset:24
	buffer_store_dword v122, off, s[0:3], 0 offset:28
	s_waitcnt vmcnt(2)
	ds_write_b64 v119, v[120:121]
.LBB122_355:
	s_or_b64 exec, exec, s[4:5]
	s_waitcnt lgkmcnt(0)
	; wave barrier
	buffer_load_dword v129, off, s[0:3], 0 offset:32
	buffer_load_dword v130, off, s[0:3], 0 offset:36
	;; [unrolled: 1-line block ×22, first 2 shown]
	v_mov_b32_e32 v120, 0
	ds_read_b128 v[121:124], v120 offset:512
	ds_read_b128 v[125:128], v120 offset:528
	v_cmp_lt_u32_e32 vcc, 2, v0
	s_waitcnt vmcnt(20) lgkmcnt(1)
	v_fma_f64 v[121:122], v[129:130], v[121:122], 0
	s_waitcnt vmcnt(18)
	v_fma_f64 v[121:122], v[131:132], v[123:124], v[121:122]
	buffer_load_dword v130, off, s[0:3], 0 offset:124
	buffer_load_dword v131, off, s[0:3], 0 offset:144
	buffer_load_dword v151, off, s[0:3], 0 offset:136
	buffer_load_dword v153, off, s[0:3], 0 offset:128
	buffer_load_dword v129, off, s[0:3], 0 offset:120
	buffer_load_dword v154, off, s[0:3], 0 offset:132
	buffer_load_dword v152, off, s[0:3], 0 offset:140
	s_waitcnt vmcnt(23) lgkmcnt(0)
	v_fma_f64 v[121:122], v[133:134], v[125:126], v[121:122]
	s_waitcnt vmcnt(21)
	v_fma_f64 v[132:133], v[135:136], v[127:128], v[121:122]
	ds_read_b128 v[121:124], v120 offset:544
	ds_read_b128 v[125:128], v120 offset:560
	s_waitcnt vmcnt(19) lgkmcnt(1)
	v_fma_f64 v[121:122], v[137:138], v[121:122], v[132:133]
	buffer_load_dword v132, off, s[0:3], 0 offset:148
	s_waitcnt vmcnt(18)
	v_fma_f64 v[121:122], v[139:140], v[123:124], v[121:122]
	buffer_load_dword v134, off, s[0:3], 0 offset:156
	buffer_load_dword v135, off, s[0:3], 0 offset:176
	;; [unrolled: 1-line block ×7, first 2 shown]
	s_waitcnt vmcnt(23) lgkmcnt(0)
	v_fma_f64 v[121:122], v[141:142], v[125:126], v[121:122]
	s_waitcnt vmcnt(18)
	v_fma_f64 v[141:142], v[143:144], v[127:128], v[121:122]
	ds_read_b128 v[121:124], v120 offset:576
	ds_read_b128 v[125:128], v120 offset:592
	buffer_load_dword v136, off, s[0:3], 0 offset:180
	s_waitcnt vmcnt(18) lgkmcnt(1)
	v_fma_f64 v[121:122], v[149:150], v[121:122], v[141:142]
	s_waitcnt vmcnt(17)
	v_fma_f64 v[121:122], v[147:148], v[123:124], v[121:122]
	buffer_load_dword v142, off, s[0:3], 0 offset:188
	buffer_load_dword v143, off, s[0:3], 0 offset:208
	;; [unrolled: 1-line block ×8, first 2 shown]
	s_waitcnt vmcnt(24) lgkmcnt(0)
	v_fma_f64 v[121:122], v[145:146], v[125:126], v[121:122]
	s_waitcnt vmcnt(19)
	v_fma_f64 v[129:130], v[129:130], v[127:128], v[121:122]
	ds_read_b128 v[121:124], v120 offset:608
	ds_read_b128 v[125:128], v120 offset:624
	s_waitcnt vmcnt(18) lgkmcnt(1)
	v_fma_f64 v[121:122], v[153:154], v[121:122], v[129:130]
	s_waitcnt vmcnt(17)
	v_fma_f64 v[121:122], v[151:152], v[123:124], v[121:122]
	buffer_load_dword v130, off, s[0:3], 0 offset:220
	buffer_load_dword v145, off, s[0:3], 0 offset:240
	;; [unrolled: 1-line block ×8, first 2 shown]
	s_waitcnt vmcnt(24) lgkmcnt(0)
	v_fma_f64 v[121:122], v[131:132], v[125:126], v[121:122]
	s_waitcnt vmcnt(19)
	v_fma_f64 v[131:132], v[133:134], v[127:128], v[121:122]
	ds_read_b128 v[121:124], v120 offset:640
	ds_read_b128 v[125:128], v120 offset:656
	s_waitcnt vmcnt(18) lgkmcnt(1)
	v_fma_f64 v[121:122], v[139:140], v[121:122], v[131:132]
	s_waitcnt vmcnt(17)
	v_fma_f64 v[121:122], v[137:138], v[123:124], v[121:122]
	buffer_load_dword v132, off, s[0:3], 0 offset:252
	buffer_load_dword v133, off, s[0:3], 0 offset:272
	;; [unrolled: 1-line block ×7, first 2 shown]
	s_waitcnt vmcnt(23) lgkmcnt(0)
	v_fma_f64 v[121:122], v[135:136], v[125:126], v[121:122]
	s_waitcnt vmcnt(18)
	v_fma_f64 v[134:135], v[141:142], v[127:128], v[121:122]
	ds_read_b128 v[121:124], v120 offset:672
	ds_read_b128 v[125:128], v120 offset:688
	s_waitcnt vmcnt(17) lgkmcnt(1)
	v_fma_f64 v[121:122], v[149:150], v[121:122], v[134:135]
	buffer_load_dword v134, off, s[0:3], 0 offset:276
	s_waitcnt vmcnt(17)
	v_fma_f64 v[121:122], v[147:148], v[123:124], v[121:122]
	buffer_load_dword v136, off, s[0:3], 0 offset:284
	buffer_load_dword v141, off, s[0:3], 0 offset:304
	;; [unrolled: 1-line block ×8, first 2 shown]
	s_waitcnt vmcnt(24) lgkmcnt(0)
	v_fma_f64 v[121:122], v[143:144], v[125:126], v[121:122]
	s_waitcnt vmcnt(19)
	v_fma_f64 v[129:130], v[129:130], v[127:128], v[121:122]
	ds_read_b128 v[121:124], v120 offset:704
	ds_read_b128 v[125:128], v120 offset:720
	s_waitcnt vmcnt(18) lgkmcnt(1)
	v_fma_f64 v[121:122], v[153:154], v[121:122], v[129:130]
	s_waitcnt vmcnt(17)
	v_fma_f64 v[121:122], v[151:152], v[123:124], v[121:122]
	buffer_load_dword v130, off, s[0:3], 0 offset:316
	buffer_load_dword v143, off, s[0:3], 0 offset:336
	;; [unrolled: 1-line block ×8, first 2 shown]
	s_waitcnt vmcnt(24) lgkmcnt(0)
	v_fma_f64 v[121:122], v[145:146], v[125:126], v[121:122]
	s_waitcnt vmcnt(19)
	v_fma_f64 v[131:132], v[131:132], v[127:128], v[121:122]
	ds_read_b128 v[121:124], v120 offset:736
	ds_read_b128 v[125:128], v120 offset:752
	s_waitcnt vmcnt(18) lgkmcnt(1)
	v_fma_f64 v[121:122], v[139:140], v[121:122], v[131:132]
	s_waitcnt vmcnt(17)
	v_fma_f64 v[121:122], v[137:138], v[123:124], v[121:122]
	buffer_load_dword v132, off, s[0:3], 0 offset:348
	buffer_load_dword v137, off, s[0:3], 0 offset:368
	;; [unrolled: 1-line block ×7, first 2 shown]
	s_waitcnt vmcnt(23) lgkmcnt(0)
	v_fma_f64 v[121:122], v[133:134], v[125:126], v[121:122]
	s_waitcnt vmcnt(18)
	v_fma_f64 v[133:134], v[135:136], v[127:128], v[121:122]
	ds_read_b128 v[121:124], v120 offset:768
	ds_read_b128 v[125:128], v120 offset:784
	buffer_load_dword v138, off, s[0:3], 0 offset:372
	s_waitcnt vmcnt(18) lgkmcnt(1)
	v_fma_f64 v[121:122], v[149:150], v[121:122], v[133:134]
	s_waitcnt vmcnt(17)
	v_fma_f64 v[121:122], v[147:148], v[123:124], v[121:122]
	buffer_load_dword v134, off, s[0:3], 0 offset:380
	buffer_load_dword v135, off, s[0:3], 0 offset:400
	buffer_load_dword v147, off, s[0:3], 0 offset:392
	buffer_load_dword v149, off, s[0:3], 0 offset:384
	buffer_load_dword v133, off, s[0:3], 0 offset:376
	buffer_load_dword v150, off, s[0:3], 0 offset:388
	buffer_load_dword v148, off, s[0:3], 0 offset:396
	buffer_load_dword v136, off, s[0:3], 0 offset:404
	s_waitcnt vmcnt(24) lgkmcnt(0)
	v_fma_f64 v[121:122], v[141:142], v[125:126], v[121:122]
	s_waitcnt vmcnt(19)
	v_fma_f64 v[129:130], v[129:130], v[127:128], v[121:122]
	ds_read_b128 v[121:124], v120 offset:800
	ds_read_b128 v[125:128], v120 offset:816
	s_waitcnt vmcnt(18) lgkmcnt(1)
	v_fma_f64 v[121:122], v[153:154], v[121:122], v[129:130]
	s_waitcnt vmcnt(17)
	v_fma_f64 v[121:122], v[151:152], v[123:124], v[121:122]
	buffer_load_dword v130, off, s[0:3], 0 offset:412
	buffer_load_dword v141, off, s[0:3], 0 offset:432
	buffer_load_dword v151, off, s[0:3], 0 offset:424
	buffer_load_dword v153, off, s[0:3], 0 offset:416
	buffer_load_dword v129, off, s[0:3], 0 offset:408
	buffer_load_dword v154, off, s[0:3], 0 offset:420
	buffer_load_dword v152, off, s[0:3], 0 offset:428
	buffer_load_dword v142, off, s[0:3], 0 offset:436
	s_waitcnt vmcnt(24) lgkmcnt(0)
	v_fma_f64 v[121:122], v[143:144], v[125:126], v[121:122]
	s_waitcnt vmcnt(19)
	v_fma_f64 v[131:132], v[131:132], v[127:128], v[121:122]
	ds_read_b128 v[121:124], v120 offset:832
	ds_read_b128 v[125:128], v120 offset:848
	;; [unrolled: 18-line block ×3, first 2 shown]
	s_waitcnt vmcnt(18) lgkmcnt(1)
	v_fma_f64 v[121:122], v[149:150], v[121:122], v[133:134]
	buffer_load_dword v133, off, s[0:3], 0 offset:24
	buffer_load_dword v134, off, s[0:3], 0 offset:28
	s_waitcnt vmcnt(19)
	v_fma_f64 v[121:122], v[147:148], v[123:124], v[121:122]
	s_waitcnt vmcnt(18) lgkmcnt(0)
	v_fma_f64 v[121:122], v[135:136], v[125:126], v[121:122]
	s_waitcnt vmcnt(13)
	v_fma_f64 v[129:130], v[129:130], v[127:128], v[121:122]
	ds_read_b128 v[121:124], v120 offset:896
	ds_read_b128 v[125:128], v120 offset:912
	s_waitcnt vmcnt(12) lgkmcnt(1)
	v_fma_f64 v[121:122], v[153:154], v[121:122], v[129:130]
	s_waitcnt vmcnt(11)
	v_fma_f64 v[121:122], v[151:152], v[123:124], v[121:122]
	s_waitcnt vmcnt(10) lgkmcnt(0)
	v_fma_f64 v[121:122], v[141:142], v[125:126], v[121:122]
	s_waitcnt vmcnt(5)
	v_fma_f64 v[125:126], v[131:132], v[127:128], v[121:122]
	ds_read_b128 v[121:124], v120 offset:928
	ds_read_b64 v[127:128], v120 offset:944
	s_waitcnt vmcnt(4) lgkmcnt(1)
	v_fma_f64 v[121:122], v[145:146], v[121:122], v[125:126]
	s_waitcnt vmcnt(3)
	v_fma_f64 v[121:122], v[143:144], v[123:124], v[121:122]
	s_waitcnt vmcnt(2) lgkmcnt(0)
	v_fma_f64 v[121:122], v[139:140], v[127:128], v[121:122]
	s_waitcnt vmcnt(0)
	v_add_f64 v[121:122], v[133:134], -v[121:122]
	buffer_store_dword v122, off, s[0:3], 0 offset:28
	buffer_store_dword v121, off, s[0:3], 0 offset:24
	s_and_saveexec_b64 s[4:5], vcc
	s_cbranch_execz .LBB122_357
; %bb.356:
	buffer_load_dword v121, off, s[0:3], 0 offset:16
	buffer_load_dword v122, off, s[0:3], 0 offset:20
	s_waitcnt vmcnt(0)
	ds_write_b64 v119, v[121:122]
	buffer_store_dword v120, off, s[0:3], 0 offset:16
	buffer_store_dword v120, off, s[0:3], 0 offset:20
.LBB122_357:
	s_or_b64 exec, exec, s[4:5]
	s_waitcnt lgkmcnt(0)
	; wave barrier
	buffer_load_dword v129, off, s[0:3], 0 offset:24
	buffer_load_dword v130, off, s[0:3], 0 offset:28
	;; [unrolled: 1-line block ×22, first 2 shown]
	ds_read2_b64 v[121:124], v120 offset0:63 offset1:64
	ds_read2_b64 v[125:128], v120 offset0:65 offset1:66
	v_cmp_lt_u32_e32 vcc, 1, v0
	s_waitcnt vmcnt(20) lgkmcnt(1)
	v_fma_f64 v[121:122], v[129:130], v[121:122], 0
	s_waitcnt vmcnt(18)
	v_fma_f64 v[121:122], v[131:132], v[123:124], v[121:122]
	buffer_load_dword v130, off, s[0:3], 0 offset:116
	buffer_load_dword v131, off, s[0:3], 0 offset:136
	;; [unrolled: 1-line block ×7, first 2 shown]
	s_waitcnt vmcnt(23) lgkmcnt(0)
	v_fma_f64 v[121:122], v[133:134], v[125:126], v[121:122]
	s_waitcnt vmcnt(21)
	v_fma_f64 v[132:133], v[135:136], v[127:128], v[121:122]
	ds_read2_b64 v[121:124], v120 offset0:67 offset1:68
	ds_read2_b64 v[125:128], v120 offset0:69 offset1:70
	s_waitcnt vmcnt(19) lgkmcnt(1)
	v_fma_f64 v[121:122], v[137:138], v[121:122], v[132:133]
	buffer_load_dword v132, off, s[0:3], 0 offset:140
	s_waitcnt vmcnt(18)
	v_fma_f64 v[121:122], v[139:140], v[123:124], v[121:122]
	buffer_load_dword v134, off, s[0:3], 0 offset:148
	buffer_load_dword v135, off, s[0:3], 0 offset:168
	;; [unrolled: 1-line block ×7, first 2 shown]
	s_waitcnt vmcnt(23) lgkmcnt(0)
	v_fma_f64 v[121:122], v[141:142], v[125:126], v[121:122]
	s_waitcnt vmcnt(18)
	v_fma_f64 v[141:142], v[143:144], v[127:128], v[121:122]
	ds_read2_b64 v[121:124], v120 offset0:71 offset1:72
	ds_read2_b64 v[125:128], v120 offset0:73 offset1:74
	buffer_load_dword v136, off, s[0:3], 0 offset:172
	s_waitcnt vmcnt(18) lgkmcnt(1)
	v_fma_f64 v[121:122], v[149:150], v[121:122], v[141:142]
	s_waitcnt vmcnt(17)
	v_fma_f64 v[121:122], v[147:148], v[123:124], v[121:122]
	buffer_load_dword v142, off, s[0:3], 0 offset:180
	buffer_load_dword v143, off, s[0:3], 0 offset:200
	;; [unrolled: 1-line block ×8, first 2 shown]
	s_waitcnt vmcnt(24) lgkmcnt(0)
	v_fma_f64 v[121:122], v[145:146], v[125:126], v[121:122]
	s_waitcnt vmcnt(19)
	v_fma_f64 v[129:130], v[129:130], v[127:128], v[121:122]
	ds_read2_b64 v[121:124], v120 offset0:75 offset1:76
	ds_read2_b64 v[125:128], v120 offset0:77 offset1:78
	s_waitcnt vmcnt(18) lgkmcnt(1)
	v_fma_f64 v[121:122], v[153:154], v[121:122], v[129:130]
	s_waitcnt vmcnt(17)
	v_fma_f64 v[121:122], v[151:152], v[123:124], v[121:122]
	buffer_load_dword v130, off, s[0:3], 0 offset:212
	buffer_load_dword v145, off, s[0:3], 0 offset:232
	;; [unrolled: 1-line block ×8, first 2 shown]
	s_waitcnt vmcnt(24) lgkmcnt(0)
	v_fma_f64 v[121:122], v[131:132], v[125:126], v[121:122]
	s_waitcnt vmcnt(19)
	v_fma_f64 v[131:132], v[133:134], v[127:128], v[121:122]
	ds_read2_b64 v[121:124], v120 offset0:79 offset1:80
	ds_read2_b64 v[125:128], v120 offset0:81 offset1:82
	s_waitcnt vmcnt(18) lgkmcnt(1)
	v_fma_f64 v[121:122], v[139:140], v[121:122], v[131:132]
	s_waitcnt vmcnt(17)
	v_fma_f64 v[121:122], v[137:138], v[123:124], v[121:122]
	buffer_load_dword v132, off, s[0:3], 0 offset:244
	buffer_load_dword v133, off, s[0:3], 0 offset:264
	buffer_load_dword v137, off, s[0:3], 0 offset:256
	buffer_load_dword v139, off, s[0:3], 0 offset:248
	buffer_load_dword v131, off, s[0:3], 0 offset:240
	buffer_load_dword v140, off, s[0:3], 0 offset:252
	buffer_load_dword v138, off, s[0:3], 0 offset:260
	s_waitcnt vmcnt(23) lgkmcnt(0)
	v_fma_f64 v[121:122], v[135:136], v[125:126], v[121:122]
	s_waitcnt vmcnt(18)
	v_fma_f64 v[134:135], v[141:142], v[127:128], v[121:122]
	ds_read2_b64 v[121:124], v120 offset0:83 offset1:84
	ds_read2_b64 v[125:128], v120 offset0:85 offset1:86
	s_waitcnt vmcnt(17) lgkmcnt(1)
	v_fma_f64 v[121:122], v[149:150], v[121:122], v[134:135]
	buffer_load_dword v134, off, s[0:3], 0 offset:268
	s_waitcnt vmcnt(17)
	v_fma_f64 v[121:122], v[147:148], v[123:124], v[121:122]
	buffer_load_dword v136, off, s[0:3], 0 offset:276
	buffer_load_dword v141, off, s[0:3], 0 offset:296
	;; [unrolled: 1-line block ×8, first 2 shown]
	s_waitcnt vmcnt(24) lgkmcnt(0)
	v_fma_f64 v[121:122], v[143:144], v[125:126], v[121:122]
	s_waitcnt vmcnt(19)
	v_fma_f64 v[129:130], v[129:130], v[127:128], v[121:122]
	ds_read2_b64 v[121:124], v120 offset0:87 offset1:88
	ds_read2_b64 v[125:128], v120 offset0:89 offset1:90
	s_waitcnt vmcnt(18) lgkmcnt(1)
	v_fma_f64 v[121:122], v[153:154], v[121:122], v[129:130]
	s_waitcnt vmcnt(17)
	v_fma_f64 v[121:122], v[151:152], v[123:124], v[121:122]
	buffer_load_dword v130, off, s[0:3], 0 offset:308
	buffer_load_dword v143, off, s[0:3], 0 offset:328
	;; [unrolled: 1-line block ×8, first 2 shown]
	s_waitcnt vmcnt(24) lgkmcnt(0)
	v_fma_f64 v[121:122], v[145:146], v[125:126], v[121:122]
	s_waitcnt vmcnt(19)
	v_fma_f64 v[131:132], v[131:132], v[127:128], v[121:122]
	ds_read2_b64 v[121:124], v120 offset0:91 offset1:92
	ds_read2_b64 v[125:128], v120 offset0:93 offset1:94
	s_waitcnt vmcnt(18) lgkmcnt(1)
	v_fma_f64 v[121:122], v[139:140], v[121:122], v[131:132]
	s_waitcnt vmcnt(17)
	v_fma_f64 v[121:122], v[137:138], v[123:124], v[121:122]
	buffer_load_dword v132, off, s[0:3], 0 offset:340
	buffer_load_dword v137, off, s[0:3], 0 offset:360
	;; [unrolled: 1-line block ×7, first 2 shown]
	s_waitcnt vmcnt(23) lgkmcnt(0)
	v_fma_f64 v[121:122], v[133:134], v[125:126], v[121:122]
	s_waitcnt vmcnt(18)
	v_fma_f64 v[133:134], v[135:136], v[127:128], v[121:122]
	ds_read2_b64 v[121:124], v120 offset0:95 offset1:96
	ds_read2_b64 v[125:128], v120 offset0:97 offset1:98
	buffer_load_dword v138, off, s[0:3], 0 offset:364
	s_waitcnt vmcnt(18) lgkmcnt(1)
	v_fma_f64 v[121:122], v[149:150], v[121:122], v[133:134]
	s_waitcnt vmcnt(17)
	v_fma_f64 v[121:122], v[147:148], v[123:124], v[121:122]
	buffer_load_dword v134, off, s[0:3], 0 offset:372
	buffer_load_dword v135, off, s[0:3], 0 offset:392
	buffer_load_dword v147, off, s[0:3], 0 offset:384
	buffer_load_dword v149, off, s[0:3], 0 offset:376
	buffer_load_dword v133, off, s[0:3], 0 offset:368
	buffer_load_dword v150, off, s[0:3], 0 offset:380
	buffer_load_dword v148, off, s[0:3], 0 offset:388
	buffer_load_dword v136, off, s[0:3], 0 offset:396
	s_waitcnt vmcnt(24) lgkmcnt(0)
	v_fma_f64 v[121:122], v[141:142], v[125:126], v[121:122]
	s_waitcnt vmcnt(19)
	v_fma_f64 v[129:130], v[129:130], v[127:128], v[121:122]
	ds_read2_b64 v[121:124], v120 offset0:99 offset1:100
	ds_read2_b64 v[125:128], v120 offset0:101 offset1:102
	s_waitcnt vmcnt(18) lgkmcnt(1)
	v_fma_f64 v[121:122], v[153:154], v[121:122], v[129:130]
	s_waitcnt vmcnt(17)
	v_fma_f64 v[121:122], v[151:152], v[123:124], v[121:122]
	buffer_load_dword v130, off, s[0:3], 0 offset:404
	buffer_load_dword v141, off, s[0:3], 0 offset:424
	buffer_load_dword v151, off, s[0:3], 0 offset:416
	buffer_load_dword v153, off, s[0:3], 0 offset:408
	buffer_load_dword v129, off, s[0:3], 0 offset:400
	buffer_load_dword v154, off, s[0:3], 0 offset:412
	buffer_load_dword v152, off, s[0:3], 0 offset:420
	buffer_load_dword v142, off, s[0:3], 0 offset:428
	s_waitcnt vmcnt(24) lgkmcnt(0)
	v_fma_f64 v[121:122], v[143:144], v[125:126], v[121:122]
	s_waitcnt vmcnt(19)
	v_fma_f64 v[131:132], v[131:132], v[127:128], v[121:122]
	ds_read2_b64 v[121:124], v120 offset0:103 offset1:104
	ds_read2_b64 v[125:128], v120 offset0:105 offset1:106
	;; [unrolled: 18-line block ×3, first 2 shown]
	s_waitcnt vmcnt(18) lgkmcnt(1)
	v_fma_f64 v[121:122], v[149:150], v[121:122], v[133:134]
	buffer_load_dword v134, off, s[0:3], 0 offset:468
	buffer_load_dword v133, off, s[0:3], 0 offset:464
	;; [unrolled: 1-line block ×4, first 2 shown]
	s_waitcnt vmcnt(21)
	v_fma_f64 v[121:122], v[147:148], v[123:124], v[121:122]
	s_waitcnt vmcnt(20) lgkmcnt(0)
	v_fma_f64 v[121:122], v[135:136], v[125:126], v[121:122]
	s_waitcnt vmcnt(15)
	v_fma_f64 v[129:130], v[129:130], v[127:128], v[121:122]
	ds_read2_b64 v[121:124], v120 offset0:111 offset1:112
	ds_read2_b64 v[125:128], v120 offset0:113 offset1:114
	s_waitcnt vmcnt(14) lgkmcnt(1)
	v_fma_f64 v[121:122], v[153:154], v[121:122], v[129:130]
	s_waitcnt vmcnt(13)
	v_fma_f64 v[121:122], v[151:152], v[123:124], v[121:122]
	s_waitcnt vmcnt(12) lgkmcnt(0)
	v_fma_f64 v[121:122], v[141:142], v[125:126], v[121:122]
	s_waitcnt vmcnt(7)
	v_fma_f64 v[129:130], v[131:132], v[127:128], v[121:122]
	ds_read2_b64 v[121:124], v120 offset0:115 offset1:116
	ds_read2_b64 v[125:128], v120 offset0:117 offset1:118
	s_waitcnt vmcnt(6) lgkmcnt(1)
	v_fma_f64 v[120:121], v[145:146], v[121:122], v[129:130]
	s_waitcnt vmcnt(5)
	v_fma_f64 v[120:121], v[143:144], v[123:124], v[120:121]
	s_waitcnt vmcnt(4) lgkmcnt(0)
	v_fma_f64 v[120:121], v[139:140], v[125:126], v[120:121]
	s_waitcnt vmcnt(2)
	v_fma_f64 v[120:121], v[133:134], v[127:128], v[120:121]
	s_waitcnt vmcnt(0)
	v_add_f64 v[120:121], v[137:138], -v[120:121]
	buffer_store_dword v121, off, s[0:3], 0 offset:20
	buffer_store_dword v120, off, s[0:3], 0 offset:16
	s_and_saveexec_b64 s[4:5], vcc
	s_cbranch_execz .LBB122_359
; %bb.358:
	buffer_load_dword v120, off, s[0:3], 0 offset:8
	buffer_load_dword v121, off, s[0:3], 0 offset:12
	v_mov_b32_e32 v122, 0
	buffer_store_dword v122, off, s[0:3], 0 offset:8
	buffer_store_dword v122, off, s[0:3], 0 offset:12
	s_waitcnt vmcnt(2)
	ds_write_b64 v119, v[120:121]
.LBB122_359:
	s_or_b64 exec, exec, s[4:5]
	s_waitcnt lgkmcnt(0)
	; wave barrier
	buffer_load_dword v130, off, s[0:3], 0 offset:16
	buffer_load_dword v131, off, s[0:3], 0 offset:20
	;; [unrolled: 1-line block ×21, first 2 shown]
	v_mov_b32_e32 v121, 0
	ds_read_b128 v[122:125], v121 offset:496
	ds_read_b128 v[126:129], v121 offset:512
	buffer_load_dword v147, off, s[0:3], 0 offset:100
	v_cmp_ne_u32_e32 vcc, 0, v0
	s_waitcnt vmcnt(20) lgkmcnt(1)
	v_fma_f64 v[122:123], v[130:131], v[122:123], 0
	s_waitcnt vmcnt(18)
	v_fma_f64 v[122:123], v[132:133], v[124:125], v[122:123]
	buffer_load_dword v131, off, s[0:3], 0 offset:108
	buffer_load_dword v132, off, s[0:3], 0 offset:128
	;; [unrolled: 1-line block ×7, first 2 shown]
	s_waitcnt vmcnt(23) lgkmcnt(0)
	v_fma_f64 v[122:123], v[134:135], v[126:127], v[122:123]
	s_waitcnt vmcnt(21)
	v_fma_f64 v[133:134], v[136:137], v[128:129], v[122:123]
	ds_read_b128 v[122:125], v121 offset:528
	ds_read_b128 v[126:129], v121 offset:544
	s_waitcnt vmcnt(19) lgkmcnt(1)
	v_fma_f64 v[122:123], v[138:139], v[122:123], v[133:134]
	buffer_load_dword v133, off, s[0:3], 0 offset:132
	s_waitcnt vmcnt(18)
	v_fma_f64 v[122:123], v[140:141], v[124:125], v[122:123]
	buffer_load_dword v135, off, s[0:3], 0 offset:140
	buffer_load_dword v136, off, s[0:3], 0 offset:160
	;; [unrolled: 1-line block ×7, first 2 shown]
	s_waitcnt vmcnt(23) lgkmcnt(0)
	v_fma_f64 v[122:123], v[142:143], v[126:127], v[122:123]
	s_waitcnt vmcnt(18)
	v_fma_f64 v[142:143], v[144:145], v[128:129], v[122:123]
	ds_read_b128 v[122:125], v121 offset:560
	ds_read_b128 v[126:129], v121 offset:576
	buffer_load_dword v137, off, s[0:3], 0 offset:164
	s_waitcnt vmcnt(18) lgkmcnt(1)
	v_fma_f64 v[122:123], v[150:151], v[122:123], v[142:143]
	s_waitcnt vmcnt(17)
	v_fma_f64 v[122:123], v[148:149], v[124:125], v[122:123]
	buffer_load_dword v143, off, s[0:3], 0 offset:172
	buffer_load_dword v144, off, s[0:3], 0 offset:192
	;; [unrolled: 1-line block ×7, first 2 shown]
	s_waitcnt vmcnt(23) lgkmcnt(0)
	v_fma_f64 v[122:123], v[146:147], v[126:127], v[122:123]
	s_waitcnt vmcnt(18)
	v_fma_f64 v[130:131], v[130:131], v[128:129], v[122:123]
	ds_read_b128 v[122:125], v121 offset:592
	ds_read_b128 v[126:129], v121 offset:608
	buffer_load_dword v145, off, s[0:3], 0 offset:196
	s_waitcnt vmcnt(18) lgkmcnt(1)
	v_fma_f64 v[122:123], v[154:155], v[122:123], v[130:131]
	s_waitcnt vmcnt(17)
	v_fma_f64 v[122:123], v[152:153], v[124:125], v[122:123]
	buffer_load_dword v131, off, s[0:3], 0 offset:204
	buffer_load_dword v146, off, s[0:3], 0 offset:224
	buffer_load_dword v152, off, s[0:3], 0 offset:216
	buffer_load_dword v154, off, s[0:3], 0 offset:208
	buffer_load_dword v130, off, s[0:3], 0 offset:200
	buffer_load_dword v155, off, s[0:3], 0 offset:212
	buffer_load_dword v153, off, s[0:3], 0 offset:220
	buffer_load_dword v147, off, s[0:3], 0 offset:228
	s_waitcnt vmcnt(24) lgkmcnt(0)
	v_fma_f64 v[122:123], v[132:133], v[126:127], v[122:123]
	s_waitcnt vmcnt(19)
	v_fma_f64 v[132:133], v[134:135], v[128:129], v[122:123]
	ds_read_b128 v[122:125], v121 offset:624
	ds_read_b128 v[126:129], v121 offset:640
	s_waitcnt vmcnt(18) lgkmcnt(1)
	v_fma_f64 v[122:123], v[140:141], v[122:123], v[132:133]
	s_waitcnt vmcnt(17)
	v_fma_f64 v[122:123], v[138:139], v[124:125], v[122:123]
	buffer_load_dword v133, off, s[0:3], 0 offset:236
	buffer_load_dword v134, off, s[0:3], 0 offset:256
	;; [unrolled: 1-line block ×7, first 2 shown]
	s_waitcnt vmcnt(23) lgkmcnt(0)
	v_fma_f64 v[122:123], v[136:137], v[126:127], v[122:123]
	s_waitcnt vmcnt(18)
	v_fma_f64 v[135:136], v[142:143], v[128:129], v[122:123]
	ds_read_b128 v[122:125], v121 offset:656
	ds_read_b128 v[126:129], v121 offset:672
	s_waitcnt vmcnt(17) lgkmcnt(1)
	v_fma_f64 v[122:123], v[150:151], v[122:123], v[135:136]
	buffer_load_dword v135, off, s[0:3], 0 offset:260
	s_waitcnt vmcnt(17)
	v_fma_f64 v[122:123], v[148:149], v[124:125], v[122:123]
	buffer_load_dword v137, off, s[0:3], 0 offset:268
	buffer_load_dword v142, off, s[0:3], 0 offset:288
	;; [unrolled: 1-line block ×7, first 2 shown]
	s_waitcnt vmcnt(23) lgkmcnt(0)
	v_fma_f64 v[122:123], v[144:145], v[126:127], v[122:123]
	s_waitcnt vmcnt(18)
	v_fma_f64 v[130:131], v[130:131], v[128:129], v[122:123]
	ds_read_b128 v[122:125], v121 offset:688
	ds_read_b128 v[126:129], v121 offset:704
	buffer_load_dword v143, off, s[0:3], 0 offset:292
	s_waitcnt vmcnt(18) lgkmcnt(1)
	v_fma_f64 v[122:123], v[154:155], v[122:123], v[130:131]
	s_waitcnt vmcnt(17)
	v_fma_f64 v[122:123], v[152:153], v[124:125], v[122:123]
	buffer_load_dword v131, off, s[0:3], 0 offset:300
	buffer_load_dword v144, off, s[0:3], 0 offset:320
	;; [unrolled: 1-line block ×8, first 2 shown]
	s_waitcnt vmcnt(24) lgkmcnt(0)
	v_fma_f64 v[122:123], v[146:147], v[126:127], v[122:123]
	s_waitcnt vmcnt(19)
	v_fma_f64 v[132:133], v[132:133], v[128:129], v[122:123]
	ds_read_b128 v[122:125], v121 offset:720
	ds_read_b128 v[126:129], v121 offset:736
	s_waitcnt vmcnt(18) lgkmcnt(1)
	v_fma_f64 v[122:123], v[140:141], v[122:123], v[132:133]
	s_waitcnt vmcnt(17)
	v_fma_f64 v[122:123], v[138:139], v[124:125], v[122:123]
	buffer_load_dword v133, off, s[0:3], 0 offset:332
	buffer_load_dword v138, off, s[0:3], 0 offset:352
	;; [unrolled: 1-line block ×7, first 2 shown]
	s_waitcnt vmcnt(23) lgkmcnt(0)
	v_fma_f64 v[122:123], v[134:135], v[126:127], v[122:123]
	s_waitcnt vmcnt(18)
	v_fma_f64 v[134:135], v[136:137], v[128:129], v[122:123]
	ds_read_b128 v[122:125], v121 offset:752
	ds_read_b128 v[126:129], v121 offset:768
	buffer_load_dword v139, off, s[0:3], 0 offset:356
	s_waitcnt vmcnt(18) lgkmcnt(1)
	v_fma_f64 v[122:123], v[150:151], v[122:123], v[134:135]
	s_waitcnt vmcnt(17)
	v_fma_f64 v[122:123], v[148:149], v[124:125], v[122:123]
	buffer_load_dword v135, off, s[0:3], 0 offset:364
	buffer_load_dword v136, off, s[0:3], 0 offset:384
	;; [unrolled: 1-line block ×7, first 2 shown]
	s_waitcnt vmcnt(23) lgkmcnt(0)
	v_fma_f64 v[122:123], v[142:143], v[126:127], v[122:123]
	s_waitcnt vmcnt(18)
	v_fma_f64 v[130:131], v[130:131], v[128:129], v[122:123]
	ds_read_b128 v[122:125], v121 offset:784
	ds_read_b128 v[126:129], v121 offset:800
	buffer_load_dword v137, off, s[0:3], 0 offset:388
	s_waitcnt vmcnt(18) lgkmcnt(1)
	v_fma_f64 v[122:123], v[154:155], v[122:123], v[130:131]
	s_waitcnt vmcnt(17)
	v_fma_f64 v[122:123], v[152:153], v[124:125], v[122:123]
	buffer_load_dword v131, off, s[0:3], 0 offset:396
	buffer_load_dword v142, off, s[0:3], 0 offset:416
	buffer_load_dword v152, off, s[0:3], 0 offset:408
	buffer_load_dword v154, off, s[0:3], 0 offset:400
	buffer_load_dword v130, off, s[0:3], 0 offset:392
	buffer_load_dword v155, off, s[0:3], 0 offset:404
	buffer_load_dword v153, off, s[0:3], 0 offset:412
	buffer_load_dword v143, off, s[0:3], 0 offset:420
	s_waitcnt vmcnt(24) lgkmcnt(0)
	v_fma_f64 v[122:123], v[144:145], v[126:127], v[122:123]
	s_waitcnt vmcnt(19)
	v_fma_f64 v[132:133], v[132:133], v[128:129], v[122:123]
	ds_read_b128 v[122:125], v121 offset:816
	ds_read_b128 v[126:129], v121 offset:832
	s_waitcnt vmcnt(18) lgkmcnt(1)
	v_fma_f64 v[122:123], v[146:147], v[122:123], v[132:133]
	s_waitcnt vmcnt(17)
	v_fma_f64 v[122:123], v[140:141], v[124:125], v[122:123]
	buffer_load_dword v133, off, s[0:3], 0 offset:428
	buffer_load_dword v140, off, s[0:3], 0 offset:448
	;; [unrolled: 1-line block ×7, first 2 shown]
	s_waitcnt vmcnt(23) lgkmcnt(0)
	v_fma_f64 v[122:123], v[138:139], v[126:127], v[122:123]
	s_waitcnt vmcnt(18)
	v_fma_f64 v[134:135], v[134:135], v[128:129], v[122:123]
	ds_read_b128 v[122:125], v121 offset:848
	ds_read_b128 v[126:129], v121 offset:864
	buffer_load_dword v141, off, s[0:3], 0 offset:452
	s_waitcnt vmcnt(18) lgkmcnt(1)
	v_fma_f64 v[122:123], v[150:151], v[122:123], v[134:135]
	buffer_load_dword v135, off, s[0:3], 0 offset:460
	buffer_load_dword v138, off, s[0:3], 0 offset:464
	;; [unrolled: 1-line block ×4, first 2 shown]
	s_waitcnt vmcnt(21)
	v_fma_f64 v[122:123], v[148:149], v[124:125], v[122:123]
	s_waitcnt vmcnt(20) lgkmcnt(0)
	v_fma_f64 v[122:123], v[136:137], v[126:127], v[122:123]
	buffer_load_dword v136, off, s[0:3], 0 offset:8
	buffer_load_dword v137, off, s[0:3], 0 offset:12
	s_waitcnt vmcnt(17)
	v_fma_f64 v[130:131], v[130:131], v[128:129], v[122:123]
	ds_read_b128 v[122:125], v121 offset:880
	ds_read_b128 v[126:129], v121 offset:896
	s_waitcnt vmcnt(16) lgkmcnt(1)
	v_fma_f64 v[122:123], v[154:155], v[122:123], v[130:131]
	s_waitcnt vmcnt(15)
	v_fma_f64 v[122:123], v[152:153], v[124:125], v[122:123]
	s_waitcnt vmcnt(14) lgkmcnt(0)
	v_fma_f64 v[122:123], v[142:143], v[126:127], v[122:123]
	s_waitcnt vmcnt(9)
	v_fma_f64 v[130:131], v[132:133], v[128:129], v[122:123]
	ds_read_b128 v[122:125], v121 offset:912
	ds_read_b128 v[126:129], v121 offset:928
	s_waitcnt vmcnt(8) lgkmcnt(1)
	v_fma_f64 v[122:123], v[146:147], v[122:123], v[130:131]
	s_waitcnt vmcnt(7)
	v_fma_f64 v[122:123], v[144:145], v[124:125], v[122:123]
	ds_read_b64 v[124:125], v121 offset:944
	s_waitcnt vmcnt(6) lgkmcnt(1)
	v_fma_f64 v[122:123], v[140:141], v[126:127], v[122:123]
	s_waitcnt vmcnt(3)
	v_fma_f64 v[122:123], v[134:135], v[128:129], v[122:123]
	s_waitcnt vmcnt(2) lgkmcnt(0)
	v_fma_f64 v[122:123], v[138:139], v[124:125], v[122:123]
	s_waitcnt vmcnt(0)
	v_add_f64 v[122:123], v[136:137], -v[122:123]
	buffer_store_dword v123, off, s[0:3], 0 offset:12
	buffer_store_dword v122, off, s[0:3], 0 offset:8
	s_and_saveexec_b64 s[4:5], vcc
	s_cbranch_execz .LBB122_361
; %bb.360:
	buffer_load_dword v122, off, s[0:3], 0
	buffer_load_dword v123, off, s[0:3], 0 offset:4
	s_waitcnt vmcnt(0)
	ds_write_b64 v119, v[122:123]
	buffer_store_dword v121, off, s[0:3], 0
	buffer_store_dword v121, off, s[0:3], 0 offset:4
.LBB122_361:
	s_or_b64 exec, exec, s[4:5]
	s_waitcnt lgkmcnt(0)
	; wave barrier
	buffer_load_dword v119, off, s[0:3], 0 offset:8
	buffer_load_dword v120, off, s[0:3], 0 offset:12
	;; [unrolled: 1-line block ×21, first 2 shown]
	ds_read2_b64 v[122:125], v121 offset0:61 offset1:62
	ds_read2_b64 v[126:129], v121 offset0:63 offset1:64
	buffer_load_dword v145, off, s[0:3], 0 offset:92
	s_and_b64 vcc, exec, s[14:15]
	s_waitcnt vmcnt(20) lgkmcnt(1)
	v_fma_f64 v[119:120], v[119:120], v[122:123], 0
	s_waitcnt vmcnt(18)
	v_fma_f64 v[119:120], v[130:131], v[124:125], v[119:120]
	buffer_load_dword v131, off, s[0:3], 0 offset:100
	buffer_load_dword v150, off, s[0:3], 0 offset:120
	buffer_load_dword v152, off, s[0:3], 0 offset:112
	buffer_load_dword v154, off, s[0:3], 0 offset:104
	buffer_load_dword v130, off, s[0:3], 0 offset:96
	buffer_load_dword v155, off, s[0:3], 0 offset:108
	buffer_load_dword v153, off, s[0:3], 0 offset:116
	buffer_load_dword v151, off, s[0:3], 0 offset:124
	ds_read2_b64 v[122:125], v121 offset0:65 offset1:66
	s_waitcnt vmcnt(24) lgkmcnt(1)
	v_fma_f64 v[119:120], v[132:133], v[126:127], v[119:120]
	s_waitcnt vmcnt(22)
	v_fma_f64 v[119:120], v[134:135], v[128:129], v[119:120]
	ds_read2_b64 v[126:129], v121 offset0:67 offset1:68
	s_waitcnt vmcnt(20) lgkmcnt(1)
	v_fma_f64 v[119:120], v[136:137], v[122:123], v[119:120]
	s_waitcnt vmcnt(18)
	v_fma_f64 v[119:120], v[138:139], v[124:125], v[119:120]
	buffer_load_dword v133, off, s[0:3], 0 offset:132
	buffer_load_dword v134, off, s[0:3], 0 offset:152
	buffer_load_dword v136, off, s[0:3], 0 offset:144
	buffer_load_dword v138, off, s[0:3], 0 offset:136
	buffer_load_dword v132, off, s[0:3], 0 offset:128
	buffer_load_dword v139, off, s[0:3], 0 offset:140
	buffer_load_dword v137, off, s[0:3], 0 offset:148
	buffer_load_dword v135, off, s[0:3], 0 offset:156
	ds_read2_b64 v[122:125], v121 offset0:69 offset1:70
	s_waitcnt vmcnt(24) lgkmcnt(1)
	v_fma_f64 v[119:120], v[140:141], v[126:127], v[119:120]
	s_waitcnt vmcnt(19)
	v_fma_f64 v[119:120], v[142:143], v[128:129], v[119:120]
	ds_read2_b64 v[126:129], v121 offset0:71 offset1:72
	s_waitcnt vmcnt(18) lgkmcnt(1)
	v_fma_f64 v[119:120], v[148:149], v[122:123], v[119:120]
	s_waitcnt vmcnt(17)
	v_fma_f64 v[119:120], v[146:147], v[124:125], v[119:120]
	buffer_load_dword v141, off, s[0:3], 0 offset:164
	buffer_load_dword v142, off, s[0:3], 0 offset:184
	buffer_load_dword v146, off, s[0:3], 0 offset:176
	buffer_load_dword v148, off, s[0:3], 0 offset:168
	buffer_load_dword v140, off, s[0:3], 0 offset:160
	buffer_load_dword v149, off, s[0:3], 0 offset:172
	buffer_load_dword v147, off, s[0:3], 0 offset:180
	s_waitcnt vmcnt(23) lgkmcnt(0)
	v_fma_f64 v[119:120], v[144:145], v[126:127], v[119:120]
	s_waitcnt vmcnt(18)
	v_fma_f64 v[119:120], v[130:131], v[128:129], v[119:120]
	ds_read2_b64 v[122:125], v121 offset0:73 offset1:74
	ds_read2_b64 v[126:129], v121 offset0:75 offset1:76
	buffer_load_dword v143, off, s[0:3], 0 offset:188
	s_waitcnt vmcnt(18) lgkmcnt(1)
	v_fma_f64 v[119:120], v[154:155], v[122:123], v[119:120]
	s_waitcnt vmcnt(17)
	v_fma_f64 v[119:120], v[152:153], v[124:125], v[119:120]
	buffer_load_dword v131, off, s[0:3], 0 offset:196
	buffer_load_dword v144, off, s[0:3], 0 offset:216
	buffer_load_dword v152, off, s[0:3], 0 offset:208
	buffer_load_dword v154, off, s[0:3], 0 offset:200
	buffer_load_dword v130, off, s[0:3], 0 offset:192
	buffer_load_dword v155, off, s[0:3], 0 offset:204
	buffer_load_dword v153, off, s[0:3], 0 offset:212
	buffer_load_dword v145, off, s[0:3], 0 offset:220
	ds_read2_b64 v[122:125], v121 offset0:77 offset1:78
	s_waitcnt vmcnt(24) lgkmcnt(1)
	v_fma_f64 v[119:120], v[150:151], v[126:127], v[119:120]
	s_waitcnt vmcnt(19)
	v_fma_f64 v[119:120], v[132:133], v[128:129], v[119:120]
	ds_read2_b64 v[126:129], v121 offset0:79 offset1:80
	s_waitcnt vmcnt(18) lgkmcnt(1)
	v_fma_f64 v[119:120], v[138:139], v[122:123], v[119:120]
	s_waitcnt vmcnt(17)
	v_fma_f64 v[119:120], v[136:137], v[124:125], v[119:120]
	buffer_load_dword v133, off, s[0:3], 0 offset:228
	buffer_load_dword v136, off, s[0:3], 0 offset:248
	buffer_load_dword v138, off, s[0:3], 0 offset:240
	buffer_load_dword v150, off, s[0:3], 0 offset:232
	buffer_load_dword v132, off, s[0:3], 0 offset:224
	buffer_load_dword v151, off, s[0:3], 0 offset:236
	buffer_load_dword v139, off, s[0:3], 0 offset:244
	buffer_load_dword v137, off, s[0:3], 0 offset:252
	ds_read2_b64 v[122:125], v121 offset0:81 offset1:82
	s_waitcnt vmcnt(24) lgkmcnt(1)
	v_fma_f64 v[119:120], v[134:135], v[126:127], v[119:120]
	s_waitcnt vmcnt(19)
	v_fma_f64 v[119:120], v[140:141], v[128:129], v[119:120]
	ds_read2_b64 v[126:129], v121 offset0:83 offset1:84
	s_waitcnt vmcnt(18) lgkmcnt(1)
	v_fma_f64 v[119:120], v[148:149], v[122:123], v[119:120]
	s_waitcnt vmcnt(17)
	v_fma_f64 v[119:120], v[146:147], v[124:125], v[119:120]
	buffer_load_dword v135, off, s[0:3], 0 offset:260
	buffer_load_dword v140, off, s[0:3], 0 offset:280
	buffer_load_dword v146, off, s[0:3], 0 offset:272
	buffer_load_dword v148, off, s[0:3], 0 offset:264
	buffer_load_dword v134, off, s[0:3], 0 offset:256
	buffer_load_dword v149, off, s[0:3], 0 offset:268
	buffer_load_dword v147, off, s[0:3], 0 offset:276
	s_waitcnt vmcnt(23) lgkmcnt(0)
	v_fma_f64 v[119:120], v[142:143], v[126:127], v[119:120]
	s_waitcnt vmcnt(18)
	v_fma_f64 v[119:120], v[130:131], v[128:129], v[119:120]
	ds_read2_b64 v[122:125], v121 offset0:85 offset1:86
	ds_read2_b64 v[126:129], v121 offset0:87 offset1:88
	buffer_load_dword v141, off, s[0:3], 0 offset:284
	;; [unrolled: 54-line block ×3, first 2 shown]
	s_waitcnt vmcnt(18) lgkmcnt(1)
	v_fma_f64 v[119:120], v[154:155], v[122:123], v[119:120]
	s_waitcnt vmcnt(17)
	v_fma_f64 v[119:120], v[152:153], v[124:125], v[119:120]
	buffer_load_dword v131, off, s[0:3], 0 offset:388
	buffer_load_dword v140, off, s[0:3], 0 offset:408
	;; [unrolled: 1-line block ×8, first 2 shown]
	ds_read2_b64 v[122:125], v121 offset0:101 offset1:102
	s_waitcnt vmcnt(24) lgkmcnt(1)
	v_fma_f64 v[119:120], v[142:143], v[126:127], v[119:120]
	s_waitcnt vmcnt(19)
	v_fma_f64 v[119:120], v[132:133], v[128:129], v[119:120]
	ds_read2_b64 v[126:129], v121 offset0:103 offset1:104
	s_waitcnt vmcnt(18) lgkmcnt(1)
	v_fma_f64 v[119:120], v[150:151], v[122:123], v[119:120]
	s_waitcnt vmcnt(17)
	v_fma_f64 v[119:120], v[144:145], v[124:125], v[119:120]
	buffer_load_dword v133, off, s[0:3], 0 offset:420
	buffer_load_dword v142, off, s[0:3], 0 offset:440
	;; [unrolled: 1-line block ×8, first 2 shown]
	ds_read2_b64 v[122:125], v121 offset0:105 offset1:106
	s_waitcnt vmcnt(24) lgkmcnt(1)
	v_fma_f64 v[119:120], v[138:139], v[126:127], v[119:120]
	s_waitcnt vmcnt(19)
	v_fma_f64 v[119:120], v[134:135], v[128:129], v[119:120]
	ds_read2_b64 v[126:129], v121 offset0:107 offset1:108
	s_waitcnt vmcnt(18) lgkmcnt(1)
	v_fma_f64 v[119:120], v[148:149], v[122:123], v[119:120]
	s_waitcnt vmcnt(17)
	v_fma_f64 v[122:123], v[146:147], v[124:125], v[119:120]
	buffer_load_dword v135, off, s[0:3], 0 offset:452
	buffer_load_dword v138, off, s[0:3], 0 offset:464
	;; [unrolled: 1-line block ×6, first 2 shown]
	s_waitcnt vmcnt(22) lgkmcnt(0)
	v_fma_f64 v[122:123], v[136:137], v[126:127], v[122:123]
	s_waitcnt vmcnt(17)
	v_fma_f64 v[130:131], v[130:131], v[128:129], v[122:123]
	ds_read2_b64 v[122:125], v121 offset0:109 offset1:110
	buffer_load_dword v136, off, s[0:3], 0
	buffer_load_dword v137, off, s[0:3], 0 offset:4
	ds_read2_b64 v[126:129], v121 offset0:111 offset1:112
	s_waitcnt vmcnt(18) lgkmcnt(1)
	v_fma_f64 v[122:123], v[154:155], v[122:123], v[130:131]
	s_waitcnt vmcnt(17)
	v_fma_f64 v[122:123], v[152:153], v[124:125], v[122:123]
	s_waitcnt vmcnt(16) lgkmcnt(0)
	v_fma_f64 v[122:123], v[140:141], v[126:127], v[122:123]
	s_waitcnt vmcnt(11)
	v_fma_f64 v[130:131], v[132:133], v[128:129], v[122:123]
	ds_read2_b64 v[122:125], v121 offset0:113 offset1:114
	ds_read2_b64 v[126:129], v121 offset0:115 offset1:116
	s_waitcnt vmcnt(10) lgkmcnt(1)
	v_fma_f64 v[122:123], v[150:151], v[122:123], v[130:131]
	s_waitcnt vmcnt(9)
	v_fma_f64 v[122:123], v[144:145], v[124:125], v[122:123]
	s_waitcnt vmcnt(8) lgkmcnt(0)
	v_fma_f64 v[122:123], v[142:143], v[126:127], v[122:123]
	s_waitcnt vmcnt(4)
	v_fma_f64 v[125:126], v[134:135], v[128:129], v[122:123]
	ds_read2_b64 v[121:124], v121 offset0:117 offset1:118
	s_waitcnt vmcnt(3) lgkmcnt(0)
	v_fma_f64 v[121:122], v[119:120], v[121:122], v[125:126]
	s_waitcnt vmcnt(2)
	v_fma_f64 v[121:122], v[138:139], v[123:124], v[121:122]
	s_waitcnt vmcnt(0)
	v_add_f64 v[121:122], v[136:137], -v[121:122]
	buffer_store_dword v122, off, s[0:3], 0 offset:4
	buffer_store_dword v121, off, s[0:3], 0
	s_cbranch_vccz .LBB122_478
; %bb.362:
	v_mov_b32_e32 v0, 0
	global_load_dword v121, v0, s[12:13] offset:228
	s_waitcnt vmcnt(0)
	v_add_u32_e32 v121, -1, v121
	v_cmp_ne_u32_e32 vcc, 57, v121
	s_cbranch_vccz .LBB122_364
; %bb.363:
	v_lshlrev_b32_e32 v121, 3, v121
	buffer_load_dword v122, v121, s[0:3], 0 offen
	buffer_load_dword v123, v121, s[0:3], 0 offen offset:4
	s_waitcnt vmcnt(1)
	buffer_store_dword v122, off, s[0:3], 0 offset:456
	s_waitcnt vmcnt(1)
	buffer_store_dword v123, off, s[0:3], 0 offset:460
	buffer_store_dword v119, v121, s[0:3], 0 offen
	buffer_store_dword v120, v121, s[0:3], 0 offen offset:4
.LBB122_364:
	global_load_dword v0, v0, s[12:13] offset:224
	s_waitcnt vmcnt(0)
	v_add_u32_e32 v0, -1, v0
	v_cmp_eq_u32_e32 vcc, 56, v0
	s_cbranch_vccnz .LBB122_366
; %bb.365:
	v_lshlrev_b32_e32 v0, 3, v0
	buffer_load_dword v119, v0, s[0:3], 0 offen
	buffer_load_dword v120, v0, s[0:3], 0 offen offset:4
	buffer_load_dword v121, off, s[0:3], 0 offset:452
	buffer_load_dword v122, off, s[0:3], 0 offset:448
	s_waitcnt vmcnt(3)
	buffer_store_dword v119, off, s[0:3], 0 offset:448
	s_waitcnt vmcnt(3)
	buffer_store_dword v120, off, s[0:3], 0 offset:452
	s_waitcnt vmcnt(3)
	buffer_store_dword v121, v0, s[0:3], 0 offen offset:4
	s_waitcnt vmcnt(3)
	buffer_store_dword v122, v0, s[0:3], 0 offen
.LBB122_366:
	v_mov_b32_e32 v0, 0
	global_load_dword v119, v0, s[12:13] offset:220
	s_waitcnt vmcnt(0)
	v_add_u32_e32 v119, -1, v119
	v_cmp_eq_u32_e32 vcc, 55, v119
	s_cbranch_vccnz .LBB122_368
; %bb.367:
	v_lshlrev_b32_e32 v119, 3, v119
	buffer_load_dword v120, v119, s[0:3], 0 offen
	buffer_load_dword v121, v119, s[0:3], 0 offen offset:4
	buffer_load_dword v122, off, s[0:3], 0 offset:440
	buffer_load_dword v123, off, s[0:3], 0 offset:444
	s_waitcnt vmcnt(3)
	buffer_store_dword v120, off, s[0:3], 0 offset:440
	s_waitcnt vmcnt(3)
	buffer_store_dword v121, off, s[0:3], 0 offset:444
	s_waitcnt vmcnt(3)
	buffer_store_dword v122, v119, s[0:3], 0 offen
	s_waitcnt vmcnt(3)
	buffer_store_dword v123, v119, s[0:3], 0 offen offset:4
.LBB122_368:
	global_load_dword v0, v0, s[12:13] offset:216
	s_waitcnt vmcnt(0)
	v_add_u32_e32 v0, -1, v0
	v_cmp_eq_u32_e32 vcc, 54, v0
	s_cbranch_vccnz .LBB122_370
; %bb.369:
	v_lshlrev_b32_e32 v0, 3, v0
	buffer_load_dword v119, v0, s[0:3], 0 offen
	buffer_load_dword v120, v0, s[0:3], 0 offen offset:4
	buffer_load_dword v121, off, s[0:3], 0 offset:436
	buffer_load_dword v122, off, s[0:3], 0 offset:432
	s_waitcnt vmcnt(3)
	buffer_store_dword v119, off, s[0:3], 0 offset:432
	s_waitcnt vmcnt(3)
	buffer_store_dword v120, off, s[0:3], 0 offset:436
	s_waitcnt vmcnt(3)
	buffer_store_dword v121, v0, s[0:3], 0 offen offset:4
	s_waitcnt vmcnt(3)
	buffer_store_dword v122, v0, s[0:3], 0 offen
.LBB122_370:
	v_mov_b32_e32 v0, 0
	global_load_dword v119, v0, s[12:13] offset:212
	s_waitcnt vmcnt(0)
	v_add_u32_e32 v119, -1, v119
	v_cmp_eq_u32_e32 vcc, 53, v119
	s_cbranch_vccnz .LBB122_372
; %bb.371:
	v_lshlrev_b32_e32 v119, 3, v119
	buffer_load_dword v120, v119, s[0:3], 0 offen
	buffer_load_dword v121, v119, s[0:3], 0 offen offset:4
	buffer_load_dword v122, off, s[0:3], 0 offset:424
	buffer_load_dword v123, off, s[0:3], 0 offset:428
	s_waitcnt vmcnt(3)
	buffer_store_dword v120, off, s[0:3], 0 offset:424
	s_waitcnt vmcnt(3)
	buffer_store_dword v121, off, s[0:3], 0 offset:428
	s_waitcnt vmcnt(3)
	buffer_store_dword v122, v119, s[0:3], 0 offen
	s_waitcnt vmcnt(3)
	buffer_store_dword v123, v119, s[0:3], 0 offen offset:4
.LBB122_372:
	;; [unrolled: 41-line block ×28, first 2 shown]
	global_load_dword v0, v0, s[12:13]
	s_nop 0
	buffer_load_dword v121, off, s[0:3], 0
	buffer_load_dword v122, off, s[0:3], 0 offset:4
	s_waitcnt vmcnt(2)
	v_add_u32_e32 v0, -1, v0
	v_cmp_eq_u32_e32 vcc, 0, v0
	s_cbranch_vccnz .LBB122_478
; %bb.477:
	v_lshlrev_b32_e32 v0, 3, v0
	buffer_load_dword v119, v0, s[0:3], 0 offen offset:4
	buffer_load_dword v120, v0, s[0:3], 0 offen
	s_waitcnt vmcnt(1)
	buffer_store_dword v119, off, s[0:3], 0 offset:4
	s_waitcnt vmcnt(1)
	buffer_store_dword v120, off, s[0:3], 0
	buffer_store_dword v122, v0, s[0:3], 0 offen offset:4
	buffer_store_dword v121, v0, s[0:3], 0 offen
	buffer_load_dword v121, off, s[0:3], 0
	s_nop 0
	buffer_load_dword v122, off, s[0:3], 0 offset:4
.LBB122_478:
	s_waitcnt vmcnt(0)
	flat_store_dwordx2 v[1:2], v[121:122]
	buffer_load_dword v0, off, s[0:3], 0 offset:8
	s_nop 0
	buffer_load_dword v1, off, s[0:3], 0 offset:12
	s_waitcnt vmcnt(0)
	flat_store_dwordx2 v[3:4], v[0:1]
	buffer_load_dword v0, off, s[0:3], 0 offset:16
	s_nop 0
	buffer_load_dword v1, off, s[0:3], 0 offset:20
	;; [unrolled: 5-line block ×58, first 2 shown]
	s_waitcnt vmcnt(0)
	flat_store_dwordx2 v[117:118], v[0:1]
	s_endpgm
	.section	.rodata,"a",@progbits
	.p2align	6, 0x0
	.amdhsa_kernel _ZN9rocsolver6v33100L18getri_kernel_smallILi59EdPKPdEEvT1_iilPiilS6_bb
		.amdhsa_group_segment_fixed_size 952
		.amdhsa_private_segment_fixed_size 480
		.amdhsa_kernarg_size 60
		.amdhsa_user_sgpr_count 6
		.amdhsa_user_sgpr_private_segment_buffer 1
		.amdhsa_user_sgpr_dispatch_ptr 0
		.amdhsa_user_sgpr_queue_ptr 0
		.amdhsa_user_sgpr_kernarg_segment_ptr 1
		.amdhsa_user_sgpr_dispatch_id 0
		.amdhsa_user_sgpr_flat_scratch_init 0
		.amdhsa_user_sgpr_private_segment_size 0
		.amdhsa_uses_dynamic_stack 0
		.amdhsa_system_sgpr_private_segment_wavefront_offset 1
		.amdhsa_system_sgpr_workgroup_id_x 1
		.amdhsa_system_sgpr_workgroup_id_y 0
		.amdhsa_system_sgpr_workgroup_id_z 0
		.amdhsa_system_sgpr_workgroup_info 0
		.amdhsa_system_vgpr_workitem_id 0
		.amdhsa_next_free_vgpr 156
		.amdhsa_next_free_sgpr 21
		.amdhsa_reserve_vcc 1
		.amdhsa_reserve_flat_scratch 0
		.amdhsa_float_round_mode_32 0
		.amdhsa_float_round_mode_16_64 0
		.amdhsa_float_denorm_mode_32 3
		.amdhsa_float_denorm_mode_16_64 3
		.amdhsa_dx10_clamp 1
		.amdhsa_ieee_mode 1
		.amdhsa_fp16_overflow 0
		.amdhsa_exception_fp_ieee_invalid_op 0
		.amdhsa_exception_fp_denorm_src 0
		.amdhsa_exception_fp_ieee_div_zero 0
		.amdhsa_exception_fp_ieee_overflow 0
		.amdhsa_exception_fp_ieee_underflow 0
		.amdhsa_exception_fp_ieee_inexact 0
		.amdhsa_exception_int_div_zero 0
	.end_amdhsa_kernel
	.section	.text._ZN9rocsolver6v33100L18getri_kernel_smallILi59EdPKPdEEvT1_iilPiilS6_bb,"axG",@progbits,_ZN9rocsolver6v33100L18getri_kernel_smallILi59EdPKPdEEvT1_iilPiilS6_bb,comdat
.Lfunc_end122:
	.size	_ZN9rocsolver6v33100L18getri_kernel_smallILi59EdPKPdEEvT1_iilPiilS6_bb, .Lfunc_end122-_ZN9rocsolver6v33100L18getri_kernel_smallILi59EdPKPdEEvT1_iilPiilS6_bb
                                        ; -- End function
	.set _ZN9rocsolver6v33100L18getri_kernel_smallILi59EdPKPdEEvT1_iilPiilS6_bb.num_vgpr, 156
	.set _ZN9rocsolver6v33100L18getri_kernel_smallILi59EdPKPdEEvT1_iilPiilS6_bb.num_agpr, 0
	.set _ZN9rocsolver6v33100L18getri_kernel_smallILi59EdPKPdEEvT1_iilPiilS6_bb.numbered_sgpr, 21
	.set _ZN9rocsolver6v33100L18getri_kernel_smallILi59EdPKPdEEvT1_iilPiilS6_bb.num_named_barrier, 0
	.set _ZN9rocsolver6v33100L18getri_kernel_smallILi59EdPKPdEEvT1_iilPiilS6_bb.private_seg_size, 480
	.set _ZN9rocsolver6v33100L18getri_kernel_smallILi59EdPKPdEEvT1_iilPiilS6_bb.uses_vcc, 1
	.set _ZN9rocsolver6v33100L18getri_kernel_smallILi59EdPKPdEEvT1_iilPiilS6_bb.uses_flat_scratch, 0
	.set _ZN9rocsolver6v33100L18getri_kernel_smallILi59EdPKPdEEvT1_iilPiilS6_bb.has_dyn_sized_stack, 0
	.set _ZN9rocsolver6v33100L18getri_kernel_smallILi59EdPKPdEEvT1_iilPiilS6_bb.has_recursion, 0
	.set _ZN9rocsolver6v33100L18getri_kernel_smallILi59EdPKPdEEvT1_iilPiilS6_bb.has_indirect_call, 0
	.section	.AMDGPU.csdata,"",@progbits
; Kernel info:
; codeLenInByte = 84164
; TotalNumSgprs: 25
; NumVgprs: 156
; ScratchSize: 480
; MemoryBound: 1
; FloatMode: 240
; IeeeMode: 1
; LDSByteSize: 952 bytes/workgroup (compile time only)
; SGPRBlocks: 3
; VGPRBlocks: 38
; NumSGPRsForWavesPerEU: 25
; NumVGPRsForWavesPerEU: 156
; Occupancy: 1
; WaveLimiterHint : 1
; COMPUTE_PGM_RSRC2:SCRATCH_EN: 1
; COMPUTE_PGM_RSRC2:USER_SGPR: 6
; COMPUTE_PGM_RSRC2:TRAP_HANDLER: 0
; COMPUTE_PGM_RSRC2:TGID_X_EN: 1
; COMPUTE_PGM_RSRC2:TGID_Y_EN: 0
; COMPUTE_PGM_RSRC2:TGID_Z_EN: 0
; COMPUTE_PGM_RSRC2:TIDIG_COMP_CNT: 0
	.section	.text._ZN9rocsolver6v33100L18getri_kernel_smallILi60EdPKPdEEvT1_iilPiilS6_bb,"axG",@progbits,_ZN9rocsolver6v33100L18getri_kernel_smallILi60EdPKPdEEvT1_iilPiilS6_bb,comdat
	.globl	_ZN9rocsolver6v33100L18getri_kernel_smallILi60EdPKPdEEvT1_iilPiilS6_bb ; -- Begin function _ZN9rocsolver6v33100L18getri_kernel_smallILi60EdPKPdEEvT1_iilPiilS6_bb
	.p2align	8
	.type	_ZN9rocsolver6v33100L18getri_kernel_smallILi60EdPKPdEEvT1_iilPiilS6_bb,@function
_ZN9rocsolver6v33100L18getri_kernel_smallILi60EdPKPdEEvT1_iilPiilS6_bb: ; @_ZN9rocsolver6v33100L18getri_kernel_smallILi60EdPKPdEEvT1_iilPiilS6_bb
; %bb.0:
	s_add_u32 s0, s0, s7
	s_addc_u32 s1, s1, 0
	v_cmp_gt_u32_e32 vcc, 60, v0
	s_and_saveexec_b64 s[8:9], vcc
	s_cbranch_execz .LBB123_248
; %bb.1:
	s_load_dword s18, s[4:5], 0x38
	s_load_dwordx2 s[12:13], s[4:5], 0x0
	s_load_dwordx4 s[8:11], s[4:5], 0x28
	s_waitcnt lgkmcnt(0)
	s_bitcmp1_b32 s18, 8
	s_cselect_b64 s[14:15], -1, 0
	s_ashr_i32 s7, s6, 31
	s_lshl_b64 s[16:17], s[6:7], 3
	s_add_u32 s12, s12, s16
	s_addc_u32 s13, s13, s17
	s_load_dwordx2 s[16:17], s[12:13], 0x0
	s_bfe_u32 s12, s18, 0x10008
	s_cmp_eq_u32 s12, 0
                                        ; implicit-def: $sgpr12_sgpr13
	s_cbranch_scc1 .LBB123_3
; %bb.2:
	s_load_dword s12, s[4:5], 0x20
	s_load_dwordx2 s[18:19], s[4:5], 0x18
	s_mul_i32 s13, s8, s7
	s_mul_hi_u32 s20, s8, s6
	s_add_i32 s20, s20, s13
	s_mul_i32 s9, s9, s6
	s_add_i32 s9, s20, s9
	s_mul_i32 s8, s8, s6
	s_waitcnt lgkmcnt(0)
	s_ashr_i32 s13, s12, 31
	s_lshl_b64 s[8:9], s[8:9], 2
	s_add_u32 s18, s18, s8
	s_addc_u32 s19, s19, s9
	s_lshl_b64 s[8:9], s[12:13], 2
	s_add_u32 s12, s18, s8
	s_addc_u32 s13, s19, s9
.LBB123_3:
	s_load_dwordx2 s[8:9], s[4:5], 0x8
	s_load_dword s18, s[4:5], 0x38
	v_lshlrev_b32_e32 v123, 3, v0
	s_waitcnt lgkmcnt(0)
	s_ashr_i32 s5, s8, 31
	s_mov_b32 s4, s8
	s_lshl_b64 s[4:5], s[4:5], 3
	s_add_u32 s4, s16, s4
	s_addc_u32 s5, s17, s5
	v_mov_b32_e32 v2, s5
	v_add_co_u32_e32 v1, vcc, s4, v123
	v_addc_co_u32_e32 v2, vcc, 0, v2, vcc
	flat_load_dwordx2 v[5:6], v[1:2]
	s_mov_b32 s16, s9
	s_ashr_i32 s17, s9, 31
	s_lshl_b64 s[16:17], s[16:17], 3
	v_mov_b32_e32 v4, s17
	v_add_co_u32_e32 v3, vcc, s16, v1
	v_addc_co_u32_e32 v4, vcc, v2, v4, vcc
	s_add_i32 s8, s9, s9
	v_add_u32_e32 v9, s8, v0
	v_ashrrev_i32_e32 v10, 31, v9
	v_mov_b32_e32 v11, s5
	v_add_u32_e32 v12, s9, v9
	v_ashrrev_i32_e32 v13, 31, v12
	v_mov_b32_e32 v14, s5
	v_mov_b32_e32 v15, s5
	;; [unrolled: 1-line block ×56, first 2 shown]
	s_bitcmp0_b32 s18, 0
	s_waitcnt vmcnt(0) lgkmcnt(0)
	buffer_store_dword v6, off, s[0:3], 0 offset:4
	buffer_store_dword v5, off, s[0:3], 0
	flat_load_dwordx2 v[7:8], v[3:4]
	v_lshlrev_b64 v[5:6], 3, v[9:10]
	s_waitcnt vmcnt(0) lgkmcnt(0)
	buffer_store_dword v8, off, s[0:3], 0 offset:12
	buffer_store_dword v7, off, s[0:3], 0 offset:8
	v_add_co_u32_e32 v5, vcc, s4, v5
	v_addc_co_u32_e32 v6, vcc, v11, v6, vcc
	flat_load_dwordx2 v[10:11], v[5:6]
	v_lshlrev_b64 v[7:8], 3, v[12:13]
	s_waitcnt vmcnt(0) lgkmcnt(0)
	buffer_store_dword v11, off, s[0:3], 0 offset:20
	buffer_store_dword v10, off, s[0:3], 0 offset:16
	v_add_co_u32_e32 v7, vcc, s4, v7
	v_addc_co_u32_e32 v8, vcc, v14, v8, vcc
	flat_load_dwordx2 v[13:14], v[7:8]
	v_add_u32_e32 v11, s9, v12
	v_ashrrev_i32_e32 v12, 31, v11
	v_lshlrev_b64 v[9:10], 3, v[11:12]
	s_waitcnt vmcnt(0) lgkmcnt(0)
	buffer_store_dword v14, off, s[0:3], 0 offset:28
	buffer_store_dword v13, off, s[0:3], 0 offset:24
	v_add_co_u32_e32 v9, vcc, s4, v9
	v_addc_co_u32_e32 v10, vcc, v15, v10, vcc
	flat_load_dwordx2 v[13:14], v[9:10]
	v_add_u32_e32 v15, s9, v11
	v_ashrrev_i32_e32 v16, 31, v15
	v_lshlrev_b64 v[11:12], 3, v[15:16]
	v_add_u32_e32 v18, s9, v15
	v_add_co_u32_e32 v11, vcc, s4, v11
	v_addc_co_u32_e32 v12, vcc, v17, v12, vcc
	v_ashrrev_i32_e32 v19, 31, v18
	s_waitcnt vmcnt(0) lgkmcnt(0)
	buffer_store_dword v14, off, s[0:3], 0 offset:36
	buffer_store_dword v13, off, s[0:3], 0 offset:32
	flat_load_dwordx2 v[16:17], v[11:12]
	v_lshlrev_b64 v[13:14], 3, v[18:19]
	s_waitcnt vmcnt(0) lgkmcnt(0)
	buffer_store_dword v17, off, s[0:3], 0 offset:44
	buffer_store_dword v16, off, s[0:3], 0 offset:40
	v_add_co_u32_e32 v13, vcc, s4, v13
	v_addc_co_u32_e32 v14, vcc, v20, v14, vcc
	flat_load_dwordx2 v[19:20], v[13:14]
	v_add_u32_e32 v17, s9, v18
	v_ashrrev_i32_e32 v18, 31, v17
	v_lshlrev_b64 v[15:16], 3, v[17:18]
	s_waitcnt vmcnt(0) lgkmcnt(0)
	buffer_store_dword v20, off, s[0:3], 0 offset:52
	buffer_store_dword v19, off, s[0:3], 0 offset:48
	v_add_co_u32_e32 v15, vcc, s4, v15
	v_addc_co_u32_e32 v16, vcc, v21, v16, vcc
	flat_load_dwordx2 v[19:20], v[15:16]
	v_add_u32_e32 v21, s9, v17
	v_ashrrev_i32_e32 v22, 31, v21
	v_lshlrev_b64 v[17:18], 3, v[21:22]
	v_add_u32_e32 v24, s9, v21
	v_add_co_u32_e32 v17, vcc, s4, v17
	v_addc_co_u32_e32 v18, vcc, v23, v18, vcc
	v_ashrrev_i32_e32 v25, 31, v24
	s_waitcnt vmcnt(0) lgkmcnt(0)
	buffer_store_dword v20, off, s[0:3], 0 offset:60
	buffer_store_dword v19, off, s[0:3], 0 offset:56
	;; [unrolled: 27-line block ×7, first 2 shown]
	flat_load_dwordx2 v[52:53], v[47:48]
	v_lshlrev_b64 v[49:50], 3, v[54:55]
	s_waitcnt vmcnt(0) lgkmcnt(0)
	buffer_store_dword v53, off, s[0:3], 0 offset:188
	buffer_store_dword v52, off, s[0:3], 0 offset:184
	v_add_co_u32_e32 v49, vcc, s4, v49
	v_addc_co_u32_e32 v50, vcc, v56, v50, vcc
	flat_load_dwordx2 v[55:56], v[49:50]
	v_add_u32_e32 v53, s9, v54
	v_ashrrev_i32_e32 v54, 31, v53
	v_lshlrev_b64 v[51:52], 3, v[53:54]
	s_waitcnt vmcnt(0) lgkmcnt(0)
	buffer_store_dword v56, off, s[0:3], 0 offset:196
	buffer_store_dword v55, off, s[0:3], 0 offset:192
	v_add_co_u32_e32 v51, vcc, s4, v51
	v_addc_co_u32_e32 v52, vcc, v57, v52, vcc
	flat_load_dwordx2 v[55:56], v[51:52]
	v_add_u32_e32 v57, s9, v53
	v_ashrrev_i32_e32 v58, 31, v57
	v_lshlrev_b64 v[53:54], 3, v[57:58]
	v_add_u32_e32 v60, s9, v57
	v_add_co_u32_e32 v53, vcc, s4, v53
	v_addc_co_u32_e32 v54, vcc, v59, v54, vcc
	s_waitcnt vmcnt(0) lgkmcnt(0)
	buffer_store_dword v56, off, s[0:3], 0 offset:204
	buffer_store_dword v55, off, s[0:3], 0 offset:200
	flat_load_dwordx2 v[58:59], v[53:54]
	v_ashrrev_i32_e32 v61, 31, v60
	v_lshlrev_b64 v[55:56], 3, v[60:61]
	s_waitcnt vmcnt(0) lgkmcnt(0)
	buffer_store_dword v59, off, s[0:3], 0 offset:212
	buffer_store_dword v58, off, s[0:3], 0 offset:208
	v_add_co_u32_e32 v55, vcc, s4, v55
	v_addc_co_u32_e32 v56, vcc, v62, v56, vcc
	flat_load_dwordx2 v[61:62], v[55:56]
	v_add_u32_e32 v59, s9, v60
	v_ashrrev_i32_e32 v60, 31, v59
	v_lshlrev_b64 v[57:58], 3, v[59:60]
	s_waitcnt vmcnt(0) lgkmcnt(0)
	buffer_store_dword v62, off, s[0:3], 0 offset:220
	buffer_store_dword v61, off, s[0:3], 0 offset:216
	v_add_co_u32_e32 v57, vcc, s4, v57
	v_addc_co_u32_e32 v58, vcc, v63, v58, vcc
	flat_load_dwordx2 v[61:62], v[57:58]
	v_add_u32_e32 v63, s9, v59
	;; [unrolled: 9-line block ×32, first 2 shown]
	v_ashrrev_i32_e32 v120, 31, v119
	v_lshlrev_b64 v[119:120], 3, v[119:120]
	s_waitcnt vmcnt(0) lgkmcnt(0)
	buffer_store_dword v122, off, s[0:3], 0 offset:468
	buffer_store_dword v121, off, s[0:3], 0 offset:464
	v_add_co_u32_e32 v119, vcc, s4, v119
	v_addc_co_u32_e32 v120, vcc, v124, v120, vcc
	flat_load_dwordx2 v[121:122], v[119:120]
	s_mov_b64 s[8:9], -1
	s_waitcnt vmcnt(0) lgkmcnt(0)
	buffer_store_dword v122, off, s[0:3], 0 offset:476
	buffer_store_dword v121, off, s[0:3], 0 offset:472
	s_cbranch_scc1 .LBB123_246
; %bb.4:
	v_cmp_eq_u32_e64 s[4:5], 0, v0
	s_and_saveexec_b64 s[8:9], s[4:5]
; %bb.5:
	v_mov_b32_e32 v121, 0
	ds_write_b32 v121, v121 offset:960
; %bb.6:
	s_or_b64 exec, exec, s[8:9]
	v_mov_b32_e32 v121, 0
	v_lshl_add_u32 v121, v0, 3, v121
	s_waitcnt lgkmcnt(0)
	; wave barrier
	buffer_load_dword v124, v121, s[0:3], 0 offen
	buffer_load_dword v125, v121, s[0:3], 0 offen offset:4
	s_waitcnt vmcnt(0)
	v_cmp_eq_f64_e32 vcc, 0, v[124:125]
	s_and_saveexec_b64 s[16:17], vcc
	s_cbranch_execz .LBB123_10
; %bb.7:
	v_mov_b32_e32 v122, 0
	ds_read_b32 v125, v122 offset:960
	v_add_u32_e32 v124, 1, v0
	s_waitcnt lgkmcnt(0)
	v_readfirstlane_b32 s8, v125
	s_cmp_eq_u32 s8, 0
	s_cselect_b64 s[18:19], -1, 0
	v_cmp_gt_i32_e32 vcc, s8, v124
	s_or_b64 s[18:19], s[18:19], vcc
	s_and_b64 exec, exec, s[18:19]
	s_cbranch_execz .LBB123_10
; %bb.8:
	s_mov_b64 s[18:19], 0
	v_mov_b32_e32 v125, s8
.LBB123_9:                              ; =>This Inner Loop Header: Depth=1
	ds_cmpst_rtn_b32 v125, v122, v125, v124 offset:960
	s_waitcnt lgkmcnt(0)
	v_cmp_ne_u32_e32 vcc, 0, v125
	v_cmp_le_i32_e64 s[8:9], v125, v124
	s_and_b64 s[8:9], vcc, s[8:9]
	s_and_b64 s[8:9], exec, s[8:9]
	s_or_b64 s[18:19], s[8:9], s[18:19]
	s_andn2_b64 exec, exec, s[18:19]
	s_cbranch_execnz .LBB123_9
.LBB123_10:
	s_or_b64 exec, exec, s[16:17]
	v_mov_b32_e32 v124, 0
	; wave barrier
	ds_read_b32 v122, v124 offset:960
	s_and_saveexec_b64 s[8:9], s[4:5]
	s_cbranch_execz .LBB123_12
; %bb.11:
	s_lshl_b64 s[16:17], s[6:7], 2
	s_add_u32 s16, s10, s16
	s_addc_u32 s17, s11, s17
	s_waitcnt lgkmcnt(0)
	global_store_dword v124, v122, s[16:17]
.LBB123_12:
	s_or_b64 exec, exec, s[8:9]
	s_waitcnt lgkmcnt(0)
	v_cmp_ne_u32_e32 vcc, 0, v122
	s_mov_b64 s[8:9], 0
	s_cbranch_vccnz .LBB123_246
; %bb.13:
	buffer_load_dword v124, v121, s[0:3], 0 offen
	buffer_load_dword v125, v121, s[0:3], 0 offen offset:4
	s_waitcnt vmcnt(0)
	v_div_scale_f64 v[126:127], s[8:9], v[124:125], v[124:125], 1.0
	v_rcp_f64_e32 v[128:129], v[126:127]
	v_fma_f64 v[130:131], -v[126:127], v[128:129], 1.0
	v_fma_f64 v[128:129], v[128:129], v[130:131], v[128:129]
	v_div_scale_f64 v[130:131], vcc, 1.0, v[124:125], 1.0
	v_fma_f64 v[132:133], -v[126:127], v[128:129], 1.0
	v_fma_f64 v[128:129], v[128:129], v[132:133], v[128:129]
	v_mul_f64 v[132:133], v[130:131], v[128:129]
	v_fma_f64 v[126:127], -v[126:127], v[132:133], v[130:131]
	v_div_fmas_f64 v[126:127], v[126:127], v[128:129], v[132:133]
	v_div_fixup_f64 v[125:126], v[126:127], v[124:125], 1.0
	v_add_u32_e32 v124, 0x1e0, v123
	buffer_store_dword v126, v121, s[0:3], 0 offen offset:4
	buffer_store_dword v125, v121, s[0:3], 0 offen
	buffer_load_dword v128, off, s[0:3], 0 offset:12
	buffer_load_dword v127, off, s[0:3], 0 offset:8
	v_xor_b32_e32 v126, 0x80000000, v126
	s_waitcnt vmcnt(0)
	ds_write2_b64 v123, v[125:126], v[127:128] offset1:60
	s_waitcnt lgkmcnt(0)
	; wave barrier
	s_and_saveexec_b64 s[8:9], s[4:5]
	s_cbranch_execz .LBB123_15
; %bb.14:
	buffer_load_dword v125, v121, s[0:3], 0 offen
	buffer_load_dword v126, v121, s[0:3], 0 offen offset:4
	ds_read_b64 v[127:128], v124
	v_mov_b32_e32 v122, 0
	ds_read_b64 v[129:130], v122 offset:8
	s_waitcnt vmcnt(0) lgkmcnt(1)
	v_fma_f64 v[125:126], v[125:126], v[127:128], 0
	s_waitcnt lgkmcnt(0)
	v_mul_f64 v[125:126], v[125:126], v[129:130]
	buffer_store_dword v125, off, s[0:3], 0 offset:8
	buffer_store_dword v126, off, s[0:3], 0 offset:12
.LBB123_15:
	s_or_b64 exec, exec, s[8:9]
	; wave barrier
	buffer_load_dword v125, off, s[0:3], 0 offset:16
	buffer_load_dword v126, off, s[0:3], 0 offset:20
	v_cmp_gt_u32_e32 vcc, 2, v0
	s_waitcnt vmcnt(0)
	ds_write_b64 v124, v[125:126]
	s_waitcnt lgkmcnt(0)
	; wave barrier
	s_and_saveexec_b64 s[8:9], vcc
	s_cbranch_execz .LBB123_17
; %bb.16:
	buffer_load_dword v125, v121, s[0:3], 0 offen
	buffer_load_dword v126, v121, s[0:3], 0 offen offset:4
                                        ; kill: killed $vgpr121
	s_nop 0
	buffer_load_dword v121, off, s[0:3], 0 offset:8
	buffer_load_dword v122, off, s[0:3], 0 offset:12
	ds_read_b64 v[127:128], v124
	s_waitcnt vmcnt(2) lgkmcnt(0)
	v_fma_f64 v[129:130], v[125:126], v[127:128], 0
	v_mov_b32_e32 v125, 0
	ds_read2_b64 v[125:128], v125 offset0:2 offset1:61
	s_waitcnt vmcnt(0) lgkmcnt(0)
	v_fma_f64 v[121:122], v[121:122], v[127:128], v[129:130]
	v_cndmask_b32_e64 v122, v130, v122, s[4:5]
	v_cndmask_b32_e64 v121, v129, v121, s[4:5]
	v_mul_f64 v[121:122], v[121:122], v[125:126]
	buffer_store_dword v122, off, s[0:3], 0 offset:20
	buffer_store_dword v121, off, s[0:3], 0 offset:16
.LBB123_17:
	s_or_b64 exec, exec, s[8:9]
	; wave barrier
	buffer_load_dword v121, off, s[0:3], 0 offset:24
	buffer_load_dword v122, off, s[0:3], 0 offset:28
	v_cmp_gt_u32_e32 vcc, 3, v0
	v_add_u32_e32 v125, -1, v0
	s_waitcnt vmcnt(0)
	ds_write_b64 v124, v[121:122]
	s_waitcnt lgkmcnt(0)
	; wave barrier
	s_and_saveexec_b64 s[4:5], vcc
	s_cbranch_execz .LBB123_21
; %bb.18:
	v_mov_b32_e32 v121, 0
	v_add_u32_e32 v126, -1, v0
	v_add_u32_e32 v127, 0x1e0, v123
	v_mov_b32_e32 v128, v123
	v_mov_b32_e32 v122, 0
	s_mov_b64 s[8:9], 0
.LBB123_19:                             ; =>This Inner Loop Header: Depth=1
	buffer_load_dword v129, v128, s[0:3], 0 offen
	buffer_load_dword v130, v128, s[0:3], 0 offen offset:4
	ds_read_b64 v[131:132], v127
	v_add_u32_e32 v126, 1, v126
	v_cmp_lt_u32_e32 vcc, 1, v126
	v_add_u32_e32 v127, 8, v127
	s_or_b64 s[8:9], vcc, s[8:9]
	v_add_u32_e32 v128, 8, v128
	s_waitcnt vmcnt(0) lgkmcnt(0)
	v_fma_f64 v[121:122], v[129:130], v[131:132], v[121:122]
	s_andn2_b64 exec, exec, s[8:9]
	s_cbranch_execnz .LBB123_19
; %bb.20:
	s_or_b64 exec, exec, s[8:9]
	v_mov_b32_e32 v126, 0
	ds_read_b64 v[126:127], v126 offset:24
	s_waitcnt lgkmcnt(0)
	v_mul_f64 v[121:122], v[121:122], v[126:127]
	buffer_store_dword v122, off, s[0:3], 0 offset:28
	buffer_store_dword v121, off, s[0:3], 0 offset:24
.LBB123_21:
	s_or_b64 exec, exec, s[4:5]
	; wave barrier
	buffer_load_dword v121, off, s[0:3], 0 offset:32
	buffer_load_dword v122, off, s[0:3], 0 offset:36
	v_cmp_gt_u32_e32 vcc, 4, v0
	s_waitcnt vmcnt(0)
	ds_write_b64 v124, v[121:122]
	s_waitcnt lgkmcnt(0)
	; wave barrier
	s_and_saveexec_b64 s[4:5], vcc
	s_cbranch_execz .LBB123_25
; %bb.22:
	v_mov_b32_e32 v121, 0
	v_add_u32_e32 v126, -1, v0
	v_add_u32_e32 v127, 0x1e0, v123
	v_mov_b32_e32 v128, v123
	v_mov_b32_e32 v122, 0
	s_mov_b64 s[8:9], 0
.LBB123_23:                             ; =>This Inner Loop Header: Depth=1
	buffer_load_dword v129, v128, s[0:3], 0 offen
	buffer_load_dword v130, v128, s[0:3], 0 offen offset:4
	ds_read_b64 v[131:132], v127
	v_add_u32_e32 v126, 1, v126
	v_cmp_lt_u32_e32 vcc, 2, v126
	v_add_u32_e32 v127, 8, v127
	s_or_b64 s[8:9], vcc, s[8:9]
	v_add_u32_e32 v128, 8, v128
	s_waitcnt vmcnt(0) lgkmcnt(0)
	v_fma_f64 v[121:122], v[129:130], v[131:132], v[121:122]
	s_andn2_b64 exec, exec, s[8:9]
	s_cbranch_execnz .LBB123_23
; %bb.24:
	s_or_b64 exec, exec, s[8:9]
	v_mov_b32_e32 v126, 0
	ds_read_b64 v[126:127], v126 offset:32
	s_waitcnt lgkmcnt(0)
	v_mul_f64 v[121:122], v[121:122], v[126:127]
	buffer_store_dword v122, off, s[0:3], 0 offset:36
	buffer_store_dword v121, off, s[0:3], 0 offset:32
.LBB123_25:
	s_or_b64 exec, exec, s[4:5]
	; wave barrier
	buffer_load_dword v121, off, s[0:3], 0 offset:40
	buffer_load_dword v122, off, s[0:3], 0 offset:44
	v_cmp_gt_u32_e32 vcc, 5, v0
	;; [unrolled: 40-line block ×21, first 2 shown]
	s_waitcnt vmcnt(0)
	ds_write_b64 v124, v[121:122]
	s_waitcnt lgkmcnt(0)
	; wave barrier
	s_and_saveexec_b64 s[4:5], vcc
	s_cbranch_execz .LBB123_105
; %bb.102:
	v_mov_b32_e32 v121, 0
	v_add_u32_e32 v126, -1, v0
	v_add_u32_e32 v127, 0x1e0, v123
	v_mov_b32_e32 v128, v123
	v_mov_b32_e32 v122, 0
	s_mov_b64 s[8:9], 0
.LBB123_103:                            ; =>This Inner Loop Header: Depth=1
	buffer_load_dword v129, v128, s[0:3], 0 offen
	buffer_load_dword v130, v128, s[0:3], 0 offen offset:4
	ds_read_b64 v[131:132], v127
	v_add_u32_e32 v126, 1, v126
	v_cmp_lt_u32_e32 vcc, 22, v126
	v_add_u32_e32 v127, 8, v127
	s_or_b64 s[8:9], vcc, s[8:9]
	v_add_u32_e32 v128, 8, v128
	s_waitcnt vmcnt(0) lgkmcnt(0)
	v_fma_f64 v[121:122], v[129:130], v[131:132], v[121:122]
	s_andn2_b64 exec, exec, s[8:9]
	s_cbranch_execnz .LBB123_103
; %bb.104:
	s_or_b64 exec, exec, s[8:9]
	v_mov_b32_e32 v126, 0
	ds_read_b64 v[126:127], v126 offset:192
	s_waitcnt lgkmcnt(0)
	v_mul_f64 v[121:122], v[121:122], v[126:127]
	buffer_store_dword v122, off, s[0:3], 0 offset:196
	buffer_store_dword v121, off, s[0:3], 0 offset:192
.LBB123_105:
	s_or_b64 exec, exec, s[4:5]
	; wave barrier
	buffer_load_dword v121, off, s[0:3], 0 offset:200
	buffer_load_dword v122, off, s[0:3], 0 offset:204
	v_cmp_gt_u32_e32 vcc, 25, v0
	s_waitcnt vmcnt(0)
	ds_write_b64 v124, v[121:122]
	s_waitcnt lgkmcnt(0)
	; wave barrier
	s_and_saveexec_b64 s[4:5], vcc
	s_cbranch_execz .LBB123_109
; %bb.106:
	v_mov_b32_e32 v121, 0
	v_add_u32_e32 v126, -1, v0
	v_add_u32_e32 v127, 0x1e0, v123
	v_mov_b32_e32 v128, v123
	v_mov_b32_e32 v122, 0
	s_mov_b64 s[8:9], 0
.LBB123_107:                            ; =>This Inner Loop Header: Depth=1
	buffer_load_dword v129, v128, s[0:3], 0 offen
	buffer_load_dword v130, v128, s[0:3], 0 offen offset:4
	ds_read_b64 v[131:132], v127
	v_add_u32_e32 v126, 1, v126
	v_cmp_lt_u32_e32 vcc, 23, v126
	v_add_u32_e32 v127, 8, v127
	s_or_b64 s[8:9], vcc, s[8:9]
	v_add_u32_e32 v128, 8, v128
	s_waitcnt vmcnt(0) lgkmcnt(0)
	v_fma_f64 v[121:122], v[129:130], v[131:132], v[121:122]
	s_andn2_b64 exec, exec, s[8:9]
	s_cbranch_execnz .LBB123_107
; %bb.108:
	s_or_b64 exec, exec, s[8:9]
	v_mov_b32_e32 v126, 0
	ds_read_b64 v[126:127], v126 offset:200
	s_waitcnt lgkmcnt(0)
	v_mul_f64 v[121:122], v[121:122], v[126:127]
	buffer_store_dword v122, off, s[0:3], 0 offset:204
	buffer_store_dword v121, off, s[0:3], 0 offset:200
.LBB123_109:
	s_or_b64 exec, exec, s[4:5]
	; wave barrier
	buffer_load_dword v121, off, s[0:3], 0 offset:208
	buffer_load_dword v122, off, s[0:3], 0 offset:212
	v_cmp_gt_u32_e32 vcc, 26, v0
	;; [unrolled: 40-line block ×34, first 2 shown]
	s_waitcnt vmcnt(0)
	ds_write_b64 v124, v[121:122]
	s_waitcnt lgkmcnt(0)
	; wave barrier
	s_and_saveexec_b64 s[4:5], vcc
	s_cbranch_execz .LBB123_241
; %bb.238:
	v_mov_b32_e32 v121, 0
	v_add_u32_e32 v126, -1, v0
	v_add_u32_e32 v127, 0x1e0, v123
	v_mov_b32_e32 v128, v123
	v_mov_b32_e32 v122, 0
	s_mov_b64 s[8:9], 0
.LBB123_239:                            ; =>This Inner Loop Header: Depth=1
	buffer_load_dword v129, v128, s[0:3], 0 offen
	buffer_load_dword v130, v128, s[0:3], 0 offen offset:4
	ds_read_b64 v[131:132], v127
	v_add_u32_e32 v126, 1, v126
	v_cmp_lt_u32_e32 vcc, 56, v126
	v_add_u32_e32 v127, 8, v127
	s_or_b64 s[8:9], vcc, s[8:9]
	v_add_u32_e32 v128, 8, v128
	s_waitcnt vmcnt(0) lgkmcnt(0)
	v_fma_f64 v[121:122], v[129:130], v[131:132], v[121:122]
	s_andn2_b64 exec, exec, s[8:9]
	s_cbranch_execnz .LBB123_239
; %bb.240:
	s_or_b64 exec, exec, s[8:9]
	v_mov_b32_e32 v126, 0
	ds_read_b64 v[126:127], v126 offset:464
	s_waitcnt lgkmcnt(0)
	v_mul_f64 v[121:122], v[121:122], v[126:127]
	buffer_store_dword v122, off, s[0:3], 0 offset:468
	buffer_store_dword v121, off, s[0:3], 0 offset:464
.LBB123_241:
	s_or_b64 exec, exec, s[4:5]
	; wave barrier
	buffer_load_dword v121, off, s[0:3], 0 offset:472
	buffer_load_dword v122, off, s[0:3], 0 offset:476
	v_cmp_ne_u32_e32 vcc, 59, v0
	s_waitcnt vmcnt(0)
	ds_write_b64 v124, v[121:122]
	s_waitcnt lgkmcnt(0)
	; wave barrier
	s_and_saveexec_b64 s[4:5], vcc
	s_cbranch_execz .LBB123_245
; %bb.242:
	v_mov_b32_e32 v121, 0
	v_add_u32_e32 v124, 0x1e0, v123
	v_mov_b32_e32 v122, 0
	s_mov_b64 s[8:9], 0
.LBB123_243:                            ; =>This Inner Loop Header: Depth=1
	buffer_load_dword v126, v123, s[0:3], 0 offen
	buffer_load_dword v127, v123, s[0:3], 0 offen offset:4
	ds_read_b64 v[128:129], v124
	v_add_u32_e32 v125, 1, v125
	v_cmp_lt_u32_e32 vcc, 57, v125
	v_add_u32_e32 v124, 8, v124
	s_or_b64 s[8:9], vcc, s[8:9]
	v_add_u32_e32 v123, 8, v123
	s_waitcnt vmcnt(0) lgkmcnt(0)
	v_fma_f64 v[121:122], v[126:127], v[128:129], v[121:122]
	s_andn2_b64 exec, exec, s[8:9]
	s_cbranch_execnz .LBB123_243
; %bb.244:
	s_or_b64 exec, exec, s[8:9]
	v_mov_b32_e32 v123, 0
	ds_read_b64 v[123:124], v123 offset:472
	s_waitcnt lgkmcnt(0)
	v_mul_f64 v[121:122], v[121:122], v[123:124]
	buffer_store_dword v122, off, s[0:3], 0 offset:476
	buffer_store_dword v121, off, s[0:3], 0 offset:472
.LBB123_245:
	s_or_b64 exec, exec, s[4:5]
	s_mov_b64 s[8:9], -1
	; wave barrier
.LBB123_246:
	s_and_b64 vcc, exec, s[8:9]
	s_cbranch_vccz .LBB123_248
; %bb.247:
	s_lshl_b64 s[4:5], s[6:7], 2
	s_add_u32 s4, s10, s4
	s_addc_u32 s5, s11, s5
	v_mov_b32_e32 v121, 0
	global_load_dword v121, v121, s[4:5]
	s_waitcnt vmcnt(0)
	v_cmp_ne_u32_e32 vcc, 0, v121
	s_cbranch_vccz .LBB123_249
.LBB123_248:
	s_endpgm
.LBB123_249:
	v_mov_b32_e32 v121, 0x1e0
	v_lshl_add_u32 v121, v0, 3, v121
	v_cmp_eq_u32_e32 vcc, 59, v0
	s_and_saveexec_b64 s[4:5], vcc
	s_cbranch_execz .LBB123_251
; %bb.250:
	buffer_load_dword v122, off, s[0:3], 0 offset:464
	buffer_load_dword v123, off, s[0:3], 0 offset:468
	v_mov_b32_e32 v124, 0
	buffer_store_dword v124, off, s[0:3], 0 offset:464
	buffer_store_dword v124, off, s[0:3], 0 offset:468
	s_waitcnt vmcnt(2)
	ds_write_b64 v121, v[122:123]
.LBB123_251:
	s_or_b64 exec, exec, s[4:5]
	s_waitcnt lgkmcnt(0)
	; wave barrier
	buffer_load_dword v123, off, s[0:3], 0 offset:472
	buffer_load_dword v124, off, s[0:3], 0 offset:476
	;; [unrolled: 1-line block ×4, first 2 shown]
	v_mov_b32_e32 v122, 0
	ds_read_b64 v[127:128], v122 offset:952
	v_cmp_lt_u32_e32 vcc, 57, v0
	s_waitcnt vmcnt(2) lgkmcnt(0)
	v_fma_f64 v[123:124], v[123:124], v[127:128], 0
	s_waitcnt vmcnt(0)
	v_add_f64 v[123:124], v[125:126], -v[123:124]
	buffer_store_dword v123, off, s[0:3], 0 offset:464
	buffer_store_dword v124, off, s[0:3], 0 offset:468
	s_and_saveexec_b64 s[4:5], vcc
	s_cbranch_execz .LBB123_253
; %bb.252:
	buffer_load_dword v123, off, s[0:3], 0 offset:456
	buffer_load_dword v124, off, s[0:3], 0 offset:460
	s_waitcnt vmcnt(0)
	ds_write_b64 v121, v[123:124]
	buffer_store_dword v122, off, s[0:3], 0 offset:456
	buffer_store_dword v122, off, s[0:3], 0 offset:460
.LBB123_253:
	s_or_b64 exec, exec, s[4:5]
	s_waitcnt lgkmcnt(0)
	; wave barrier
	buffer_load_dword v126, off, s[0:3], 0 offset:464
	buffer_load_dword v127, off, s[0:3], 0 offset:468
	;; [unrolled: 1-line block ×6, first 2 shown]
	ds_read_b128 v[122:125], v122 offset:944
	v_cmp_lt_u32_e32 vcc, 56, v0
	s_waitcnt vmcnt(4) lgkmcnt(0)
	v_fma_f64 v[122:123], v[126:127], v[122:123], 0
	s_waitcnt vmcnt(2)
	v_fma_f64 v[122:123], v[128:129], v[124:125], v[122:123]
	s_waitcnt vmcnt(0)
	v_add_f64 v[122:123], v[130:131], -v[122:123]
	buffer_store_dword v122, off, s[0:3], 0 offset:456
	buffer_store_dword v123, off, s[0:3], 0 offset:460
	s_and_saveexec_b64 s[4:5], vcc
	s_cbranch_execz .LBB123_255
; %bb.254:
	buffer_load_dword v122, off, s[0:3], 0 offset:448
	buffer_load_dword v123, off, s[0:3], 0 offset:452
	v_mov_b32_e32 v124, 0
	buffer_store_dword v124, off, s[0:3], 0 offset:448
	buffer_store_dword v124, off, s[0:3], 0 offset:452
	s_waitcnt vmcnt(2)
	ds_write_b64 v121, v[122:123]
.LBB123_255:
	s_or_b64 exec, exec, s[4:5]
	s_waitcnt lgkmcnt(0)
	; wave barrier
	buffer_load_dword v127, off, s[0:3], 0 offset:456
	buffer_load_dword v128, off, s[0:3], 0 offset:460
	;; [unrolled: 1-line block ×8, first 2 shown]
	v_mov_b32_e32 v122, 0
	ds_read2_b64 v[123:126], v122 offset0:117 offset1:118
	ds_read_b64 v[135:136], v122 offset:952
	v_cmp_lt_u32_e32 vcc, 55, v0
	s_waitcnt vmcnt(6) lgkmcnt(1)
	v_fma_f64 v[123:124], v[127:128], v[123:124], 0
	s_waitcnt vmcnt(4)
	v_fma_f64 v[123:124], v[129:130], v[125:126], v[123:124]
	s_waitcnt vmcnt(2) lgkmcnt(0)
	v_fma_f64 v[123:124], v[131:132], v[135:136], v[123:124]
	s_waitcnt vmcnt(0)
	v_add_f64 v[123:124], v[133:134], -v[123:124]
	buffer_store_dword v123, off, s[0:3], 0 offset:448
	buffer_store_dword v124, off, s[0:3], 0 offset:452
	s_and_saveexec_b64 s[4:5], vcc
	s_cbranch_execz .LBB123_257
; %bb.256:
	buffer_load_dword v123, off, s[0:3], 0 offset:440
	buffer_load_dword v124, off, s[0:3], 0 offset:444
	s_waitcnt vmcnt(0)
	ds_write_b64 v121, v[123:124]
	buffer_store_dword v122, off, s[0:3], 0 offset:440
	buffer_store_dword v122, off, s[0:3], 0 offset:444
.LBB123_257:
	s_or_b64 exec, exec, s[4:5]
	s_waitcnt lgkmcnt(0)
	; wave barrier
	buffer_load_dword v131, off, s[0:3], 0 offset:448
	buffer_load_dword v132, off, s[0:3], 0 offset:452
	;; [unrolled: 1-line block ×10, first 2 shown]
	ds_read_b128 v[123:126], v122 offset:928
	ds_read_b128 v[127:130], v122 offset:944
	v_cmp_lt_u32_e32 vcc, 54, v0
	s_waitcnt vmcnt(8) lgkmcnt(1)
	v_fma_f64 v[122:123], v[131:132], v[123:124], 0
	s_waitcnt vmcnt(6)
	v_fma_f64 v[122:123], v[133:134], v[125:126], v[122:123]
	s_waitcnt vmcnt(4) lgkmcnt(0)
	v_fma_f64 v[122:123], v[135:136], v[127:128], v[122:123]
	s_waitcnt vmcnt(2)
	v_fma_f64 v[122:123], v[137:138], v[129:130], v[122:123]
	s_waitcnt vmcnt(0)
	v_add_f64 v[122:123], v[139:140], -v[122:123]
	buffer_store_dword v122, off, s[0:3], 0 offset:440
	buffer_store_dword v123, off, s[0:3], 0 offset:444
	s_and_saveexec_b64 s[4:5], vcc
	s_cbranch_execz .LBB123_259
; %bb.258:
	buffer_load_dword v122, off, s[0:3], 0 offset:432
	buffer_load_dword v123, off, s[0:3], 0 offset:436
	v_mov_b32_e32 v124, 0
	buffer_store_dword v124, off, s[0:3], 0 offset:432
	buffer_store_dword v124, off, s[0:3], 0 offset:436
	s_waitcnt vmcnt(2)
	ds_write_b64 v121, v[122:123]
.LBB123_259:
	s_or_b64 exec, exec, s[4:5]
	s_waitcnt lgkmcnt(0)
	; wave barrier
	buffer_load_dword v131, off, s[0:3], 0 offset:440
	buffer_load_dword v132, off, s[0:3], 0 offset:444
	;; [unrolled: 1-line block ×12, first 2 shown]
	v_mov_b32_e32 v122, 0
	ds_read2_b64 v[123:126], v122 offset0:115 offset1:116
	ds_read2_b64 v[127:130], v122 offset0:117 offset1:118
	v_cmp_lt_u32_e32 vcc, 53, v0
	s_waitcnt vmcnt(10) lgkmcnt(1)
	v_fma_f64 v[123:124], v[131:132], v[123:124], 0
	s_waitcnt vmcnt(8)
	v_fma_f64 v[123:124], v[133:134], v[125:126], v[123:124]
	ds_read_b64 v[125:126], v122 offset:952
	s_waitcnt vmcnt(6) lgkmcnt(1)
	v_fma_f64 v[123:124], v[135:136], v[127:128], v[123:124]
	s_waitcnt vmcnt(4)
	v_fma_f64 v[123:124], v[137:138], v[129:130], v[123:124]
	s_waitcnt vmcnt(2) lgkmcnt(0)
	v_fma_f64 v[123:124], v[139:140], v[125:126], v[123:124]
	s_waitcnt vmcnt(0)
	v_add_f64 v[123:124], v[141:142], -v[123:124]
	buffer_store_dword v123, off, s[0:3], 0 offset:432
	buffer_store_dword v124, off, s[0:3], 0 offset:436
	s_and_saveexec_b64 s[4:5], vcc
	s_cbranch_execz .LBB123_261
; %bb.260:
	buffer_load_dword v123, off, s[0:3], 0 offset:424
	buffer_load_dword v124, off, s[0:3], 0 offset:428
	s_waitcnt vmcnt(0)
	ds_write_b64 v121, v[123:124]
	buffer_store_dword v122, off, s[0:3], 0 offset:424
	buffer_store_dword v122, off, s[0:3], 0 offset:428
.LBB123_261:
	s_or_b64 exec, exec, s[4:5]
	s_waitcnt lgkmcnt(0)
	; wave barrier
	buffer_load_dword v131, off, s[0:3], 0 offset:432
	buffer_load_dword v132, off, s[0:3], 0 offset:436
	buffer_load_dword v133, off, s[0:3], 0 offset:440
	buffer_load_dword v134, off, s[0:3], 0 offset:444
	buffer_load_dword v135, off, s[0:3], 0 offset:448
	buffer_load_dword v136, off, s[0:3], 0 offset:452
	buffer_load_dword v137, off, s[0:3], 0 offset:456
	buffer_load_dword v138, off, s[0:3], 0 offset:460
	buffer_load_dword v139, off, s[0:3], 0 offset:464
	buffer_load_dword v140, off, s[0:3], 0 offset:468
	buffer_load_dword v141, off, s[0:3], 0 offset:472
	buffer_load_dword v142, off, s[0:3], 0 offset:476
	buffer_load_dword v143, off, s[0:3], 0 offset:424
	buffer_load_dword v144, off, s[0:3], 0 offset:428
	ds_read_b128 v[123:126], v122 offset:912
	ds_read_b128 v[127:130], v122 offset:928
	v_cmp_lt_u32_e32 vcc, 52, v0
	s_waitcnt vmcnt(12) lgkmcnt(1)
	v_fma_f64 v[123:124], v[131:132], v[123:124], 0
	s_waitcnt vmcnt(10)
	v_fma_f64 v[123:124], v[133:134], v[125:126], v[123:124]
	s_waitcnt vmcnt(8) lgkmcnt(0)
	v_fma_f64 v[123:124], v[135:136], v[127:128], v[123:124]
	s_waitcnt vmcnt(6)
	v_fma_f64 v[126:127], v[137:138], v[129:130], v[123:124]
	ds_read_b128 v[122:125], v122 offset:944
	s_waitcnt vmcnt(4) lgkmcnt(0)
	v_fma_f64 v[122:123], v[139:140], v[122:123], v[126:127]
	s_waitcnt vmcnt(2)
	v_fma_f64 v[122:123], v[141:142], v[124:125], v[122:123]
	s_waitcnt vmcnt(0)
	v_add_f64 v[122:123], v[143:144], -v[122:123]
	buffer_store_dword v122, off, s[0:3], 0 offset:424
	buffer_store_dword v123, off, s[0:3], 0 offset:428
	s_and_saveexec_b64 s[4:5], vcc
	s_cbranch_execz .LBB123_263
; %bb.262:
	buffer_load_dword v122, off, s[0:3], 0 offset:416
	buffer_load_dword v123, off, s[0:3], 0 offset:420
	v_mov_b32_e32 v124, 0
	buffer_store_dword v124, off, s[0:3], 0 offset:416
	buffer_store_dword v124, off, s[0:3], 0 offset:420
	s_waitcnt vmcnt(2)
	ds_write_b64 v121, v[122:123]
.LBB123_263:
	s_or_b64 exec, exec, s[4:5]
	s_waitcnt lgkmcnt(0)
	; wave barrier
	buffer_load_dword v131, off, s[0:3], 0 offset:424
	buffer_load_dword v132, off, s[0:3], 0 offset:428
	;; [unrolled: 1-line block ×16, first 2 shown]
	v_mov_b32_e32 v122, 0
	ds_read2_b64 v[123:126], v122 offset0:113 offset1:114
	ds_read2_b64 v[127:130], v122 offset0:115 offset1:116
	v_cmp_lt_u32_e32 vcc, 51, v0
	s_waitcnt vmcnt(14) lgkmcnt(1)
	v_fma_f64 v[123:124], v[131:132], v[123:124], 0
	s_waitcnt vmcnt(12)
	v_fma_f64 v[123:124], v[133:134], v[125:126], v[123:124]
	s_waitcnt vmcnt(10) lgkmcnt(0)
	v_fma_f64 v[123:124], v[135:136], v[127:128], v[123:124]
	s_waitcnt vmcnt(8)
	v_fma_f64 v[127:128], v[137:138], v[129:130], v[123:124]
	ds_read2_b64 v[123:126], v122 offset0:117 offset1:118
	ds_read_b64 v[129:130], v122 offset:952
	s_waitcnt vmcnt(6) lgkmcnt(1)
	v_fma_f64 v[123:124], v[139:140], v[123:124], v[127:128]
	s_waitcnt vmcnt(4)
	v_fma_f64 v[123:124], v[141:142], v[125:126], v[123:124]
	s_waitcnt vmcnt(2) lgkmcnt(0)
	v_fma_f64 v[123:124], v[143:144], v[129:130], v[123:124]
	s_waitcnt vmcnt(0)
	v_add_f64 v[123:124], v[145:146], -v[123:124]
	buffer_store_dword v123, off, s[0:3], 0 offset:416
	buffer_store_dword v124, off, s[0:3], 0 offset:420
	s_and_saveexec_b64 s[4:5], vcc
	s_cbranch_execz .LBB123_265
; %bb.264:
	buffer_load_dword v123, off, s[0:3], 0 offset:408
	buffer_load_dword v124, off, s[0:3], 0 offset:412
	s_waitcnt vmcnt(0)
	ds_write_b64 v121, v[123:124]
	buffer_store_dword v122, off, s[0:3], 0 offset:408
	buffer_store_dword v122, off, s[0:3], 0 offset:412
.LBB123_265:
	s_or_b64 exec, exec, s[4:5]
	s_waitcnt lgkmcnt(0)
	; wave barrier
	buffer_load_dword v131, off, s[0:3], 0 offset:416
	buffer_load_dword v132, off, s[0:3], 0 offset:420
	;; [unrolled: 1-line block ×18, first 2 shown]
	ds_read_b128 v[123:126], v122 offset:896
	ds_read_b128 v[127:130], v122 offset:912
	v_cmp_lt_u32_e32 vcc, 50, v0
	s_waitcnt vmcnt(16) lgkmcnt(1)
	v_fma_f64 v[123:124], v[131:132], v[123:124], 0
	s_waitcnt vmcnt(14)
	v_fma_f64 v[123:124], v[133:134], v[125:126], v[123:124]
	s_waitcnt vmcnt(12) lgkmcnt(0)
	v_fma_f64 v[123:124], v[135:136], v[127:128], v[123:124]
	s_waitcnt vmcnt(10)
	v_fma_f64 v[131:132], v[137:138], v[129:130], v[123:124]
	ds_read_b128 v[123:126], v122 offset:928
	ds_read_b128 v[127:130], v122 offset:944
	s_waitcnt vmcnt(8) lgkmcnt(1)
	v_fma_f64 v[122:123], v[139:140], v[123:124], v[131:132]
	s_waitcnt vmcnt(6)
	v_fma_f64 v[122:123], v[141:142], v[125:126], v[122:123]
	s_waitcnt vmcnt(4) lgkmcnt(0)
	v_fma_f64 v[122:123], v[143:144], v[127:128], v[122:123]
	s_waitcnt vmcnt(2)
	v_fma_f64 v[122:123], v[145:146], v[129:130], v[122:123]
	s_waitcnt vmcnt(0)
	v_add_f64 v[122:123], v[147:148], -v[122:123]
	buffer_store_dword v122, off, s[0:3], 0 offset:408
	buffer_store_dword v123, off, s[0:3], 0 offset:412
	s_and_saveexec_b64 s[4:5], vcc
	s_cbranch_execz .LBB123_267
; %bb.266:
	buffer_load_dword v122, off, s[0:3], 0 offset:400
	buffer_load_dword v123, off, s[0:3], 0 offset:404
	v_mov_b32_e32 v124, 0
	buffer_store_dword v124, off, s[0:3], 0 offset:400
	buffer_store_dword v124, off, s[0:3], 0 offset:404
	s_waitcnt vmcnt(2)
	ds_write_b64 v121, v[122:123]
.LBB123_267:
	s_or_b64 exec, exec, s[4:5]
	s_waitcnt lgkmcnt(0)
	; wave barrier
	buffer_load_dword v131, off, s[0:3], 0 offset:408
	buffer_load_dword v132, off, s[0:3], 0 offset:412
	;; [unrolled: 1-line block ×20, first 2 shown]
	v_mov_b32_e32 v122, 0
	ds_read2_b64 v[123:126], v122 offset0:111 offset1:112
	ds_read2_b64 v[127:130], v122 offset0:113 offset1:114
	v_cmp_lt_u32_e32 vcc, 49, v0
	s_waitcnt vmcnt(18) lgkmcnt(1)
	v_fma_f64 v[123:124], v[131:132], v[123:124], 0
	s_waitcnt vmcnt(16)
	v_fma_f64 v[123:124], v[133:134], v[125:126], v[123:124]
	s_waitcnt vmcnt(14) lgkmcnt(0)
	v_fma_f64 v[123:124], v[135:136], v[127:128], v[123:124]
	s_waitcnt vmcnt(12)
	v_fma_f64 v[131:132], v[137:138], v[129:130], v[123:124]
	ds_read2_b64 v[123:126], v122 offset0:115 offset1:116
	ds_read2_b64 v[127:130], v122 offset0:117 offset1:118
	s_waitcnt vmcnt(10) lgkmcnt(1)
	v_fma_f64 v[123:124], v[139:140], v[123:124], v[131:132]
	s_waitcnt vmcnt(8)
	v_fma_f64 v[123:124], v[141:142], v[125:126], v[123:124]
	ds_read_b64 v[125:126], v122 offset:952
	s_waitcnt vmcnt(6) lgkmcnt(1)
	v_fma_f64 v[123:124], v[143:144], v[127:128], v[123:124]
	s_waitcnt vmcnt(3)
	v_fma_f64 v[123:124], v[145:146], v[129:130], v[123:124]
	s_waitcnt vmcnt(2) lgkmcnt(0)
	v_fma_f64 v[123:124], v[147:148], v[125:126], v[123:124]
	s_waitcnt vmcnt(0)
	v_add_f64 v[123:124], v[149:150], -v[123:124]
	buffer_store_dword v123, off, s[0:3], 0 offset:400
	buffer_store_dword v124, off, s[0:3], 0 offset:404
	s_and_saveexec_b64 s[4:5], vcc
	s_cbranch_execz .LBB123_269
; %bb.268:
	buffer_load_dword v123, off, s[0:3], 0 offset:392
	buffer_load_dword v124, off, s[0:3], 0 offset:396
	s_waitcnt vmcnt(0)
	ds_write_b64 v121, v[123:124]
	buffer_store_dword v122, off, s[0:3], 0 offset:392
	buffer_store_dword v122, off, s[0:3], 0 offset:396
.LBB123_269:
	s_or_b64 exec, exec, s[4:5]
	s_waitcnt lgkmcnt(0)
	; wave barrier
	buffer_load_dword v131, off, s[0:3], 0 offset:400
	buffer_load_dword v132, off, s[0:3], 0 offset:404
	;; [unrolled: 1-line block ×20, first 2 shown]
	ds_read_b128 v[123:126], v122 offset:880
	buffer_load_dword v151, off, s[0:3], 0 offset:392
	buffer_load_dword v152, off, s[0:3], 0 offset:396
	ds_read_b128 v[127:130], v122 offset:896
	v_cmp_lt_u32_e32 vcc, 48, v0
	s_waitcnt vmcnt(20) lgkmcnt(1)
	v_fma_f64 v[123:124], v[131:132], v[123:124], 0
	s_waitcnt vmcnt(18)
	v_fma_f64 v[123:124], v[133:134], v[125:126], v[123:124]
	s_waitcnt vmcnt(16) lgkmcnt(0)
	v_fma_f64 v[123:124], v[135:136], v[127:128], v[123:124]
	s_waitcnt vmcnt(14)
	v_fma_f64 v[131:132], v[137:138], v[129:130], v[123:124]
	ds_read_b128 v[123:126], v122 offset:912
	ds_read_b128 v[127:130], v122 offset:928
	s_waitcnt vmcnt(12) lgkmcnt(1)
	v_fma_f64 v[123:124], v[139:140], v[123:124], v[131:132]
	s_waitcnt vmcnt(10)
	v_fma_f64 v[123:124], v[141:142], v[125:126], v[123:124]
	s_waitcnt vmcnt(8) lgkmcnt(0)
	v_fma_f64 v[123:124], v[143:144], v[127:128], v[123:124]
	s_waitcnt vmcnt(4)
	v_fma_f64 v[126:127], v[145:146], v[129:130], v[123:124]
	ds_read_b128 v[122:125], v122 offset:944
	s_waitcnt vmcnt(3) lgkmcnt(0)
	v_fma_f64 v[122:123], v[149:150], v[122:123], v[126:127]
	s_waitcnt vmcnt(2)
	v_fma_f64 v[122:123], v[147:148], v[124:125], v[122:123]
	s_waitcnt vmcnt(0)
	v_add_f64 v[122:123], v[151:152], -v[122:123]
	buffer_store_dword v122, off, s[0:3], 0 offset:392
	buffer_store_dword v123, off, s[0:3], 0 offset:396
	s_and_saveexec_b64 s[4:5], vcc
	s_cbranch_execz .LBB123_271
; %bb.270:
	buffer_load_dword v122, off, s[0:3], 0 offset:384
	buffer_load_dword v123, off, s[0:3], 0 offset:388
	v_mov_b32_e32 v124, 0
	buffer_store_dword v124, off, s[0:3], 0 offset:384
	buffer_store_dword v124, off, s[0:3], 0 offset:388
	s_waitcnt vmcnt(2)
	ds_write_b64 v121, v[122:123]
.LBB123_271:
	s_or_b64 exec, exec, s[4:5]
	s_waitcnt lgkmcnt(0)
	; wave barrier
	buffer_load_dword v131, off, s[0:3], 0 offset:392
	buffer_load_dword v132, off, s[0:3], 0 offset:396
	;; [unrolled: 1-line block ×21, first 2 shown]
	v_mov_b32_e32 v122, 0
	ds_read2_b64 v[123:126], v122 offset0:109 offset1:110
	ds_read2_b64 v[127:130], v122 offset0:111 offset1:112
	buffer_load_dword v148, off, s[0:3], 0 offset:476
	v_cmp_lt_u32_e32 vcc, 47, v0
	s_waitcnt vmcnt(20) lgkmcnt(1)
	v_fma_f64 v[123:124], v[131:132], v[123:124], 0
	buffer_load_dword v131, off, s[0:3], 0 offset:384
	buffer_load_dword v132, off, s[0:3], 0 offset:388
	s_waitcnt vmcnt(20)
	v_fma_f64 v[123:124], v[133:134], v[125:126], v[123:124]
	s_waitcnt vmcnt(18) lgkmcnt(0)
	v_fma_f64 v[123:124], v[135:136], v[127:128], v[123:124]
	s_waitcnt vmcnt(16)
	v_fma_f64 v[133:134], v[137:138], v[129:130], v[123:124]
	ds_read2_b64 v[123:126], v122 offset0:113 offset1:114
	ds_read2_b64 v[127:130], v122 offset0:115 offset1:116
	s_waitcnt vmcnt(14) lgkmcnt(1)
	v_fma_f64 v[123:124], v[139:140], v[123:124], v[133:134]
	s_waitcnt vmcnt(12)
	v_fma_f64 v[123:124], v[141:142], v[125:126], v[123:124]
	s_waitcnt vmcnt(10) lgkmcnt(0)
	v_fma_f64 v[123:124], v[143:144], v[127:128], v[123:124]
	s_waitcnt vmcnt(5)
	v_fma_f64 v[127:128], v[145:146], v[129:130], v[123:124]
	ds_read2_b64 v[123:126], v122 offset0:117 offset1:118
	ds_read_b64 v[129:130], v122 offset:952
	s_waitcnt vmcnt(4) lgkmcnt(1)
	v_fma_f64 v[123:124], v[151:152], v[123:124], v[127:128]
	s_waitcnt vmcnt(3)
	v_fma_f64 v[123:124], v[149:150], v[125:126], v[123:124]
	s_waitcnt vmcnt(2) lgkmcnt(0)
	v_fma_f64 v[123:124], v[147:148], v[129:130], v[123:124]
	s_waitcnt vmcnt(0)
	v_add_f64 v[123:124], v[131:132], -v[123:124]
	buffer_store_dword v124, off, s[0:3], 0 offset:388
	buffer_store_dword v123, off, s[0:3], 0 offset:384
	s_and_saveexec_b64 s[4:5], vcc
	s_cbranch_execz .LBB123_273
; %bb.272:
	buffer_load_dword v123, off, s[0:3], 0 offset:376
	buffer_load_dword v124, off, s[0:3], 0 offset:380
	s_waitcnt vmcnt(0)
	ds_write_b64 v121, v[123:124]
	buffer_store_dword v122, off, s[0:3], 0 offset:376
	buffer_store_dword v122, off, s[0:3], 0 offset:380
.LBB123_273:
	s_or_b64 exec, exec, s[4:5]
	s_waitcnt lgkmcnt(0)
	; wave barrier
	buffer_load_dword v131, off, s[0:3], 0 offset:384
	buffer_load_dword v132, off, s[0:3], 0 offset:388
	;; [unrolled: 1-line block ×21, first 2 shown]
	ds_read_b128 v[123:126], v122 offset:864
	ds_read_b128 v[127:130], v122 offset:880
	buffer_load_dword v148, off, s[0:3], 0 offset:468
	v_cmp_lt_u32_e32 vcc, 46, v0
	s_waitcnt vmcnt(20) lgkmcnt(1)
	v_fma_f64 v[123:124], v[131:132], v[123:124], 0
	buffer_load_dword v132, off, s[0:3], 0 offset:476
	buffer_load_dword v131, off, s[0:3], 0 offset:472
	s_waitcnt vmcnt(20)
	v_fma_f64 v[123:124], v[133:134], v[125:126], v[123:124]
	buffer_load_dword v133, off, s[0:3], 0 offset:376
	buffer_load_dword v134, off, s[0:3], 0 offset:380
	s_waitcnt vmcnt(20) lgkmcnt(0)
	v_fma_f64 v[123:124], v[135:136], v[127:128], v[123:124]
	s_waitcnt vmcnt(18)
	v_fma_f64 v[135:136], v[137:138], v[129:130], v[123:124]
	ds_read_b128 v[123:126], v122 offset:896
	ds_read_b128 v[127:130], v122 offset:912
	s_waitcnt vmcnt(16) lgkmcnt(1)
	v_fma_f64 v[123:124], v[139:140], v[123:124], v[135:136]
	s_waitcnt vmcnt(14)
	v_fma_f64 v[123:124], v[141:142], v[125:126], v[123:124]
	s_waitcnt vmcnt(12) lgkmcnt(0)
	v_fma_f64 v[123:124], v[143:144], v[127:128], v[123:124]
	s_waitcnt vmcnt(7)
	v_fma_f64 v[135:136], v[145:146], v[129:130], v[123:124]
	ds_read_b128 v[123:126], v122 offset:928
	ds_read_b128 v[127:130], v122 offset:944
	s_waitcnt vmcnt(6) lgkmcnt(1)
	v_fma_f64 v[122:123], v[151:152], v[123:124], v[135:136]
	s_waitcnt vmcnt(5)
	v_fma_f64 v[122:123], v[149:150], v[125:126], v[122:123]
	s_waitcnt vmcnt(4) lgkmcnt(0)
	v_fma_f64 v[122:123], v[147:148], v[127:128], v[122:123]
	s_waitcnt vmcnt(2)
	v_fma_f64 v[122:123], v[131:132], v[129:130], v[122:123]
	s_waitcnt vmcnt(0)
	v_add_f64 v[122:123], v[133:134], -v[122:123]
	buffer_store_dword v123, off, s[0:3], 0 offset:380
	buffer_store_dword v122, off, s[0:3], 0 offset:376
	s_and_saveexec_b64 s[4:5], vcc
	s_cbranch_execz .LBB123_275
; %bb.274:
	buffer_load_dword v122, off, s[0:3], 0 offset:368
	buffer_load_dword v123, off, s[0:3], 0 offset:372
	v_mov_b32_e32 v124, 0
	buffer_store_dword v124, off, s[0:3], 0 offset:368
	buffer_store_dword v124, off, s[0:3], 0 offset:372
	s_waitcnt vmcnt(2)
	ds_write_b64 v121, v[122:123]
.LBB123_275:
	s_or_b64 exec, exec, s[4:5]
	s_waitcnt lgkmcnt(0)
	; wave barrier
	buffer_load_dword v131, off, s[0:3], 0 offset:376
	buffer_load_dword v132, off, s[0:3], 0 offset:380
	;; [unrolled: 1-line block ×21, first 2 shown]
	v_mov_b32_e32 v122, 0
	ds_read2_b64 v[123:126], v122 offset0:107 offset1:108
	ds_read2_b64 v[127:130], v122 offset0:109 offset1:110
	buffer_load_dword v148, off, s[0:3], 0 offset:460
	v_cmp_lt_u32_e32 vcc, 45, v0
	s_waitcnt vmcnt(20) lgkmcnt(1)
	v_fma_f64 v[123:124], v[131:132], v[123:124], 0
	s_waitcnt vmcnt(18)
	v_fma_f64 v[123:124], v[133:134], v[125:126], v[123:124]
	buffer_load_dword v132, off, s[0:3], 0 offset:468
	buffer_load_dword v133, off, s[0:3], 0 offset:472
	buffer_load_dword v131, off, s[0:3], 0 offset:464
	buffer_load_dword v134, off, s[0:3], 0 offset:476
	s_waitcnt vmcnt(20) lgkmcnt(0)
	v_fma_f64 v[123:124], v[135:136], v[127:128], v[123:124]
	buffer_load_dword v135, off, s[0:3], 0 offset:368
	buffer_load_dword v136, off, s[0:3], 0 offset:372
	s_waitcnt vmcnt(20)
	v_fma_f64 v[137:138], v[137:138], v[129:130], v[123:124]
	ds_read2_b64 v[123:126], v122 offset0:111 offset1:112
	ds_read2_b64 v[127:130], v122 offset0:113 offset1:114
	s_waitcnt vmcnt(18) lgkmcnt(1)
	v_fma_f64 v[123:124], v[139:140], v[123:124], v[137:138]
	s_waitcnt vmcnt(16)
	v_fma_f64 v[123:124], v[141:142], v[125:126], v[123:124]
	s_waitcnt vmcnt(14) lgkmcnt(0)
	v_fma_f64 v[123:124], v[143:144], v[127:128], v[123:124]
	s_waitcnt vmcnt(9)
	v_fma_f64 v[137:138], v[145:146], v[129:130], v[123:124]
	ds_read2_b64 v[123:126], v122 offset0:115 offset1:116
	ds_read2_b64 v[127:130], v122 offset0:117 offset1:118
	s_waitcnt vmcnt(8) lgkmcnt(1)
	v_fma_f64 v[123:124], v[151:152], v[123:124], v[137:138]
	s_waitcnt vmcnt(7)
	v_fma_f64 v[123:124], v[149:150], v[125:126], v[123:124]
	ds_read_b64 v[125:126], v122 offset:952
	s_waitcnt vmcnt(6) lgkmcnt(1)
	v_fma_f64 v[123:124], v[147:148], v[127:128], v[123:124]
	s_waitcnt vmcnt(3)
	v_fma_f64 v[123:124], v[131:132], v[129:130], v[123:124]
	s_waitcnt vmcnt(2) lgkmcnt(0)
	v_fma_f64 v[123:124], v[133:134], v[125:126], v[123:124]
	s_waitcnt vmcnt(0)
	v_add_f64 v[123:124], v[135:136], -v[123:124]
	buffer_store_dword v124, off, s[0:3], 0 offset:372
	buffer_store_dword v123, off, s[0:3], 0 offset:368
	s_and_saveexec_b64 s[4:5], vcc
	s_cbranch_execz .LBB123_277
; %bb.276:
	buffer_load_dword v123, off, s[0:3], 0 offset:360
	buffer_load_dword v124, off, s[0:3], 0 offset:364
	s_waitcnt vmcnt(0)
	ds_write_b64 v121, v[123:124]
	buffer_store_dword v122, off, s[0:3], 0 offset:360
	buffer_store_dword v122, off, s[0:3], 0 offset:364
.LBB123_277:
	s_or_b64 exec, exec, s[4:5]
	s_waitcnt lgkmcnt(0)
	; wave barrier
	buffer_load_dword v131, off, s[0:3], 0 offset:368
	buffer_load_dword v132, off, s[0:3], 0 offset:372
	;; [unrolled: 1-line block ×22, first 2 shown]
	ds_read_b128 v[123:126], v122 offset:848
	ds_read_b128 v[127:130], v122 offset:864
	v_cmp_lt_u32_e32 vcc, 44, v0
	s_waitcnt vmcnt(20) lgkmcnt(1)
	v_fma_f64 v[123:124], v[131:132], v[123:124], 0
	s_waitcnt vmcnt(18)
	v_fma_f64 v[123:124], v[133:134], v[125:126], v[123:124]
	buffer_load_dword v132, off, s[0:3], 0 offset:460
	buffer_load_dword v133, off, s[0:3], 0 offset:472
	;; [unrolled: 1-line block ×6, first 2 shown]
	s_waitcnt vmcnt(22) lgkmcnt(0)
	v_fma_f64 v[123:124], v[135:136], v[127:128], v[123:124]
	s_waitcnt vmcnt(20)
	v_fma_f64 v[135:136], v[137:138], v[129:130], v[123:124]
	ds_read_b128 v[123:126], v122 offset:880
	buffer_load_dword v137, off, s[0:3], 0 offset:360
	buffer_load_dword v138, off, s[0:3], 0 offset:364
	ds_read_b128 v[127:130], v122 offset:896
	s_waitcnt vmcnt(20) lgkmcnt(1)
	v_fma_f64 v[123:124], v[139:140], v[123:124], v[135:136]
	s_waitcnt vmcnt(18)
	v_fma_f64 v[123:124], v[141:142], v[125:126], v[123:124]
	s_waitcnt vmcnt(16) lgkmcnt(0)
	v_fma_f64 v[123:124], v[143:144], v[127:128], v[123:124]
	s_waitcnt vmcnt(11)
	v_fma_f64 v[135:136], v[145:146], v[129:130], v[123:124]
	ds_read_b128 v[123:126], v122 offset:912
	ds_read_b128 v[127:130], v122 offset:928
	s_waitcnt vmcnt(10) lgkmcnt(1)
	v_fma_f64 v[123:124], v[151:152], v[123:124], v[135:136]
	s_waitcnt vmcnt(9)
	v_fma_f64 v[123:124], v[149:150], v[125:126], v[123:124]
	s_waitcnt vmcnt(8) lgkmcnt(0)
	v_fma_f64 v[123:124], v[147:148], v[127:128], v[123:124]
	s_waitcnt vmcnt(4)
	v_fma_f64 v[126:127], v[131:132], v[129:130], v[123:124]
	ds_read_b128 v[122:125], v122 offset:944
	s_waitcnt vmcnt(3) lgkmcnt(0)
	v_fma_f64 v[122:123], v[153:154], v[122:123], v[126:127]
	s_waitcnt vmcnt(2)
	v_fma_f64 v[122:123], v[133:134], v[124:125], v[122:123]
	s_waitcnt vmcnt(0)
	v_add_f64 v[122:123], v[137:138], -v[122:123]
	buffer_store_dword v123, off, s[0:3], 0 offset:364
	buffer_store_dword v122, off, s[0:3], 0 offset:360
	s_and_saveexec_b64 s[4:5], vcc
	s_cbranch_execz .LBB123_279
; %bb.278:
	buffer_load_dword v122, off, s[0:3], 0 offset:352
	buffer_load_dword v123, off, s[0:3], 0 offset:356
	v_mov_b32_e32 v124, 0
	buffer_store_dword v124, off, s[0:3], 0 offset:352
	buffer_store_dword v124, off, s[0:3], 0 offset:356
	s_waitcnt vmcnt(2)
	ds_write_b64 v121, v[122:123]
.LBB123_279:
	s_or_b64 exec, exec, s[4:5]
	s_waitcnt lgkmcnt(0)
	; wave barrier
	buffer_load_dword v131, off, s[0:3], 0 offset:360
	buffer_load_dword v132, off, s[0:3], 0 offset:364
	;; [unrolled: 1-line block ×22, first 2 shown]
	v_mov_b32_e32 v122, 0
	ds_read2_b64 v[123:126], v122 offset0:105 offset1:106
	ds_read2_b64 v[127:130], v122 offset0:107 offset1:108
	v_cmp_lt_u32_e32 vcc, 43, v0
	s_waitcnt vmcnt(20) lgkmcnt(1)
	v_fma_f64 v[123:124], v[131:132], v[123:124], 0
	s_waitcnt vmcnt(18)
	v_fma_f64 v[123:124], v[133:134], v[125:126], v[123:124]
	buffer_load_dword v132, off, s[0:3], 0 offset:452
	buffer_load_dword v133, off, s[0:3], 0 offset:472
	;; [unrolled: 1-line block ×8, first 2 shown]
	s_waitcnt vmcnt(24) lgkmcnt(0)
	v_fma_f64 v[123:124], v[135:136], v[127:128], v[123:124]
	s_waitcnt vmcnt(22)
	v_fma_f64 v[135:136], v[137:138], v[129:130], v[123:124]
	ds_read2_b64 v[123:126], v122 offset0:109 offset1:110
	ds_read2_b64 v[127:130], v122 offset0:111 offset1:112
	s_waitcnt vmcnt(20) lgkmcnt(1)
	v_fma_f64 v[123:124], v[139:140], v[123:124], v[135:136]
	buffer_load_dword v135, off, s[0:3], 0 offset:352
	buffer_load_dword v136, off, s[0:3], 0 offset:356
	s_waitcnt vmcnt(20)
	v_fma_f64 v[123:124], v[141:142], v[125:126], v[123:124]
	s_waitcnt vmcnt(18) lgkmcnt(0)
	v_fma_f64 v[123:124], v[143:144], v[127:128], v[123:124]
	s_waitcnt vmcnt(13)
	v_fma_f64 v[137:138], v[145:146], v[129:130], v[123:124]
	ds_read2_b64 v[123:126], v122 offset0:113 offset1:114
	ds_read2_b64 v[127:130], v122 offset0:115 offset1:116
	s_waitcnt vmcnt(12) lgkmcnt(1)
	v_fma_f64 v[123:124], v[151:152], v[123:124], v[137:138]
	s_waitcnt vmcnt(11)
	v_fma_f64 v[123:124], v[149:150], v[125:126], v[123:124]
	s_waitcnt vmcnt(10) lgkmcnt(0)
	v_fma_f64 v[123:124], v[147:148], v[127:128], v[123:124]
	s_waitcnt vmcnt(5)
	v_fma_f64 v[127:128], v[131:132], v[129:130], v[123:124]
	ds_read2_b64 v[123:126], v122 offset0:117 offset1:118
	ds_read_b64 v[129:130], v122 offset:952
	s_waitcnt vmcnt(4) lgkmcnt(1)
	v_fma_f64 v[123:124], v[155:156], v[123:124], v[127:128]
	s_waitcnt vmcnt(3)
	v_fma_f64 v[123:124], v[153:154], v[125:126], v[123:124]
	s_waitcnt vmcnt(2) lgkmcnt(0)
	v_fma_f64 v[123:124], v[133:134], v[129:130], v[123:124]
	s_waitcnt vmcnt(0)
	v_add_f64 v[123:124], v[135:136], -v[123:124]
	buffer_store_dword v124, off, s[0:3], 0 offset:356
	buffer_store_dword v123, off, s[0:3], 0 offset:352
	s_and_saveexec_b64 s[4:5], vcc
	s_cbranch_execz .LBB123_281
; %bb.280:
	buffer_load_dword v123, off, s[0:3], 0 offset:344
	buffer_load_dword v124, off, s[0:3], 0 offset:348
	s_waitcnt vmcnt(0)
	ds_write_b64 v121, v[123:124]
	buffer_store_dword v122, off, s[0:3], 0 offset:344
	buffer_store_dword v122, off, s[0:3], 0 offset:348
.LBB123_281:
	s_or_b64 exec, exec, s[4:5]
	s_waitcnt lgkmcnt(0)
	; wave barrier
	buffer_load_dword v131, off, s[0:3], 0 offset:352
	buffer_load_dword v132, off, s[0:3], 0 offset:356
	;; [unrolled: 1-line block ×22, first 2 shown]
	ds_read_b128 v[123:126], v122 offset:832
	ds_read_b128 v[127:130], v122 offset:848
	v_cmp_lt_u32_e32 vcc, 42, v0
	s_waitcnt vmcnt(20) lgkmcnt(1)
	v_fma_f64 v[123:124], v[131:132], v[123:124], 0
	s_waitcnt vmcnt(18)
	v_fma_f64 v[123:124], v[133:134], v[125:126], v[123:124]
	buffer_load_dword v132, off, s[0:3], 0 offset:444
	buffer_load_dword v133, off, s[0:3], 0 offset:464
	;; [unrolled: 1-line block ×8, first 2 shown]
	s_waitcnt vmcnt(24) lgkmcnt(0)
	v_fma_f64 v[123:124], v[135:136], v[127:128], v[123:124]
	s_waitcnt vmcnt(22)
	v_fma_f64 v[135:136], v[137:138], v[129:130], v[123:124]
	ds_read_b128 v[123:126], v122 offset:864
	ds_read_b128 v[127:130], v122 offset:880
	s_waitcnt vmcnt(20) lgkmcnt(1)
	v_fma_f64 v[123:124], v[139:140], v[123:124], v[135:136]
	buffer_load_dword v136, off, s[0:3], 0 offset:476
	buffer_load_dword v135, off, s[0:3], 0 offset:472
	;; [unrolled: 1-line block ×4, first 2 shown]
	s_waitcnt vmcnt(22)
	v_fma_f64 v[123:124], v[141:142], v[125:126], v[123:124]
	s_waitcnt vmcnt(20) lgkmcnt(0)
	v_fma_f64 v[123:124], v[143:144], v[127:128], v[123:124]
	s_waitcnt vmcnt(15)
	v_fma_f64 v[139:140], v[145:146], v[129:130], v[123:124]
	ds_read_b128 v[123:126], v122 offset:896
	ds_read_b128 v[127:130], v122 offset:912
	s_waitcnt vmcnt(14) lgkmcnt(1)
	v_fma_f64 v[123:124], v[151:152], v[123:124], v[139:140]
	s_waitcnt vmcnt(13)
	v_fma_f64 v[123:124], v[149:150], v[125:126], v[123:124]
	s_waitcnt vmcnt(12) lgkmcnt(0)
	v_fma_f64 v[123:124], v[147:148], v[127:128], v[123:124]
	s_waitcnt vmcnt(7)
	v_fma_f64 v[131:132], v[131:132], v[129:130], v[123:124]
	ds_read_b128 v[123:126], v122 offset:928
	ds_read_b128 v[127:130], v122 offset:944
	s_waitcnt vmcnt(6) lgkmcnt(1)
	v_fma_f64 v[122:123], v[155:156], v[123:124], v[131:132]
	s_waitcnt vmcnt(5)
	v_fma_f64 v[122:123], v[153:154], v[125:126], v[122:123]
	s_waitcnt vmcnt(4) lgkmcnt(0)
	v_fma_f64 v[122:123], v[133:134], v[127:128], v[122:123]
	s_waitcnt vmcnt(2)
	v_fma_f64 v[122:123], v[135:136], v[129:130], v[122:123]
	s_waitcnt vmcnt(0)
	v_add_f64 v[122:123], v[137:138], -v[122:123]
	buffer_store_dword v123, off, s[0:3], 0 offset:348
	buffer_store_dword v122, off, s[0:3], 0 offset:344
	s_and_saveexec_b64 s[4:5], vcc
	s_cbranch_execz .LBB123_283
; %bb.282:
	buffer_load_dword v122, off, s[0:3], 0 offset:336
	buffer_load_dword v123, off, s[0:3], 0 offset:340
	v_mov_b32_e32 v124, 0
	buffer_store_dword v124, off, s[0:3], 0 offset:336
	buffer_store_dword v124, off, s[0:3], 0 offset:340
	s_waitcnt vmcnt(2)
	ds_write_b64 v121, v[122:123]
.LBB123_283:
	s_or_b64 exec, exec, s[4:5]
	s_waitcnt lgkmcnt(0)
	; wave barrier
	buffer_load_dword v131, off, s[0:3], 0 offset:344
	buffer_load_dword v132, off, s[0:3], 0 offset:348
	;; [unrolled: 1-line block ×22, first 2 shown]
	v_mov_b32_e32 v122, 0
	ds_read2_b64 v[123:126], v122 offset0:103 offset1:104
	ds_read2_b64 v[127:130], v122 offset0:105 offset1:106
	v_cmp_lt_u32_e32 vcc, 41, v0
	s_waitcnt vmcnt(20) lgkmcnt(1)
	v_fma_f64 v[123:124], v[131:132], v[123:124], 0
	s_waitcnt vmcnt(18)
	v_fma_f64 v[123:124], v[133:134], v[125:126], v[123:124]
	buffer_load_dword v132, off, s[0:3], 0 offset:436
	buffer_load_dword v133, off, s[0:3], 0 offset:456
	;; [unrolled: 1-line block ×7, first 2 shown]
	s_waitcnt vmcnt(23) lgkmcnt(0)
	v_fma_f64 v[123:124], v[135:136], v[127:128], v[123:124]
	s_waitcnt vmcnt(21)
	v_fma_f64 v[134:135], v[137:138], v[129:130], v[123:124]
	ds_read2_b64 v[123:126], v122 offset0:107 offset1:108
	ds_read2_b64 v[127:130], v122 offset0:109 offset1:110
	s_waitcnt vmcnt(19) lgkmcnt(1)
	v_fma_f64 v[123:124], v[139:140], v[123:124], v[134:135]
	buffer_load_dword v134, off, s[0:3], 0 offset:460
	buffer_load_dword v136, off, s[0:3], 0 offset:468
	;; [unrolled: 1-line block ×7, first 2 shown]
	s_waitcnt vmcnt(24)
	v_fma_f64 v[123:124], v[141:142], v[125:126], v[123:124]
	s_waitcnt vmcnt(22) lgkmcnt(0)
	v_fma_f64 v[123:124], v[143:144], v[127:128], v[123:124]
	s_waitcnt vmcnt(17)
	v_fma_f64 v[141:142], v[145:146], v[129:130], v[123:124]
	ds_read2_b64 v[123:126], v122 offset0:111 offset1:112
	ds_read2_b64 v[127:130], v122 offset0:113 offset1:114
	s_waitcnt vmcnt(16) lgkmcnt(1)
	v_fma_f64 v[123:124], v[151:152], v[123:124], v[141:142]
	s_waitcnt vmcnt(15)
	v_fma_f64 v[123:124], v[149:150], v[125:126], v[123:124]
	s_waitcnt vmcnt(14) lgkmcnt(0)
	v_fma_f64 v[123:124], v[147:148], v[127:128], v[123:124]
	s_waitcnt vmcnt(9)
	v_fma_f64 v[131:132], v[131:132], v[129:130], v[123:124]
	ds_read2_b64 v[123:126], v122 offset0:115 offset1:116
	ds_read2_b64 v[127:130], v122 offset0:117 offset1:118
	s_waitcnt vmcnt(8) lgkmcnt(1)
	v_fma_f64 v[123:124], v[155:156], v[123:124], v[131:132]
	s_waitcnt vmcnt(7)
	v_fma_f64 v[123:124], v[153:154], v[125:126], v[123:124]
	ds_read_b64 v[125:126], v122 offset:952
	s_waitcnt vmcnt(6) lgkmcnt(1)
	v_fma_f64 v[123:124], v[133:134], v[127:128], v[123:124]
	s_waitcnt vmcnt(3)
	v_fma_f64 v[123:124], v[135:136], v[129:130], v[123:124]
	s_waitcnt vmcnt(2) lgkmcnt(0)
	v_fma_f64 v[123:124], v[137:138], v[125:126], v[123:124]
	s_waitcnt vmcnt(0)
	v_add_f64 v[123:124], v[139:140], -v[123:124]
	buffer_store_dword v124, off, s[0:3], 0 offset:340
	buffer_store_dword v123, off, s[0:3], 0 offset:336
	s_and_saveexec_b64 s[4:5], vcc
	s_cbranch_execz .LBB123_285
; %bb.284:
	buffer_load_dword v123, off, s[0:3], 0 offset:328
	buffer_load_dword v124, off, s[0:3], 0 offset:332
	s_waitcnt vmcnt(0)
	ds_write_b64 v121, v[123:124]
	buffer_store_dword v122, off, s[0:3], 0 offset:328
	buffer_store_dword v122, off, s[0:3], 0 offset:332
.LBB123_285:
	s_or_b64 exec, exec, s[4:5]
	s_waitcnt lgkmcnt(0)
	; wave barrier
	buffer_load_dword v131, off, s[0:3], 0 offset:336
	buffer_load_dword v132, off, s[0:3], 0 offset:340
	;; [unrolled: 1-line block ×22, first 2 shown]
	ds_read_b128 v[123:126], v122 offset:816
	ds_read_b128 v[127:130], v122 offset:832
	v_cmp_lt_u32_e32 vcc, 40, v0
	s_waitcnt vmcnt(20) lgkmcnt(1)
	v_fma_f64 v[123:124], v[131:132], v[123:124], 0
	s_waitcnt vmcnt(18)
	v_fma_f64 v[123:124], v[133:134], v[125:126], v[123:124]
	buffer_load_dword v132, off, s[0:3], 0 offset:428
	buffer_load_dword v133, off, s[0:3], 0 offset:448
	;; [unrolled: 1-line block ×7, first 2 shown]
	s_waitcnt vmcnt(23) lgkmcnt(0)
	v_fma_f64 v[123:124], v[135:136], v[127:128], v[123:124]
	s_waitcnt vmcnt(21)
	v_fma_f64 v[134:135], v[137:138], v[129:130], v[123:124]
	ds_read_b128 v[123:126], v122 offset:848
	ds_read_b128 v[127:130], v122 offset:864
	s_waitcnt vmcnt(19) lgkmcnt(1)
	v_fma_f64 v[123:124], v[139:140], v[123:124], v[134:135]
	buffer_load_dword v134, off, s[0:3], 0 offset:452
	buffer_load_dword v136, off, s[0:3], 0 offset:460
	;; [unrolled: 1-line block ×7, first 2 shown]
	s_waitcnt vmcnt(24)
	v_fma_f64 v[123:124], v[141:142], v[125:126], v[123:124]
	s_waitcnt vmcnt(22) lgkmcnt(0)
	v_fma_f64 v[123:124], v[143:144], v[127:128], v[123:124]
	s_waitcnt vmcnt(17)
	v_fma_f64 v[141:142], v[145:146], v[129:130], v[123:124]
	ds_read_b128 v[123:126], v122 offset:880
	buffer_load_dword v143, off, s[0:3], 0 offset:328
	buffer_load_dword v144, off, s[0:3], 0 offset:332
	ds_read_b128 v[127:130], v122 offset:896
	s_waitcnt vmcnt(18) lgkmcnt(1)
	v_fma_f64 v[123:124], v[151:152], v[123:124], v[141:142]
	s_waitcnt vmcnt(17)
	v_fma_f64 v[123:124], v[149:150], v[125:126], v[123:124]
	s_waitcnt vmcnt(16) lgkmcnt(0)
	v_fma_f64 v[123:124], v[147:148], v[127:128], v[123:124]
	s_waitcnt vmcnt(11)
	v_fma_f64 v[131:132], v[131:132], v[129:130], v[123:124]
	ds_read_b128 v[123:126], v122 offset:912
	ds_read_b128 v[127:130], v122 offset:928
	s_waitcnt vmcnt(10) lgkmcnt(1)
	v_fma_f64 v[123:124], v[155:156], v[123:124], v[131:132]
	s_waitcnt vmcnt(9)
	v_fma_f64 v[123:124], v[153:154], v[125:126], v[123:124]
	s_waitcnt vmcnt(8) lgkmcnt(0)
	v_fma_f64 v[123:124], v[133:134], v[127:128], v[123:124]
	s_waitcnt vmcnt(4)
	v_fma_f64 v[126:127], v[135:136], v[129:130], v[123:124]
	ds_read_b128 v[122:125], v122 offset:944
	s_waitcnt vmcnt(3) lgkmcnt(0)
	v_fma_f64 v[122:123], v[139:140], v[122:123], v[126:127]
	s_waitcnt vmcnt(2)
	v_fma_f64 v[122:123], v[137:138], v[124:125], v[122:123]
	s_waitcnt vmcnt(0)
	v_add_f64 v[122:123], v[143:144], -v[122:123]
	buffer_store_dword v123, off, s[0:3], 0 offset:332
	buffer_store_dword v122, off, s[0:3], 0 offset:328
	s_and_saveexec_b64 s[4:5], vcc
	s_cbranch_execz .LBB123_287
; %bb.286:
	buffer_load_dword v122, off, s[0:3], 0 offset:320
	buffer_load_dword v123, off, s[0:3], 0 offset:324
	v_mov_b32_e32 v124, 0
	buffer_store_dword v124, off, s[0:3], 0 offset:320
	buffer_store_dword v124, off, s[0:3], 0 offset:324
	s_waitcnt vmcnt(2)
	ds_write_b64 v121, v[122:123]
.LBB123_287:
	s_or_b64 exec, exec, s[4:5]
	s_waitcnt lgkmcnt(0)
	; wave barrier
	buffer_load_dword v131, off, s[0:3], 0 offset:328
	buffer_load_dword v132, off, s[0:3], 0 offset:332
	;; [unrolled: 1-line block ×22, first 2 shown]
	v_mov_b32_e32 v122, 0
	ds_read2_b64 v[123:126], v122 offset0:101 offset1:102
	ds_read2_b64 v[127:130], v122 offset0:103 offset1:104
	v_cmp_lt_u32_e32 vcc, 39, v0
	s_waitcnt vmcnt(20) lgkmcnt(1)
	v_fma_f64 v[123:124], v[131:132], v[123:124], 0
	s_waitcnt vmcnt(18)
	v_fma_f64 v[123:124], v[133:134], v[125:126], v[123:124]
	buffer_load_dword v132, off, s[0:3], 0 offset:420
	buffer_load_dword v133, off, s[0:3], 0 offset:440
	;; [unrolled: 1-line block ×7, first 2 shown]
	s_waitcnt vmcnt(23) lgkmcnt(0)
	v_fma_f64 v[123:124], v[135:136], v[127:128], v[123:124]
	s_waitcnt vmcnt(21)
	v_fma_f64 v[134:135], v[137:138], v[129:130], v[123:124]
	ds_read2_b64 v[123:126], v122 offset0:105 offset1:106
	ds_read2_b64 v[127:130], v122 offset0:107 offset1:108
	s_waitcnt vmcnt(19) lgkmcnt(1)
	v_fma_f64 v[123:124], v[139:140], v[123:124], v[134:135]
	buffer_load_dword v134, off, s[0:3], 0 offset:444
	s_waitcnt vmcnt(18)
	v_fma_f64 v[123:124], v[141:142], v[125:126], v[123:124]
	buffer_load_dword v136, off, s[0:3], 0 offset:452
	buffer_load_dword v137, off, s[0:3], 0 offset:472
	;; [unrolled: 1-line block ×8, first 2 shown]
	s_waitcnt vmcnt(24) lgkmcnt(0)
	v_fma_f64 v[123:124], v[143:144], v[127:128], v[123:124]
	s_waitcnt vmcnt(19)
	v_fma_f64 v[143:144], v[145:146], v[129:130], v[123:124]
	ds_read2_b64 v[123:126], v122 offset0:109 offset1:110
	ds_read2_b64 v[127:130], v122 offset0:111 offset1:112
	s_waitcnt vmcnt(18) lgkmcnt(1)
	v_fma_f64 v[123:124], v[151:152], v[123:124], v[143:144]
	buffer_load_dword v143, off, s[0:3], 0 offset:320
	buffer_load_dword v144, off, s[0:3], 0 offset:324
	s_waitcnt vmcnt(19)
	v_fma_f64 v[123:124], v[149:150], v[125:126], v[123:124]
	s_waitcnt vmcnt(18) lgkmcnt(0)
	v_fma_f64 v[123:124], v[147:148], v[127:128], v[123:124]
	s_waitcnt vmcnt(13)
	v_fma_f64 v[131:132], v[131:132], v[129:130], v[123:124]
	ds_read2_b64 v[123:126], v122 offset0:113 offset1:114
	ds_read2_b64 v[127:130], v122 offset0:115 offset1:116
	s_waitcnt vmcnt(12) lgkmcnt(1)
	v_fma_f64 v[123:124], v[155:156], v[123:124], v[131:132]
	s_waitcnt vmcnt(11)
	v_fma_f64 v[123:124], v[153:154], v[125:126], v[123:124]
	s_waitcnt vmcnt(10) lgkmcnt(0)
	v_fma_f64 v[123:124], v[133:134], v[127:128], v[123:124]
	s_waitcnt vmcnt(5)
	v_fma_f64 v[127:128], v[135:136], v[129:130], v[123:124]
	ds_read2_b64 v[123:126], v122 offset0:117 offset1:118
	ds_read_b64 v[129:130], v122 offset:952
	s_waitcnt vmcnt(4) lgkmcnt(1)
	v_fma_f64 v[123:124], v[141:142], v[123:124], v[127:128]
	s_waitcnt vmcnt(3)
	v_fma_f64 v[123:124], v[139:140], v[125:126], v[123:124]
	s_waitcnt vmcnt(2) lgkmcnt(0)
	v_fma_f64 v[123:124], v[137:138], v[129:130], v[123:124]
	s_waitcnt vmcnt(0)
	v_add_f64 v[123:124], v[143:144], -v[123:124]
	buffer_store_dword v124, off, s[0:3], 0 offset:324
	buffer_store_dword v123, off, s[0:3], 0 offset:320
	s_and_saveexec_b64 s[4:5], vcc
	s_cbranch_execz .LBB123_289
; %bb.288:
	buffer_load_dword v123, off, s[0:3], 0 offset:312
	buffer_load_dword v124, off, s[0:3], 0 offset:316
	s_waitcnt vmcnt(0)
	ds_write_b64 v121, v[123:124]
	buffer_store_dword v122, off, s[0:3], 0 offset:312
	buffer_store_dword v122, off, s[0:3], 0 offset:316
.LBB123_289:
	s_or_b64 exec, exec, s[4:5]
	s_waitcnt lgkmcnt(0)
	; wave barrier
	buffer_load_dword v131, off, s[0:3], 0 offset:320
	buffer_load_dword v132, off, s[0:3], 0 offset:324
	;; [unrolled: 1-line block ×22, first 2 shown]
	ds_read_b128 v[123:126], v122 offset:800
	ds_read_b128 v[127:130], v122 offset:816
	v_cmp_lt_u32_e32 vcc, 38, v0
	s_waitcnt vmcnt(20) lgkmcnt(1)
	v_fma_f64 v[123:124], v[131:132], v[123:124], 0
	s_waitcnt vmcnt(18)
	v_fma_f64 v[123:124], v[133:134], v[125:126], v[123:124]
	buffer_load_dword v132, off, s[0:3], 0 offset:412
	buffer_load_dword v133, off, s[0:3], 0 offset:432
	;; [unrolled: 1-line block ×7, first 2 shown]
	s_waitcnt vmcnt(23) lgkmcnt(0)
	v_fma_f64 v[123:124], v[135:136], v[127:128], v[123:124]
	s_waitcnt vmcnt(21)
	v_fma_f64 v[134:135], v[137:138], v[129:130], v[123:124]
	ds_read_b128 v[123:126], v122 offset:832
	ds_read_b128 v[127:130], v122 offset:848
	s_waitcnt vmcnt(19) lgkmcnt(1)
	v_fma_f64 v[123:124], v[139:140], v[123:124], v[134:135]
	buffer_load_dword v134, off, s[0:3], 0 offset:436
	s_waitcnt vmcnt(18)
	v_fma_f64 v[123:124], v[141:142], v[125:126], v[123:124]
	buffer_load_dword v136, off, s[0:3], 0 offset:444
	buffer_load_dword v137, off, s[0:3], 0 offset:464
	;; [unrolled: 1-line block ×8, first 2 shown]
	s_waitcnt vmcnt(24) lgkmcnt(0)
	v_fma_f64 v[123:124], v[143:144], v[127:128], v[123:124]
	s_waitcnt vmcnt(19)
	v_fma_f64 v[143:144], v[145:146], v[129:130], v[123:124]
	ds_read_b128 v[123:126], v122 offset:864
	ds_read_b128 v[127:130], v122 offset:880
	s_waitcnt vmcnt(18) lgkmcnt(1)
	v_fma_f64 v[123:124], v[151:152], v[123:124], v[143:144]
	buffer_load_dword v144, off, s[0:3], 0 offset:476
	buffer_load_dword v143, off, s[0:3], 0 offset:472
	;; [unrolled: 1-line block ×4, first 2 shown]
	s_waitcnt vmcnt(21)
	v_fma_f64 v[123:124], v[149:150], v[125:126], v[123:124]
	s_waitcnt vmcnt(20) lgkmcnt(0)
	v_fma_f64 v[123:124], v[147:148], v[127:128], v[123:124]
	s_waitcnt vmcnt(15)
	v_fma_f64 v[131:132], v[131:132], v[129:130], v[123:124]
	ds_read_b128 v[123:126], v122 offset:896
	ds_read_b128 v[127:130], v122 offset:912
	s_waitcnt vmcnt(14) lgkmcnt(1)
	v_fma_f64 v[123:124], v[155:156], v[123:124], v[131:132]
	s_waitcnt vmcnt(13)
	v_fma_f64 v[123:124], v[153:154], v[125:126], v[123:124]
	s_waitcnt vmcnt(12) lgkmcnt(0)
	v_fma_f64 v[123:124], v[133:134], v[127:128], v[123:124]
	s_waitcnt vmcnt(7)
	v_fma_f64 v[131:132], v[135:136], v[129:130], v[123:124]
	ds_read_b128 v[123:126], v122 offset:928
	ds_read_b128 v[127:130], v122 offset:944
	s_waitcnt vmcnt(6) lgkmcnt(1)
	v_fma_f64 v[122:123], v[141:142], v[123:124], v[131:132]
	s_waitcnt vmcnt(5)
	v_fma_f64 v[122:123], v[139:140], v[125:126], v[122:123]
	s_waitcnt vmcnt(4) lgkmcnt(0)
	v_fma_f64 v[122:123], v[137:138], v[127:128], v[122:123]
	s_waitcnt vmcnt(2)
	v_fma_f64 v[122:123], v[143:144], v[129:130], v[122:123]
	s_waitcnt vmcnt(0)
	v_add_f64 v[122:123], v[145:146], -v[122:123]
	buffer_store_dword v123, off, s[0:3], 0 offset:316
	buffer_store_dword v122, off, s[0:3], 0 offset:312
	s_and_saveexec_b64 s[4:5], vcc
	s_cbranch_execz .LBB123_291
; %bb.290:
	buffer_load_dword v122, off, s[0:3], 0 offset:304
	buffer_load_dword v123, off, s[0:3], 0 offset:308
	v_mov_b32_e32 v124, 0
	buffer_store_dword v124, off, s[0:3], 0 offset:304
	buffer_store_dword v124, off, s[0:3], 0 offset:308
	s_waitcnt vmcnt(2)
	ds_write_b64 v121, v[122:123]
.LBB123_291:
	s_or_b64 exec, exec, s[4:5]
	s_waitcnt lgkmcnt(0)
	; wave barrier
	buffer_load_dword v131, off, s[0:3], 0 offset:312
	buffer_load_dword v132, off, s[0:3], 0 offset:316
	;; [unrolled: 1-line block ×21, first 2 shown]
	v_mov_b32_e32 v122, 0
	ds_read2_b64 v[123:126], v122 offset0:99 offset1:100
	ds_read2_b64 v[127:130], v122 offset0:101 offset1:102
	buffer_load_dword v148, off, s[0:3], 0 offset:396
	v_cmp_lt_u32_e32 vcc, 37, v0
	s_waitcnt vmcnt(20) lgkmcnt(1)
	v_fma_f64 v[123:124], v[131:132], v[123:124], 0
	s_waitcnt vmcnt(18)
	v_fma_f64 v[123:124], v[133:134], v[125:126], v[123:124]
	buffer_load_dword v132, off, s[0:3], 0 offset:404
	buffer_load_dword v133, off, s[0:3], 0 offset:424
	;; [unrolled: 1-line block ×7, first 2 shown]
	s_waitcnt vmcnt(23) lgkmcnt(0)
	v_fma_f64 v[123:124], v[135:136], v[127:128], v[123:124]
	s_waitcnt vmcnt(21)
	v_fma_f64 v[134:135], v[137:138], v[129:130], v[123:124]
	ds_read2_b64 v[123:126], v122 offset0:103 offset1:104
	ds_read2_b64 v[127:130], v122 offset0:105 offset1:106
	s_waitcnt vmcnt(19) lgkmcnt(1)
	v_fma_f64 v[123:124], v[139:140], v[123:124], v[134:135]
	buffer_load_dword v134, off, s[0:3], 0 offset:428
	s_waitcnt vmcnt(18)
	v_fma_f64 v[123:124], v[141:142], v[125:126], v[123:124]
	buffer_load_dword v136, off, s[0:3], 0 offset:436
	buffer_load_dword v137, off, s[0:3], 0 offset:456
	;; [unrolled: 1-line block ×7, first 2 shown]
	s_waitcnt vmcnt(23) lgkmcnt(0)
	v_fma_f64 v[123:124], v[143:144], v[127:128], v[123:124]
	s_waitcnt vmcnt(18)
	v_fma_f64 v[143:144], v[145:146], v[129:130], v[123:124]
	ds_read2_b64 v[123:126], v122 offset0:107 offset1:108
	ds_read2_b64 v[127:130], v122 offset0:109 offset1:110
	buffer_load_dword v138, off, s[0:3], 0 offset:460
	s_waitcnt vmcnt(18) lgkmcnt(1)
	v_fma_f64 v[123:124], v[151:152], v[123:124], v[143:144]
	buffer_load_dword v144, off, s[0:3], 0 offset:468
	buffer_load_dword v145, off, s[0:3], 0 offset:472
	;; [unrolled: 1-line block ×4, first 2 shown]
	s_waitcnt vmcnt(21)
	v_fma_f64 v[123:124], v[149:150], v[125:126], v[123:124]
	s_waitcnt vmcnt(20) lgkmcnt(0)
	v_fma_f64 v[123:124], v[147:148], v[127:128], v[123:124]
	buffer_load_dword v147, off, s[0:3], 0 offset:304
	buffer_load_dword v148, off, s[0:3], 0 offset:308
	s_waitcnt vmcnt(17)
	v_fma_f64 v[131:132], v[131:132], v[129:130], v[123:124]
	ds_read2_b64 v[123:126], v122 offset0:111 offset1:112
	ds_read2_b64 v[127:130], v122 offset0:113 offset1:114
	s_waitcnt vmcnt(16) lgkmcnt(1)
	v_fma_f64 v[123:124], v[155:156], v[123:124], v[131:132]
	s_waitcnt vmcnt(15)
	v_fma_f64 v[123:124], v[153:154], v[125:126], v[123:124]
	s_waitcnt vmcnt(14) lgkmcnt(0)
	v_fma_f64 v[123:124], v[133:134], v[127:128], v[123:124]
	s_waitcnt vmcnt(9)
	v_fma_f64 v[131:132], v[135:136], v[129:130], v[123:124]
	ds_read2_b64 v[123:126], v122 offset0:115 offset1:116
	ds_read2_b64 v[127:130], v122 offset0:117 offset1:118
	s_waitcnt vmcnt(8) lgkmcnt(1)
	v_fma_f64 v[123:124], v[141:142], v[123:124], v[131:132]
	s_waitcnt vmcnt(7)
	v_fma_f64 v[123:124], v[139:140], v[125:126], v[123:124]
	ds_read_b64 v[125:126], v122 offset:952
	s_waitcnt vmcnt(6) lgkmcnt(1)
	v_fma_f64 v[123:124], v[137:138], v[127:128], v[123:124]
	s_waitcnt vmcnt(3)
	v_fma_f64 v[123:124], v[143:144], v[129:130], v[123:124]
	s_waitcnt vmcnt(2) lgkmcnt(0)
	v_fma_f64 v[123:124], v[145:146], v[125:126], v[123:124]
	s_waitcnt vmcnt(0)
	v_add_f64 v[123:124], v[147:148], -v[123:124]
	buffer_store_dword v124, off, s[0:3], 0 offset:308
	buffer_store_dword v123, off, s[0:3], 0 offset:304
	s_and_saveexec_b64 s[4:5], vcc
	s_cbranch_execz .LBB123_293
; %bb.292:
	buffer_load_dword v123, off, s[0:3], 0 offset:296
	buffer_load_dword v124, off, s[0:3], 0 offset:300
	s_waitcnt vmcnt(0)
	ds_write_b64 v121, v[123:124]
	buffer_store_dword v122, off, s[0:3], 0 offset:296
	buffer_store_dword v122, off, s[0:3], 0 offset:300
.LBB123_293:
	s_or_b64 exec, exec, s[4:5]
	s_waitcnt lgkmcnt(0)
	; wave barrier
	buffer_load_dword v131, off, s[0:3], 0 offset:304
	buffer_load_dword v132, off, s[0:3], 0 offset:308
	;; [unrolled: 1-line block ×21, first 2 shown]
	ds_read_b128 v[123:126], v122 offset:784
	ds_read_b128 v[127:130], v122 offset:800
	buffer_load_dword v148, off, s[0:3], 0 offset:388
	v_cmp_lt_u32_e32 vcc, 36, v0
	s_waitcnt vmcnt(20) lgkmcnt(1)
	v_fma_f64 v[123:124], v[131:132], v[123:124], 0
	s_waitcnt vmcnt(18)
	v_fma_f64 v[123:124], v[133:134], v[125:126], v[123:124]
	buffer_load_dword v132, off, s[0:3], 0 offset:396
	buffer_load_dword v133, off, s[0:3], 0 offset:416
	;; [unrolled: 1-line block ×7, first 2 shown]
	s_waitcnt vmcnt(23) lgkmcnt(0)
	v_fma_f64 v[123:124], v[135:136], v[127:128], v[123:124]
	s_waitcnt vmcnt(21)
	v_fma_f64 v[134:135], v[137:138], v[129:130], v[123:124]
	ds_read_b128 v[123:126], v122 offset:816
	ds_read_b128 v[127:130], v122 offset:832
	s_waitcnt vmcnt(19) lgkmcnt(1)
	v_fma_f64 v[123:124], v[139:140], v[123:124], v[134:135]
	buffer_load_dword v134, off, s[0:3], 0 offset:420
	s_waitcnt vmcnt(18)
	v_fma_f64 v[123:124], v[141:142], v[125:126], v[123:124]
	buffer_load_dword v136, off, s[0:3], 0 offset:428
	buffer_load_dword v137, off, s[0:3], 0 offset:448
	buffer_load_dword v139, off, s[0:3], 0 offset:440
	buffer_load_dword v141, off, s[0:3], 0 offset:432
	buffer_load_dword v135, off, s[0:3], 0 offset:424
	buffer_load_dword v142, off, s[0:3], 0 offset:436
	buffer_load_dword v140, off, s[0:3], 0 offset:444
	buffer_load_dword v138, off, s[0:3], 0 offset:452
	s_waitcnt vmcnt(24) lgkmcnt(0)
	v_fma_f64 v[123:124], v[143:144], v[127:128], v[123:124]
	s_waitcnt vmcnt(19)
	v_fma_f64 v[143:144], v[145:146], v[129:130], v[123:124]
	ds_read_b128 v[123:126], v122 offset:848
	ds_read_b128 v[127:130], v122 offset:864
	s_waitcnt vmcnt(18) lgkmcnt(1)
	v_fma_f64 v[123:124], v[151:152], v[123:124], v[143:144]
	s_waitcnt vmcnt(17)
	v_fma_f64 v[123:124], v[149:150], v[125:126], v[123:124]
	buffer_load_dword v144, off, s[0:3], 0 offset:460
	buffer_load_dword v145, off, s[0:3], 0 offset:472
	;; [unrolled: 1-line block ×6, first 2 shown]
	s_waitcnt vmcnt(22) lgkmcnt(0)
	v_fma_f64 v[123:124], v[147:148], v[127:128], v[123:124]
	s_waitcnt vmcnt(17)
	v_fma_f64 v[131:132], v[131:132], v[129:130], v[123:124]
	ds_read_b128 v[123:126], v122 offset:880
	buffer_load_dword v147, off, s[0:3], 0 offset:296
	buffer_load_dword v148, off, s[0:3], 0 offset:300
	ds_read_b128 v[127:130], v122 offset:896
	s_waitcnt vmcnt(18) lgkmcnt(1)
	v_fma_f64 v[123:124], v[155:156], v[123:124], v[131:132]
	s_waitcnt vmcnt(17)
	v_fma_f64 v[123:124], v[153:154], v[125:126], v[123:124]
	s_waitcnt vmcnt(16) lgkmcnt(0)
	v_fma_f64 v[123:124], v[133:134], v[127:128], v[123:124]
	s_waitcnt vmcnt(11)
	v_fma_f64 v[131:132], v[135:136], v[129:130], v[123:124]
	ds_read_b128 v[123:126], v122 offset:912
	ds_read_b128 v[127:130], v122 offset:928
	s_waitcnt vmcnt(10) lgkmcnt(1)
	v_fma_f64 v[123:124], v[141:142], v[123:124], v[131:132]
	s_waitcnt vmcnt(9)
	v_fma_f64 v[123:124], v[139:140], v[125:126], v[123:124]
	s_waitcnt vmcnt(8) lgkmcnt(0)
	v_fma_f64 v[123:124], v[137:138], v[127:128], v[123:124]
	s_waitcnt vmcnt(4)
	v_fma_f64 v[126:127], v[143:144], v[129:130], v[123:124]
	ds_read_b128 v[122:125], v122 offset:944
	s_waitcnt vmcnt(3) lgkmcnt(0)
	v_fma_f64 v[122:123], v[149:150], v[122:123], v[126:127]
	s_waitcnt vmcnt(2)
	v_fma_f64 v[122:123], v[145:146], v[124:125], v[122:123]
	s_waitcnt vmcnt(0)
	v_add_f64 v[122:123], v[147:148], -v[122:123]
	buffer_store_dword v123, off, s[0:3], 0 offset:300
	buffer_store_dword v122, off, s[0:3], 0 offset:296
	s_and_saveexec_b64 s[4:5], vcc
	s_cbranch_execz .LBB123_295
; %bb.294:
	buffer_load_dword v122, off, s[0:3], 0 offset:288
	buffer_load_dword v123, off, s[0:3], 0 offset:292
	v_mov_b32_e32 v124, 0
	buffer_store_dword v124, off, s[0:3], 0 offset:288
	buffer_store_dword v124, off, s[0:3], 0 offset:292
	s_waitcnt vmcnt(2)
	ds_write_b64 v121, v[122:123]
.LBB123_295:
	s_or_b64 exec, exec, s[4:5]
	s_waitcnt lgkmcnt(0)
	; wave barrier
	buffer_load_dword v131, off, s[0:3], 0 offset:296
	buffer_load_dword v132, off, s[0:3], 0 offset:300
	;; [unrolled: 1-line block ×21, first 2 shown]
	v_mov_b32_e32 v122, 0
	ds_read2_b64 v[123:126], v122 offset0:97 offset1:98
	ds_read2_b64 v[127:130], v122 offset0:99 offset1:100
	buffer_load_dword v148, off, s[0:3], 0 offset:380
	v_cmp_lt_u32_e32 vcc, 35, v0
	s_waitcnt vmcnt(20) lgkmcnt(1)
	v_fma_f64 v[123:124], v[131:132], v[123:124], 0
	s_waitcnt vmcnt(18)
	v_fma_f64 v[123:124], v[133:134], v[125:126], v[123:124]
	buffer_load_dword v132, off, s[0:3], 0 offset:388
	buffer_load_dword v133, off, s[0:3], 0 offset:408
	;; [unrolled: 1-line block ×7, first 2 shown]
	s_waitcnt vmcnt(23) lgkmcnt(0)
	v_fma_f64 v[123:124], v[135:136], v[127:128], v[123:124]
	s_waitcnt vmcnt(21)
	v_fma_f64 v[134:135], v[137:138], v[129:130], v[123:124]
	ds_read2_b64 v[123:126], v122 offset0:101 offset1:102
	ds_read2_b64 v[127:130], v122 offset0:103 offset1:104
	s_waitcnt vmcnt(19) lgkmcnt(1)
	v_fma_f64 v[123:124], v[139:140], v[123:124], v[134:135]
	buffer_load_dword v134, off, s[0:3], 0 offset:412
	s_waitcnt vmcnt(18)
	v_fma_f64 v[123:124], v[141:142], v[125:126], v[123:124]
	buffer_load_dword v136, off, s[0:3], 0 offset:420
	buffer_load_dword v137, off, s[0:3], 0 offset:440
	;; [unrolled: 1-line block ×8, first 2 shown]
	s_waitcnt vmcnt(24) lgkmcnt(0)
	v_fma_f64 v[123:124], v[143:144], v[127:128], v[123:124]
	s_waitcnt vmcnt(19)
	v_fma_f64 v[143:144], v[145:146], v[129:130], v[123:124]
	ds_read2_b64 v[123:126], v122 offset0:105 offset1:106
	ds_read2_b64 v[127:130], v122 offset0:107 offset1:108
	s_waitcnt vmcnt(18) lgkmcnt(1)
	v_fma_f64 v[123:124], v[151:152], v[123:124], v[143:144]
	s_waitcnt vmcnt(17)
	v_fma_f64 v[123:124], v[149:150], v[125:126], v[123:124]
	buffer_load_dword v144, off, s[0:3], 0 offset:452
	buffer_load_dword v145, off, s[0:3], 0 offset:472
	buffer_load_dword v149, off, s[0:3], 0 offset:464
	buffer_load_dword v151, off, s[0:3], 0 offset:456
	buffer_load_dword v143, off, s[0:3], 0 offset:448
	buffer_load_dword v152, off, s[0:3], 0 offset:460
	buffer_load_dword v150, off, s[0:3], 0 offset:468
	buffer_load_dword v146, off, s[0:3], 0 offset:476
	s_waitcnt vmcnt(24) lgkmcnt(0)
	v_fma_f64 v[123:124], v[147:148], v[127:128], v[123:124]
	s_waitcnt vmcnt(19)
	v_fma_f64 v[131:132], v[131:132], v[129:130], v[123:124]
	ds_read2_b64 v[123:126], v122 offset0:109 offset1:110
	ds_read2_b64 v[127:130], v122 offset0:111 offset1:112
	s_waitcnt vmcnt(18) lgkmcnt(1)
	v_fma_f64 v[123:124], v[155:156], v[123:124], v[131:132]
	buffer_load_dword v131, off, s[0:3], 0 offset:288
	buffer_load_dword v132, off, s[0:3], 0 offset:292
	s_waitcnt vmcnt(19)
	v_fma_f64 v[123:124], v[153:154], v[125:126], v[123:124]
	s_waitcnt vmcnt(18) lgkmcnt(0)
	v_fma_f64 v[123:124], v[133:134], v[127:128], v[123:124]
	s_waitcnt vmcnt(13)
	v_fma_f64 v[133:134], v[135:136], v[129:130], v[123:124]
	ds_read2_b64 v[123:126], v122 offset0:113 offset1:114
	ds_read2_b64 v[127:130], v122 offset0:115 offset1:116
	s_waitcnt vmcnt(12) lgkmcnt(1)
	v_fma_f64 v[123:124], v[141:142], v[123:124], v[133:134]
	s_waitcnt vmcnt(11)
	v_fma_f64 v[123:124], v[139:140], v[125:126], v[123:124]
	s_waitcnt vmcnt(10) lgkmcnt(0)
	v_fma_f64 v[123:124], v[137:138], v[127:128], v[123:124]
	s_waitcnt vmcnt(5)
	v_fma_f64 v[127:128], v[143:144], v[129:130], v[123:124]
	ds_read2_b64 v[123:126], v122 offset0:117 offset1:118
	ds_read_b64 v[129:130], v122 offset:952
	s_waitcnt vmcnt(4) lgkmcnt(1)
	v_fma_f64 v[123:124], v[151:152], v[123:124], v[127:128]
	s_waitcnt vmcnt(3)
	v_fma_f64 v[123:124], v[149:150], v[125:126], v[123:124]
	s_waitcnt vmcnt(2) lgkmcnt(0)
	v_fma_f64 v[123:124], v[145:146], v[129:130], v[123:124]
	s_waitcnt vmcnt(0)
	v_add_f64 v[123:124], v[131:132], -v[123:124]
	buffer_store_dword v124, off, s[0:3], 0 offset:292
	buffer_store_dword v123, off, s[0:3], 0 offset:288
	s_and_saveexec_b64 s[4:5], vcc
	s_cbranch_execz .LBB123_297
; %bb.296:
	buffer_load_dword v123, off, s[0:3], 0 offset:280
	buffer_load_dword v124, off, s[0:3], 0 offset:284
	s_waitcnt vmcnt(0)
	ds_write_b64 v121, v[123:124]
	buffer_store_dword v122, off, s[0:3], 0 offset:280
	buffer_store_dword v122, off, s[0:3], 0 offset:284
.LBB123_297:
	s_or_b64 exec, exec, s[4:5]
	s_waitcnt lgkmcnt(0)
	; wave barrier
	buffer_load_dword v131, off, s[0:3], 0 offset:288
	buffer_load_dword v132, off, s[0:3], 0 offset:292
	buffer_load_dword v133, off, s[0:3], 0 offset:296
	buffer_load_dword v134, off, s[0:3], 0 offset:300
	buffer_load_dword v135, off, s[0:3], 0 offset:304
	buffer_load_dword v136, off, s[0:3], 0 offset:308
	buffer_load_dword v137, off, s[0:3], 0 offset:312
	buffer_load_dword v138, off, s[0:3], 0 offset:316
	buffer_load_dword v139, off, s[0:3], 0 offset:320
	buffer_load_dword v140, off, s[0:3], 0 offset:324
	buffer_load_dword v141, off, s[0:3], 0 offset:328
	buffer_load_dword v142, off, s[0:3], 0 offset:332
	buffer_load_dword v143, off, s[0:3], 0 offset:336
	buffer_load_dword v144, off, s[0:3], 0 offset:340
	buffer_load_dword v146, off, s[0:3], 0 offset:348
	buffer_load_dword v147, off, s[0:3], 0 offset:368
	buffer_load_dword v149, off, s[0:3], 0 offset:360
	buffer_load_dword v151, off, s[0:3], 0 offset:352
	buffer_load_dword v145, off, s[0:3], 0 offset:344
	buffer_load_dword v152, off, s[0:3], 0 offset:356
	buffer_load_dword v150, off, s[0:3], 0 offset:364
	ds_read_b128 v[123:126], v122 offset:768
	ds_read_b128 v[127:130], v122 offset:784
	buffer_load_dword v148, off, s[0:3], 0 offset:372
	v_cmp_lt_u32_e32 vcc, 34, v0
	s_waitcnt vmcnt(20) lgkmcnt(1)
	v_fma_f64 v[123:124], v[131:132], v[123:124], 0
	s_waitcnt vmcnt(18)
	v_fma_f64 v[123:124], v[133:134], v[125:126], v[123:124]
	buffer_load_dword v132, off, s[0:3], 0 offset:380
	buffer_load_dword v133, off, s[0:3], 0 offset:400
	;; [unrolled: 1-line block ×7, first 2 shown]
	s_waitcnt vmcnt(23) lgkmcnt(0)
	v_fma_f64 v[123:124], v[135:136], v[127:128], v[123:124]
	s_waitcnt vmcnt(21)
	v_fma_f64 v[134:135], v[137:138], v[129:130], v[123:124]
	ds_read_b128 v[123:126], v122 offset:800
	ds_read_b128 v[127:130], v122 offset:816
	s_waitcnt vmcnt(19) lgkmcnt(1)
	v_fma_f64 v[123:124], v[139:140], v[123:124], v[134:135]
	buffer_load_dword v134, off, s[0:3], 0 offset:404
	s_waitcnt vmcnt(18)
	v_fma_f64 v[123:124], v[141:142], v[125:126], v[123:124]
	buffer_load_dword v136, off, s[0:3], 0 offset:412
	buffer_load_dword v137, off, s[0:3], 0 offset:432
	;; [unrolled: 1-line block ×8, first 2 shown]
	s_waitcnt vmcnt(24) lgkmcnt(0)
	v_fma_f64 v[123:124], v[143:144], v[127:128], v[123:124]
	s_waitcnt vmcnt(19)
	v_fma_f64 v[143:144], v[145:146], v[129:130], v[123:124]
	ds_read_b128 v[123:126], v122 offset:832
	ds_read_b128 v[127:130], v122 offset:848
	s_waitcnt vmcnt(18) lgkmcnt(1)
	v_fma_f64 v[123:124], v[151:152], v[123:124], v[143:144]
	s_waitcnt vmcnt(17)
	v_fma_f64 v[123:124], v[149:150], v[125:126], v[123:124]
	buffer_load_dword v144, off, s[0:3], 0 offset:444
	buffer_load_dword v145, off, s[0:3], 0 offset:464
	;; [unrolled: 1-line block ×8, first 2 shown]
	s_waitcnt vmcnt(24) lgkmcnt(0)
	v_fma_f64 v[123:124], v[147:148], v[127:128], v[123:124]
	s_waitcnt vmcnt(19)
	v_fma_f64 v[131:132], v[131:132], v[129:130], v[123:124]
	ds_read_b128 v[123:126], v122 offset:864
	ds_read_b128 v[127:130], v122 offset:880
	s_waitcnt vmcnt(18) lgkmcnt(1)
	v_fma_f64 v[123:124], v[155:156], v[123:124], v[131:132]
	buffer_load_dword v132, off, s[0:3], 0 offset:476
	buffer_load_dword v131, off, s[0:3], 0 offset:472
	;; [unrolled: 1-line block ×4, first 2 shown]
	s_waitcnt vmcnt(21)
	v_fma_f64 v[123:124], v[153:154], v[125:126], v[123:124]
	s_waitcnt vmcnt(20) lgkmcnt(0)
	v_fma_f64 v[123:124], v[133:134], v[127:128], v[123:124]
	s_waitcnt vmcnt(15)
	v_fma_f64 v[133:134], v[135:136], v[129:130], v[123:124]
	ds_read_b128 v[123:126], v122 offset:896
	ds_read_b128 v[127:130], v122 offset:912
	s_waitcnt vmcnt(14) lgkmcnt(1)
	v_fma_f64 v[123:124], v[141:142], v[123:124], v[133:134]
	s_waitcnt vmcnt(13)
	v_fma_f64 v[123:124], v[139:140], v[125:126], v[123:124]
	s_waitcnt vmcnt(12) lgkmcnt(0)
	v_fma_f64 v[123:124], v[137:138], v[127:128], v[123:124]
	s_waitcnt vmcnt(7)
	v_fma_f64 v[133:134], v[143:144], v[129:130], v[123:124]
	ds_read_b128 v[123:126], v122 offset:928
	ds_read_b128 v[127:130], v122 offset:944
	s_waitcnt vmcnt(6) lgkmcnt(1)
	v_fma_f64 v[122:123], v[151:152], v[123:124], v[133:134]
	s_waitcnt vmcnt(5)
	v_fma_f64 v[122:123], v[149:150], v[125:126], v[122:123]
	s_waitcnt vmcnt(4) lgkmcnt(0)
	v_fma_f64 v[122:123], v[145:146], v[127:128], v[122:123]
	s_waitcnt vmcnt(2)
	v_fma_f64 v[122:123], v[131:132], v[129:130], v[122:123]
	s_waitcnt vmcnt(0)
	v_add_f64 v[122:123], v[147:148], -v[122:123]
	buffer_store_dword v123, off, s[0:3], 0 offset:284
	buffer_store_dword v122, off, s[0:3], 0 offset:280
	s_and_saveexec_b64 s[4:5], vcc
	s_cbranch_execz .LBB123_299
; %bb.298:
	buffer_load_dword v122, off, s[0:3], 0 offset:272
	buffer_load_dword v123, off, s[0:3], 0 offset:276
	v_mov_b32_e32 v124, 0
	buffer_store_dword v124, off, s[0:3], 0 offset:272
	buffer_store_dword v124, off, s[0:3], 0 offset:276
	s_waitcnt vmcnt(2)
	ds_write_b64 v121, v[122:123]
.LBB123_299:
	s_or_b64 exec, exec, s[4:5]
	s_waitcnt lgkmcnt(0)
	; wave barrier
	buffer_load_dword v131, off, s[0:3], 0 offset:280
	buffer_load_dword v132, off, s[0:3], 0 offset:284
	;; [unrolled: 1-line block ×21, first 2 shown]
	v_mov_b32_e32 v122, 0
	ds_read2_b64 v[123:126], v122 offset0:95 offset1:96
	ds_read2_b64 v[127:130], v122 offset0:97 offset1:98
	buffer_load_dword v148, off, s[0:3], 0 offset:364
	v_cmp_lt_u32_e32 vcc, 33, v0
	s_waitcnt vmcnt(20) lgkmcnt(1)
	v_fma_f64 v[123:124], v[131:132], v[123:124], 0
	s_waitcnt vmcnt(18)
	v_fma_f64 v[123:124], v[133:134], v[125:126], v[123:124]
	buffer_load_dword v132, off, s[0:3], 0 offset:372
	buffer_load_dword v133, off, s[0:3], 0 offset:392
	;; [unrolled: 1-line block ×7, first 2 shown]
	s_waitcnt vmcnt(23) lgkmcnt(0)
	v_fma_f64 v[123:124], v[135:136], v[127:128], v[123:124]
	s_waitcnt vmcnt(21)
	v_fma_f64 v[134:135], v[137:138], v[129:130], v[123:124]
	ds_read2_b64 v[123:126], v122 offset0:99 offset1:100
	ds_read2_b64 v[127:130], v122 offset0:101 offset1:102
	s_waitcnt vmcnt(19) lgkmcnt(1)
	v_fma_f64 v[123:124], v[139:140], v[123:124], v[134:135]
	buffer_load_dword v134, off, s[0:3], 0 offset:396
	s_waitcnt vmcnt(18)
	v_fma_f64 v[123:124], v[141:142], v[125:126], v[123:124]
	buffer_load_dword v136, off, s[0:3], 0 offset:404
	buffer_load_dword v137, off, s[0:3], 0 offset:424
	;; [unrolled: 1-line block ×8, first 2 shown]
	s_waitcnt vmcnt(24) lgkmcnt(0)
	v_fma_f64 v[123:124], v[143:144], v[127:128], v[123:124]
	s_waitcnt vmcnt(19)
	v_fma_f64 v[143:144], v[145:146], v[129:130], v[123:124]
	ds_read2_b64 v[123:126], v122 offset0:103 offset1:104
	ds_read2_b64 v[127:130], v122 offset0:105 offset1:106
	s_waitcnt vmcnt(18) lgkmcnt(1)
	v_fma_f64 v[123:124], v[151:152], v[123:124], v[143:144]
	s_waitcnt vmcnt(17)
	v_fma_f64 v[123:124], v[149:150], v[125:126], v[123:124]
	buffer_load_dword v144, off, s[0:3], 0 offset:436
	buffer_load_dword v145, off, s[0:3], 0 offset:456
	;; [unrolled: 1-line block ×7, first 2 shown]
	s_waitcnt vmcnt(23) lgkmcnt(0)
	v_fma_f64 v[123:124], v[147:148], v[127:128], v[123:124]
	s_waitcnt vmcnt(18)
	v_fma_f64 v[131:132], v[131:132], v[129:130], v[123:124]
	ds_read2_b64 v[123:126], v122 offset0:107 offset1:108
	ds_read2_b64 v[127:130], v122 offset0:109 offset1:110
	buffer_load_dword v146, off, s[0:3], 0 offset:460
	s_waitcnt vmcnt(18) lgkmcnt(1)
	v_fma_f64 v[123:124], v[155:156], v[123:124], v[131:132]
	buffer_load_dword v132, off, s[0:3], 0 offset:468
	buffer_load_dword v147, off, s[0:3], 0 offset:472
	;; [unrolled: 1-line block ×4, first 2 shown]
	s_waitcnt vmcnt(21)
	v_fma_f64 v[123:124], v[153:154], v[125:126], v[123:124]
	s_waitcnt vmcnt(20) lgkmcnt(0)
	v_fma_f64 v[123:124], v[133:134], v[127:128], v[123:124]
	buffer_load_dword v133, off, s[0:3], 0 offset:272
	buffer_load_dword v134, off, s[0:3], 0 offset:276
	s_waitcnt vmcnt(17)
	v_fma_f64 v[135:136], v[135:136], v[129:130], v[123:124]
	ds_read2_b64 v[123:126], v122 offset0:111 offset1:112
	ds_read2_b64 v[127:130], v122 offset0:113 offset1:114
	s_waitcnt vmcnt(16) lgkmcnt(1)
	v_fma_f64 v[123:124], v[141:142], v[123:124], v[135:136]
	s_waitcnt vmcnt(15)
	v_fma_f64 v[123:124], v[139:140], v[125:126], v[123:124]
	s_waitcnt vmcnt(14) lgkmcnt(0)
	v_fma_f64 v[123:124], v[137:138], v[127:128], v[123:124]
	s_waitcnt vmcnt(9)
	v_fma_f64 v[135:136], v[143:144], v[129:130], v[123:124]
	ds_read2_b64 v[123:126], v122 offset0:115 offset1:116
	ds_read2_b64 v[127:130], v122 offset0:117 offset1:118
	s_waitcnt vmcnt(8) lgkmcnt(1)
	v_fma_f64 v[123:124], v[151:152], v[123:124], v[135:136]
	s_waitcnt vmcnt(7)
	v_fma_f64 v[123:124], v[149:150], v[125:126], v[123:124]
	ds_read_b64 v[125:126], v122 offset:952
	s_waitcnt vmcnt(6) lgkmcnt(1)
	v_fma_f64 v[123:124], v[145:146], v[127:128], v[123:124]
	s_waitcnt vmcnt(3)
	v_fma_f64 v[123:124], v[131:132], v[129:130], v[123:124]
	s_waitcnt vmcnt(2) lgkmcnt(0)
	v_fma_f64 v[123:124], v[147:148], v[125:126], v[123:124]
	s_waitcnt vmcnt(0)
	v_add_f64 v[123:124], v[133:134], -v[123:124]
	buffer_store_dword v124, off, s[0:3], 0 offset:276
	buffer_store_dword v123, off, s[0:3], 0 offset:272
	s_and_saveexec_b64 s[4:5], vcc
	s_cbranch_execz .LBB123_301
; %bb.300:
	buffer_load_dword v123, off, s[0:3], 0 offset:264
	buffer_load_dword v124, off, s[0:3], 0 offset:268
	s_waitcnt vmcnt(0)
	ds_write_b64 v121, v[123:124]
	buffer_store_dword v122, off, s[0:3], 0 offset:264
	buffer_store_dword v122, off, s[0:3], 0 offset:268
.LBB123_301:
	s_or_b64 exec, exec, s[4:5]
	s_waitcnt lgkmcnt(0)
	; wave barrier
	buffer_load_dword v131, off, s[0:3], 0 offset:272
	buffer_load_dword v132, off, s[0:3], 0 offset:276
	;; [unrolled: 1-line block ×22, first 2 shown]
	ds_read_b128 v[123:126], v122 offset:752
	ds_read_b128 v[127:130], v122 offset:768
	v_cmp_lt_u32_e32 vcc, 32, v0
	s_waitcnt vmcnt(20) lgkmcnt(1)
	v_fma_f64 v[123:124], v[131:132], v[123:124], 0
	s_waitcnt vmcnt(18)
	v_fma_f64 v[123:124], v[133:134], v[125:126], v[123:124]
	buffer_load_dword v132, off, s[0:3], 0 offset:364
	buffer_load_dword v133, off, s[0:3], 0 offset:384
	;; [unrolled: 1-line block ×7, first 2 shown]
	s_waitcnt vmcnt(23) lgkmcnt(0)
	v_fma_f64 v[123:124], v[135:136], v[127:128], v[123:124]
	s_waitcnt vmcnt(21)
	v_fma_f64 v[134:135], v[137:138], v[129:130], v[123:124]
	ds_read_b128 v[123:126], v122 offset:784
	ds_read_b128 v[127:130], v122 offset:800
	s_waitcnt vmcnt(19) lgkmcnt(1)
	v_fma_f64 v[123:124], v[139:140], v[123:124], v[134:135]
	buffer_load_dword v134, off, s[0:3], 0 offset:388
	s_waitcnt vmcnt(18)
	v_fma_f64 v[123:124], v[141:142], v[125:126], v[123:124]
	buffer_load_dword v136, off, s[0:3], 0 offset:396
	buffer_load_dword v137, off, s[0:3], 0 offset:416
	;; [unrolled: 1-line block ×8, first 2 shown]
	s_waitcnt vmcnt(24) lgkmcnt(0)
	v_fma_f64 v[123:124], v[143:144], v[127:128], v[123:124]
	s_waitcnt vmcnt(19)
	v_fma_f64 v[143:144], v[145:146], v[129:130], v[123:124]
	ds_read_b128 v[123:126], v122 offset:816
	ds_read_b128 v[127:130], v122 offset:832
	s_waitcnt vmcnt(18) lgkmcnt(1)
	v_fma_f64 v[123:124], v[151:152], v[123:124], v[143:144]
	s_waitcnt vmcnt(17)
	v_fma_f64 v[123:124], v[149:150], v[125:126], v[123:124]
	buffer_load_dword v144, off, s[0:3], 0 offset:428
	buffer_load_dword v145, off, s[0:3], 0 offset:448
	;; [unrolled: 1-line block ×8, first 2 shown]
	s_waitcnt vmcnt(24) lgkmcnt(0)
	v_fma_f64 v[123:124], v[147:148], v[127:128], v[123:124]
	s_waitcnt vmcnt(19)
	v_fma_f64 v[131:132], v[131:132], v[129:130], v[123:124]
	ds_read_b128 v[123:126], v122 offset:848
	ds_read_b128 v[127:130], v122 offset:864
	s_waitcnt vmcnt(18) lgkmcnt(1)
	v_fma_f64 v[123:124], v[155:156], v[123:124], v[131:132]
	s_waitcnt vmcnt(17)
	v_fma_f64 v[123:124], v[153:154], v[125:126], v[123:124]
	buffer_load_dword v132, off, s[0:3], 0 offset:460
	buffer_load_dword v147, off, s[0:3], 0 offset:472
	;; [unrolled: 1-line block ×6, first 2 shown]
	s_waitcnt vmcnt(22) lgkmcnt(0)
	v_fma_f64 v[123:124], v[133:134], v[127:128], v[123:124]
	s_waitcnt vmcnt(17)
	v_fma_f64 v[133:134], v[135:136], v[129:130], v[123:124]
	ds_read_b128 v[123:126], v122 offset:880
	buffer_load_dword v135, off, s[0:3], 0 offset:264
	buffer_load_dword v136, off, s[0:3], 0 offset:268
	ds_read_b128 v[127:130], v122 offset:896
	s_waitcnt vmcnt(18) lgkmcnt(1)
	v_fma_f64 v[123:124], v[141:142], v[123:124], v[133:134]
	s_waitcnt vmcnt(17)
	v_fma_f64 v[123:124], v[139:140], v[125:126], v[123:124]
	s_waitcnt vmcnt(16) lgkmcnt(0)
	v_fma_f64 v[123:124], v[137:138], v[127:128], v[123:124]
	s_waitcnt vmcnt(11)
	v_fma_f64 v[133:134], v[143:144], v[129:130], v[123:124]
	ds_read_b128 v[123:126], v122 offset:912
	ds_read_b128 v[127:130], v122 offset:928
	s_waitcnt vmcnt(10) lgkmcnt(1)
	v_fma_f64 v[123:124], v[151:152], v[123:124], v[133:134]
	s_waitcnt vmcnt(9)
	v_fma_f64 v[123:124], v[149:150], v[125:126], v[123:124]
	s_waitcnt vmcnt(8) lgkmcnt(0)
	v_fma_f64 v[123:124], v[145:146], v[127:128], v[123:124]
	s_waitcnt vmcnt(4)
	v_fma_f64 v[126:127], v[131:132], v[129:130], v[123:124]
	ds_read_b128 v[122:125], v122 offset:944
	s_waitcnt vmcnt(3) lgkmcnt(0)
	v_fma_f64 v[122:123], v[153:154], v[122:123], v[126:127]
	s_waitcnt vmcnt(2)
	v_fma_f64 v[122:123], v[147:148], v[124:125], v[122:123]
	s_waitcnt vmcnt(0)
	v_add_f64 v[122:123], v[135:136], -v[122:123]
	buffer_store_dword v123, off, s[0:3], 0 offset:268
	buffer_store_dword v122, off, s[0:3], 0 offset:264
	s_and_saveexec_b64 s[4:5], vcc
	s_cbranch_execz .LBB123_303
; %bb.302:
	buffer_load_dword v122, off, s[0:3], 0 offset:256
	buffer_load_dword v123, off, s[0:3], 0 offset:260
	v_mov_b32_e32 v124, 0
	buffer_store_dword v124, off, s[0:3], 0 offset:256
	buffer_store_dword v124, off, s[0:3], 0 offset:260
	s_waitcnt vmcnt(2)
	ds_write_b64 v121, v[122:123]
.LBB123_303:
	s_or_b64 exec, exec, s[4:5]
	s_waitcnt lgkmcnt(0)
	; wave barrier
	buffer_load_dword v131, off, s[0:3], 0 offset:264
	buffer_load_dword v132, off, s[0:3], 0 offset:268
	;; [unrolled: 1-line block ×22, first 2 shown]
	v_mov_b32_e32 v122, 0
	ds_read2_b64 v[123:126], v122 offset0:93 offset1:94
	ds_read2_b64 v[127:130], v122 offset0:95 offset1:96
	v_cmp_lt_u32_e32 vcc, 31, v0
	s_waitcnt vmcnt(20) lgkmcnt(1)
	v_fma_f64 v[123:124], v[131:132], v[123:124], 0
	s_waitcnt vmcnt(18)
	v_fma_f64 v[123:124], v[133:134], v[125:126], v[123:124]
	buffer_load_dword v132, off, s[0:3], 0 offset:356
	buffer_load_dword v133, off, s[0:3], 0 offset:376
	;; [unrolled: 1-line block ×7, first 2 shown]
	s_waitcnt vmcnt(23) lgkmcnt(0)
	v_fma_f64 v[123:124], v[135:136], v[127:128], v[123:124]
	s_waitcnt vmcnt(21)
	v_fma_f64 v[134:135], v[137:138], v[129:130], v[123:124]
	ds_read2_b64 v[123:126], v122 offset0:97 offset1:98
	ds_read2_b64 v[127:130], v122 offset0:99 offset1:100
	s_waitcnt vmcnt(19) lgkmcnt(1)
	v_fma_f64 v[123:124], v[139:140], v[123:124], v[134:135]
	buffer_load_dword v134, off, s[0:3], 0 offset:380
	s_waitcnt vmcnt(18)
	v_fma_f64 v[123:124], v[141:142], v[125:126], v[123:124]
	buffer_load_dword v136, off, s[0:3], 0 offset:388
	buffer_load_dword v137, off, s[0:3], 0 offset:408
	buffer_load_dword v139, off, s[0:3], 0 offset:400
	buffer_load_dword v141, off, s[0:3], 0 offset:392
	buffer_load_dword v135, off, s[0:3], 0 offset:384
	buffer_load_dword v142, off, s[0:3], 0 offset:396
	buffer_load_dword v140, off, s[0:3], 0 offset:404
	buffer_load_dword v138, off, s[0:3], 0 offset:412
	s_waitcnt vmcnt(24) lgkmcnt(0)
	v_fma_f64 v[123:124], v[143:144], v[127:128], v[123:124]
	s_waitcnt vmcnt(19)
	v_fma_f64 v[143:144], v[145:146], v[129:130], v[123:124]
	ds_read2_b64 v[123:126], v122 offset0:101 offset1:102
	ds_read2_b64 v[127:130], v122 offset0:103 offset1:104
	s_waitcnt vmcnt(18) lgkmcnt(1)
	v_fma_f64 v[123:124], v[151:152], v[123:124], v[143:144]
	s_waitcnt vmcnt(17)
	v_fma_f64 v[123:124], v[149:150], v[125:126], v[123:124]
	buffer_load_dword v144, off, s[0:3], 0 offset:420
	buffer_load_dword v145, off, s[0:3], 0 offset:440
	buffer_load_dword v149, off, s[0:3], 0 offset:432
	buffer_load_dword v151, off, s[0:3], 0 offset:424
	buffer_load_dword v143, off, s[0:3], 0 offset:416
	buffer_load_dword v152, off, s[0:3], 0 offset:428
	buffer_load_dword v150, off, s[0:3], 0 offset:436
	buffer_load_dword v146, off, s[0:3], 0 offset:444
	s_waitcnt vmcnt(24) lgkmcnt(0)
	v_fma_f64 v[123:124], v[147:148], v[127:128], v[123:124]
	s_waitcnt vmcnt(19)
	v_fma_f64 v[131:132], v[131:132], v[129:130], v[123:124]
	ds_read2_b64 v[123:126], v122 offset0:105 offset1:106
	ds_read2_b64 v[127:130], v122 offset0:107 offset1:108
	s_waitcnt vmcnt(18) lgkmcnt(1)
	v_fma_f64 v[123:124], v[155:156], v[123:124], v[131:132]
	;; [unrolled: 18-line block ×3, first 2 shown]
	buffer_load_dword v133, off, s[0:3], 0 offset:256
	buffer_load_dword v134, off, s[0:3], 0 offset:260
	s_waitcnt vmcnt(19)
	v_fma_f64 v[123:124], v[139:140], v[125:126], v[123:124]
	s_waitcnt vmcnt(18) lgkmcnt(0)
	v_fma_f64 v[123:124], v[137:138], v[127:128], v[123:124]
	s_waitcnt vmcnt(13)
	v_fma_f64 v[135:136], v[143:144], v[129:130], v[123:124]
	ds_read2_b64 v[123:126], v122 offset0:113 offset1:114
	ds_read2_b64 v[127:130], v122 offset0:115 offset1:116
	s_waitcnt vmcnt(12) lgkmcnt(1)
	v_fma_f64 v[123:124], v[151:152], v[123:124], v[135:136]
	s_waitcnt vmcnt(11)
	v_fma_f64 v[123:124], v[149:150], v[125:126], v[123:124]
	s_waitcnt vmcnt(10) lgkmcnt(0)
	v_fma_f64 v[123:124], v[145:146], v[127:128], v[123:124]
	s_waitcnt vmcnt(5)
	v_fma_f64 v[127:128], v[131:132], v[129:130], v[123:124]
	ds_read2_b64 v[123:126], v122 offset0:117 offset1:118
	ds_read_b64 v[129:130], v122 offset:952
	s_waitcnt vmcnt(4) lgkmcnt(1)
	v_fma_f64 v[123:124], v[155:156], v[123:124], v[127:128]
	s_waitcnt vmcnt(3)
	v_fma_f64 v[123:124], v[153:154], v[125:126], v[123:124]
	s_waitcnt vmcnt(2) lgkmcnt(0)
	v_fma_f64 v[123:124], v[147:148], v[129:130], v[123:124]
	s_waitcnt vmcnt(0)
	v_add_f64 v[123:124], v[133:134], -v[123:124]
	buffer_store_dword v124, off, s[0:3], 0 offset:260
	buffer_store_dword v123, off, s[0:3], 0 offset:256
	s_and_saveexec_b64 s[4:5], vcc
	s_cbranch_execz .LBB123_305
; %bb.304:
	buffer_load_dword v123, off, s[0:3], 0 offset:248
	buffer_load_dword v124, off, s[0:3], 0 offset:252
	s_waitcnt vmcnt(0)
	ds_write_b64 v121, v[123:124]
	buffer_store_dword v122, off, s[0:3], 0 offset:248
	buffer_store_dword v122, off, s[0:3], 0 offset:252
.LBB123_305:
	s_or_b64 exec, exec, s[4:5]
	s_waitcnt lgkmcnt(0)
	; wave barrier
	buffer_load_dword v131, off, s[0:3], 0 offset:256
	buffer_load_dword v132, off, s[0:3], 0 offset:260
	;; [unrolled: 1-line block ×22, first 2 shown]
	ds_read_b128 v[123:126], v122 offset:736
	ds_read_b128 v[127:130], v122 offset:752
	v_cmp_lt_u32_e32 vcc, 30, v0
	s_waitcnt vmcnt(20) lgkmcnt(1)
	v_fma_f64 v[123:124], v[131:132], v[123:124], 0
	s_waitcnt vmcnt(18)
	v_fma_f64 v[123:124], v[133:134], v[125:126], v[123:124]
	buffer_load_dword v132, off, s[0:3], 0 offset:348
	buffer_load_dword v133, off, s[0:3], 0 offset:368
	;; [unrolled: 1-line block ×7, first 2 shown]
	s_waitcnt vmcnt(23) lgkmcnt(0)
	v_fma_f64 v[123:124], v[135:136], v[127:128], v[123:124]
	s_waitcnt vmcnt(21)
	v_fma_f64 v[134:135], v[137:138], v[129:130], v[123:124]
	ds_read_b128 v[123:126], v122 offset:768
	ds_read_b128 v[127:130], v122 offset:784
	s_waitcnt vmcnt(19) lgkmcnt(1)
	v_fma_f64 v[123:124], v[139:140], v[123:124], v[134:135]
	buffer_load_dword v134, off, s[0:3], 0 offset:372
	s_waitcnt vmcnt(18)
	v_fma_f64 v[123:124], v[141:142], v[125:126], v[123:124]
	buffer_load_dword v136, off, s[0:3], 0 offset:380
	buffer_load_dword v137, off, s[0:3], 0 offset:400
	buffer_load_dword v139, off, s[0:3], 0 offset:392
	buffer_load_dword v141, off, s[0:3], 0 offset:384
	buffer_load_dword v135, off, s[0:3], 0 offset:376
	buffer_load_dword v142, off, s[0:3], 0 offset:388
	buffer_load_dword v140, off, s[0:3], 0 offset:396
	buffer_load_dword v138, off, s[0:3], 0 offset:404
	s_waitcnt vmcnt(24) lgkmcnt(0)
	v_fma_f64 v[123:124], v[143:144], v[127:128], v[123:124]
	s_waitcnt vmcnt(19)
	v_fma_f64 v[143:144], v[145:146], v[129:130], v[123:124]
	ds_read_b128 v[123:126], v122 offset:800
	ds_read_b128 v[127:130], v122 offset:816
	s_waitcnt vmcnt(18) lgkmcnt(1)
	v_fma_f64 v[123:124], v[151:152], v[123:124], v[143:144]
	s_waitcnt vmcnt(17)
	v_fma_f64 v[123:124], v[149:150], v[125:126], v[123:124]
	buffer_load_dword v144, off, s[0:3], 0 offset:412
	buffer_load_dword v145, off, s[0:3], 0 offset:432
	buffer_load_dword v149, off, s[0:3], 0 offset:424
	buffer_load_dword v151, off, s[0:3], 0 offset:416
	buffer_load_dword v143, off, s[0:3], 0 offset:408
	buffer_load_dword v152, off, s[0:3], 0 offset:420
	buffer_load_dword v150, off, s[0:3], 0 offset:428
	buffer_load_dword v146, off, s[0:3], 0 offset:436
	s_waitcnt vmcnt(24) lgkmcnt(0)
	v_fma_f64 v[123:124], v[147:148], v[127:128], v[123:124]
	s_waitcnt vmcnt(19)
	v_fma_f64 v[131:132], v[131:132], v[129:130], v[123:124]
	ds_read_b128 v[123:126], v122 offset:832
	ds_read_b128 v[127:130], v122 offset:848
	s_waitcnt vmcnt(18) lgkmcnt(1)
	v_fma_f64 v[123:124], v[155:156], v[123:124], v[131:132]
	;; [unrolled: 18-line block ×3, first 2 shown]
	buffer_load_dword v134, off, s[0:3], 0 offset:476
	buffer_load_dword v133, off, s[0:3], 0 offset:472
	;; [unrolled: 1-line block ×4, first 2 shown]
	s_waitcnt vmcnt(21)
	v_fma_f64 v[123:124], v[139:140], v[125:126], v[123:124]
	s_waitcnt vmcnt(20) lgkmcnt(0)
	v_fma_f64 v[123:124], v[137:138], v[127:128], v[123:124]
	s_waitcnt vmcnt(15)
	v_fma_f64 v[137:138], v[143:144], v[129:130], v[123:124]
	ds_read_b128 v[123:126], v122 offset:896
	ds_read_b128 v[127:130], v122 offset:912
	s_waitcnt vmcnt(14) lgkmcnt(1)
	v_fma_f64 v[123:124], v[151:152], v[123:124], v[137:138]
	s_waitcnt vmcnt(13)
	v_fma_f64 v[123:124], v[149:150], v[125:126], v[123:124]
	s_waitcnt vmcnt(12) lgkmcnt(0)
	v_fma_f64 v[123:124], v[145:146], v[127:128], v[123:124]
	s_waitcnt vmcnt(7)
	v_fma_f64 v[131:132], v[131:132], v[129:130], v[123:124]
	ds_read_b128 v[123:126], v122 offset:928
	ds_read_b128 v[127:130], v122 offset:944
	s_waitcnt vmcnt(6) lgkmcnt(1)
	v_fma_f64 v[122:123], v[155:156], v[123:124], v[131:132]
	s_waitcnt vmcnt(5)
	v_fma_f64 v[122:123], v[153:154], v[125:126], v[122:123]
	s_waitcnt vmcnt(4) lgkmcnt(0)
	v_fma_f64 v[122:123], v[147:148], v[127:128], v[122:123]
	s_waitcnt vmcnt(2)
	v_fma_f64 v[122:123], v[133:134], v[129:130], v[122:123]
	s_waitcnt vmcnt(0)
	v_add_f64 v[122:123], v[135:136], -v[122:123]
	buffer_store_dword v123, off, s[0:3], 0 offset:252
	buffer_store_dword v122, off, s[0:3], 0 offset:248
	s_and_saveexec_b64 s[4:5], vcc
	s_cbranch_execz .LBB123_307
; %bb.306:
	buffer_load_dword v122, off, s[0:3], 0 offset:240
	buffer_load_dword v123, off, s[0:3], 0 offset:244
	v_mov_b32_e32 v124, 0
	buffer_store_dword v124, off, s[0:3], 0 offset:240
	buffer_store_dword v124, off, s[0:3], 0 offset:244
	s_waitcnt vmcnt(2)
	ds_write_b64 v121, v[122:123]
.LBB123_307:
	s_or_b64 exec, exec, s[4:5]
	s_waitcnt lgkmcnt(0)
	; wave barrier
	buffer_load_dword v131, off, s[0:3], 0 offset:248
	buffer_load_dword v132, off, s[0:3], 0 offset:252
	;; [unrolled: 1-line block ×22, first 2 shown]
	v_mov_b32_e32 v122, 0
	ds_read2_b64 v[123:126], v122 offset0:91 offset1:92
	ds_read2_b64 v[127:130], v122 offset0:93 offset1:94
	v_cmp_lt_u32_e32 vcc, 29, v0
	s_waitcnt vmcnt(20) lgkmcnt(1)
	v_fma_f64 v[123:124], v[131:132], v[123:124], 0
	s_waitcnt vmcnt(18)
	v_fma_f64 v[123:124], v[133:134], v[125:126], v[123:124]
	buffer_load_dword v132, off, s[0:3], 0 offset:340
	buffer_load_dword v133, off, s[0:3], 0 offset:360
	buffer_load_dword v153, off, s[0:3], 0 offset:352
	buffer_load_dword v155, off, s[0:3], 0 offset:344
	buffer_load_dword v131, off, s[0:3], 0 offset:336
	buffer_load_dword v156, off, s[0:3], 0 offset:348
	buffer_load_dword v154, off, s[0:3], 0 offset:356
	s_waitcnt vmcnt(23) lgkmcnt(0)
	v_fma_f64 v[123:124], v[135:136], v[127:128], v[123:124]
	s_waitcnt vmcnt(21)
	v_fma_f64 v[134:135], v[137:138], v[129:130], v[123:124]
	ds_read2_b64 v[123:126], v122 offset0:95 offset1:96
	ds_read2_b64 v[127:130], v122 offset0:97 offset1:98
	s_waitcnt vmcnt(19) lgkmcnt(1)
	v_fma_f64 v[123:124], v[139:140], v[123:124], v[134:135]
	buffer_load_dword v134, off, s[0:3], 0 offset:364
	s_waitcnt vmcnt(18)
	v_fma_f64 v[123:124], v[141:142], v[125:126], v[123:124]
	buffer_load_dword v136, off, s[0:3], 0 offset:372
	buffer_load_dword v137, off, s[0:3], 0 offset:392
	;; [unrolled: 1-line block ×7, first 2 shown]
	s_waitcnt vmcnt(23) lgkmcnt(0)
	v_fma_f64 v[123:124], v[143:144], v[127:128], v[123:124]
	s_waitcnt vmcnt(18)
	v_fma_f64 v[143:144], v[145:146], v[129:130], v[123:124]
	ds_read2_b64 v[123:126], v122 offset0:99 offset1:100
	ds_read2_b64 v[127:130], v122 offset0:101 offset1:102
	buffer_load_dword v138, off, s[0:3], 0 offset:396
	s_waitcnt vmcnt(18) lgkmcnt(1)
	v_fma_f64 v[123:124], v[151:152], v[123:124], v[143:144]
	s_waitcnt vmcnt(17)
	v_fma_f64 v[123:124], v[149:150], v[125:126], v[123:124]
	buffer_load_dword v144, off, s[0:3], 0 offset:404
	buffer_load_dword v145, off, s[0:3], 0 offset:424
	;; [unrolled: 1-line block ×8, first 2 shown]
	s_waitcnt vmcnt(24) lgkmcnt(0)
	v_fma_f64 v[123:124], v[147:148], v[127:128], v[123:124]
	s_waitcnt vmcnt(19)
	v_fma_f64 v[131:132], v[131:132], v[129:130], v[123:124]
	ds_read2_b64 v[123:126], v122 offset0:103 offset1:104
	ds_read2_b64 v[127:130], v122 offset0:105 offset1:106
	s_waitcnt vmcnt(18) lgkmcnt(1)
	v_fma_f64 v[123:124], v[155:156], v[123:124], v[131:132]
	s_waitcnt vmcnt(17)
	v_fma_f64 v[123:124], v[153:154], v[125:126], v[123:124]
	buffer_load_dword v132, off, s[0:3], 0 offset:436
	buffer_load_dword v147, off, s[0:3], 0 offset:456
	;; [unrolled: 1-line block ×7, first 2 shown]
	s_waitcnt vmcnt(23) lgkmcnt(0)
	v_fma_f64 v[123:124], v[133:134], v[127:128], v[123:124]
	s_waitcnt vmcnt(18)
	v_fma_f64 v[133:134], v[135:136], v[129:130], v[123:124]
	ds_read2_b64 v[123:126], v122 offset0:107 offset1:108
	ds_read2_b64 v[127:130], v122 offset0:109 offset1:110
	buffer_load_dword v148, off, s[0:3], 0 offset:460
	s_waitcnt vmcnt(18) lgkmcnt(1)
	v_fma_f64 v[123:124], v[141:142], v[123:124], v[133:134]
	buffer_load_dword v134, off, s[0:3], 0 offset:468
	buffer_load_dword v135, off, s[0:3], 0 offset:472
	;; [unrolled: 1-line block ×4, first 2 shown]
	s_waitcnt vmcnt(21)
	v_fma_f64 v[123:124], v[139:140], v[125:126], v[123:124]
	s_waitcnt vmcnt(20) lgkmcnt(0)
	v_fma_f64 v[123:124], v[137:138], v[127:128], v[123:124]
	buffer_load_dword v137, off, s[0:3], 0 offset:240
	buffer_load_dword v138, off, s[0:3], 0 offset:244
	s_waitcnt vmcnt(17)
	v_fma_f64 v[139:140], v[143:144], v[129:130], v[123:124]
	ds_read2_b64 v[123:126], v122 offset0:111 offset1:112
	ds_read2_b64 v[127:130], v122 offset0:113 offset1:114
	s_waitcnt vmcnt(16) lgkmcnt(1)
	v_fma_f64 v[123:124], v[151:152], v[123:124], v[139:140]
	s_waitcnt vmcnt(15)
	v_fma_f64 v[123:124], v[149:150], v[125:126], v[123:124]
	s_waitcnt vmcnt(14) lgkmcnt(0)
	v_fma_f64 v[123:124], v[145:146], v[127:128], v[123:124]
	s_waitcnt vmcnt(9)
	v_fma_f64 v[131:132], v[131:132], v[129:130], v[123:124]
	ds_read2_b64 v[123:126], v122 offset0:115 offset1:116
	ds_read2_b64 v[127:130], v122 offset0:117 offset1:118
	s_waitcnt vmcnt(8) lgkmcnt(1)
	v_fma_f64 v[123:124], v[155:156], v[123:124], v[131:132]
	s_waitcnt vmcnt(7)
	v_fma_f64 v[123:124], v[153:154], v[125:126], v[123:124]
	ds_read_b64 v[125:126], v122 offset:952
	s_waitcnt vmcnt(6) lgkmcnt(1)
	v_fma_f64 v[123:124], v[147:148], v[127:128], v[123:124]
	s_waitcnt vmcnt(3)
	v_fma_f64 v[123:124], v[133:134], v[129:130], v[123:124]
	s_waitcnt vmcnt(2) lgkmcnt(0)
	v_fma_f64 v[123:124], v[135:136], v[125:126], v[123:124]
	s_waitcnt vmcnt(0)
	v_add_f64 v[123:124], v[137:138], -v[123:124]
	buffer_store_dword v124, off, s[0:3], 0 offset:244
	buffer_store_dword v123, off, s[0:3], 0 offset:240
	s_and_saveexec_b64 s[4:5], vcc
	s_cbranch_execz .LBB123_309
; %bb.308:
	buffer_load_dword v123, off, s[0:3], 0 offset:232
	buffer_load_dword v124, off, s[0:3], 0 offset:236
	s_waitcnt vmcnt(0)
	ds_write_b64 v121, v[123:124]
	buffer_store_dword v122, off, s[0:3], 0 offset:232
	buffer_store_dword v122, off, s[0:3], 0 offset:236
.LBB123_309:
	s_or_b64 exec, exec, s[4:5]
	s_waitcnt lgkmcnt(0)
	; wave barrier
	buffer_load_dword v131, off, s[0:3], 0 offset:240
	buffer_load_dword v132, off, s[0:3], 0 offset:244
	;; [unrolled: 1-line block ×22, first 2 shown]
	ds_read_b128 v[123:126], v122 offset:720
	ds_read_b128 v[127:130], v122 offset:736
	v_cmp_lt_u32_e32 vcc, 28, v0
	s_waitcnt vmcnt(20) lgkmcnt(1)
	v_fma_f64 v[123:124], v[131:132], v[123:124], 0
	s_waitcnt vmcnt(18)
	v_fma_f64 v[123:124], v[133:134], v[125:126], v[123:124]
	buffer_load_dword v132, off, s[0:3], 0 offset:332
	buffer_load_dword v133, off, s[0:3], 0 offset:352
	;; [unrolled: 1-line block ×7, first 2 shown]
	s_waitcnt vmcnt(23) lgkmcnt(0)
	v_fma_f64 v[123:124], v[135:136], v[127:128], v[123:124]
	s_waitcnt vmcnt(21)
	v_fma_f64 v[134:135], v[137:138], v[129:130], v[123:124]
	ds_read_b128 v[123:126], v122 offset:752
	ds_read_b128 v[127:130], v122 offset:768
	s_waitcnt vmcnt(19) lgkmcnt(1)
	v_fma_f64 v[123:124], v[139:140], v[123:124], v[134:135]
	buffer_load_dword v134, off, s[0:3], 0 offset:356
	s_waitcnt vmcnt(18)
	v_fma_f64 v[123:124], v[141:142], v[125:126], v[123:124]
	buffer_load_dword v136, off, s[0:3], 0 offset:364
	buffer_load_dword v137, off, s[0:3], 0 offset:384
	buffer_load_dword v139, off, s[0:3], 0 offset:376
	buffer_load_dword v141, off, s[0:3], 0 offset:368
	buffer_load_dword v135, off, s[0:3], 0 offset:360
	buffer_load_dword v142, off, s[0:3], 0 offset:372
	buffer_load_dword v140, off, s[0:3], 0 offset:380
	s_waitcnt vmcnt(23) lgkmcnt(0)
	v_fma_f64 v[123:124], v[143:144], v[127:128], v[123:124]
	s_waitcnt vmcnt(18)
	v_fma_f64 v[143:144], v[145:146], v[129:130], v[123:124]
	ds_read_b128 v[123:126], v122 offset:784
	ds_read_b128 v[127:130], v122 offset:800
	buffer_load_dword v138, off, s[0:3], 0 offset:388
	s_waitcnt vmcnt(18) lgkmcnt(1)
	v_fma_f64 v[123:124], v[151:152], v[123:124], v[143:144]
	s_waitcnt vmcnt(17)
	v_fma_f64 v[123:124], v[149:150], v[125:126], v[123:124]
	buffer_load_dword v144, off, s[0:3], 0 offset:396
	buffer_load_dword v145, off, s[0:3], 0 offset:416
	;; [unrolled: 1-line block ×8, first 2 shown]
	s_waitcnt vmcnt(24) lgkmcnt(0)
	v_fma_f64 v[123:124], v[147:148], v[127:128], v[123:124]
	s_waitcnt vmcnt(19)
	v_fma_f64 v[131:132], v[131:132], v[129:130], v[123:124]
	ds_read_b128 v[123:126], v122 offset:816
	ds_read_b128 v[127:130], v122 offset:832
	s_waitcnt vmcnt(18) lgkmcnt(1)
	v_fma_f64 v[123:124], v[155:156], v[123:124], v[131:132]
	s_waitcnt vmcnt(17)
	v_fma_f64 v[123:124], v[153:154], v[125:126], v[123:124]
	buffer_load_dword v132, off, s[0:3], 0 offset:428
	buffer_load_dword v147, off, s[0:3], 0 offset:448
	;; [unrolled: 1-line block ×8, first 2 shown]
	s_waitcnt vmcnt(24) lgkmcnt(0)
	v_fma_f64 v[123:124], v[133:134], v[127:128], v[123:124]
	s_waitcnt vmcnt(19)
	v_fma_f64 v[133:134], v[135:136], v[129:130], v[123:124]
	ds_read_b128 v[123:126], v122 offset:848
	ds_read_b128 v[127:130], v122 offset:864
	s_waitcnt vmcnt(18) lgkmcnt(1)
	v_fma_f64 v[123:124], v[141:142], v[123:124], v[133:134]
	s_waitcnt vmcnt(17)
	v_fma_f64 v[123:124], v[139:140], v[125:126], v[123:124]
	buffer_load_dword v134, off, s[0:3], 0 offset:460
	buffer_load_dword v135, off, s[0:3], 0 offset:472
	;; [unrolled: 1-line block ×6, first 2 shown]
	s_waitcnt vmcnt(22) lgkmcnt(0)
	v_fma_f64 v[123:124], v[137:138], v[127:128], v[123:124]
	s_waitcnt vmcnt(17)
	v_fma_f64 v[137:138], v[143:144], v[129:130], v[123:124]
	ds_read_b128 v[123:126], v122 offset:880
	buffer_load_dword v141, off, s[0:3], 0 offset:232
	buffer_load_dword v142, off, s[0:3], 0 offset:236
	ds_read_b128 v[127:130], v122 offset:896
	s_waitcnt vmcnt(18) lgkmcnt(1)
	v_fma_f64 v[123:124], v[151:152], v[123:124], v[137:138]
	s_waitcnt vmcnt(17)
	v_fma_f64 v[123:124], v[149:150], v[125:126], v[123:124]
	s_waitcnt vmcnt(16) lgkmcnt(0)
	v_fma_f64 v[123:124], v[145:146], v[127:128], v[123:124]
	s_waitcnt vmcnt(11)
	v_fma_f64 v[131:132], v[131:132], v[129:130], v[123:124]
	ds_read_b128 v[123:126], v122 offset:912
	ds_read_b128 v[127:130], v122 offset:928
	s_waitcnt vmcnt(10) lgkmcnt(1)
	v_fma_f64 v[123:124], v[155:156], v[123:124], v[131:132]
	s_waitcnt vmcnt(9)
	v_fma_f64 v[123:124], v[153:154], v[125:126], v[123:124]
	s_waitcnt vmcnt(8) lgkmcnt(0)
	v_fma_f64 v[123:124], v[147:148], v[127:128], v[123:124]
	s_waitcnt vmcnt(4)
	v_fma_f64 v[126:127], v[133:134], v[129:130], v[123:124]
	ds_read_b128 v[122:125], v122 offset:944
	s_waitcnt vmcnt(3) lgkmcnt(0)
	v_fma_f64 v[122:123], v[139:140], v[122:123], v[126:127]
	s_waitcnt vmcnt(2)
	v_fma_f64 v[122:123], v[135:136], v[124:125], v[122:123]
	s_waitcnt vmcnt(0)
	v_add_f64 v[122:123], v[141:142], -v[122:123]
	buffer_store_dword v123, off, s[0:3], 0 offset:236
	buffer_store_dword v122, off, s[0:3], 0 offset:232
	s_and_saveexec_b64 s[4:5], vcc
	s_cbranch_execz .LBB123_311
; %bb.310:
	buffer_load_dword v122, off, s[0:3], 0 offset:224
	buffer_load_dword v123, off, s[0:3], 0 offset:228
	v_mov_b32_e32 v124, 0
	buffer_store_dword v124, off, s[0:3], 0 offset:224
	buffer_store_dword v124, off, s[0:3], 0 offset:228
	s_waitcnt vmcnt(2)
	ds_write_b64 v121, v[122:123]
.LBB123_311:
	s_or_b64 exec, exec, s[4:5]
	s_waitcnt lgkmcnt(0)
	; wave barrier
	buffer_load_dword v131, off, s[0:3], 0 offset:232
	buffer_load_dword v132, off, s[0:3], 0 offset:236
	;; [unrolled: 1-line block ×22, first 2 shown]
	v_mov_b32_e32 v122, 0
	ds_read2_b64 v[123:126], v122 offset0:89 offset1:90
	ds_read2_b64 v[127:130], v122 offset0:91 offset1:92
	v_cmp_lt_u32_e32 vcc, 27, v0
	s_waitcnt vmcnt(20) lgkmcnt(1)
	v_fma_f64 v[123:124], v[131:132], v[123:124], 0
	s_waitcnt vmcnt(18)
	v_fma_f64 v[123:124], v[133:134], v[125:126], v[123:124]
	buffer_load_dword v132, off, s[0:3], 0 offset:324
	buffer_load_dword v133, off, s[0:3], 0 offset:344
	;; [unrolled: 1-line block ×7, first 2 shown]
	s_waitcnt vmcnt(23) lgkmcnt(0)
	v_fma_f64 v[123:124], v[135:136], v[127:128], v[123:124]
	s_waitcnt vmcnt(21)
	v_fma_f64 v[134:135], v[137:138], v[129:130], v[123:124]
	ds_read2_b64 v[123:126], v122 offset0:93 offset1:94
	ds_read2_b64 v[127:130], v122 offset0:95 offset1:96
	s_waitcnt vmcnt(19) lgkmcnt(1)
	v_fma_f64 v[123:124], v[139:140], v[123:124], v[134:135]
	buffer_load_dword v134, off, s[0:3], 0 offset:348
	s_waitcnt vmcnt(18)
	v_fma_f64 v[123:124], v[141:142], v[125:126], v[123:124]
	buffer_load_dword v136, off, s[0:3], 0 offset:356
	buffer_load_dword v137, off, s[0:3], 0 offset:376
	;; [unrolled: 1-line block ×7, first 2 shown]
	s_waitcnt vmcnt(23) lgkmcnt(0)
	v_fma_f64 v[123:124], v[143:144], v[127:128], v[123:124]
	s_waitcnt vmcnt(18)
	v_fma_f64 v[143:144], v[145:146], v[129:130], v[123:124]
	ds_read2_b64 v[123:126], v122 offset0:97 offset1:98
	ds_read2_b64 v[127:130], v122 offset0:99 offset1:100
	buffer_load_dword v138, off, s[0:3], 0 offset:380
	s_waitcnt vmcnt(18) lgkmcnt(1)
	v_fma_f64 v[123:124], v[151:152], v[123:124], v[143:144]
	s_waitcnt vmcnt(17)
	v_fma_f64 v[123:124], v[149:150], v[125:126], v[123:124]
	buffer_load_dword v144, off, s[0:3], 0 offset:388
	buffer_load_dword v145, off, s[0:3], 0 offset:408
	buffer_load_dword v149, off, s[0:3], 0 offset:400
	buffer_load_dword v151, off, s[0:3], 0 offset:392
	buffer_load_dword v143, off, s[0:3], 0 offset:384
	buffer_load_dword v152, off, s[0:3], 0 offset:396
	buffer_load_dword v150, off, s[0:3], 0 offset:404
	buffer_load_dword v146, off, s[0:3], 0 offset:412
	s_waitcnt vmcnt(24) lgkmcnt(0)
	v_fma_f64 v[123:124], v[147:148], v[127:128], v[123:124]
	s_waitcnt vmcnt(19)
	v_fma_f64 v[131:132], v[131:132], v[129:130], v[123:124]
	ds_read2_b64 v[123:126], v122 offset0:101 offset1:102
	ds_read2_b64 v[127:130], v122 offset0:103 offset1:104
	s_waitcnt vmcnt(18) lgkmcnt(1)
	v_fma_f64 v[123:124], v[155:156], v[123:124], v[131:132]
	s_waitcnt vmcnt(17)
	v_fma_f64 v[123:124], v[153:154], v[125:126], v[123:124]
	buffer_load_dword v132, off, s[0:3], 0 offset:420
	buffer_load_dword v147, off, s[0:3], 0 offset:440
	buffer_load_dword v153, off, s[0:3], 0 offset:432
	buffer_load_dword v155, off, s[0:3], 0 offset:424
	buffer_load_dword v131, off, s[0:3], 0 offset:416
	buffer_load_dword v156, off, s[0:3], 0 offset:428
	buffer_load_dword v154, off, s[0:3], 0 offset:436
	buffer_load_dword v148, off, s[0:3], 0 offset:444
	s_waitcnt vmcnt(24) lgkmcnt(0)
	v_fma_f64 v[123:124], v[133:134], v[127:128], v[123:124]
	s_waitcnt vmcnt(19)
	v_fma_f64 v[133:134], v[135:136], v[129:130], v[123:124]
	ds_read2_b64 v[123:126], v122 offset0:105 offset1:106
	ds_read2_b64 v[127:130], v122 offset0:107 offset1:108
	;; [unrolled: 18-line block ×3, first 2 shown]
	s_waitcnt vmcnt(18) lgkmcnt(1)
	v_fma_f64 v[123:124], v[151:152], v[123:124], v[137:138]
	buffer_load_dword v137, off, s[0:3], 0 offset:224
	buffer_load_dword v138, off, s[0:3], 0 offset:228
	s_waitcnt vmcnt(19)
	v_fma_f64 v[123:124], v[149:150], v[125:126], v[123:124]
	s_waitcnt vmcnt(18) lgkmcnt(0)
	v_fma_f64 v[123:124], v[145:146], v[127:128], v[123:124]
	s_waitcnt vmcnt(13)
	v_fma_f64 v[131:132], v[131:132], v[129:130], v[123:124]
	ds_read2_b64 v[123:126], v122 offset0:113 offset1:114
	ds_read2_b64 v[127:130], v122 offset0:115 offset1:116
	s_waitcnt vmcnt(12) lgkmcnt(1)
	v_fma_f64 v[123:124], v[155:156], v[123:124], v[131:132]
	s_waitcnt vmcnt(11)
	v_fma_f64 v[123:124], v[153:154], v[125:126], v[123:124]
	s_waitcnt vmcnt(10) lgkmcnt(0)
	v_fma_f64 v[123:124], v[147:148], v[127:128], v[123:124]
	s_waitcnt vmcnt(5)
	v_fma_f64 v[127:128], v[133:134], v[129:130], v[123:124]
	ds_read2_b64 v[123:126], v122 offset0:117 offset1:118
	ds_read_b64 v[129:130], v122 offset:952
	s_waitcnt vmcnt(4) lgkmcnt(1)
	v_fma_f64 v[123:124], v[141:142], v[123:124], v[127:128]
	s_waitcnt vmcnt(3)
	v_fma_f64 v[123:124], v[139:140], v[125:126], v[123:124]
	s_waitcnt vmcnt(2) lgkmcnt(0)
	v_fma_f64 v[123:124], v[135:136], v[129:130], v[123:124]
	s_waitcnt vmcnt(0)
	v_add_f64 v[123:124], v[137:138], -v[123:124]
	buffer_store_dword v124, off, s[0:3], 0 offset:228
	buffer_store_dword v123, off, s[0:3], 0 offset:224
	s_and_saveexec_b64 s[4:5], vcc
	s_cbranch_execz .LBB123_313
; %bb.312:
	buffer_load_dword v123, off, s[0:3], 0 offset:216
	buffer_load_dword v124, off, s[0:3], 0 offset:220
	s_waitcnt vmcnt(0)
	ds_write_b64 v121, v[123:124]
	buffer_store_dword v122, off, s[0:3], 0 offset:216
	buffer_store_dword v122, off, s[0:3], 0 offset:220
.LBB123_313:
	s_or_b64 exec, exec, s[4:5]
	s_waitcnt lgkmcnt(0)
	; wave barrier
	buffer_load_dword v131, off, s[0:3], 0 offset:224
	buffer_load_dword v132, off, s[0:3], 0 offset:228
	;; [unrolled: 1-line block ×22, first 2 shown]
	ds_read_b128 v[123:126], v122 offset:704
	ds_read_b128 v[127:130], v122 offset:720
	v_cmp_lt_u32_e32 vcc, 26, v0
	s_waitcnt vmcnt(20) lgkmcnt(1)
	v_fma_f64 v[123:124], v[131:132], v[123:124], 0
	s_waitcnt vmcnt(18)
	v_fma_f64 v[123:124], v[133:134], v[125:126], v[123:124]
	buffer_load_dword v132, off, s[0:3], 0 offset:316
	buffer_load_dword v133, off, s[0:3], 0 offset:336
	;; [unrolled: 1-line block ×7, first 2 shown]
	s_waitcnt vmcnt(23) lgkmcnt(0)
	v_fma_f64 v[123:124], v[135:136], v[127:128], v[123:124]
	s_waitcnt vmcnt(21)
	v_fma_f64 v[134:135], v[137:138], v[129:130], v[123:124]
	ds_read_b128 v[123:126], v122 offset:736
	ds_read_b128 v[127:130], v122 offset:752
	s_waitcnt vmcnt(19) lgkmcnt(1)
	v_fma_f64 v[123:124], v[139:140], v[123:124], v[134:135]
	buffer_load_dword v134, off, s[0:3], 0 offset:340
	s_waitcnt vmcnt(18)
	v_fma_f64 v[123:124], v[141:142], v[125:126], v[123:124]
	buffer_load_dword v136, off, s[0:3], 0 offset:348
	buffer_load_dword v137, off, s[0:3], 0 offset:368
	;; [unrolled: 1-line block ×7, first 2 shown]
	s_waitcnt vmcnt(23) lgkmcnt(0)
	v_fma_f64 v[123:124], v[143:144], v[127:128], v[123:124]
	s_waitcnt vmcnt(18)
	v_fma_f64 v[143:144], v[145:146], v[129:130], v[123:124]
	ds_read_b128 v[123:126], v122 offset:768
	ds_read_b128 v[127:130], v122 offset:784
	buffer_load_dword v138, off, s[0:3], 0 offset:372
	s_waitcnt vmcnt(18) lgkmcnt(1)
	v_fma_f64 v[123:124], v[151:152], v[123:124], v[143:144]
	s_waitcnt vmcnt(17)
	v_fma_f64 v[123:124], v[149:150], v[125:126], v[123:124]
	buffer_load_dword v144, off, s[0:3], 0 offset:380
	buffer_load_dword v145, off, s[0:3], 0 offset:400
	buffer_load_dword v149, off, s[0:3], 0 offset:392
	buffer_load_dword v151, off, s[0:3], 0 offset:384
	buffer_load_dword v143, off, s[0:3], 0 offset:376
	buffer_load_dword v152, off, s[0:3], 0 offset:388
	buffer_load_dword v150, off, s[0:3], 0 offset:396
	buffer_load_dword v146, off, s[0:3], 0 offset:404
	s_waitcnt vmcnt(24) lgkmcnt(0)
	v_fma_f64 v[123:124], v[147:148], v[127:128], v[123:124]
	s_waitcnt vmcnt(19)
	v_fma_f64 v[131:132], v[131:132], v[129:130], v[123:124]
	ds_read_b128 v[123:126], v122 offset:800
	ds_read_b128 v[127:130], v122 offset:816
	s_waitcnt vmcnt(18) lgkmcnt(1)
	v_fma_f64 v[123:124], v[155:156], v[123:124], v[131:132]
	s_waitcnt vmcnt(17)
	v_fma_f64 v[123:124], v[153:154], v[125:126], v[123:124]
	buffer_load_dword v132, off, s[0:3], 0 offset:412
	buffer_load_dword v147, off, s[0:3], 0 offset:432
	buffer_load_dword v153, off, s[0:3], 0 offset:424
	buffer_load_dword v155, off, s[0:3], 0 offset:416
	buffer_load_dword v131, off, s[0:3], 0 offset:408
	buffer_load_dword v156, off, s[0:3], 0 offset:420
	buffer_load_dword v154, off, s[0:3], 0 offset:428
	buffer_load_dword v148, off, s[0:3], 0 offset:436
	s_waitcnt vmcnt(24) lgkmcnt(0)
	v_fma_f64 v[123:124], v[133:134], v[127:128], v[123:124]
	s_waitcnt vmcnt(19)
	v_fma_f64 v[133:134], v[135:136], v[129:130], v[123:124]
	ds_read_b128 v[123:126], v122 offset:832
	ds_read_b128 v[127:130], v122 offset:848
	;; [unrolled: 18-line block ×3, first 2 shown]
	s_waitcnt vmcnt(18) lgkmcnt(1)
	v_fma_f64 v[123:124], v[151:152], v[123:124], v[137:138]
	buffer_load_dword v138, off, s[0:3], 0 offset:476
	buffer_load_dword v137, off, s[0:3], 0 offset:472
	;; [unrolled: 1-line block ×4, first 2 shown]
	s_waitcnt vmcnt(21)
	v_fma_f64 v[123:124], v[149:150], v[125:126], v[123:124]
	s_waitcnt vmcnt(20) lgkmcnt(0)
	v_fma_f64 v[123:124], v[145:146], v[127:128], v[123:124]
	s_waitcnt vmcnt(15)
	v_fma_f64 v[131:132], v[131:132], v[129:130], v[123:124]
	ds_read_b128 v[123:126], v122 offset:896
	ds_read_b128 v[127:130], v122 offset:912
	s_waitcnt vmcnt(14) lgkmcnt(1)
	v_fma_f64 v[123:124], v[155:156], v[123:124], v[131:132]
	s_waitcnt vmcnt(13)
	v_fma_f64 v[123:124], v[153:154], v[125:126], v[123:124]
	s_waitcnt vmcnt(12) lgkmcnt(0)
	v_fma_f64 v[123:124], v[147:148], v[127:128], v[123:124]
	s_waitcnt vmcnt(7)
	v_fma_f64 v[131:132], v[133:134], v[129:130], v[123:124]
	ds_read_b128 v[123:126], v122 offset:928
	ds_read_b128 v[127:130], v122 offset:944
	s_waitcnt vmcnt(6) lgkmcnt(1)
	v_fma_f64 v[122:123], v[141:142], v[123:124], v[131:132]
	s_waitcnt vmcnt(5)
	v_fma_f64 v[122:123], v[139:140], v[125:126], v[122:123]
	s_waitcnt vmcnt(4) lgkmcnt(0)
	v_fma_f64 v[122:123], v[135:136], v[127:128], v[122:123]
	s_waitcnt vmcnt(2)
	v_fma_f64 v[122:123], v[137:138], v[129:130], v[122:123]
	s_waitcnt vmcnt(0)
	v_add_f64 v[122:123], v[143:144], -v[122:123]
	buffer_store_dword v123, off, s[0:3], 0 offset:220
	buffer_store_dword v122, off, s[0:3], 0 offset:216
	s_and_saveexec_b64 s[4:5], vcc
	s_cbranch_execz .LBB123_315
; %bb.314:
	buffer_load_dword v122, off, s[0:3], 0 offset:208
	buffer_load_dword v123, off, s[0:3], 0 offset:212
	v_mov_b32_e32 v124, 0
	buffer_store_dword v124, off, s[0:3], 0 offset:208
	buffer_store_dword v124, off, s[0:3], 0 offset:212
	s_waitcnt vmcnt(2)
	ds_write_b64 v121, v[122:123]
.LBB123_315:
	s_or_b64 exec, exec, s[4:5]
	s_waitcnt lgkmcnt(0)
	; wave barrier
	buffer_load_dword v131, off, s[0:3], 0 offset:216
	buffer_load_dword v132, off, s[0:3], 0 offset:220
	;; [unrolled: 1-line block ×21, first 2 shown]
	v_mov_b32_e32 v122, 0
	ds_read2_b64 v[123:126], v122 offset0:87 offset1:88
	ds_read2_b64 v[127:130], v122 offset0:89 offset1:90
	buffer_load_dword v148, off, s[0:3], 0 offset:300
	v_cmp_lt_u32_e32 vcc, 25, v0
	s_waitcnt vmcnt(20) lgkmcnt(1)
	v_fma_f64 v[123:124], v[131:132], v[123:124], 0
	s_waitcnt vmcnt(18)
	v_fma_f64 v[123:124], v[133:134], v[125:126], v[123:124]
	buffer_load_dword v132, off, s[0:3], 0 offset:308
	buffer_load_dword v133, off, s[0:3], 0 offset:328
	buffer_load_dword v153, off, s[0:3], 0 offset:320
	buffer_load_dword v155, off, s[0:3], 0 offset:312
	buffer_load_dword v131, off, s[0:3], 0 offset:304
	buffer_load_dword v156, off, s[0:3], 0 offset:316
	buffer_load_dword v154, off, s[0:3], 0 offset:324
	s_waitcnt vmcnt(23) lgkmcnt(0)
	v_fma_f64 v[123:124], v[135:136], v[127:128], v[123:124]
	s_waitcnt vmcnt(21)
	v_fma_f64 v[134:135], v[137:138], v[129:130], v[123:124]
	ds_read2_b64 v[123:126], v122 offset0:91 offset1:92
	ds_read2_b64 v[127:130], v122 offset0:93 offset1:94
	s_waitcnt vmcnt(19) lgkmcnt(1)
	v_fma_f64 v[123:124], v[139:140], v[123:124], v[134:135]
	buffer_load_dword v134, off, s[0:3], 0 offset:332
	s_waitcnt vmcnt(18)
	v_fma_f64 v[123:124], v[141:142], v[125:126], v[123:124]
	buffer_load_dword v136, off, s[0:3], 0 offset:340
	buffer_load_dword v137, off, s[0:3], 0 offset:360
	;; [unrolled: 1-line block ×7, first 2 shown]
	s_waitcnt vmcnt(23) lgkmcnt(0)
	v_fma_f64 v[123:124], v[143:144], v[127:128], v[123:124]
	s_waitcnt vmcnt(18)
	v_fma_f64 v[143:144], v[145:146], v[129:130], v[123:124]
	ds_read2_b64 v[123:126], v122 offset0:95 offset1:96
	ds_read2_b64 v[127:130], v122 offset0:97 offset1:98
	buffer_load_dword v138, off, s[0:3], 0 offset:364
	s_waitcnt vmcnt(18) lgkmcnt(1)
	v_fma_f64 v[123:124], v[151:152], v[123:124], v[143:144]
	s_waitcnt vmcnt(17)
	v_fma_f64 v[123:124], v[149:150], v[125:126], v[123:124]
	buffer_load_dword v144, off, s[0:3], 0 offset:372
	buffer_load_dword v145, off, s[0:3], 0 offset:392
	buffer_load_dword v149, off, s[0:3], 0 offset:384
	buffer_load_dword v151, off, s[0:3], 0 offset:376
	buffer_load_dword v143, off, s[0:3], 0 offset:368
	buffer_load_dword v152, off, s[0:3], 0 offset:380
	buffer_load_dword v150, off, s[0:3], 0 offset:388
	s_waitcnt vmcnt(23) lgkmcnt(0)
	v_fma_f64 v[123:124], v[147:148], v[127:128], v[123:124]
	s_waitcnt vmcnt(18)
	v_fma_f64 v[131:132], v[131:132], v[129:130], v[123:124]
	ds_read2_b64 v[123:126], v122 offset0:99 offset1:100
	ds_read2_b64 v[127:130], v122 offset0:101 offset1:102
	buffer_load_dword v146, off, s[0:3], 0 offset:396
	s_waitcnt vmcnt(18) lgkmcnt(1)
	v_fma_f64 v[123:124], v[155:156], v[123:124], v[131:132]
	s_waitcnt vmcnt(17)
	v_fma_f64 v[123:124], v[153:154], v[125:126], v[123:124]
	buffer_load_dword v132, off, s[0:3], 0 offset:404
	buffer_load_dword v147, off, s[0:3], 0 offset:424
	;; [unrolled: 1-line block ×8, first 2 shown]
	s_waitcnt vmcnt(24) lgkmcnt(0)
	v_fma_f64 v[123:124], v[133:134], v[127:128], v[123:124]
	s_waitcnt vmcnt(19)
	v_fma_f64 v[133:134], v[135:136], v[129:130], v[123:124]
	ds_read2_b64 v[123:126], v122 offset0:103 offset1:104
	ds_read2_b64 v[127:130], v122 offset0:105 offset1:106
	s_waitcnt vmcnt(18) lgkmcnt(1)
	v_fma_f64 v[123:124], v[141:142], v[123:124], v[133:134]
	s_waitcnt vmcnt(17)
	v_fma_f64 v[123:124], v[139:140], v[125:126], v[123:124]
	buffer_load_dword v134, off, s[0:3], 0 offset:436
	buffer_load_dword v135, off, s[0:3], 0 offset:456
	;; [unrolled: 1-line block ×7, first 2 shown]
	s_waitcnt vmcnt(23) lgkmcnt(0)
	v_fma_f64 v[123:124], v[137:138], v[127:128], v[123:124]
	s_waitcnt vmcnt(18)
	v_fma_f64 v[136:137], v[143:144], v[129:130], v[123:124]
	ds_read2_b64 v[123:126], v122 offset0:107 offset1:108
	ds_read2_b64 v[127:130], v122 offset0:109 offset1:110
	s_waitcnt vmcnt(17) lgkmcnt(1)
	v_fma_f64 v[123:124], v[151:152], v[123:124], v[136:137]
	buffer_load_dword v136, off, s[0:3], 0 offset:460
	buffer_load_dword v138, off, s[0:3], 0 offset:468
	buffer_load_dword v143, off, s[0:3], 0 offset:472
	buffer_load_dword v137, off, s[0:3], 0 offset:464
	buffer_load_dword v144, off, s[0:3], 0 offset:476
	s_waitcnt vmcnt(21)
	v_fma_f64 v[123:124], v[149:150], v[125:126], v[123:124]
	s_waitcnt vmcnt(20) lgkmcnt(0)
	v_fma_f64 v[123:124], v[145:146], v[127:128], v[123:124]
	buffer_load_dword v145, off, s[0:3], 0 offset:208
	buffer_load_dword v146, off, s[0:3], 0 offset:212
	s_waitcnt vmcnt(17)
	v_fma_f64 v[131:132], v[131:132], v[129:130], v[123:124]
	ds_read2_b64 v[123:126], v122 offset0:111 offset1:112
	ds_read2_b64 v[127:130], v122 offset0:113 offset1:114
	s_waitcnt vmcnt(16) lgkmcnt(1)
	v_fma_f64 v[123:124], v[155:156], v[123:124], v[131:132]
	s_waitcnt vmcnt(15)
	v_fma_f64 v[123:124], v[153:154], v[125:126], v[123:124]
	s_waitcnt vmcnt(14) lgkmcnt(0)
	v_fma_f64 v[123:124], v[147:148], v[127:128], v[123:124]
	s_waitcnt vmcnt(9)
	v_fma_f64 v[131:132], v[133:134], v[129:130], v[123:124]
	ds_read2_b64 v[123:126], v122 offset0:115 offset1:116
	ds_read2_b64 v[127:130], v122 offset0:117 offset1:118
	s_waitcnt vmcnt(8) lgkmcnt(1)
	v_fma_f64 v[123:124], v[141:142], v[123:124], v[131:132]
	s_waitcnt vmcnt(7)
	v_fma_f64 v[123:124], v[139:140], v[125:126], v[123:124]
	ds_read_b64 v[125:126], v122 offset:952
	s_waitcnt vmcnt(6) lgkmcnt(1)
	v_fma_f64 v[123:124], v[135:136], v[127:128], v[123:124]
	s_waitcnt vmcnt(3)
	v_fma_f64 v[123:124], v[137:138], v[129:130], v[123:124]
	s_waitcnt vmcnt(2) lgkmcnt(0)
	v_fma_f64 v[123:124], v[143:144], v[125:126], v[123:124]
	s_waitcnt vmcnt(0)
	v_add_f64 v[123:124], v[145:146], -v[123:124]
	buffer_store_dword v124, off, s[0:3], 0 offset:212
	buffer_store_dword v123, off, s[0:3], 0 offset:208
	s_and_saveexec_b64 s[4:5], vcc
	s_cbranch_execz .LBB123_317
; %bb.316:
	buffer_load_dword v123, off, s[0:3], 0 offset:200
	buffer_load_dword v124, off, s[0:3], 0 offset:204
	s_waitcnt vmcnt(0)
	ds_write_b64 v121, v[123:124]
	buffer_store_dword v122, off, s[0:3], 0 offset:200
	buffer_store_dword v122, off, s[0:3], 0 offset:204
.LBB123_317:
	s_or_b64 exec, exec, s[4:5]
	s_waitcnt lgkmcnt(0)
	; wave barrier
	buffer_load_dword v131, off, s[0:3], 0 offset:208
	buffer_load_dword v132, off, s[0:3], 0 offset:212
	;; [unrolled: 1-line block ×21, first 2 shown]
	ds_read_b128 v[123:126], v122 offset:688
	ds_read_b128 v[127:130], v122 offset:704
	buffer_load_dword v148, off, s[0:3], 0 offset:292
	v_cmp_lt_u32_e32 vcc, 24, v0
	s_waitcnt vmcnt(20) lgkmcnt(1)
	v_fma_f64 v[123:124], v[131:132], v[123:124], 0
	s_waitcnt vmcnt(18)
	v_fma_f64 v[123:124], v[133:134], v[125:126], v[123:124]
	buffer_load_dword v132, off, s[0:3], 0 offset:300
	buffer_load_dword v133, off, s[0:3], 0 offset:320
	;; [unrolled: 1-line block ×7, first 2 shown]
	s_waitcnt vmcnt(23) lgkmcnt(0)
	v_fma_f64 v[123:124], v[135:136], v[127:128], v[123:124]
	s_waitcnt vmcnt(21)
	v_fma_f64 v[134:135], v[137:138], v[129:130], v[123:124]
	ds_read_b128 v[123:126], v122 offset:720
	ds_read_b128 v[127:130], v122 offset:736
	s_waitcnt vmcnt(19) lgkmcnt(1)
	v_fma_f64 v[123:124], v[139:140], v[123:124], v[134:135]
	buffer_load_dword v134, off, s[0:3], 0 offset:324
	s_waitcnt vmcnt(18)
	v_fma_f64 v[123:124], v[141:142], v[125:126], v[123:124]
	buffer_load_dword v136, off, s[0:3], 0 offset:332
	buffer_load_dword v137, off, s[0:3], 0 offset:352
	;; [unrolled: 1-line block ×8, first 2 shown]
	s_waitcnt vmcnt(24) lgkmcnt(0)
	v_fma_f64 v[123:124], v[143:144], v[127:128], v[123:124]
	s_waitcnt vmcnt(19)
	v_fma_f64 v[143:144], v[145:146], v[129:130], v[123:124]
	ds_read_b128 v[123:126], v122 offset:752
	ds_read_b128 v[127:130], v122 offset:768
	s_waitcnt vmcnt(18) lgkmcnt(1)
	v_fma_f64 v[123:124], v[151:152], v[123:124], v[143:144]
	s_waitcnt vmcnt(17)
	v_fma_f64 v[123:124], v[149:150], v[125:126], v[123:124]
	buffer_load_dword v144, off, s[0:3], 0 offset:364
	buffer_load_dword v145, off, s[0:3], 0 offset:384
	;; [unrolled: 1-line block ×7, first 2 shown]
	s_waitcnt vmcnt(23) lgkmcnt(0)
	v_fma_f64 v[123:124], v[147:148], v[127:128], v[123:124]
	s_waitcnt vmcnt(18)
	v_fma_f64 v[131:132], v[131:132], v[129:130], v[123:124]
	ds_read_b128 v[123:126], v122 offset:784
	ds_read_b128 v[127:130], v122 offset:800
	buffer_load_dword v146, off, s[0:3], 0 offset:388
	s_waitcnt vmcnt(18) lgkmcnt(1)
	v_fma_f64 v[123:124], v[155:156], v[123:124], v[131:132]
	s_waitcnt vmcnt(17)
	v_fma_f64 v[123:124], v[153:154], v[125:126], v[123:124]
	buffer_load_dword v132, off, s[0:3], 0 offset:396
	buffer_load_dword v147, off, s[0:3], 0 offset:416
	;; [unrolled: 1-line block ×8, first 2 shown]
	s_waitcnt vmcnt(24) lgkmcnt(0)
	v_fma_f64 v[123:124], v[133:134], v[127:128], v[123:124]
	s_waitcnt vmcnt(19)
	v_fma_f64 v[133:134], v[135:136], v[129:130], v[123:124]
	ds_read_b128 v[123:126], v122 offset:816
	ds_read_b128 v[127:130], v122 offset:832
	s_waitcnt vmcnt(18) lgkmcnt(1)
	v_fma_f64 v[123:124], v[141:142], v[123:124], v[133:134]
	s_waitcnt vmcnt(17)
	v_fma_f64 v[123:124], v[139:140], v[125:126], v[123:124]
	buffer_load_dword v134, off, s[0:3], 0 offset:428
	buffer_load_dword v135, off, s[0:3], 0 offset:448
	;; [unrolled: 1-line block ×7, first 2 shown]
	s_waitcnt vmcnt(23) lgkmcnt(0)
	v_fma_f64 v[123:124], v[137:138], v[127:128], v[123:124]
	s_waitcnt vmcnt(18)
	v_fma_f64 v[136:137], v[143:144], v[129:130], v[123:124]
	ds_read_b128 v[123:126], v122 offset:848
	ds_read_b128 v[127:130], v122 offset:864
	s_waitcnt vmcnt(17) lgkmcnt(1)
	v_fma_f64 v[123:124], v[151:152], v[123:124], v[136:137]
	buffer_load_dword v136, off, s[0:3], 0 offset:452
	s_waitcnt vmcnt(17)
	v_fma_f64 v[123:124], v[149:150], v[125:126], v[123:124]
	buffer_load_dword v138, off, s[0:3], 0 offset:460
	buffer_load_dword v143, off, s[0:3], 0 offset:472
	;; [unrolled: 1-line block ×6, first 2 shown]
	s_waitcnt vmcnt(22) lgkmcnt(0)
	v_fma_f64 v[123:124], v[145:146], v[127:128], v[123:124]
	s_waitcnt vmcnt(17)
	v_fma_f64 v[131:132], v[131:132], v[129:130], v[123:124]
	ds_read_b128 v[123:126], v122 offset:880
	buffer_load_dword v145, off, s[0:3], 0 offset:200
	buffer_load_dword v146, off, s[0:3], 0 offset:204
	ds_read_b128 v[127:130], v122 offset:896
	s_waitcnt vmcnt(18) lgkmcnt(1)
	v_fma_f64 v[123:124], v[155:156], v[123:124], v[131:132]
	s_waitcnt vmcnt(17)
	v_fma_f64 v[123:124], v[153:154], v[125:126], v[123:124]
	s_waitcnt vmcnt(16) lgkmcnt(0)
	v_fma_f64 v[123:124], v[147:148], v[127:128], v[123:124]
	s_waitcnt vmcnt(11)
	v_fma_f64 v[131:132], v[133:134], v[129:130], v[123:124]
	ds_read_b128 v[123:126], v122 offset:912
	ds_read_b128 v[127:130], v122 offset:928
	s_waitcnt vmcnt(10) lgkmcnt(1)
	v_fma_f64 v[123:124], v[141:142], v[123:124], v[131:132]
	s_waitcnt vmcnt(9)
	v_fma_f64 v[123:124], v[139:140], v[125:126], v[123:124]
	s_waitcnt vmcnt(8) lgkmcnt(0)
	v_fma_f64 v[123:124], v[135:136], v[127:128], v[123:124]
	s_waitcnt vmcnt(4)
	v_fma_f64 v[126:127], v[137:138], v[129:130], v[123:124]
	ds_read_b128 v[122:125], v122 offset:944
	s_waitcnt vmcnt(3) lgkmcnt(0)
	v_fma_f64 v[122:123], v[149:150], v[122:123], v[126:127]
	s_waitcnt vmcnt(2)
	v_fma_f64 v[122:123], v[143:144], v[124:125], v[122:123]
	s_waitcnt vmcnt(0)
	v_add_f64 v[122:123], v[145:146], -v[122:123]
	buffer_store_dword v123, off, s[0:3], 0 offset:204
	buffer_store_dword v122, off, s[0:3], 0 offset:200
	s_and_saveexec_b64 s[4:5], vcc
	s_cbranch_execz .LBB123_319
; %bb.318:
	buffer_load_dword v122, off, s[0:3], 0 offset:192
	buffer_load_dword v123, off, s[0:3], 0 offset:196
	v_mov_b32_e32 v124, 0
	buffer_store_dword v124, off, s[0:3], 0 offset:192
	buffer_store_dword v124, off, s[0:3], 0 offset:196
	s_waitcnt vmcnt(2)
	ds_write_b64 v121, v[122:123]
.LBB123_319:
	s_or_b64 exec, exec, s[4:5]
	s_waitcnt lgkmcnt(0)
	; wave barrier
	buffer_load_dword v131, off, s[0:3], 0 offset:200
	buffer_load_dword v132, off, s[0:3], 0 offset:204
	;; [unrolled: 1-line block ×21, first 2 shown]
	v_mov_b32_e32 v122, 0
	ds_read2_b64 v[123:126], v122 offset0:85 offset1:86
	ds_read2_b64 v[127:130], v122 offset0:87 offset1:88
	buffer_load_dword v148, off, s[0:3], 0 offset:284
	v_cmp_lt_u32_e32 vcc, 23, v0
	s_waitcnt vmcnt(20) lgkmcnt(1)
	v_fma_f64 v[123:124], v[131:132], v[123:124], 0
	s_waitcnt vmcnt(18)
	v_fma_f64 v[123:124], v[133:134], v[125:126], v[123:124]
	buffer_load_dword v132, off, s[0:3], 0 offset:292
	buffer_load_dword v133, off, s[0:3], 0 offset:312
	;; [unrolled: 1-line block ×7, first 2 shown]
	s_waitcnt vmcnt(23) lgkmcnt(0)
	v_fma_f64 v[123:124], v[135:136], v[127:128], v[123:124]
	s_waitcnt vmcnt(21)
	v_fma_f64 v[134:135], v[137:138], v[129:130], v[123:124]
	ds_read2_b64 v[123:126], v122 offset0:89 offset1:90
	ds_read2_b64 v[127:130], v122 offset0:91 offset1:92
	s_waitcnt vmcnt(19) lgkmcnt(1)
	v_fma_f64 v[123:124], v[139:140], v[123:124], v[134:135]
	buffer_load_dword v134, off, s[0:3], 0 offset:316
	s_waitcnt vmcnt(18)
	v_fma_f64 v[123:124], v[141:142], v[125:126], v[123:124]
	buffer_load_dword v136, off, s[0:3], 0 offset:324
	buffer_load_dword v137, off, s[0:3], 0 offset:344
	;; [unrolled: 1-line block ×8, first 2 shown]
	s_waitcnt vmcnt(24) lgkmcnt(0)
	v_fma_f64 v[123:124], v[143:144], v[127:128], v[123:124]
	s_waitcnt vmcnt(19)
	v_fma_f64 v[143:144], v[145:146], v[129:130], v[123:124]
	ds_read2_b64 v[123:126], v122 offset0:93 offset1:94
	ds_read2_b64 v[127:130], v122 offset0:95 offset1:96
	s_waitcnt vmcnt(18) lgkmcnt(1)
	v_fma_f64 v[123:124], v[151:152], v[123:124], v[143:144]
	s_waitcnt vmcnt(17)
	v_fma_f64 v[123:124], v[149:150], v[125:126], v[123:124]
	buffer_load_dword v144, off, s[0:3], 0 offset:356
	buffer_load_dword v145, off, s[0:3], 0 offset:376
	;; [unrolled: 1-line block ×7, first 2 shown]
	s_waitcnt vmcnt(23) lgkmcnt(0)
	v_fma_f64 v[123:124], v[147:148], v[127:128], v[123:124]
	s_waitcnt vmcnt(18)
	v_fma_f64 v[131:132], v[131:132], v[129:130], v[123:124]
	ds_read2_b64 v[123:126], v122 offset0:97 offset1:98
	ds_read2_b64 v[127:130], v122 offset0:99 offset1:100
	buffer_load_dword v146, off, s[0:3], 0 offset:380
	s_waitcnt vmcnt(18) lgkmcnt(1)
	v_fma_f64 v[123:124], v[155:156], v[123:124], v[131:132]
	s_waitcnt vmcnt(17)
	v_fma_f64 v[123:124], v[153:154], v[125:126], v[123:124]
	buffer_load_dword v132, off, s[0:3], 0 offset:388
	buffer_load_dword v147, off, s[0:3], 0 offset:408
	;; [unrolled: 1-line block ×8, first 2 shown]
	s_waitcnt vmcnt(24) lgkmcnt(0)
	v_fma_f64 v[123:124], v[133:134], v[127:128], v[123:124]
	s_waitcnt vmcnt(19)
	v_fma_f64 v[133:134], v[135:136], v[129:130], v[123:124]
	ds_read2_b64 v[123:126], v122 offset0:101 offset1:102
	ds_read2_b64 v[127:130], v122 offset0:103 offset1:104
	s_waitcnt vmcnt(18) lgkmcnt(1)
	v_fma_f64 v[123:124], v[141:142], v[123:124], v[133:134]
	s_waitcnt vmcnt(17)
	v_fma_f64 v[123:124], v[139:140], v[125:126], v[123:124]
	buffer_load_dword v134, off, s[0:3], 0 offset:420
	buffer_load_dword v135, off, s[0:3], 0 offset:440
	;; [unrolled: 1-line block ×7, first 2 shown]
	s_waitcnt vmcnt(23) lgkmcnt(0)
	v_fma_f64 v[123:124], v[137:138], v[127:128], v[123:124]
	s_waitcnt vmcnt(18)
	v_fma_f64 v[136:137], v[143:144], v[129:130], v[123:124]
	ds_read2_b64 v[123:126], v122 offset0:105 offset1:106
	ds_read2_b64 v[127:130], v122 offset0:107 offset1:108
	s_waitcnt vmcnt(17) lgkmcnt(1)
	v_fma_f64 v[123:124], v[151:152], v[123:124], v[136:137]
	buffer_load_dword v136, off, s[0:3], 0 offset:444
	s_waitcnt vmcnt(17)
	v_fma_f64 v[123:124], v[149:150], v[125:126], v[123:124]
	buffer_load_dword v138, off, s[0:3], 0 offset:452
	buffer_load_dword v143, off, s[0:3], 0 offset:472
	;; [unrolled: 1-line block ×8, first 2 shown]
	s_waitcnt vmcnt(24) lgkmcnt(0)
	v_fma_f64 v[123:124], v[145:146], v[127:128], v[123:124]
	s_waitcnt vmcnt(19)
	v_fma_f64 v[131:132], v[131:132], v[129:130], v[123:124]
	ds_read2_b64 v[123:126], v122 offset0:109 offset1:110
	ds_read2_b64 v[127:130], v122 offset0:111 offset1:112
	s_waitcnt vmcnt(18) lgkmcnt(1)
	v_fma_f64 v[123:124], v[155:156], v[123:124], v[131:132]
	buffer_load_dword v131, off, s[0:3], 0 offset:192
	buffer_load_dword v132, off, s[0:3], 0 offset:196
	s_waitcnt vmcnt(19)
	v_fma_f64 v[123:124], v[153:154], v[125:126], v[123:124]
	s_waitcnt vmcnt(18) lgkmcnt(0)
	v_fma_f64 v[123:124], v[147:148], v[127:128], v[123:124]
	s_waitcnt vmcnt(13)
	v_fma_f64 v[133:134], v[133:134], v[129:130], v[123:124]
	ds_read2_b64 v[123:126], v122 offset0:113 offset1:114
	ds_read2_b64 v[127:130], v122 offset0:115 offset1:116
	s_waitcnt vmcnt(12) lgkmcnt(1)
	v_fma_f64 v[123:124], v[141:142], v[123:124], v[133:134]
	s_waitcnt vmcnt(11)
	v_fma_f64 v[123:124], v[139:140], v[125:126], v[123:124]
	s_waitcnt vmcnt(10) lgkmcnt(0)
	v_fma_f64 v[123:124], v[135:136], v[127:128], v[123:124]
	s_waitcnt vmcnt(5)
	v_fma_f64 v[127:128], v[137:138], v[129:130], v[123:124]
	ds_read2_b64 v[123:126], v122 offset0:117 offset1:118
	ds_read_b64 v[129:130], v122 offset:952
	s_waitcnt vmcnt(4) lgkmcnt(1)
	v_fma_f64 v[123:124], v[151:152], v[123:124], v[127:128]
	s_waitcnt vmcnt(3)
	v_fma_f64 v[123:124], v[149:150], v[125:126], v[123:124]
	s_waitcnt vmcnt(2) lgkmcnt(0)
	v_fma_f64 v[123:124], v[143:144], v[129:130], v[123:124]
	s_waitcnt vmcnt(0)
	v_add_f64 v[123:124], v[131:132], -v[123:124]
	buffer_store_dword v124, off, s[0:3], 0 offset:196
	buffer_store_dword v123, off, s[0:3], 0 offset:192
	s_and_saveexec_b64 s[4:5], vcc
	s_cbranch_execz .LBB123_321
; %bb.320:
	buffer_load_dword v123, off, s[0:3], 0 offset:184
	buffer_load_dword v124, off, s[0:3], 0 offset:188
	s_waitcnt vmcnt(0)
	ds_write_b64 v121, v[123:124]
	buffer_store_dword v122, off, s[0:3], 0 offset:184
	buffer_store_dword v122, off, s[0:3], 0 offset:188
.LBB123_321:
	s_or_b64 exec, exec, s[4:5]
	s_waitcnt lgkmcnt(0)
	; wave barrier
	buffer_load_dword v131, off, s[0:3], 0 offset:192
	buffer_load_dword v132, off, s[0:3], 0 offset:196
	;; [unrolled: 1-line block ×21, first 2 shown]
	ds_read_b128 v[123:126], v122 offset:672
	ds_read_b128 v[127:130], v122 offset:688
	buffer_load_dword v148, off, s[0:3], 0 offset:276
	v_cmp_lt_u32_e32 vcc, 22, v0
	s_waitcnt vmcnt(20) lgkmcnt(1)
	v_fma_f64 v[123:124], v[131:132], v[123:124], 0
	s_waitcnt vmcnt(18)
	v_fma_f64 v[123:124], v[133:134], v[125:126], v[123:124]
	buffer_load_dword v132, off, s[0:3], 0 offset:284
	buffer_load_dword v133, off, s[0:3], 0 offset:304
	;; [unrolled: 1-line block ×7, first 2 shown]
	s_waitcnt vmcnt(23) lgkmcnt(0)
	v_fma_f64 v[123:124], v[135:136], v[127:128], v[123:124]
	s_waitcnt vmcnt(21)
	v_fma_f64 v[134:135], v[137:138], v[129:130], v[123:124]
	ds_read_b128 v[123:126], v122 offset:704
	ds_read_b128 v[127:130], v122 offset:720
	s_waitcnt vmcnt(19) lgkmcnt(1)
	v_fma_f64 v[123:124], v[139:140], v[123:124], v[134:135]
	buffer_load_dword v134, off, s[0:3], 0 offset:308
	s_waitcnt vmcnt(18)
	v_fma_f64 v[123:124], v[141:142], v[125:126], v[123:124]
	buffer_load_dword v136, off, s[0:3], 0 offset:316
	buffer_load_dword v137, off, s[0:3], 0 offset:336
	;; [unrolled: 1-line block ×8, first 2 shown]
	s_waitcnt vmcnt(24) lgkmcnt(0)
	v_fma_f64 v[123:124], v[143:144], v[127:128], v[123:124]
	s_waitcnt vmcnt(19)
	v_fma_f64 v[143:144], v[145:146], v[129:130], v[123:124]
	ds_read_b128 v[123:126], v122 offset:736
	ds_read_b128 v[127:130], v122 offset:752
	s_waitcnt vmcnt(18) lgkmcnt(1)
	v_fma_f64 v[123:124], v[151:152], v[123:124], v[143:144]
	s_waitcnt vmcnt(17)
	v_fma_f64 v[123:124], v[149:150], v[125:126], v[123:124]
	buffer_load_dword v144, off, s[0:3], 0 offset:348
	buffer_load_dword v145, off, s[0:3], 0 offset:368
	;; [unrolled: 1-line block ×7, first 2 shown]
	s_waitcnt vmcnt(23) lgkmcnt(0)
	v_fma_f64 v[123:124], v[147:148], v[127:128], v[123:124]
	s_waitcnt vmcnt(18)
	v_fma_f64 v[131:132], v[131:132], v[129:130], v[123:124]
	ds_read_b128 v[123:126], v122 offset:768
	ds_read_b128 v[127:130], v122 offset:784
	buffer_load_dword v146, off, s[0:3], 0 offset:372
	s_waitcnt vmcnt(18) lgkmcnt(1)
	v_fma_f64 v[123:124], v[155:156], v[123:124], v[131:132]
	s_waitcnt vmcnt(17)
	v_fma_f64 v[123:124], v[153:154], v[125:126], v[123:124]
	buffer_load_dword v132, off, s[0:3], 0 offset:380
	buffer_load_dword v147, off, s[0:3], 0 offset:400
	;; [unrolled: 1-line block ×8, first 2 shown]
	s_waitcnt vmcnt(24) lgkmcnt(0)
	v_fma_f64 v[123:124], v[133:134], v[127:128], v[123:124]
	s_waitcnt vmcnt(19)
	v_fma_f64 v[133:134], v[135:136], v[129:130], v[123:124]
	ds_read_b128 v[123:126], v122 offset:800
	ds_read_b128 v[127:130], v122 offset:816
	s_waitcnt vmcnt(18) lgkmcnt(1)
	v_fma_f64 v[123:124], v[141:142], v[123:124], v[133:134]
	s_waitcnt vmcnt(17)
	v_fma_f64 v[123:124], v[139:140], v[125:126], v[123:124]
	buffer_load_dword v134, off, s[0:3], 0 offset:412
	buffer_load_dword v135, off, s[0:3], 0 offset:432
	;; [unrolled: 1-line block ×7, first 2 shown]
	s_waitcnt vmcnt(23) lgkmcnt(0)
	v_fma_f64 v[123:124], v[137:138], v[127:128], v[123:124]
	s_waitcnt vmcnt(18)
	v_fma_f64 v[136:137], v[143:144], v[129:130], v[123:124]
	ds_read_b128 v[123:126], v122 offset:832
	ds_read_b128 v[127:130], v122 offset:848
	s_waitcnt vmcnt(17) lgkmcnt(1)
	v_fma_f64 v[123:124], v[151:152], v[123:124], v[136:137]
	buffer_load_dword v136, off, s[0:3], 0 offset:436
	s_waitcnt vmcnt(17)
	v_fma_f64 v[123:124], v[149:150], v[125:126], v[123:124]
	buffer_load_dword v138, off, s[0:3], 0 offset:444
	buffer_load_dword v143, off, s[0:3], 0 offset:464
	;; [unrolled: 1-line block ×8, first 2 shown]
	s_waitcnt vmcnt(24) lgkmcnt(0)
	v_fma_f64 v[123:124], v[145:146], v[127:128], v[123:124]
	s_waitcnt vmcnt(19)
	v_fma_f64 v[131:132], v[131:132], v[129:130], v[123:124]
	ds_read_b128 v[123:126], v122 offset:864
	ds_read_b128 v[127:130], v122 offset:880
	s_waitcnt vmcnt(18) lgkmcnt(1)
	v_fma_f64 v[123:124], v[155:156], v[123:124], v[131:132]
	buffer_load_dword v132, off, s[0:3], 0 offset:476
	buffer_load_dword v131, off, s[0:3], 0 offset:472
	;; [unrolled: 1-line block ×4, first 2 shown]
	s_waitcnt vmcnt(21)
	v_fma_f64 v[123:124], v[153:154], v[125:126], v[123:124]
	s_waitcnt vmcnt(20) lgkmcnt(0)
	v_fma_f64 v[123:124], v[147:148], v[127:128], v[123:124]
	s_waitcnt vmcnt(15)
	v_fma_f64 v[133:134], v[133:134], v[129:130], v[123:124]
	ds_read_b128 v[123:126], v122 offset:896
	ds_read_b128 v[127:130], v122 offset:912
	s_waitcnt vmcnt(14) lgkmcnt(1)
	v_fma_f64 v[123:124], v[141:142], v[123:124], v[133:134]
	s_waitcnt vmcnt(13)
	v_fma_f64 v[123:124], v[139:140], v[125:126], v[123:124]
	s_waitcnt vmcnt(12) lgkmcnt(0)
	v_fma_f64 v[123:124], v[135:136], v[127:128], v[123:124]
	s_waitcnt vmcnt(7)
	v_fma_f64 v[133:134], v[137:138], v[129:130], v[123:124]
	ds_read_b128 v[123:126], v122 offset:928
	ds_read_b128 v[127:130], v122 offset:944
	s_waitcnt vmcnt(6) lgkmcnt(1)
	v_fma_f64 v[122:123], v[151:152], v[123:124], v[133:134]
	s_waitcnt vmcnt(5)
	v_fma_f64 v[122:123], v[149:150], v[125:126], v[122:123]
	s_waitcnt vmcnt(4) lgkmcnt(0)
	v_fma_f64 v[122:123], v[143:144], v[127:128], v[122:123]
	s_waitcnt vmcnt(2)
	v_fma_f64 v[122:123], v[131:132], v[129:130], v[122:123]
	s_waitcnt vmcnt(0)
	v_add_f64 v[122:123], v[145:146], -v[122:123]
	buffer_store_dword v123, off, s[0:3], 0 offset:188
	buffer_store_dword v122, off, s[0:3], 0 offset:184
	s_and_saveexec_b64 s[4:5], vcc
	s_cbranch_execz .LBB123_323
; %bb.322:
	buffer_load_dword v122, off, s[0:3], 0 offset:176
	buffer_load_dword v123, off, s[0:3], 0 offset:180
	v_mov_b32_e32 v124, 0
	buffer_store_dword v124, off, s[0:3], 0 offset:176
	buffer_store_dword v124, off, s[0:3], 0 offset:180
	s_waitcnt vmcnt(2)
	ds_write_b64 v121, v[122:123]
.LBB123_323:
	s_or_b64 exec, exec, s[4:5]
	s_waitcnt lgkmcnt(0)
	; wave barrier
	buffer_load_dword v131, off, s[0:3], 0 offset:184
	buffer_load_dword v132, off, s[0:3], 0 offset:188
	;; [unrolled: 1-line block ×21, first 2 shown]
	v_mov_b32_e32 v122, 0
	ds_read2_b64 v[123:126], v122 offset0:83 offset1:84
	ds_read2_b64 v[127:130], v122 offset0:85 offset1:86
	buffer_load_dword v148, off, s[0:3], 0 offset:268
	v_cmp_lt_u32_e32 vcc, 21, v0
	s_waitcnt vmcnt(20) lgkmcnt(1)
	v_fma_f64 v[123:124], v[131:132], v[123:124], 0
	s_waitcnt vmcnt(18)
	v_fma_f64 v[123:124], v[133:134], v[125:126], v[123:124]
	buffer_load_dword v132, off, s[0:3], 0 offset:276
	buffer_load_dword v133, off, s[0:3], 0 offset:296
	;; [unrolled: 1-line block ×7, first 2 shown]
	s_waitcnt vmcnt(23) lgkmcnt(0)
	v_fma_f64 v[123:124], v[135:136], v[127:128], v[123:124]
	s_waitcnt vmcnt(21)
	v_fma_f64 v[134:135], v[137:138], v[129:130], v[123:124]
	ds_read2_b64 v[123:126], v122 offset0:87 offset1:88
	ds_read2_b64 v[127:130], v122 offset0:89 offset1:90
	s_waitcnt vmcnt(19) lgkmcnt(1)
	v_fma_f64 v[123:124], v[139:140], v[123:124], v[134:135]
	buffer_load_dword v134, off, s[0:3], 0 offset:300
	s_waitcnt vmcnt(18)
	v_fma_f64 v[123:124], v[141:142], v[125:126], v[123:124]
	buffer_load_dword v136, off, s[0:3], 0 offset:308
	buffer_load_dword v137, off, s[0:3], 0 offset:328
	;; [unrolled: 1-line block ×8, first 2 shown]
	s_waitcnt vmcnt(24) lgkmcnt(0)
	v_fma_f64 v[123:124], v[143:144], v[127:128], v[123:124]
	s_waitcnt vmcnt(19)
	v_fma_f64 v[143:144], v[145:146], v[129:130], v[123:124]
	ds_read2_b64 v[123:126], v122 offset0:91 offset1:92
	ds_read2_b64 v[127:130], v122 offset0:93 offset1:94
	s_waitcnt vmcnt(18) lgkmcnt(1)
	v_fma_f64 v[123:124], v[151:152], v[123:124], v[143:144]
	s_waitcnt vmcnt(17)
	v_fma_f64 v[123:124], v[149:150], v[125:126], v[123:124]
	buffer_load_dword v144, off, s[0:3], 0 offset:340
	buffer_load_dword v145, off, s[0:3], 0 offset:360
	buffer_load_dword v149, off, s[0:3], 0 offset:352
	buffer_load_dword v151, off, s[0:3], 0 offset:344
	buffer_load_dword v143, off, s[0:3], 0 offset:336
	buffer_load_dword v152, off, s[0:3], 0 offset:348
	buffer_load_dword v150, off, s[0:3], 0 offset:356
	s_waitcnt vmcnt(23) lgkmcnt(0)
	v_fma_f64 v[123:124], v[147:148], v[127:128], v[123:124]
	s_waitcnt vmcnt(18)
	v_fma_f64 v[131:132], v[131:132], v[129:130], v[123:124]
	ds_read2_b64 v[123:126], v122 offset0:95 offset1:96
	ds_read2_b64 v[127:130], v122 offset0:97 offset1:98
	buffer_load_dword v146, off, s[0:3], 0 offset:364
	s_waitcnt vmcnt(18) lgkmcnt(1)
	v_fma_f64 v[123:124], v[155:156], v[123:124], v[131:132]
	s_waitcnt vmcnt(17)
	v_fma_f64 v[123:124], v[153:154], v[125:126], v[123:124]
	buffer_load_dword v132, off, s[0:3], 0 offset:372
	buffer_load_dword v147, off, s[0:3], 0 offset:392
	;; [unrolled: 1-line block ×7, first 2 shown]
	s_waitcnt vmcnt(23) lgkmcnt(0)
	v_fma_f64 v[123:124], v[133:134], v[127:128], v[123:124]
	s_waitcnt vmcnt(18)
	v_fma_f64 v[133:134], v[135:136], v[129:130], v[123:124]
	ds_read2_b64 v[123:126], v122 offset0:99 offset1:100
	ds_read2_b64 v[127:130], v122 offset0:101 offset1:102
	buffer_load_dword v148, off, s[0:3], 0 offset:396
	s_waitcnt vmcnt(18) lgkmcnt(1)
	v_fma_f64 v[123:124], v[141:142], v[123:124], v[133:134]
	s_waitcnt vmcnt(17)
	v_fma_f64 v[123:124], v[139:140], v[125:126], v[123:124]
	buffer_load_dword v134, off, s[0:3], 0 offset:404
	buffer_load_dword v135, off, s[0:3], 0 offset:424
	;; [unrolled: 1-line block ×7, first 2 shown]
	s_waitcnt vmcnt(23) lgkmcnt(0)
	v_fma_f64 v[123:124], v[137:138], v[127:128], v[123:124]
	s_waitcnt vmcnt(18)
	v_fma_f64 v[136:137], v[143:144], v[129:130], v[123:124]
	ds_read2_b64 v[123:126], v122 offset0:103 offset1:104
	ds_read2_b64 v[127:130], v122 offset0:105 offset1:106
	s_waitcnt vmcnt(17) lgkmcnt(1)
	v_fma_f64 v[123:124], v[151:152], v[123:124], v[136:137]
	buffer_load_dword v136, off, s[0:3], 0 offset:428
	s_waitcnt vmcnt(17)
	v_fma_f64 v[123:124], v[149:150], v[125:126], v[123:124]
	buffer_load_dword v138, off, s[0:3], 0 offset:436
	buffer_load_dword v143, off, s[0:3], 0 offset:456
	;; [unrolled: 1-line block ×7, first 2 shown]
	s_waitcnt vmcnt(23) lgkmcnt(0)
	v_fma_f64 v[123:124], v[145:146], v[127:128], v[123:124]
	s_waitcnt vmcnt(18)
	v_fma_f64 v[131:132], v[131:132], v[129:130], v[123:124]
	ds_read2_b64 v[123:126], v122 offset0:107 offset1:108
	ds_read2_b64 v[127:130], v122 offset0:109 offset1:110
	buffer_load_dword v144, off, s[0:3], 0 offset:460
	s_waitcnt vmcnt(18) lgkmcnt(1)
	v_fma_f64 v[123:124], v[155:156], v[123:124], v[131:132]
	buffer_load_dword v132, off, s[0:3], 0 offset:468
	buffer_load_dword v145, off, s[0:3], 0 offset:472
	;; [unrolled: 1-line block ×4, first 2 shown]
	s_waitcnt vmcnt(21)
	v_fma_f64 v[123:124], v[153:154], v[125:126], v[123:124]
	s_waitcnt vmcnt(20) lgkmcnt(0)
	v_fma_f64 v[123:124], v[147:148], v[127:128], v[123:124]
	buffer_load_dword v147, off, s[0:3], 0 offset:176
	buffer_load_dword v148, off, s[0:3], 0 offset:180
	s_waitcnt vmcnt(17)
	v_fma_f64 v[133:134], v[133:134], v[129:130], v[123:124]
	ds_read2_b64 v[123:126], v122 offset0:111 offset1:112
	ds_read2_b64 v[127:130], v122 offset0:113 offset1:114
	s_waitcnt vmcnt(16) lgkmcnt(1)
	v_fma_f64 v[123:124], v[141:142], v[123:124], v[133:134]
	s_waitcnt vmcnt(15)
	v_fma_f64 v[123:124], v[139:140], v[125:126], v[123:124]
	s_waitcnt vmcnt(14) lgkmcnt(0)
	v_fma_f64 v[123:124], v[135:136], v[127:128], v[123:124]
	s_waitcnt vmcnt(9)
	v_fma_f64 v[133:134], v[137:138], v[129:130], v[123:124]
	ds_read2_b64 v[123:126], v122 offset0:115 offset1:116
	ds_read2_b64 v[127:130], v122 offset0:117 offset1:118
	s_waitcnt vmcnt(8) lgkmcnt(1)
	v_fma_f64 v[123:124], v[151:152], v[123:124], v[133:134]
	s_waitcnt vmcnt(7)
	v_fma_f64 v[123:124], v[149:150], v[125:126], v[123:124]
	ds_read_b64 v[125:126], v122 offset:952
	s_waitcnt vmcnt(6) lgkmcnt(1)
	v_fma_f64 v[123:124], v[143:144], v[127:128], v[123:124]
	s_waitcnt vmcnt(3)
	v_fma_f64 v[123:124], v[131:132], v[129:130], v[123:124]
	s_waitcnt vmcnt(2) lgkmcnt(0)
	v_fma_f64 v[123:124], v[145:146], v[125:126], v[123:124]
	s_waitcnt vmcnt(0)
	v_add_f64 v[123:124], v[147:148], -v[123:124]
	buffer_store_dword v124, off, s[0:3], 0 offset:180
	buffer_store_dword v123, off, s[0:3], 0 offset:176
	s_and_saveexec_b64 s[4:5], vcc
	s_cbranch_execz .LBB123_325
; %bb.324:
	buffer_load_dword v123, off, s[0:3], 0 offset:168
	buffer_load_dword v124, off, s[0:3], 0 offset:172
	s_waitcnt vmcnt(0)
	ds_write_b64 v121, v[123:124]
	buffer_store_dword v122, off, s[0:3], 0 offset:168
	buffer_store_dword v122, off, s[0:3], 0 offset:172
.LBB123_325:
	s_or_b64 exec, exec, s[4:5]
	s_waitcnt lgkmcnt(0)
	; wave barrier
	buffer_load_dword v131, off, s[0:3], 0 offset:176
	buffer_load_dword v132, off, s[0:3], 0 offset:180
	;; [unrolled: 1-line block ×22, first 2 shown]
	ds_read_b128 v[123:126], v122 offset:656
	ds_read_b128 v[127:130], v122 offset:672
	v_cmp_lt_u32_e32 vcc, 20, v0
	s_waitcnt vmcnt(20) lgkmcnt(1)
	v_fma_f64 v[123:124], v[131:132], v[123:124], 0
	s_waitcnt vmcnt(18)
	v_fma_f64 v[123:124], v[133:134], v[125:126], v[123:124]
	buffer_load_dword v132, off, s[0:3], 0 offset:268
	buffer_load_dword v133, off, s[0:3], 0 offset:288
	;; [unrolled: 1-line block ×7, first 2 shown]
	s_waitcnt vmcnt(23) lgkmcnt(0)
	v_fma_f64 v[123:124], v[135:136], v[127:128], v[123:124]
	s_waitcnt vmcnt(21)
	v_fma_f64 v[134:135], v[137:138], v[129:130], v[123:124]
	ds_read_b128 v[123:126], v122 offset:688
	ds_read_b128 v[127:130], v122 offset:704
	s_waitcnt vmcnt(19) lgkmcnt(1)
	v_fma_f64 v[123:124], v[139:140], v[123:124], v[134:135]
	buffer_load_dword v134, off, s[0:3], 0 offset:292
	s_waitcnt vmcnt(18)
	v_fma_f64 v[123:124], v[141:142], v[125:126], v[123:124]
	buffer_load_dword v136, off, s[0:3], 0 offset:300
	buffer_load_dword v137, off, s[0:3], 0 offset:320
	;; [unrolled: 1-line block ×8, first 2 shown]
	s_waitcnt vmcnt(24) lgkmcnt(0)
	v_fma_f64 v[123:124], v[143:144], v[127:128], v[123:124]
	s_waitcnt vmcnt(19)
	v_fma_f64 v[143:144], v[145:146], v[129:130], v[123:124]
	ds_read_b128 v[123:126], v122 offset:720
	ds_read_b128 v[127:130], v122 offset:736
	s_waitcnt vmcnt(18) lgkmcnt(1)
	v_fma_f64 v[123:124], v[151:152], v[123:124], v[143:144]
	s_waitcnt vmcnt(17)
	v_fma_f64 v[123:124], v[149:150], v[125:126], v[123:124]
	buffer_load_dword v144, off, s[0:3], 0 offset:332
	buffer_load_dword v145, off, s[0:3], 0 offset:352
	;; [unrolled: 1-line block ×8, first 2 shown]
	s_waitcnt vmcnt(24) lgkmcnt(0)
	v_fma_f64 v[123:124], v[147:148], v[127:128], v[123:124]
	s_waitcnt vmcnt(19)
	v_fma_f64 v[131:132], v[131:132], v[129:130], v[123:124]
	ds_read_b128 v[123:126], v122 offset:752
	ds_read_b128 v[127:130], v122 offset:768
	s_waitcnt vmcnt(18) lgkmcnt(1)
	v_fma_f64 v[123:124], v[155:156], v[123:124], v[131:132]
	s_waitcnt vmcnt(17)
	v_fma_f64 v[123:124], v[153:154], v[125:126], v[123:124]
	buffer_load_dword v132, off, s[0:3], 0 offset:364
	buffer_load_dword v147, off, s[0:3], 0 offset:384
	;; [unrolled: 1-line block ×7, first 2 shown]
	s_waitcnt vmcnt(23) lgkmcnt(0)
	v_fma_f64 v[123:124], v[133:134], v[127:128], v[123:124]
	s_waitcnt vmcnt(18)
	v_fma_f64 v[133:134], v[135:136], v[129:130], v[123:124]
	ds_read_b128 v[123:126], v122 offset:784
	ds_read_b128 v[127:130], v122 offset:800
	buffer_load_dword v148, off, s[0:3], 0 offset:388
	s_waitcnt vmcnt(18) lgkmcnt(1)
	v_fma_f64 v[123:124], v[141:142], v[123:124], v[133:134]
	s_waitcnt vmcnt(17)
	v_fma_f64 v[123:124], v[139:140], v[125:126], v[123:124]
	buffer_load_dword v134, off, s[0:3], 0 offset:396
	buffer_load_dword v135, off, s[0:3], 0 offset:416
	;; [unrolled: 1-line block ×7, first 2 shown]
	s_waitcnt vmcnt(23) lgkmcnt(0)
	v_fma_f64 v[123:124], v[137:138], v[127:128], v[123:124]
	s_waitcnt vmcnt(18)
	v_fma_f64 v[136:137], v[143:144], v[129:130], v[123:124]
	ds_read_b128 v[123:126], v122 offset:816
	ds_read_b128 v[127:130], v122 offset:832
	s_waitcnt vmcnt(17) lgkmcnt(1)
	v_fma_f64 v[123:124], v[151:152], v[123:124], v[136:137]
	buffer_load_dword v136, off, s[0:3], 0 offset:420
	s_waitcnt vmcnt(17)
	v_fma_f64 v[123:124], v[149:150], v[125:126], v[123:124]
	buffer_load_dword v138, off, s[0:3], 0 offset:428
	buffer_load_dword v143, off, s[0:3], 0 offset:448
	;; [unrolled: 1-line block ×8, first 2 shown]
	s_waitcnt vmcnt(24) lgkmcnt(0)
	v_fma_f64 v[123:124], v[145:146], v[127:128], v[123:124]
	s_waitcnt vmcnt(19)
	v_fma_f64 v[131:132], v[131:132], v[129:130], v[123:124]
	ds_read_b128 v[123:126], v122 offset:848
	ds_read_b128 v[127:130], v122 offset:864
	s_waitcnt vmcnt(18) lgkmcnt(1)
	v_fma_f64 v[123:124], v[155:156], v[123:124], v[131:132]
	s_waitcnt vmcnt(17)
	v_fma_f64 v[123:124], v[153:154], v[125:126], v[123:124]
	buffer_load_dword v132, off, s[0:3], 0 offset:460
	buffer_load_dword v145, off, s[0:3], 0 offset:472
	;; [unrolled: 1-line block ×6, first 2 shown]
	s_waitcnt vmcnt(22) lgkmcnt(0)
	v_fma_f64 v[123:124], v[147:148], v[127:128], v[123:124]
	s_waitcnt vmcnt(17)
	v_fma_f64 v[133:134], v[133:134], v[129:130], v[123:124]
	ds_read_b128 v[123:126], v122 offset:880
	buffer_load_dword v147, off, s[0:3], 0 offset:168
	buffer_load_dword v148, off, s[0:3], 0 offset:172
	ds_read_b128 v[127:130], v122 offset:896
	s_waitcnt vmcnt(18) lgkmcnt(1)
	v_fma_f64 v[123:124], v[141:142], v[123:124], v[133:134]
	s_waitcnt vmcnt(17)
	v_fma_f64 v[123:124], v[139:140], v[125:126], v[123:124]
	s_waitcnt vmcnt(16) lgkmcnt(0)
	v_fma_f64 v[123:124], v[135:136], v[127:128], v[123:124]
	s_waitcnt vmcnt(11)
	v_fma_f64 v[133:134], v[137:138], v[129:130], v[123:124]
	ds_read_b128 v[123:126], v122 offset:912
	ds_read_b128 v[127:130], v122 offset:928
	s_waitcnt vmcnt(10) lgkmcnt(1)
	v_fma_f64 v[123:124], v[151:152], v[123:124], v[133:134]
	s_waitcnt vmcnt(9)
	v_fma_f64 v[123:124], v[149:150], v[125:126], v[123:124]
	s_waitcnt vmcnt(8) lgkmcnt(0)
	v_fma_f64 v[123:124], v[143:144], v[127:128], v[123:124]
	s_waitcnt vmcnt(4)
	v_fma_f64 v[126:127], v[131:132], v[129:130], v[123:124]
	ds_read_b128 v[122:125], v122 offset:944
	s_waitcnt vmcnt(3) lgkmcnt(0)
	v_fma_f64 v[122:123], v[153:154], v[122:123], v[126:127]
	s_waitcnt vmcnt(2)
	v_fma_f64 v[122:123], v[145:146], v[124:125], v[122:123]
	s_waitcnt vmcnt(0)
	v_add_f64 v[122:123], v[147:148], -v[122:123]
	buffer_store_dword v123, off, s[0:3], 0 offset:172
	buffer_store_dword v122, off, s[0:3], 0 offset:168
	s_and_saveexec_b64 s[4:5], vcc
	s_cbranch_execz .LBB123_327
; %bb.326:
	buffer_load_dword v122, off, s[0:3], 0 offset:160
	buffer_load_dword v123, off, s[0:3], 0 offset:164
	v_mov_b32_e32 v124, 0
	buffer_store_dword v124, off, s[0:3], 0 offset:160
	buffer_store_dword v124, off, s[0:3], 0 offset:164
	s_waitcnt vmcnt(2)
	ds_write_b64 v121, v[122:123]
.LBB123_327:
	s_or_b64 exec, exec, s[4:5]
	s_waitcnt lgkmcnt(0)
	; wave barrier
	buffer_load_dword v131, off, s[0:3], 0 offset:168
	buffer_load_dword v132, off, s[0:3], 0 offset:172
	;; [unrolled: 1-line block ×22, first 2 shown]
	v_mov_b32_e32 v122, 0
	ds_read2_b64 v[123:126], v122 offset0:81 offset1:82
	ds_read2_b64 v[127:130], v122 offset0:83 offset1:84
	v_cmp_lt_u32_e32 vcc, 19, v0
	s_waitcnt vmcnt(20) lgkmcnt(1)
	v_fma_f64 v[123:124], v[131:132], v[123:124], 0
	s_waitcnt vmcnt(18)
	v_fma_f64 v[123:124], v[133:134], v[125:126], v[123:124]
	buffer_load_dword v132, off, s[0:3], 0 offset:260
	buffer_load_dword v133, off, s[0:3], 0 offset:280
	;; [unrolled: 1-line block ×7, first 2 shown]
	s_waitcnt vmcnt(23) lgkmcnt(0)
	v_fma_f64 v[123:124], v[135:136], v[127:128], v[123:124]
	s_waitcnt vmcnt(21)
	v_fma_f64 v[134:135], v[137:138], v[129:130], v[123:124]
	ds_read2_b64 v[123:126], v122 offset0:85 offset1:86
	ds_read2_b64 v[127:130], v122 offset0:87 offset1:88
	s_waitcnt vmcnt(19) lgkmcnt(1)
	v_fma_f64 v[123:124], v[139:140], v[123:124], v[134:135]
	buffer_load_dword v134, off, s[0:3], 0 offset:284
	s_waitcnt vmcnt(18)
	v_fma_f64 v[123:124], v[141:142], v[125:126], v[123:124]
	buffer_load_dword v136, off, s[0:3], 0 offset:292
	buffer_load_dword v137, off, s[0:3], 0 offset:312
	;; [unrolled: 1-line block ×8, first 2 shown]
	s_waitcnt vmcnt(24) lgkmcnt(0)
	v_fma_f64 v[123:124], v[143:144], v[127:128], v[123:124]
	s_waitcnt vmcnt(19)
	v_fma_f64 v[143:144], v[145:146], v[129:130], v[123:124]
	ds_read2_b64 v[123:126], v122 offset0:89 offset1:90
	ds_read2_b64 v[127:130], v122 offset0:91 offset1:92
	s_waitcnt vmcnt(18) lgkmcnt(1)
	v_fma_f64 v[123:124], v[151:152], v[123:124], v[143:144]
	s_waitcnt vmcnt(17)
	v_fma_f64 v[123:124], v[149:150], v[125:126], v[123:124]
	buffer_load_dword v144, off, s[0:3], 0 offset:324
	buffer_load_dword v145, off, s[0:3], 0 offset:344
	;; [unrolled: 1-line block ×8, first 2 shown]
	s_waitcnt vmcnt(24) lgkmcnt(0)
	v_fma_f64 v[123:124], v[147:148], v[127:128], v[123:124]
	s_waitcnt vmcnt(19)
	v_fma_f64 v[131:132], v[131:132], v[129:130], v[123:124]
	ds_read2_b64 v[123:126], v122 offset0:93 offset1:94
	ds_read2_b64 v[127:130], v122 offset0:95 offset1:96
	s_waitcnt vmcnt(18) lgkmcnt(1)
	v_fma_f64 v[123:124], v[155:156], v[123:124], v[131:132]
	s_waitcnt vmcnt(17)
	v_fma_f64 v[123:124], v[153:154], v[125:126], v[123:124]
	buffer_load_dword v132, off, s[0:3], 0 offset:356
	buffer_load_dword v147, off, s[0:3], 0 offset:376
	;; [unrolled: 1-line block ×7, first 2 shown]
	s_waitcnt vmcnt(23) lgkmcnt(0)
	v_fma_f64 v[123:124], v[133:134], v[127:128], v[123:124]
	s_waitcnt vmcnt(18)
	v_fma_f64 v[133:134], v[135:136], v[129:130], v[123:124]
	ds_read2_b64 v[123:126], v122 offset0:97 offset1:98
	ds_read2_b64 v[127:130], v122 offset0:99 offset1:100
	buffer_load_dword v148, off, s[0:3], 0 offset:380
	s_waitcnt vmcnt(18) lgkmcnt(1)
	v_fma_f64 v[123:124], v[141:142], v[123:124], v[133:134]
	s_waitcnt vmcnt(17)
	v_fma_f64 v[123:124], v[139:140], v[125:126], v[123:124]
	buffer_load_dword v134, off, s[0:3], 0 offset:388
	buffer_load_dword v135, off, s[0:3], 0 offset:408
	;; [unrolled: 1-line block ×7, first 2 shown]
	s_waitcnt vmcnt(23) lgkmcnt(0)
	v_fma_f64 v[123:124], v[137:138], v[127:128], v[123:124]
	s_waitcnt vmcnt(18)
	v_fma_f64 v[136:137], v[143:144], v[129:130], v[123:124]
	ds_read2_b64 v[123:126], v122 offset0:101 offset1:102
	ds_read2_b64 v[127:130], v122 offset0:103 offset1:104
	s_waitcnt vmcnt(17) lgkmcnt(1)
	v_fma_f64 v[123:124], v[151:152], v[123:124], v[136:137]
	buffer_load_dword v136, off, s[0:3], 0 offset:412
	s_waitcnt vmcnt(17)
	v_fma_f64 v[123:124], v[149:150], v[125:126], v[123:124]
	buffer_load_dword v138, off, s[0:3], 0 offset:420
	buffer_load_dword v143, off, s[0:3], 0 offset:440
	;; [unrolled: 1-line block ×8, first 2 shown]
	s_waitcnt vmcnt(24) lgkmcnt(0)
	v_fma_f64 v[123:124], v[145:146], v[127:128], v[123:124]
	s_waitcnt vmcnt(19)
	v_fma_f64 v[131:132], v[131:132], v[129:130], v[123:124]
	ds_read2_b64 v[123:126], v122 offset0:105 offset1:106
	ds_read2_b64 v[127:130], v122 offset0:107 offset1:108
	s_waitcnt vmcnt(18) lgkmcnt(1)
	v_fma_f64 v[123:124], v[155:156], v[123:124], v[131:132]
	s_waitcnt vmcnt(17)
	v_fma_f64 v[123:124], v[153:154], v[125:126], v[123:124]
	buffer_load_dword v132, off, s[0:3], 0 offset:452
	buffer_load_dword v145, off, s[0:3], 0 offset:472
	;; [unrolled: 1-line block ×8, first 2 shown]
	s_waitcnt vmcnt(24) lgkmcnt(0)
	v_fma_f64 v[123:124], v[147:148], v[127:128], v[123:124]
	s_waitcnt vmcnt(19)
	v_fma_f64 v[133:134], v[133:134], v[129:130], v[123:124]
	ds_read2_b64 v[123:126], v122 offset0:109 offset1:110
	ds_read2_b64 v[127:130], v122 offset0:111 offset1:112
	s_waitcnt vmcnt(18) lgkmcnt(1)
	v_fma_f64 v[123:124], v[141:142], v[123:124], v[133:134]
	buffer_load_dword v133, off, s[0:3], 0 offset:160
	buffer_load_dword v134, off, s[0:3], 0 offset:164
	s_waitcnt vmcnt(19)
	v_fma_f64 v[123:124], v[139:140], v[125:126], v[123:124]
	s_waitcnt vmcnt(18) lgkmcnt(0)
	v_fma_f64 v[123:124], v[135:136], v[127:128], v[123:124]
	s_waitcnt vmcnt(13)
	v_fma_f64 v[135:136], v[137:138], v[129:130], v[123:124]
	ds_read2_b64 v[123:126], v122 offset0:113 offset1:114
	ds_read2_b64 v[127:130], v122 offset0:115 offset1:116
	s_waitcnt vmcnt(12) lgkmcnt(1)
	v_fma_f64 v[123:124], v[151:152], v[123:124], v[135:136]
	s_waitcnt vmcnt(11)
	v_fma_f64 v[123:124], v[149:150], v[125:126], v[123:124]
	s_waitcnt vmcnt(10) lgkmcnt(0)
	v_fma_f64 v[123:124], v[143:144], v[127:128], v[123:124]
	s_waitcnt vmcnt(5)
	v_fma_f64 v[127:128], v[131:132], v[129:130], v[123:124]
	ds_read2_b64 v[123:126], v122 offset0:117 offset1:118
	ds_read_b64 v[129:130], v122 offset:952
	s_waitcnt vmcnt(4) lgkmcnt(1)
	v_fma_f64 v[123:124], v[155:156], v[123:124], v[127:128]
	s_waitcnt vmcnt(3)
	v_fma_f64 v[123:124], v[153:154], v[125:126], v[123:124]
	s_waitcnt vmcnt(2) lgkmcnt(0)
	v_fma_f64 v[123:124], v[145:146], v[129:130], v[123:124]
	s_waitcnt vmcnt(0)
	v_add_f64 v[123:124], v[133:134], -v[123:124]
	buffer_store_dword v124, off, s[0:3], 0 offset:164
	buffer_store_dword v123, off, s[0:3], 0 offset:160
	s_and_saveexec_b64 s[4:5], vcc
	s_cbranch_execz .LBB123_329
; %bb.328:
	buffer_load_dword v123, off, s[0:3], 0 offset:152
	buffer_load_dword v124, off, s[0:3], 0 offset:156
	s_waitcnt vmcnt(0)
	ds_write_b64 v121, v[123:124]
	buffer_store_dword v122, off, s[0:3], 0 offset:152
	buffer_store_dword v122, off, s[0:3], 0 offset:156
.LBB123_329:
	s_or_b64 exec, exec, s[4:5]
	s_waitcnt lgkmcnt(0)
	; wave barrier
	buffer_load_dword v131, off, s[0:3], 0 offset:160
	buffer_load_dword v132, off, s[0:3], 0 offset:164
	;; [unrolled: 1-line block ×22, first 2 shown]
	ds_read_b128 v[123:126], v122 offset:640
	ds_read_b128 v[127:130], v122 offset:656
	v_cmp_lt_u32_e32 vcc, 18, v0
	s_waitcnt vmcnt(20) lgkmcnt(1)
	v_fma_f64 v[123:124], v[131:132], v[123:124], 0
	s_waitcnt vmcnt(18)
	v_fma_f64 v[123:124], v[133:134], v[125:126], v[123:124]
	buffer_load_dword v132, off, s[0:3], 0 offset:252
	buffer_load_dword v133, off, s[0:3], 0 offset:272
	buffer_load_dword v153, off, s[0:3], 0 offset:264
	buffer_load_dword v155, off, s[0:3], 0 offset:256
	buffer_load_dword v131, off, s[0:3], 0 offset:248
	buffer_load_dword v156, off, s[0:3], 0 offset:260
	buffer_load_dword v154, off, s[0:3], 0 offset:268
	s_waitcnt vmcnt(23) lgkmcnt(0)
	v_fma_f64 v[123:124], v[135:136], v[127:128], v[123:124]
	s_waitcnt vmcnt(21)
	v_fma_f64 v[134:135], v[137:138], v[129:130], v[123:124]
	ds_read_b128 v[123:126], v122 offset:672
	ds_read_b128 v[127:130], v122 offset:688
	s_waitcnt vmcnt(19) lgkmcnt(1)
	v_fma_f64 v[123:124], v[139:140], v[123:124], v[134:135]
	buffer_load_dword v134, off, s[0:3], 0 offset:276
	s_waitcnt vmcnt(18)
	v_fma_f64 v[123:124], v[141:142], v[125:126], v[123:124]
	buffer_load_dword v136, off, s[0:3], 0 offset:284
	buffer_load_dword v137, off, s[0:3], 0 offset:304
	;; [unrolled: 1-line block ×8, first 2 shown]
	s_waitcnt vmcnt(24) lgkmcnt(0)
	v_fma_f64 v[123:124], v[143:144], v[127:128], v[123:124]
	s_waitcnt vmcnt(19)
	v_fma_f64 v[143:144], v[145:146], v[129:130], v[123:124]
	ds_read_b128 v[123:126], v122 offset:704
	ds_read_b128 v[127:130], v122 offset:720
	s_waitcnt vmcnt(18) lgkmcnt(1)
	v_fma_f64 v[123:124], v[151:152], v[123:124], v[143:144]
	s_waitcnt vmcnt(17)
	v_fma_f64 v[123:124], v[149:150], v[125:126], v[123:124]
	buffer_load_dword v144, off, s[0:3], 0 offset:316
	buffer_load_dword v145, off, s[0:3], 0 offset:336
	;; [unrolled: 1-line block ×8, first 2 shown]
	s_waitcnt vmcnt(24) lgkmcnt(0)
	v_fma_f64 v[123:124], v[147:148], v[127:128], v[123:124]
	s_waitcnt vmcnt(19)
	v_fma_f64 v[131:132], v[131:132], v[129:130], v[123:124]
	ds_read_b128 v[123:126], v122 offset:736
	ds_read_b128 v[127:130], v122 offset:752
	s_waitcnt vmcnt(18) lgkmcnt(1)
	v_fma_f64 v[123:124], v[155:156], v[123:124], v[131:132]
	s_waitcnt vmcnt(17)
	v_fma_f64 v[123:124], v[153:154], v[125:126], v[123:124]
	buffer_load_dword v132, off, s[0:3], 0 offset:348
	buffer_load_dword v147, off, s[0:3], 0 offset:368
	;; [unrolled: 1-line block ×7, first 2 shown]
	s_waitcnt vmcnt(23) lgkmcnt(0)
	v_fma_f64 v[123:124], v[133:134], v[127:128], v[123:124]
	s_waitcnt vmcnt(18)
	v_fma_f64 v[133:134], v[135:136], v[129:130], v[123:124]
	ds_read_b128 v[123:126], v122 offset:768
	ds_read_b128 v[127:130], v122 offset:784
	buffer_load_dword v148, off, s[0:3], 0 offset:372
	s_waitcnt vmcnt(18) lgkmcnt(1)
	v_fma_f64 v[123:124], v[141:142], v[123:124], v[133:134]
	s_waitcnt vmcnt(17)
	v_fma_f64 v[123:124], v[139:140], v[125:126], v[123:124]
	buffer_load_dword v134, off, s[0:3], 0 offset:380
	buffer_load_dword v135, off, s[0:3], 0 offset:400
	;; [unrolled: 1-line block ×7, first 2 shown]
	s_waitcnt vmcnt(23) lgkmcnt(0)
	v_fma_f64 v[123:124], v[137:138], v[127:128], v[123:124]
	s_waitcnt vmcnt(18)
	v_fma_f64 v[136:137], v[143:144], v[129:130], v[123:124]
	ds_read_b128 v[123:126], v122 offset:800
	ds_read_b128 v[127:130], v122 offset:816
	s_waitcnt vmcnt(17) lgkmcnt(1)
	v_fma_f64 v[123:124], v[151:152], v[123:124], v[136:137]
	buffer_load_dword v136, off, s[0:3], 0 offset:404
	s_waitcnt vmcnt(17)
	v_fma_f64 v[123:124], v[149:150], v[125:126], v[123:124]
	buffer_load_dword v138, off, s[0:3], 0 offset:412
	buffer_load_dword v143, off, s[0:3], 0 offset:432
	;; [unrolled: 1-line block ×8, first 2 shown]
	s_waitcnt vmcnt(24) lgkmcnt(0)
	v_fma_f64 v[123:124], v[145:146], v[127:128], v[123:124]
	s_waitcnt vmcnt(19)
	v_fma_f64 v[131:132], v[131:132], v[129:130], v[123:124]
	ds_read_b128 v[123:126], v122 offset:832
	ds_read_b128 v[127:130], v122 offset:848
	s_waitcnt vmcnt(18) lgkmcnt(1)
	v_fma_f64 v[123:124], v[155:156], v[123:124], v[131:132]
	s_waitcnt vmcnt(17)
	v_fma_f64 v[123:124], v[153:154], v[125:126], v[123:124]
	buffer_load_dword v132, off, s[0:3], 0 offset:444
	buffer_load_dword v145, off, s[0:3], 0 offset:464
	;; [unrolled: 1-line block ×8, first 2 shown]
	s_waitcnt vmcnt(24) lgkmcnt(0)
	v_fma_f64 v[123:124], v[147:148], v[127:128], v[123:124]
	s_waitcnt vmcnt(19)
	v_fma_f64 v[133:134], v[133:134], v[129:130], v[123:124]
	ds_read_b128 v[123:126], v122 offset:864
	ds_read_b128 v[127:130], v122 offset:880
	s_waitcnt vmcnt(18) lgkmcnt(1)
	v_fma_f64 v[123:124], v[141:142], v[123:124], v[133:134]
	buffer_load_dword v134, off, s[0:3], 0 offset:476
	buffer_load_dword v133, off, s[0:3], 0 offset:472
	s_waitcnt vmcnt(19)
	v_fma_f64 v[123:124], v[139:140], v[125:126], v[123:124]
	buffer_load_dword v139, off, s[0:3], 0 offset:152
	buffer_load_dword v140, off, s[0:3], 0 offset:156
	s_waitcnt vmcnt(20) lgkmcnt(0)
	v_fma_f64 v[123:124], v[135:136], v[127:128], v[123:124]
	s_waitcnt vmcnt(15)
	v_fma_f64 v[135:136], v[137:138], v[129:130], v[123:124]
	ds_read_b128 v[123:126], v122 offset:896
	ds_read_b128 v[127:130], v122 offset:912
	s_waitcnt vmcnt(14) lgkmcnt(1)
	v_fma_f64 v[123:124], v[151:152], v[123:124], v[135:136]
	s_waitcnt vmcnt(13)
	v_fma_f64 v[123:124], v[149:150], v[125:126], v[123:124]
	s_waitcnt vmcnt(12) lgkmcnt(0)
	v_fma_f64 v[123:124], v[143:144], v[127:128], v[123:124]
	s_waitcnt vmcnt(7)
	v_fma_f64 v[131:132], v[131:132], v[129:130], v[123:124]
	ds_read_b128 v[123:126], v122 offset:928
	ds_read_b128 v[127:130], v122 offset:944
	s_waitcnt vmcnt(6) lgkmcnt(1)
	v_fma_f64 v[122:123], v[155:156], v[123:124], v[131:132]
	s_waitcnt vmcnt(5)
	v_fma_f64 v[122:123], v[153:154], v[125:126], v[122:123]
	s_waitcnt vmcnt(4) lgkmcnt(0)
	v_fma_f64 v[122:123], v[145:146], v[127:128], v[122:123]
	s_waitcnt vmcnt(2)
	v_fma_f64 v[122:123], v[133:134], v[129:130], v[122:123]
	s_waitcnt vmcnt(0)
	v_add_f64 v[122:123], v[139:140], -v[122:123]
	buffer_store_dword v123, off, s[0:3], 0 offset:156
	buffer_store_dword v122, off, s[0:3], 0 offset:152
	s_and_saveexec_b64 s[4:5], vcc
	s_cbranch_execz .LBB123_331
; %bb.330:
	buffer_load_dword v122, off, s[0:3], 0 offset:144
	buffer_load_dword v123, off, s[0:3], 0 offset:148
	v_mov_b32_e32 v124, 0
	buffer_store_dword v124, off, s[0:3], 0 offset:144
	buffer_store_dword v124, off, s[0:3], 0 offset:148
	s_waitcnt vmcnt(2)
	ds_write_b64 v121, v[122:123]
.LBB123_331:
	s_or_b64 exec, exec, s[4:5]
	s_waitcnt lgkmcnt(0)
	; wave barrier
	buffer_load_dword v131, off, s[0:3], 0 offset:152
	buffer_load_dword v132, off, s[0:3], 0 offset:156
	;; [unrolled: 1-line block ×22, first 2 shown]
	v_mov_b32_e32 v122, 0
	ds_read2_b64 v[123:126], v122 offset0:79 offset1:80
	ds_read2_b64 v[127:130], v122 offset0:81 offset1:82
	v_cmp_lt_u32_e32 vcc, 17, v0
	s_waitcnt vmcnt(20) lgkmcnt(1)
	v_fma_f64 v[123:124], v[131:132], v[123:124], 0
	s_waitcnt vmcnt(18)
	v_fma_f64 v[123:124], v[133:134], v[125:126], v[123:124]
	buffer_load_dword v132, off, s[0:3], 0 offset:244
	buffer_load_dword v133, off, s[0:3], 0 offset:264
	;; [unrolled: 1-line block ×7, first 2 shown]
	s_waitcnt vmcnt(23) lgkmcnt(0)
	v_fma_f64 v[123:124], v[135:136], v[127:128], v[123:124]
	s_waitcnt vmcnt(21)
	v_fma_f64 v[134:135], v[137:138], v[129:130], v[123:124]
	ds_read2_b64 v[123:126], v122 offset0:83 offset1:84
	ds_read2_b64 v[127:130], v122 offset0:85 offset1:86
	s_waitcnt vmcnt(19) lgkmcnt(1)
	v_fma_f64 v[123:124], v[139:140], v[123:124], v[134:135]
	buffer_load_dword v134, off, s[0:3], 0 offset:268
	s_waitcnt vmcnt(18)
	v_fma_f64 v[123:124], v[141:142], v[125:126], v[123:124]
	buffer_load_dword v136, off, s[0:3], 0 offset:276
	buffer_load_dword v137, off, s[0:3], 0 offset:296
	;; [unrolled: 1-line block ×7, first 2 shown]
	s_waitcnt vmcnt(23) lgkmcnt(0)
	v_fma_f64 v[123:124], v[143:144], v[127:128], v[123:124]
	s_waitcnt vmcnt(18)
	v_fma_f64 v[143:144], v[145:146], v[129:130], v[123:124]
	ds_read2_b64 v[123:126], v122 offset0:87 offset1:88
	ds_read2_b64 v[127:130], v122 offset0:89 offset1:90
	buffer_load_dword v138, off, s[0:3], 0 offset:300
	s_waitcnt vmcnt(18) lgkmcnt(1)
	v_fma_f64 v[123:124], v[151:152], v[123:124], v[143:144]
	s_waitcnt vmcnt(17)
	v_fma_f64 v[123:124], v[149:150], v[125:126], v[123:124]
	buffer_load_dword v144, off, s[0:3], 0 offset:308
	buffer_load_dword v145, off, s[0:3], 0 offset:328
	;; [unrolled: 1-line block ×8, first 2 shown]
	s_waitcnt vmcnt(24) lgkmcnt(0)
	v_fma_f64 v[123:124], v[147:148], v[127:128], v[123:124]
	s_waitcnt vmcnt(19)
	v_fma_f64 v[131:132], v[131:132], v[129:130], v[123:124]
	ds_read2_b64 v[123:126], v122 offset0:91 offset1:92
	ds_read2_b64 v[127:130], v122 offset0:93 offset1:94
	s_waitcnt vmcnt(18) lgkmcnt(1)
	v_fma_f64 v[123:124], v[155:156], v[123:124], v[131:132]
	s_waitcnt vmcnt(17)
	v_fma_f64 v[123:124], v[153:154], v[125:126], v[123:124]
	buffer_load_dword v132, off, s[0:3], 0 offset:340
	buffer_load_dword v147, off, s[0:3], 0 offset:360
	;; [unrolled: 1-line block ×7, first 2 shown]
	s_waitcnt vmcnt(23) lgkmcnt(0)
	v_fma_f64 v[123:124], v[133:134], v[127:128], v[123:124]
	s_waitcnt vmcnt(18)
	v_fma_f64 v[133:134], v[135:136], v[129:130], v[123:124]
	ds_read2_b64 v[123:126], v122 offset0:95 offset1:96
	ds_read2_b64 v[127:130], v122 offset0:97 offset1:98
	buffer_load_dword v148, off, s[0:3], 0 offset:364
	s_waitcnt vmcnt(18) lgkmcnt(1)
	v_fma_f64 v[123:124], v[141:142], v[123:124], v[133:134]
	s_waitcnt vmcnt(17)
	v_fma_f64 v[123:124], v[139:140], v[125:126], v[123:124]
	buffer_load_dword v134, off, s[0:3], 0 offset:372
	buffer_load_dword v135, off, s[0:3], 0 offset:392
	;; [unrolled: 1-line block ×7, first 2 shown]
	s_waitcnt vmcnt(23) lgkmcnt(0)
	v_fma_f64 v[123:124], v[137:138], v[127:128], v[123:124]
	s_waitcnt vmcnt(18)
	v_fma_f64 v[136:137], v[143:144], v[129:130], v[123:124]
	ds_read2_b64 v[123:126], v122 offset0:99 offset1:100
	ds_read2_b64 v[127:130], v122 offset0:101 offset1:102
	s_waitcnt vmcnt(17) lgkmcnt(1)
	v_fma_f64 v[123:124], v[151:152], v[123:124], v[136:137]
	buffer_load_dword v136, off, s[0:3], 0 offset:396
	s_waitcnt vmcnt(17)
	v_fma_f64 v[123:124], v[149:150], v[125:126], v[123:124]
	buffer_load_dword v138, off, s[0:3], 0 offset:404
	buffer_load_dword v143, off, s[0:3], 0 offset:424
	;; [unrolled: 1-line block ×8, first 2 shown]
	s_waitcnt vmcnt(24) lgkmcnt(0)
	v_fma_f64 v[123:124], v[145:146], v[127:128], v[123:124]
	s_waitcnt vmcnt(19)
	v_fma_f64 v[131:132], v[131:132], v[129:130], v[123:124]
	ds_read2_b64 v[123:126], v122 offset0:103 offset1:104
	ds_read2_b64 v[127:130], v122 offset0:105 offset1:106
	s_waitcnt vmcnt(18) lgkmcnt(1)
	v_fma_f64 v[123:124], v[155:156], v[123:124], v[131:132]
	s_waitcnt vmcnt(17)
	v_fma_f64 v[123:124], v[153:154], v[125:126], v[123:124]
	buffer_load_dword v132, off, s[0:3], 0 offset:436
	buffer_load_dword v145, off, s[0:3], 0 offset:456
	;; [unrolled: 1-line block ×7, first 2 shown]
	s_waitcnt vmcnt(23) lgkmcnt(0)
	v_fma_f64 v[123:124], v[147:148], v[127:128], v[123:124]
	s_waitcnt vmcnt(18)
	v_fma_f64 v[133:134], v[133:134], v[129:130], v[123:124]
	ds_read2_b64 v[123:126], v122 offset0:107 offset1:108
	ds_read2_b64 v[127:130], v122 offset0:109 offset1:110
	buffer_load_dword v146, off, s[0:3], 0 offset:460
	s_waitcnt vmcnt(18) lgkmcnt(1)
	v_fma_f64 v[123:124], v[141:142], v[123:124], v[133:134]
	s_waitcnt vmcnt(17)
	v_fma_f64 v[123:124], v[139:140], v[125:126], v[123:124]
	buffer_load_dword v134, off, s[0:3], 0 offset:468
	buffer_load_dword v139, off, s[0:3], 0 offset:472
	;; [unrolled: 1-line block ×4, first 2 shown]
	s_waitcnt vmcnt(20) lgkmcnt(0)
	v_fma_f64 v[123:124], v[135:136], v[127:128], v[123:124]
	buffer_load_dword v135, off, s[0:3], 0 offset:144
	buffer_load_dword v136, off, s[0:3], 0 offset:148
	s_waitcnt vmcnt(17)
	v_fma_f64 v[137:138], v[137:138], v[129:130], v[123:124]
	ds_read2_b64 v[123:126], v122 offset0:111 offset1:112
	ds_read2_b64 v[127:130], v122 offset0:113 offset1:114
	s_waitcnt vmcnt(16) lgkmcnt(1)
	v_fma_f64 v[123:124], v[151:152], v[123:124], v[137:138]
	s_waitcnt vmcnt(15)
	v_fma_f64 v[123:124], v[149:150], v[125:126], v[123:124]
	s_waitcnt vmcnt(14) lgkmcnt(0)
	v_fma_f64 v[123:124], v[143:144], v[127:128], v[123:124]
	s_waitcnt vmcnt(9)
	v_fma_f64 v[131:132], v[131:132], v[129:130], v[123:124]
	ds_read2_b64 v[123:126], v122 offset0:115 offset1:116
	ds_read2_b64 v[127:130], v122 offset0:117 offset1:118
	s_waitcnt vmcnt(8) lgkmcnt(1)
	v_fma_f64 v[123:124], v[155:156], v[123:124], v[131:132]
	s_waitcnt vmcnt(7)
	v_fma_f64 v[123:124], v[153:154], v[125:126], v[123:124]
	ds_read_b64 v[125:126], v122 offset:952
	s_waitcnt vmcnt(6) lgkmcnt(1)
	v_fma_f64 v[123:124], v[145:146], v[127:128], v[123:124]
	s_waitcnt vmcnt(3)
	v_fma_f64 v[123:124], v[133:134], v[129:130], v[123:124]
	s_waitcnt vmcnt(2) lgkmcnt(0)
	v_fma_f64 v[123:124], v[139:140], v[125:126], v[123:124]
	s_waitcnt vmcnt(0)
	v_add_f64 v[123:124], v[135:136], -v[123:124]
	buffer_store_dword v124, off, s[0:3], 0 offset:148
	buffer_store_dword v123, off, s[0:3], 0 offset:144
	s_and_saveexec_b64 s[4:5], vcc
	s_cbranch_execz .LBB123_333
; %bb.332:
	buffer_load_dword v123, off, s[0:3], 0 offset:136
	buffer_load_dword v124, off, s[0:3], 0 offset:140
	s_waitcnt vmcnt(0)
	ds_write_b64 v121, v[123:124]
	buffer_store_dword v122, off, s[0:3], 0 offset:136
	buffer_store_dword v122, off, s[0:3], 0 offset:140
.LBB123_333:
	s_or_b64 exec, exec, s[4:5]
	s_waitcnt lgkmcnt(0)
	; wave barrier
	buffer_load_dword v131, off, s[0:3], 0 offset:144
	buffer_load_dword v132, off, s[0:3], 0 offset:148
	;; [unrolled: 1-line block ×22, first 2 shown]
	ds_read_b128 v[123:126], v122 offset:624
	ds_read_b128 v[127:130], v122 offset:640
	v_cmp_lt_u32_e32 vcc, 16, v0
	s_waitcnt vmcnt(20) lgkmcnt(1)
	v_fma_f64 v[123:124], v[131:132], v[123:124], 0
	s_waitcnt vmcnt(18)
	v_fma_f64 v[123:124], v[133:134], v[125:126], v[123:124]
	buffer_load_dword v132, off, s[0:3], 0 offset:236
	buffer_load_dword v133, off, s[0:3], 0 offset:256
	;; [unrolled: 1-line block ×7, first 2 shown]
	s_waitcnt vmcnt(23) lgkmcnt(0)
	v_fma_f64 v[123:124], v[135:136], v[127:128], v[123:124]
	s_waitcnt vmcnt(21)
	v_fma_f64 v[134:135], v[137:138], v[129:130], v[123:124]
	ds_read_b128 v[123:126], v122 offset:656
	ds_read_b128 v[127:130], v122 offset:672
	s_waitcnt vmcnt(19) lgkmcnt(1)
	v_fma_f64 v[123:124], v[139:140], v[123:124], v[134:135]
	buffer_load_dword v134, off, s[0:3], 0 offset:260
	s_waitcnt vmcnt(18)
	v_fma_f64 v[123:124], v[141:142], v[125:126], v[123:124]
	buffer_load_dword v136, off, s[0:3], 0 offset:268
	buffer_load_dword v137, off, s[0:3], 0 offset:288
	buffer_load_dword v139, off, s[0:3], 0 offset:280
	buffer_load_dword v141, off, s[0:3], 0 offset:272
	buffer_load_dword v135, off, s[0:3], 0 offset:264
	buffer_load_dword v142, off, s[0:3], 0 offset:276
	buffer_load_dword v140, off, s[0:3], 0 offset:284
	s_waitcnt vmcnt(23) lgkmcnt(0)
	v_fma_f64 v[123:124], v[143:144], v[127:128], v[123:124]
	s_waitcnt vmcnt(18)
	v_fma_f64 v[143:144], v[145:146], v[129:130], v[123:124]
	ds_read_b128 v[123:126], v122 offset:688
	ds_read_b128 v[127:130], v122 offset:704
	buffer_load_dword v138, off, s[0:3], 0 offset:292
	s_waitcnt vmcnt(18) lgkmcnt(1)
	v_fma_f64 v[123:124], v[151:152], v[123:124], v[143:144]
	s_waitcnt vmcnt(17)
	v_fma_f64 v[123:124], v[149:150], v[125:126], v[123:124]
	buffer_load_dword v144, off, s[0:3], 0 offset:300
	buffer_load_dword v145, off, s[0:3], 0 offset:320
	;; [unrolled: 1-line block ×8, first 2 shown]
	s_waitcnt vmcnt(24) lgkmcnt(0)
	v_fma_f64 v[123:124], v[147:148], v[127:128], v[123:124]
	s_waitcnt vmcnt(19)
	v_fma_f64 v[131:132], v[131:132], v[129:130], v[123:124]
	ds_read_b128 v[123:126], v122 offset:720
	ds_read_b128 v[127:130], v122 offset:736
	s_waitcnt vmcnt(18) lgkmcnt(1)
	v_fma_f64 v[123:124], v[155:156], v[123:124], v[131:132]
	s_waitcnt vmcnt(17)
	v_fma_f64 v[123:124], v[153:154], v[125:126], v[123:124]
	buffer_load_dword v132, off, s[0:3], 0 offset:332
	buffer_load_dword v147, off, s[0:3], 0 offset:352
	;; [unrolled: 1-line block ×8, first 2 shown]
	s_waitcnt vmcnt(24) lgkmcnt(0)
	v_fma_f64 v[123:124], v[133:134], v[127:128], v[123:124]
	s_waitcnt vmcnt(19)
	v_fma_f64 v[133:134], v[135:136], v[129:130], v[123:124]
	ds_read_b128 v[123:126], v122 offset:752
	ds_read_b128 v[127:130], v122 offset:768
	s_waitcnt vmcnt(18) lgkmcnt(1)
	v_fma_f64 v[123:124], v[141:142], v[123:124], v[133:134]
	s_waitcnt vmcnt(17)
	v_fma_f64 v[123:124], v[139:140], v[125:126], v[123:124]
	buffer_load_dword v134, off, s[0:3], 0 offset:364
	buffer_load_dword v135, off, s[0:3], 0 offset:384
	;; [unrolled: 1-line block ×7, first 2 shown]
	s_waitcnt vmcnt(23) lgkmcnt(0)
	v_fma_f64 v[123:124], v[137:138], v[127:128], v[123:124]
	s_waitcnt vmcnt(18)
	v_fma_f64 v[136:137], v[143:144], v[129:130], v[123:124]
	ds_read_b128 v[123:126], v122 offset:784
	ds_read_b128 v[127:130], v122 offset:800
	s_waitcnt vmcnt(17) lgkmcnt(1)
	v_fma_f64 v[123:124], v[151:152], v[123:124], v[136:137]
	buffer_load_dword v136, off, s[0:3], 0 offset:388
	s_waitcnt vmcnt(17)
	v_fma_f64 v[123:124], v[149:150], v[125:126], v[123:124]
	buffer_load_dword v138, off, s[0:3], 0 offset:396
	buffer_load_dword v143, off, s[0:3], 0 offset:416
	;; [unrolled: 1-line block ×8, first 2 shown]
	s_waitcnt vmcnt(24) lgkmcnt(0)
	v_fma_f64 v[123:124], v[145:146], v[127:128], v[123:124]
	s_waitcnt vmcnt(19)
	v_fma_f64 v[131:132], v[131:132], v[129:130], v[123:124]
	ds_read_b128 v[123:126], v122 offset:816
	ds_read_b128 v[127:130], v122 offset:832
	s_waitcnt vmcnt(18) lgkmcnt(1)
	v_fma_f64 v[123:124], v[155:156], v[123:124], v[131:132]
	s_waitcnt vmcnt(17)
	v_fma_f64 v[123:124], v[153:154], v[125:126], v[123:124]
	buffer_load_dword v132, off, s[0:3], 0 offset:428
	buffer_load_dword v145, off, s[0:3], 0 offset:448
	;; [unrolled: 1-line block ×8, first 2 shown]
	s_waitcnt vmcnt(24) lgkmcnt(0)
	v_fma_f64 v[123:124], v[147:148], v[127:128], v[123:124]
	s_waitcnt vmcnt(19)
	v_fma_f64 v[133:134], v[133:134], v[129:130], v[123:124]
	ds_read_b128 v[123:126], v122 offset:848
	ds_read_b128 v[127:130], v122 offset:864
	s_waitcnt vmcnt(18) lgkmcnt(1)
	v_fma_f64 v[123:124], v[141:142], v[123:124], v[133:134]
	s_waitcnt vmcnt(17)
	v_fma_f64 v[123:124], v[139:140], v[125:126], v[123:124]
	buffer_load_dword v134, off, s[0:3], 0 offset:460
	buffer_load_dword v139, off, s[0:3], 0 offset:472
	;; [unrolled: 1-line block ×6, first 2 shown]
	s_waitcnt vmcnt(22) lgkmcnt(0)
	v_fma_f64 v[123:124], v[135:136], v[127:128], v[123:124]
	s_waitcnt vmcnt(17)
	v_fma_f64 v[135:136], v[137:138], v[129:130], v[123:124]
	ds_read_b128 v[123:126], v122 offset:880
	buffer_load_dword v137, off, s[0:3], 0 offset:136
	buffer_load_dword v138, off, s[0:3], 0 offset:140
	ds_read_b128 v[127:130], v122 offset:896
	s_waitcnt vmcnt(18) lgkmcnt(1)
	v_fma_f64 v[123:124], v[151:152], v[123:124], v[135:136]
	s_waitcnt vmcnt(17)
	v_fma_f64 v[123:124], v[149:150], v[125:126], v[123:124]
	s_waitcnt vmcnt(16) lgkmcnt(0)
	v_fma_f64 v[123:124], v[143:144], v[127:128], v[123:124]
	s_waitcnt vmcnt(11)
	v_fma_f64 v[131:132], v[131:132], v[129:130], v[123:124]
	ds_read_b128 v[123:126], v122 offset:912
	ds_read_b128 v[127:130], v122 offset:928
	s_waitcnt vmcnt(10) lgkmcnt(1)
	v_fma_f64 v[123:124], v[155:156], v[123:124], v[131:132]
	s_waitcnt vmcnt(9)
	v_fma_f64 v[123:124], v[153:154], v[125:126], v[123:124]
	s_waitcnt vmcnt(8) lgkmcnt(0)
	v_fma_f64 v[123:124], v[145:146], v[127:128], v[123:124]
	s_waitcnt vmcnt(4)
	v_fma_f64 v[126:127], v[133:134], v[129:130], v[123:124]
	ds_read_b128 v[122:125], v122 offset:944
	s_waitcnt vmcnt(3) lgkmcnt(0)
	v_fma_f64 v[122:123], v[141:142], v[122:123], v[126:127]
	s_waitcnt vmcnt(2)
	v_fma_f64 v[122:123], v[139:140], v[124:125], v[122:123]
	s_waitcnt vmcnt(0)
	v_add_f64 v[122:123], v[137:138], -v[122:123]
	buffer_store_dword v123, off, s[0:3], 0 offset:140
	buffer_store_dword v122, off, s[0:3], 0 offset:136
	s_and_saveexec_b64 s[4:5], vcc
	s_cbranch_execz .LBB123_335
; %bb.334:
	buffer_load_dword v122, off, s[0:3], 0 offset:128
	buffer_load_dword v123, off, s[0:3], 0 offset:132
	v_mov_b32_e32 v124, 0
	buffer_store_dword v124, off, s[0:3], 0 offset:128
	buffer_store_dword v124, off, s[0:3], 0 offset:132
	s_waitcnt vmcnt(2)
	ds_write_b64 v121, v[122:123]
.LBB123_335:
	s_or_b64 exec, exec, s[4:5]
	s_waitcnt lgkmcnt(0)
	; wave barrier
	buffer_load_dword v131, off, s[0:3], 0 offset:136
	buffer_load_dword v132, off, s[0:3], 0 offset:140
	;; [unrolled: 1-line block ×22, first 2 shown]
	v_mov_b32_e32 v122, 0
	ds_read2_b64 v[123:126], v122 offset0:77 offset1:78
	ds_read2_b64 v[127:130], v122 offset0:79 offset1:80
	v_cmp_lt_u32_e32 vcc, 15, v0
	s_waitcnt vmcnt(20) lgkmcnt(1)
	v_fma_f64 v[123:124], v[131:132], v[123:124], 0
	s_waitcnt vmcnt(18)
	v_fma_f64 v[123:124], v[133:134], v[125:126], v[123:124]
	buffer_load_dword v132, off, s[0:3], 0 offset:228
	buffer_load_dword v133, off, s[0:3], 0 offset:248
	;; [unrolled: 1-line block ×7, first 2 shown]
	s_waitcnt vmcnt(23) lgkmcnt(0)
	v_fma_f64 v[123:124], v[135:136], v[127:128], v[123:124]
	s_waitcnt vmcnt(21)
	v_fma_f64 v[134:135], v[137:138], v[129:130], v[123:124]
	ds_read2_b64 v[123:126], v122 offset0:81 offset1:82
	ds_read2_b64 v[127:130], v122 offset0:83 offset1:84
	s_waitcnt vmcnt(19) lgkmcnt(1)
	v_fma_f64 v[123:124], v[139:140], v[123:124], v[134:135]
	buffer_load_dword v134, off, s[0:3], 0 offset:252
	s_waitcnt vmcnt(18)
	v_fma_f64 v[123:124], v[141:142], v[125:126], v[123:124]
	buffer_load_dword v136, off, s[0:3], 0 offset:260
	buffer_load_dword v137, off, s[0:3], 0 offset:280
	;; [unrolled: 1-line block ×7, first 2 shown]
	s_waitcnt vmcnt(23) lgkmcnt(0)
	v_fma_f64 v[123:124], v[143:144], v[127:128], v[123:124]
	s_waitcnt vmcnt(18)
	v_fma_f64 v[143:144], v[145:146], v[129:130], v[123:124]
	ds_read2_b64 v[123:126], v122 offset0:85 offset1:86
	ds_read2_b64 v[127:130], v122 offset0:87 offset1:88
	buffer_load_dword v138, off, s[0:3], 0 offset:284
	s_waitcnt vmcnt(18) lgkmcnt(1)
	v_fma_f64 v[123:124], v[151:152], v[123:124], v[143:144]
	s_waitcnt vmcnt(17)
	v_fma_f64 v[123:124], v[149:150], v[125:126], v[123:124]
	buffer_load_dword v144, off, s[0:3], 0 offset:292
	buffer_load_dword v145, off, s[0:3], 0 offset:312
	;; [unrolled: 1-line block ×8, first 2 shown]
	s_waitcnt vmcnt(24) lgkmcnt(0)
	v_fma_f64 v[123:124], v[147:148], v[127:128], v[123:124]
	s_waitcnt vmcnt(19)
	v_fma_f64 v[131:132], v[131:132], v[129:130], v[123:124]
	ds_read2_b64 v[123:126], v122 offset0:89 offset1:90
	ds_read2_b64 v[127:130], v122 offset0:91 offset1:92
	s_waitcnt vmcnt(18) lgkmcnt(1)
	v_fma_f64 v[123:124], v[155:156], v[123:124], v[131:132]
	s_waitcnt vmcnt(17)
	v_fma_f64 v[123:124], v[153:154], v[125:126], v[123:124]
	buffer_load_dword v132, off, s[0:3], 0 offset:324
	buffer_load_dword v147, off, s[0:3], 0 offset:344
	;; [unrolled: 1-line block ×8, first 2 shown]
	s_waitcnt vmcnt(24) lgkmcnt(0)
	v_fma_f64 v[123:124], v[133:134], v[127:128], v[123:124]
	s_waitcnt vmcnt(19)
	v_fma_f64 v[133:134], v[135:136], v[129:130], v[123:124]
	ds_read2_b64 v[123:126], v122 offset0:93 offset1:94
	ds_read2_b64 v[127:130], v122 offset0:95 offset1:96
	s_waitcnt vmcnt(18) lgkmcnt(1)
	v_fma_f64 v[123:124], v[141:142], v[123:124], v[133:134]
	s_waitcnt vmcnt(17)
	v_fma_f64 v[123:124], v[139:140], v[125:126], v[123:124]
	buffer_load_dword v134, off, s[0:3], 0 offset:356
	buffer_load_dword v135, off, s[0:3], 0 offset:376
	;; [unrolled: 1-line block ×7, first 2 shown]
	s_waitcnt vmcnt(23) lgkmcnt(0)
	v_fma_f64 v[123:124], v[137:138], v[127:128], v[123:124]
	s_waitcnt vmcnt(18)
	v_fma_f64 v[136:137], v[143:144], v[129:130], v[123:124]
	ds_read2_b64 v[123:126], v122 offset0:97 offset1:98
	ds_read2_b64 v[127:130], v122 offset0:99 offset1:100
	s_waitcnt vmcnt(17) lgkmcnt(1)
	v_fma_f64 v[123:124], v[151:152], v[123:124], v[136:137]
	buffer_load_dword v136, off, s[0:3], 0 offset:380
	s_waitcnt vmcnt(17)
	v_fma_f64 v[123:124], v[149:150], v[125:126], v[123:124]
	buffer_load_dword v138, off, s[0:3], 0 offset:388
	buffer_load_dword v143, off, s[0:3], 0 offset:408
	buffer_load_dword v149, off, s[0:3], 0 offset:400
	buffer_load_dword v151, off, s[0:3], 0 offset:392
	buffer_load_dword v137, off, s[0:3], 0 offset:384
	buffer_load_dword v152, off, s[0:3], 0 offset:396
	buffer_load_dword v150, off, s[0:3], 0 offset:404
	buffer_load_dword v144, off, s[0:3], 0 offset:412
	s_waitcnt vmcnt(24) lgkmcnt(0)
	v_fma_f64 v[123:124], v[145:146], v[127:128], v[123:124]
	s_waitcnt vmcnt(19)
	v_fma_f64 v[131:132], v[131:132], v[129:130], v[123:124]
	ds_read2_b64 v[123:126], v122 offset0:101 offset1:102
	ds_read2_b64 v[127:130], v122 offset0:103 offset1:104
	s_waitcnt vmcnt(18) lgkmcnt(1)
	v_fma_f64 v[123:124], v[155:156], v[123:124], v[131:132]
	s_waitcnt vmcnt(17)
	v_fma_f64 v[123:124], v[153:154], v[125:126], v[123:124]
	buffer_load_dword v132, off, s[0:3], 0 offset:420
	buffer_load_dword v145, off, s[0:3], 0 offset:440
	buffer_load_dword v153, off, s[0:3], 0 offset:432
	buffer_load_dword v155, off, s[0:3], 0 offset:424
	buffer_load_dword v131, off, s[0:3], 0 offset:416
	buffer_load_dword v156, off, s[0:3], 0 offset:428
	buffer_load_dword v154, off, s[0:3], 0 offset:436
	buffer_load_dword v146, off, s[0:3], 0 offset:444
	s_waitcnt vmcnt(24) lgkmcnt(0)
	v_fma_f64 v[123:124], v[147:148], v[127:128], v[123:124]
	s_waitcnt vmcnt(19)
	v_fma_f64 v[133:134], v[133:134], v[129:130], v[123:124]
	ds_read2_b64 v[123:126], v122 offset0:105 offset1:106
	ds_read2_b64 v[127:130], v122 offset0:107 offset1:108
	s_waitcnt vmcnt(18) lgkmcnt(1)
	v_fma_f64 v[123:124], v[141:142], v[123:124], v[133:134]
	;; [unrolled: 18-line block ×3, first 2 shown]
	buffer_load_dword v135, off, s[0:3], 0 offset:128
	buffer_load_dword v136, off, s[0:3], 0 offset:132
	s_waitcnt vmcnt(19)
	v_fma_f64 v[123:124], v[149:150], v[125:126], v[123:124]
	s_waitcnt vmcnt(18) lgkmcnt(0)
	v_fma_f64 v[123:124], v[143:144], v[127:128], v[123:124]
	s_waitcnt vmcnt(13)
	v_fma_f64 v[131:132], v[131:132], v[129:130], v[123:124]
	ds_read2_b64 v[123:126], v122 offset0:113 offset1:114
	ds_read2_b64 v[127:130], v122 offset0:115 offset1:116
	s_waitcnt vmcnt(12) lgkmcnt(1)
	v_fma_f64 v[123:124], v[155:156], v[123:124], v[131:132]
	s_waitcnt vmcnt(11)
	v_fma_f64 v[123:124], v[153:154], v[125:126], v[123:124]
	s_waitcnt vmcnt(10) lgkmcnt(0)
	v_fma_f64 v[123:124], v[145:146], v[127:128], v[123:124]
	s_waitcnt vmcnt(5)
	v_fma_f64 v[127:128], v[133:134], v[129:130], v[123:124]
	ds_read2_b64 v[123:126], v122 offset0:117 offset1:118
	ds_read_b64 v[129:130], v122 offset:952
	s_waitcnt vmcnt(4) lgkmcnt(1)
	v_fma_f64 v[123:124], v[147:148], v[123:124], v[127:128]
	s_waitcnt vmcnt(3)
	v_fma_f64 v[123:124], v[141:142], v[125:126], v[123:124]
	s_waitcnt vmcnt(2) lgkmcnt(0)
	v_fma_f64 v[123:124], v[139:140], v[129:130], v[123:124]
	s_waitcnt vmcnt(0)
	v_add_f64 v[123:124], v[135:136], -v[123:124]
	buffer_store_dword v124, off, s[0:3], 0 offset:132
	buffer_store_dword v123, off, s[0:3], 0 offset:128
	s_and_saveexec_b64 s[4:5], vcc
	s_cbranch_execz .LBB123_337
; %bb.336:
	buffer_load_dword v123, off, s[0:3], 0 offset:120
	buffer_load_dword v124, off, s[0:3], 0 offset:124
	s_waitcnt vmcnt(0)
	ds_write_b64 v121, v[123:124]
	buffer_store_dword v122, off, s[0:3], 0 offset:120
	buffer_store_dword v122, off, s[0:3], 0 offset:124
.LBB123_337:
	s_or_b64 exec, exec, s[4:5]
	s_waitcnt lgkmcnt(0)
	; wave barrier
	buffer_load_dword v131, off, s[0:3], 0 offset:128
	buffer_load_dword v132, off, s[0:3], 0 offset:132
	;; [unrolled: 1-line block ×22, first 2 shown]
	ds_read_b128 v[123:126], v122 offset:608
	ds_read_b128 v[127:130], v122 offset:624
	v_cmp_lt_u32_e32 vcc, 14, v0
	s_waitcnt vmcnt(20) lgkmcnt(1)
	v_fma_f64 v[123:124], v[131:132], v[123:124], 0
	s_waitcnt vmcnt(18)
	v_fma_f64 v[123:124], v[133:134], v[125:126], v[123:124]
	buffer_load_dword v132, off, s[0:3], 0 offset:220
	buffer_load_dword v133, off, s[0:3], 0 offset:240
	buffer_load_dword v153, off, s[0:3], 0 offset:232
	buffer_load_dword v155, off, s[0:3], 0 offset:224
	buffer_load_dword v131, off, s[0:3], 0 offset:216
	buffer_load_dword v156, off, s[0:3], 0 offset:228
	buffer_load_dword v154, off, s[0:3], 0 offset:236
	s_waitcnt vmcnt(23) lgkmcnt(0)
	v_fma_f64 v[123:124], v[135:136], v[127:128], v[123:124]
	s_waitcnt vmcnt(21)
	v_fma_f64 v[134:135], v[137:138], v[129:130], v[123:124]
	ds_read_b128 v[123:126], v122 offset:640
	ds_read_b128 v[127:130], v122 offset:656
	s_waitcnt vmcnt(19) lgkmcnt(1)
	v_fma_f64 v[123:124], v[139:140], v[123:124], v[134:135]
	buffer_load_dword v134, off, s[0:3], 0 offset:244
	s_waitcnt vmcnt(18)
	v_fma_f64 v[123:124], v[141:142], v[125:126], v[123:124]
	buffer_load_dword v136, off, s[0:3], 0 offset:252
	buffer_load_dword v137, off, s[0:3], 0 offset:272
	;; [unrolled: 1-line block ×7, first 2 shown]
	s_waitcnt vmcnt(23) lgkmcnt(0)
	v_fma_f64 v[123:124], v[143:144], v[127:128], v[123:124]
	s_waitcnt vmcnt(18)
	v_fma_f64 v[143:144], v[145:146], v[129:130], v[123:124]
	ds_read_b128 v[123:126], v122 offset:672
	ds_read_b128 v[127:130], v122 offset:688
	buffer_load_dword v138, off, s[0:3], 0 offset:276
	s_waitcnt vmcnt(18) lgkmcnt(1)
	v_fma_f64 v[123:124], v[151:152], v[123:124], v[143:144]
	s_waitcnt vmcnt(17)
	v_fma_f64 v[123:124], v[149:150], v[125:126], v[123:124]
	buffer_load_dword v144, off, s[0:3], 0 offset:284
	buffer_load_dword v145, off, s[0:3], 0 offset:304
	;; [unrolled: 1-line block ×8, first 2 shown]
	s_waitcnt vmcnt(24) lgkmcnt(0)
	v_fma_f64 v[123:124], v[147:148], v[127:128], v[123:124]
	s_waitcnt vmcnt(19)
	v_fma_f64 v[131:132], v[131:132], v[129:130], v[123:124]
	ds_read_b128 v[123:126], v122 offset:704
	ds_read_b128 v[127:130], v122 offset:720
	s_waitcnt vmcnt(18) lgkmcnt(1)
	v_fma_f64 v[123:124], v[155:156], v[123:124], v[131:132]
	s_waitcnt vmcnt(17)
	v_fma_f64 v[123:124], v[153:154], v[125:126], v[123:124]
	buffer_load_dword v132, off, s[0:3], 0 offset:316
	buffer_load_dword v147, off, s[0:3], 0 offset:336
	;; [unrolled: 1-line block ×8, first 2 shown]
	s_waitcnt vmcnt(24) lgkmcnt(0)
	v_fma_f64 v[123:124], v[133:134], v[127:128], v[123:124]
	s_waitcnt vmcnt(19)
	v_fma_f64 v[133:134], v[135:136], v[129:130], v[123:124]
	ds_read_b128 v[123:126], v122 offset:736
	ds_read_b128 v[127:130], v122 offset:752
	s_waitcnt vmcnt(18) lgkmcnt(1)
	v_fma_f64 v[123:124], v[141:142], v[123:124], v[133:134]
	s_waitcnt vmcnt(17)
	v_fma_f64 v[123:124], v[139:140], v[125:126], v[123:124]
	buffer_load_dword v134, off, s[0:3], 0 offset:348
	buffer_load_dword v135, off, s[0:3], 0 offset:368
	;; [unrolled: 1-line block ×7, first 2 shown]
	s_waitcnt vmcnt(23) lgkmcnt(0)
	v_fma_f64 v[123:124], v[137:138], v[127:128], v[123:124]
	s_waitcnt vmcnt(18)
	v_fma_f64 v[136:137], v[143:144], v[129:130], v[123:124]
	ds_read_b128 v[123:126], v122 offset:768
	ds_read_b128 v[127:130], v122 offset:784
	s_waitcnt vmcnt(17) lgkmcnt(1)
	v_fma_f64 v[123:124], v[151:152], v[123:124], v[136:137]
	buffer_load_dword v136, off, s[0:3], 0 offset:372
	s_waitcnt vmcnt(17)
	v_fma_f64 v[123:124], v[149:150], v[125:126], v[123:124]
	buffer_load_dword v138, off, s[0:3], 0 offset:380
	buffer_load_dword v143, off, s[0:3], 0 offset:400
	buffer_load_dword v149, off, s[0:3], 0 offset:392
	buffer_load_dword v151, off, s[0:3], 0 offset:384
	buffer_load_dword v137, off, s[0:3], 0 offset:376
	buffer_load_dword v152, off, s[0:3], 0 offset:388
	buffer_load_dword v150, off, s[0:3], 0 offset:396
	buffer_load_dword v144, off, s[0:3], 0 offset:404
	s_waitcnt vmcnt(24) lgkmcnt(0)
	v_fma_f64 v[123:124], v[145:146], v[127:128], v[123:124]
	s_waitcnt vmcnt(19)
	v_fma_f64 v[131:132], v[131:132], v[129:130], v[123:124]
	ds_read_b128 v[123:126], v122 offset:800
	ds_read_b128 v[127:130], v122 offset:816
	s_waitcnt vmcnt(18) lgkmcnt(1)
	v_fma_f64 v[123:124], v[155:156], v[123:124], v[131:132]
	s_waitcnt vmcnt(17)
	v_fma_f64 v[123:124], v[153:154], v[125:126], v[123:124]
	buffer_load_dword v132, off, s[0:3], 0 offset:412
	buffer_load_dword v145, off, s[0:3], 0 offset:432
	buffer_load_dword v153, off, s[0:3], 0 offset:424
	buffer_load_dword v155, off, s[0:3], 0 offset:416
	buffer_load_dword v131, off, s[0:3], 0 offset:408
	buffer_load_dword v156, off, s[0:3], 0 offset:420
	buffer_load_dword v154, off, s[0:3], 0 offset:428
	buffer_load_dword v146, off, s[0:3], 0 offset:436
	s_waitcnt vmcnt(24) lgkmcnt(0)
	v_fma_f64 v[123:124], v[147:148], v[127:128], v[123:124]
	s_waitcnt vmcnt(19)
	v_fma_f64 v[133:134], v[133:134], v[129:130], v[123:124]
	ds_read_b128 v[123:126], v122 offset:832
	ds_read_b128 v[127:130], v122 offset:848
	s_waitcnt vmcnt(18) lgkmcnt(1)
	v_fma_f64 v[123:124], v[141:142], v[123:124], v[133:134]
	;; [unrolled: 18-line block ×3, first 2 shown]
	buffer_load_dword v136, off, s[0:3], 0 offset:476
	buffer_load_dword v135, off, s[0:3], 0 offset:472
	;; [unrolled: 1-line block ×4, first 2 shown]
	s_waitcnt vmcnt(21)
	v_fma_f64 v[123:124], v[149:150], v[125:126], v[123:124]
	s_waitcnt vmcnt(20) lgkmcnt(0)
	v_fma_f64 v[123:124], v[143:144], v[127:128], v[123:124]
	s_waitcnt vmcnt(15)
	v_fma_f64 v[131:132], v[131:132], v[129:130], v[123:124]
	ds_read_b128 v[123:126], v122 offset:896
	ds_read_b128 v[127:130], v122 offset:912
	s_waitcnt vmcnt(14) lgkmcnt(1)
	v_fma_f64 v[123:124], v[155:156], v[123:124], v[131:132]
	s_waitcnt vmcnt(13)
	v_fma_f64 v[123:124], v[153:154], v[125:126], v[123:124]
	s_waitcnt vmcnt(12) lgkmcnt(0)
	v_fma_f64 v[123:124], v[145:146], v[127:128], v[123:124]
	s_waitcnt vmcnt(7)
	v_fma_f64 v[131:132], v[133:134], v[129:130], v[123:124]
	ds_read_b128 v[123:126], v122 offset:928
	ds_read_b128 v[127:130], v122 offset:944
	s_waitcnt vmcnt(6) lgkmcnt(1)
	v_fma_f64 v[122:123], v[147:148], v[123:124], v[131:132]
	s_waitcnt vmcnt(5)
	v_fma_f64 v[122:123], v[141:142], v[125:126], v[122:123]
	s_waitcnt vmcnt(4) lgkmcnt(0)
	v_fma_f64 v[122:123], v[139:140], v[127:128], v[122:123]
	s_waitcnt vmcnt(2)
	v_fma_f64 v[122:123], v[135:136], v[129:130], v[122:123]
	s_waitcnt vmcnt(0)
	v_add_f64 v[122:123], v[137:138], -v[122:123]
	buffer_store_dword v123, off, s[0:3], 0 offset:124
	buffer_store_dword v122, off, s[0:3], 0 offset:120
	s_and_saveexec_b64 s[4:5], vcc
	s_cbranch_execz .LBB123_339
; %bb.338:
	buffer_load_dword v122, off, s[0:3], 0 offset:112
	buffer_load_dword v123, off, s[0:3], 0 offset:116
	v_mov_b32_e32 v124, 0
	buffer_store_dword v124, off, s[0:3], 0 offset:112
	buffer_store_dword v124, off, s[0:3], 0 offset:116
	s_waitcnt vmcnt(2)
	ds_write_b64 v121, v[122:123]
.LBB123_339:
	s_or_b64 exec, exec, s[4:5]
	s_waitcnt lgkmcnt(0)
	; wave barrier
	buffer_load_dword v131, off, s[0:3], 0 offset:120
	buffer_load_dword v132, off, s[0:3], 0 offset:124
	;; [unrolled: 1-line block ×21, first 2 shown]
	v_mov_b32_e32 v122, 0
	ds_read2_b64 v[123:126], v122 offset0:75 offset1:76
	ds_read2_b64 v[127:130], v122 offset0:77 offset1:78
	buffer_load_dword v148, off, s[0:3], 0 offset:204
	v_cmp_lt_u32_e32 vcc, 13, v0
	s_waitcnt vmcnt(20) lgkmcnt(1)
	v_fma_f64 v[123:124], v[131:132], v[123:124], 0
	s_waitcnt vmcnt(18)
	v_fma_f64 v[123:124], v[133:134], v[125:126], v[123:124]
	buffer_load_dword v132, off, s[0:3], 0 offset:212
	buffer_load_dword v133, off, s[0:3], 0 offset:232
	;; [unrolled: 1-line block ×7, first 2 shown]
	s_waitcnt vmcnt(23) lgkmcnt(0)
	v_fma_f64 v[123:124], v[135:136], v[127:128], v[123:124]
	s_waitcnt vmcnt(21)
	v_fma_f64 v[134:135], v[137:138], v[129:130], v[123:124]
	ds_read2_b64 v[123:126], v122 offset0:79 offset1:80
	ds_read2_b64 v[127:130], v122 offset0:81 offset1:82
	s_waitcnt vmcnt(19) lgkmcnt(1)
	v_fma_f64 v[123:124], v[139:140], v[123:124], v[134:135]
	buffer_load_dword v134, off, s[0:3], 0 offset:236
	s_waitcnt vmcnt(18)
	v_fma_f64 v[123:124], v[141:142], v[125:126], v[123:124]
	buffer_load_dword v136, off, s[0:3], 0 offset:244
	buffer_load_dword v137, off, s[0:3], 0 offset:264
	;; [unrolled: 1-line block ×7, first 2 shown]
	s_waitcnt vmcnt(23) lgkmcnt(0)
	v_fma_f64 v[123:124], v[143:144], v[127:128], v[123:124]
	s_waitcnt vmcnt(18)
	v_fma_f64 v[143:144], v[145:146], v[129:130], v[123:124]
	ds_read2_b64 v[123:126], v122 offset0:83 offset1:84
	ds_read2_b64 v[127:130], v122 offset0:85 offset1:86
	buffer_load_dword v138, off, s[0:3], 0 offset:268
	s_waitcnt vmcnt(18) lgkmcnt(1)
	v_fma_f64 v[123:124], v[151:152], v[123:124], v[143:144]
	s_waitcnt vmcnt(17)
	v_fma_f64 v[123:124], v[149:150], v[125:126], v[123:124]
	buffer_load_dword v144, off, s[0:3], 0 offset:276
	buffer_load_dword v145, off, s[0:3], 0 offset:296
	;; [unrolled: 1-line block ×7, first 2 shown]
	s_waitcnt vmcnt(23) lgkmcnt(0)
	v_fma_f64 v[123:124], v[147:148], v[127:128], v[123:124]
	s_waitcnt vmcnt(18)
	v_fma_f64 v[131:132], v[131:132], v[129:130], v[123:124]
	ds_read2_b64 v[123:126], v122 offset0:87 offset1:88
	ds_read2_b64 v[127:130], v122 offset0:89 offset1:90
	buffer_load_dword v146, off, s[0:3], 0 offset:300
	s_waitcnt vmcnt(18) lgkmcnt(1)
	v_fma_f64 v[123:124], v[155:156], v[123:124], v[131:132]
	s_waitcnt vmcnt(17)
	v_fma_f64 v[123:124], v[153:154], v[125:126], v[123:124]
	buffer_load_dword v132, off, s[0:3], 0 offset:308
	buffer_load_dword v147, off, s[0:3], 0 offset:328
	;; [unrolled: 1-line block ×8, first 2 shown]
	s_waitcnt vmcnt(24) lgkmcnt(0)
	v_fma_f64 v[123:124], v[133:134], v[127:128], v[123:124]
	s_waitcnt vmcnt(19)
	v_fma_f64 v[133:134], v[135:136], v[129:130], v[123:124]
	ds_read2_b64 v[123:126], v122 offset0:91 offset1:92
	ds_read2_b64 v[127:130], v122 offset0:93 offset1:94
	s_waitcnt vmcnt(18) lgkmcnt(1)
	v_fma_f64 v[123:124], v[141:142], v[123:124], v[133:134]
	s_waitcnt vmcnt(17)
	v_fma_f64 v[123:124], v[139:140], v[125:126], v[123:124]
	buffer_load_dword v134, off, s[0:3], 0 offset:340
	buffer_load_dword v135, off, s[0:3], 0 offset:360
	buffer_load_dword v139, off, s[0:3], 0 offset:352
	buffer_load_dword v141, off, s[0:3], 0 offset:344
	buffer_load_dword v133, off, s[0:3], 0 offset:336
	buffer_load_dword v142, off, s[0:3], 0 offset:348
	buffer_load_dword v140, off, s[0:3], 0 offset:356
	s_waitcnt vmcnt(23) lgkmcnt(0)
	v_fma_f64 v[123:124], v[137:138], v[127:128], v[123:124]
	s_waitcnt vmcnt(18)
	v_fma_f64 v[136:137], v[143:144], v[129:130], v[123:124]
	ds_read2_b64 v[123:126], v122 offset0:95 offset1:96
	ds_read2_b64 v[127:130], v122 offset0:97 offset1:98
	s_waitcnt vmcnt(17) lgkmcnt(1)
	v_fma_f64 v[123:124], v[151:152], v[123:124], v[136:137]
	buffer_load_dword v136, off, s[0:3], 0 offset:364
	s_waitcnt vmcnt(17)
	v_fma_f64 v[123:124], v[149:150], v[125:126], v[123:124]
	buffer_load_dword v138, off, s[0:3], 0 offset:372
	buffer_load_dword v143, off, s[0:3], 0 offset:392
	;; [unrolled: 1-line block ×7, first 2 shown]
	s_waitcnt vmcnt(23) lgkmcnt(0)
	v_fma_f64 v[123:124], v[145:146], v[127:128], v[123:124]
	s_waitcnt vmcnt(18)
	v_fma_f64 v[131:132], v[131:132], v[129:130], v[123:124]
	ds_read2_b64 v[123:126], v122 offset0:99 offset1:100
	ds_read2_b64 v[127:130], v122 offset0:101 offset1:102
	buffer_load_dword v144, off, s[0:3], 0 offset:396
	s_waitcnt vmcnt(18) lgkmcnt(1)
	v_fma_f64 v[123:124], v[155:156], v[123:124], v[131:132]
	s_waitcnt vmcnt(17)
	v_fma_f64 v[123:124], v[153:154], v[125:126], v[123:124]
	buffer_load_dword v132, off, s[0:3], 0 offset:404
	buffer_load_dword v145, off, s[0:3], 0 offset:424
	;; [unrolled: 1-line block ×8, first 2 shown]
	s_waitcnt vmcnt(24) lgkmcnt(0)
	v_fma_f64 v[123:124], v[147:148], v[127:128], v[123:124]
	s_waitcnt vmcnt(19)
	v_fma_f64 v[133:134], v[133:134], v[129:130], v[123:124]
	ds_read2_b64 v[123:126], v122 offset0:103 offset1:104
	ds_read2_b64 v[127:130], v122 offset0:105 offset1:106
	s_waitcnt vmcnt(18) lgkmcnt(1)
	v_fma_f64 v[123:124], v[141:142], v[123:124], v[133:134]
	s_waitcnt vmcnt(17)
	v_fma_f64 v[123:124], v[139:140], v[125:126], v[123:124]
	buffer_load_dword v134, off, s[0:3], 0 offset:436
	buffer_load_dword v139, off, s[0:3], 0 offset:456
	;; [unrolled: 1-line block ×7, first 2 shown]
	s_waitcnt vmcnt(23) lgkmcnt(0)
	v_fma_f64 v[123:124], v[135:136], v[127:128], v[123:124]
	s_waitcnt vmcnt(18)
	v_fma_f64 v[135:136], v[137:138], v[129:130], v[123:124]
	ds_read2_b64 v[123:126], v122 offset0:107 offset1:108
	ds_read2_b64 v[127:130], v122 offset0:109 offset1:110
	buffer_load_dword v140, off, s[0:3], 0 offset:460
	s_waitcnt vmcnt(18) lgkmcnt(1)
	v_fma_f64 v[123:124], v[151:152], v[123:124], v[135:136]
	buffer_load_dword v136, off, s[0:3], 0 offset:468
	buffer_load_dword v137, off, s[0:3], 0 offset:472
	;; [unrolled: 1-line block ×4, first 2 shown]
	s_waitcnt vmcnt(21)
	v_fma_f64 v[123:124], v[149:150], v[125:126], v[123:124]
	s_waitcnt vmcnt(20) lgkmcnt(0)
	v_fma_f64 v[123:124], v[143:144], v[127:128], v[123:124]
	buffer_load_dword v143, off, s[0:3], 0 offset:112
	buffer_load_dword v144, off, s[0:3], 0 offset:116
	s_waitcnt vmcnt(17)
	v_fma_f64 v[131:132], v[131:132], v[129:130], v[123:124]
	ds_read2_b64 v[123:126], v122 offset0:111 offset1:112
	ds_read2_b64 v[127:130], v122 offset0:113 offset1:114
	s_waitcnt vmcnt(16) lgkmcnt(1)
	v_fma_f64 v[123:124], v[155:156], v[123:124], v[131:132]
	s_waitcnt vmcnt(15)
	v_fma_f64 v[123:124], v[153:154], v[125:126], v[123:124]
	s_waitcnt vmcnt(14) lgkmcnt(0)
	v_fma_f64 v[123:124], v[145:146], v[127:128], v[123:124]
	s_waitcnt vmcnt(9)
	v_fma_f64 v[131:132], v[133:134], v[129:130], v[123:124]
	ds_read2_b64 v[123:126], v122 offset0:115 offset1:116
	ds_read2_b64 v[127:130], v122 offset0:117 offset1:118
	s_waitcnt vmcnt(8) lgkmcnt(1)
	v_fma_f64 v[123:124], v[147:148], v[123:124], v[131:132]
	s_waitcnt vmcnt(7)
	v_fma_f64 v[123:124], v[141:142], v[125:126], v[123:124]
	ds_read_b64 v[125:126], v122 offset:952
	s_waitcnt vmcnt(6) lgkmcnt(1)
	v_fma_f64 v[123:124], v[139:140], v[127:128], v[123:124]
	s_waitcnt vmcnt(3)
	v_fma_f64 v[123:124], v[135:136], v[129:130], v[123:124]
	s_waitcnt vmcnt(2) lgkmcnt(0)
	v_fma_f64 v[123:124], v[137:138], v[125:126], v[123:124]
	s_waitcnt vmcnt(0)
	v_add_f64 v[123:124], v[143:144], -v[123:124]
	buffer_store_dword v124, off, s[0:3], 0 offset:116
	buffer_store_dword v123, off, s[0:3], 0 offset:112
	s_and_saveexec_b64 s[4:5], vcc
	s_cbranch_execz .LBB123_341
; %bb.340:
	buffer_load_dword v123, off, s[0:3], 0 offset:104
	buffer_load_dword v124, off, s[0:3], 0 offset:108
	s_waitcnt vmcnt(0)
	ds_write_b64 v121, v[123:124]
	buffer_store_dword v122, off, s[0:3], 0 offset:104
	buffer_store_dword v122, off, s[0:3], 0 offset:108
.LBB123_341:
	s_or_b64 exec, exec, s[4:5]
	s_waitcnt lgkmcnt(0)
	; wave barrier
	buffer_load_dword v131, off, s[0:3], 0 offset:112
	buffer_load_dword v132, off, s[0:3], 0 offset:116
	;; [unrolled: 1-line block ×21, first 2 shown]
	ds_read_b128 v[123:126], v122 offset:592
	ds_read_b128 v[127:130], v122 offset:608
	buffer_load_dword v148, off, s[0:3], 0 offset:196
	v_cmp_lt_u32_e32 vcc, 12, v0
	s_waitcnt vmcnt(20) lgkmcnt(1)
	v_fma_f64 v[123:124], v[131:132], v[123:124], 0
	s_waitcnt vmcnt(18)
	v_fma_f64 v[123:124], v[133:134], v[125:126], v[123:124]
	buffer_load_dword v132, off, s[0:3], 0 offset:204
	buffer_load_dword v133, off, s[0:3], 0 offset:224
	;; [unrolled: 1-line block ×7, first 2 shown]
	s_waitcnt vmcnt(23) lgkmcnt(0)
	v_fma_f64 v[123:124], v[135:136], v[127:128], v[123:124]
	s_waitcnt vmcnt(21)
	v_fma_f64 v[134:135], v[137:138], v[129:130], v[123:124]
	ds_read_b128 v[123:126], v122 offset:624
	ds_read_b128 v[127:130], v122 offset:640
	s_waitcnt vmcnt(19) lgkmcnt(1)
	v_fma_f64 v[123:124], v[139:140], v[123:124], v[134:135]
	buffer_load_dword v134, off, s[0:3], 0 offset:228
	s_waitcnt vmcnt(18)
	v_fma_f64 v[123:124], v[141:142], v[125:126], v[123:124]
	buffer_load_dword v136, off, s[0:3], 0 offset:236
	buffer_load_dword v137, off, s[0:3], 0 offset:256
	buffer_load_dword v139, off, s[0:3], 0 offset:248
	buffer_load_dword v141, off, s[0:3], 0 offset:240
	buffer_load_dword v135, off, s[0:3], 0 offset:232
	buffer_load_dword v142, off, s[0:3], 0 offset:244
	buffer_load_dword v140, off, s[0:3], 0 offset:252
	buffer_load_dword v138, off, s[0:3], 0 offset:260
	s_waitcnt vmcnt(24) lgkmcnt(0)
	v_fma_f64 v[123:124], v[143:144], v[127:128], v[123:124]
	s_waitcnt vmcnt(19)
	v_fma_f64 v[143:144], v[145:146], v[129:130], v[123:124]
	ds_read_b128 v[123:126], v122 offset:656
	ds_read_b128 v[127:130], v122 offset:672
	s_waitcnt vmcnt(18) lgkmcnt(1)
	v_fma_f64 v[123:124], v[151:152], v[123:124], v[143:144]
	s_waitcnt vmcnt(17)
	v_fma_f64 v[123:124], v[149:150], v[125:126], v[123:124]
	buffer_load_dword v144, off, s[0:3], 0 offset:268
	buffer_load_dword v145, off, s[0:3], 0 offset:288
	;; [unrolled: 1-line block ×7, first 2 shown]
	s_waitcnt vmcnt(23) lgkmcnt(0)
	v_fma_f64 v[123:124], v[147:148], v[127:128], v[123:124]
	s_waitcnt vmcnt(18)
	v_fma_f64 v[131:132], v[131:132], v[129:130], v[123:124]
	ds_read_b128 v[123:126], v122 offset:688
	ds_read_b128 v[127:130], v122 offset:704
	buffer_load_dword v146, off, s[0:3], 0 offset:292
	s_waitcnt vmcnt(18) lgkmcnt(1)
	v_fma_f64 v[123:124], v[155:156], v[123:124], v[131:132]
	s_waitcnt vmcnt(17)
	v_fma_f64 v[123:124], v[153:154], v[125:126], v[123:124]
	buffer_load_dword v132, off, s[0:3], 0 offset:300
	buffer_load_dword v147, off, s[0:3], 0 offset:320
	;; [unrolled: 1-line block ×8, first 2 shown]
	s_waitcnt vmcnt(24) lgkmcnt(0)
	v_fma_f64 v[123:124], v[133:134], v[127:128], v[123:124]
	s_waitcnt vmcnt(19)
	v_fma_f64 v[133:134], v[135:136], v[129:130], v[123:124]
	ds_read_b128 v[123:126], v122 offset:720
	ds_read_b128 v[127:130], v122 offset:736
	s_waitcnt vmcnt(18) lgkmcnt(1)
	v_fma_f64 v[123:124], v[141:142], v[123:124], v[133:134]
	s_waitcnt vmcnt(17)
	v_fma_f64 v[123:124], v[139:140], v[125:126], v[123:124]
	buffer_load_dword v134, off, s[0:3], 0 offset:332
	buffer_load_dword v135, off, s[0:3], 0 offset:352
	;; [unrolled: 1-line block ×7, first 2 shown]
	s_waitcnt vmcnt(23) lgkmcnt(0)
	v_fma_f64 v[123:124], v[137:138], v[127:128], v[123:124]
	s_waitcnt vmcnt(18)
	v_fma_f64 v[136:137], v[143:144], v[129:130], v[123:124]
	ds_read_b128 v[123:126], v122 offset:752
	ds_read_b128 v[127:130], v122 offset:768
	s_waitcnt vmcnt(17) lgkmcnt(1)
	v_fma_f64 v[123:124], v[151:152], v[123:124], v[136:137]
	buffer_load_dword v136, off, s[0:3], 0 offset:356
	s_waitcnt vmcnt(17)
	v_fma_f64 v[123:124], v[149:150], v[125:126], v[123:124]
	buffer_load_dword v138, off, s[0:3], 0 offset:364
	buffer_load_dword v143, off, s[0:3], 0 offset:384
	;; [unrolled: 1-line block ×7, first 2 shown]
	s_waitcnt vmcnt(23) lgkmcnt(0)
	v_fma_f64 v[123:124], v[145:146], v[127:128], v[123:124]
	s_waitcnt vmcnt(18)
	v_fma_f64 v[131:132], v[131:132], v[129:130], v[123:124]
	ds_read_b128 v[123:126], v122 offset:784
	ds_read_b128 v[127:130], v122 offset:800
	buffer_load_dword v144, off, s[0:3], 0 offset:388
	s_waitcnt vmcnt(18) lgkmcnt(1)
	v_fma_f64 v[123:124], v[155:156], v[123:124], v[131:132]
	s_waitcnt vmcnt(17)
	v_fma_f64 v[123:124], v[153:154], v[125:126], v[123:124]
	buffer_load_dword v132, off, s[0:3], 0 offset:396
	buffer_load_dword v145, off, s[0:3], 0 offset:416
	;; [unrolled: 1-line block ×8, first 2 shown]
	s_waitcnt vmcnt(24) lgkmcnt(0)
	v_fma_f64 v[123:124], v[147:148], v[127:128], v[123:124]
	s_waitcnt vmcnt(19)
	v_fma_f64 v[133:134], v[133:134], v[129:130], v[123:124]
	ds_read_b128 v[123:126], v122 offset:816
	ds_read_b128 v[127:130], v122 offset:832
	s_waitcnt vmcnt(18) lgkmcnt(1)
	v_fma_f64 v[123:124], v[141:142], v[123:124], v[133:134]
	s_waitcnt vmcnt(17)
	v_fma_f64 v[123:124], v[139:140], v[125:126], v[123:124]
	buffer_load_dword v134, off, s[0:3], 0 offset:428
	buffer_load_dword v139, off, s[0:3], 0 offset:448
	;; [unrolled: 1-line block ×8, first 2 shown]
	s_waitcnt vmcnt(24) lgkmcnt(0)
	v_fma_f64 v[123:124], v[135:136], v[127:128], v[123:124]
	s_waitcnt vmcnt(19)
	v_fma_f64 v[135:136], v[137:138], v[129:130], v[123:124]
	ds_read_b128 v[123:126], v122 offset:848
	ds_read_b128 v[127:130], v122 offset:864
	s_waitcnt vmcnt(18) lgkmcnt(1)
	v_fma_f64 v[123:124], v[151:152], v[123:124], v[135:136]
	s_waitcnt vmcnt(17)
	v_fma_f64 v[123:124], v[149:150], v[125:126], v[123:124]
	buffer_load_dword v136, off, s[0:3], 0 offset:460
	buffer_load_dword v137, off, s[0:3], 0 offset:472
	;; [unrolled: 1-line block ×6, first 2 shown]
	s_waitcnt vmcnt(22) lgkmcnt(0)
	v_fma_f64 v[123:124], v[143:144], v[127:128], v[123:124]
	s_waitcnt vmcnt(17)
	v_fma_f64 v[131:132], v[131:132], v[129:130], v[123:124]
	ds_read_b128 v[123:126], v122 offset:880
	buffer_load_dword v143, off, s[0:3], 0 offset:104
	buffer_load_dword v144, off, s[0:3], 0 offset:108
	ds_read_b128 v[127:130], v122 offset:896
	s_waitcnt vmcnt(18) lgkmcnt(1)
	v_fma_f64 v[123:124], v[155:156], v[123:124], v[131:132]
	s_waitcnt vmcnt(17)
	v_fma_f64 v[123:124], v[153:154], v[125:126], v[123:124]
	s_waitcnt vmcnt(16) lgkmcnt(0)
	v_fma_f64 v[123:124], v[145:146], v[127:128], v[123:124]
	s_waitcnt vmcnt(11)
	v_fma_f64 v[131:132], v[133:134], v[129:130], v[123:124]
	ds_read_b128 v[123:126], v122 offset:912
	ds_read_b128 v[127:130], v122 offset:928
	s_waitcnt vmcnt(10) lgkmcnt(1)
	v_fma_f64 v[123:124], v[147:148], v[123:124], v[131:132]
	s_waitcnt vmcnt(9)
	v_fma_f64 v[123:124], v[141:142], v[125:126], v[123:124]
	s_waitcnt vmcnt(8) lgkmcnt(0)
	v_fma_f64 v[123:124], v[139:140], v[127:128], v[123:124]
	s_waitcnt vmcnt(4)
	v_fma_f64 v[126:127], v[135:136], v[129:130], v[123:124]
	ds_read_b128 v[122:125], v122 offset:944
	s_waitcnt vmcnt(3) lgkmcnt(0)
	v_fma_f64 v[122:123], v[149:150], v[122:123], v[126:127]
	s_waitcnt vmcnt(2)
	v_fma_f64 v[122:123], v[137:138], v[124:125], v[122:123]
	s_waitcnt vmcnt(0)
	v_add_f64 v[122:123], v[143:144], -v[122:123]
	buffer_store_dword v123, off, s[0:3], 0 offset:108
	buffer_store_dword v122, off, s[0:3], 0 offset:104
	s_and_saveexec_b64 s[4:5], vcc
	s_cbranch_execz .LBB123_343
; %bb.342:
	buffer_load_dword v122, off, s[0:3], 0 offset:96
	buffer_load_dword v123, off, s[0:3], 0 offset:100
	v_mov_b32_e32 v124, 0
	buffer_store_dword v124, off, s[0:3], 0 offset:96
	buffer_store_dword v124, off, s[0:3], 0 offset:100
	s_waitcnt vmcnt(2)
	ds_write_b64 v121, v[122:123]
.LBB123_343:
	s_or_b64 exec, exec, s[4:5]
	s_waitcnt lgkmcnt(0)
	; wave barrier
	buffer_load_dword v131, off, s[0:3], 0 offset:104
	buffer_load_dword v132, off, s[0:3], 0 offset:108
	;; [unrolled: 1-line block ×21, first 2 shown]
	v_mov_b32_e32 v122, 0
	ds_read2_b64 v[123:126], v122 offset0:73 offset1:74
	ds_read2_b64 v[127:130], v122 offset0:75 offset1:76
	buffer_load_dword v148, off, s[0:3], 0 offset:188
	v_cmp_lt_u32_e32 vcc, 11, v0
	s_waitcnt vmcnt(20) lgkmcnt(1)
	v_fma_f64 v[123:124], v[131:132], v[123:124], 0
	s_waitcnt vmcnt(18)
	v_fma_f64 v[123:124], v[133:134], v[125:126], v[123:124]
	buffer_load_dword v132, off, s[0:3], 0 offset:196
	buffer_load_dword v133, off, s[0:3], 0 offset:216
	;; [unrolled: 1-line block ×7, first 2 shown]
	s_waitcnt vmcnt(23) lgkmcnt(0)
	v_fma_f64 v[123:124], v[135:136], v[127:128], v[123:124]
	s_waitcnt vmcnt(21)
	v_fma_f64 v[134:135], v[137:138], v[129:130], v[123:124]
	ds_read2_b64 v[123:126], v122 offset0:77 offset1:78
	ds_read2_b64 v[127:130], v122 offset0:79 offset1:80
	s_waitcnt vmcnt(19) lgkmcnt(1)
	v_fma_f64 v[123:124], v[139:140], v[123:124], v[134:135]
	buffer_load_dword v134, off, s[0:3], 0 offset:220
	s_waitcnt vmcnt(18)
	v_fma_f64 v[123:124], v[141:142], v[125:126], v[123:124]
	buffer_load_dword v136, off, s[0:3], 0 offset:228
	buffer_load_dword v137, off, s[0:3], 0 offset:248
	;; [unrolled: 1-line block ×8, first 2 shown]
	s_waitcnt vmcnt(24) lgkmcnt(0)
	v_fma_f64 v[123:124], v[143:144], v[127:128], v[123:124]
	s_waitcnt vmcnt(19)
	v_fma_f64 v[143:144], v[145:146], v[129:130], v[123:124]
	ds_read2_b64 v[123:126], v122 offset0:81 offset1:82
	ds_read2_b64 v[127:130], v122 offset0:83 offset1:84
	s_waitcnt vmcnt(18) lgkmcnt(1)
	v_fma_f64 v[123:124], v[151:152], v[123:124], v[143:144]
	s_waitcnt vmcnt(17)
	v_fma_f64 v[123:124], v[149:150], v[125:126], v[123:124]
	buffer_load_dword v144, off, s[0:3], 0 offset:260
	buffer_load_dword v145, off, s[0:3], 0 offset:280
	;; [unrolled: 1-line block ×7, first 2 shown]
	s_waitcnt vmcnt(23) lgkmcnt(0)
	v_fma_f64 v[123:124], v[147:148], v[127:128], v[123:124]
	s_waitcnt vmcnt(18)
	v_fma_f64 v[131:132], v[131:132], v[129:130], v[123:124]
	ds_read2_b64 v[123:126], v122 offset0:85 offset1:86
	ds_read2_b64 v[127:130], v122 offset0:87 offset1:88
	buffer_load_dword v146, off, s[0:3], 0 offset:284
	s_waitcnt vmcnt(18) lgkmcnt(1)
	v_fma_f64 v[123:124], v[155:156], v[123:124], v[131:132]
	s_waitcnt vmcnt(17)
	v_fma_f64 v[123:124], v[153:154], v[125:126], v[123:124]
	buffer_load_dword v132, off, s[0:3], 0 offset:292
	buffer_load_dword v147, off, s[0:3], 0 offset:312
	;; [unrolled: 1-line block ×8, first 2 shown]
	s_waitcnt vmcnt(24) lgkmcnt(0)
	v_fma_f64 v[123:124], v[133:134], v[127:128], v[123:124]
	s_waitcnt vmcnt(19)
	v_fma_f64 v[133:134], v[135:136], v[129:130], v[123:124]
	ds_read2_b64 v[123:126], v122 offset0:89 offset1:90
	ds_read2_b64 v[127:130], v122 offset0:91 offset1:92
	s_waitcnt vmcnt(18) lgkmcnt(1)
	v_fma_f64 v[123:124], v[141:142], v[123:124], v[133:134]
	s_waitcnt vmcnt(17)
	v_fma_f64 v[123:124], v[139:140], v[125:126], v[123:124]
	buffer_load_dword v134, off, s[0:3], 0 offset:324
	buffer_load_dword v135, off, s[0:3], 0 offset:344
	;; [unrolled: 1-line block ×7, first 2 shown]
	s_waitcnt vmcnt(23) lgkmcnt(0)
	v_fma_f64 v[123:124], v[137:138], v[127:128], v[123:124]
	s_waitcnt vmcnt(18)
	v_fma_f64 v[136:137], v[143:144], v[129:130], v[123:124]
	ds_read2_b64 v[123:126], v122 offset0:93 offset1:94
	ds_read2_b64 v[127:130], v122 offset0:95 offset1:96
	s_waitcnt vmcnt(17) lgkmcnt(1)
	v_fma_f64 v[123:124], v[151:152], v[123:124], v[136:137]
	buffer_load_dword v136, off, s[0:3], 0 offset:348
	s_waitcnt vmcnt(17)
	v_fma_f64 v[123:124], v[149:150], v[125:126], v[123:124]
	buffer_load_dword v138, off, s[0:3], 0 offset:356
	buffer_load_dword v143, off, s[0:3], 0 offset:376
	;; [unrolled: 1-line block ×7, first 2 shown]
	s_waitcnt vmcnt(23) lgkmcnt(0)
	v_fma_f64 v[123:124], v[145:146], v[127:128], v[123:124]
	s_waitcnt vmcnt(18)
	v_fma_f64 v[131:132], v[131:132], v[129:130], v[123:124]
	ds_read2_b64 v[123:126], v122 offset0:97 offset1:98
	ds_read2_b64 v[127:130], v122 offset0:99 offset1:100
	buffer_load_dword v144, off, s[0:3], 0 offset:380
	s_waitcnt vmcnt(18) lgkmcnt(1)
	v_fma_f64 v[123:124], v[155:156], v[123:124], v[131:132]
	s_waitcnt vmcnt(17)
	v_fma_f64 v[123:124], v[153:154], v[125:126], v[123:124]
	buffer_load_dword v132, off, s[0:3], 0 offset:388
	buffer_load_dword v145, off, s[0:3], 0 offset:408
	buffer_load_dword v153, off, s[0:3], 0 offset:400
	buffer_load_dword v155, off, s[0:3], 0 offset:392
	buffer_load_dword v131, off, s[0:3], 0 offset:384
	buffer_load_dword v156, off, s[0:3], 0 offset:396
	buffer_load_dword v154, off, s[0:3], 0 offset:404
	buffer_load_dword v146, off, s[0:3], 0 offset:412
	s_waitcnt vmcnt(24) lgkmcnt(0)
	v_fma_f64 v[123:124], v[147:148], v[127:128], v[123:124]
	s_waitcnt vmcnt(19)
	v_fma_f64 v[133:134], v[133:134], v[129:130], v[123:124]
	ds_read2_b64 v[123:126], v122 offset0:101 offset1:102
	ds_read2_b64 v[127:130], v122 offset0:103 offset1:104
	s_waitcnt vmcnt(18) lgkmcnt(1)
	v_fma_f64 v[123:124], v[141:142], v[123:124], v[133:134]
	s_waitcnt vmcnt(17)
	v_fma_f64 v[123:124], v[139:140], v[125:126], v[123:124]
	buffer_load_dword v134, off, s[0:3], 0 offset:420
	buffer_load_dword v139, off, s[0:3], 0 offset:440
	buffer_load_dword v141, off, s[0:3], 0 offset:432
	buffer_load_dword v147, off, s[0:3], 0 offset:424
	buffer_load_dword v133, off, s[0:3], 0 offset:416
	buffer_load_dword v148, off, s[0:3], 0 offset:428
	buffer_load_dword v142, off, s[0:3], 0 offset:436
	buffer_load_dword v140, off, s[0:3], 0 offset:444
	s_waitcnt vmcnt(24) lgkmcnt(0)
	v_fma_f64 v[123:124], v[135:136], v[127:128], v[123:124]
	s_waitcnt vmcnt(19)
	v_fma_f64 v[135:136], v[137:138], v[129:130], v[123:124]
	ds_read2_b64 v[123:126], v122 offset0:105 offset1:106
	ds_read2_b64 v[127:130], v122 offset0:107 offset1:108
	;; [unrolled: 18-line block ×3, first 2 shown]
	s_waitcnt vmcnt(18) lgkmcnt(1)
	v_fma_f64 v[123:124], v[155:156], v[123:124], v[131:132]
	buffer_load_dword v131, off, s[0:3], 0 offset:96
	buffer_load_dword v132, off, s[0:3], 0 offset:100
	s_waitcnt vmcnt(19)
	v_fma_f64 v[123:124], v[153:154], v[125:126], v[123:124]
	s_waitcnt vmcnt(18) lgkmcnt(0)
	v_fma_f64 v[123:124], v[145:146], v[127:128], v[123:124]
	s_waitcnt vmcnt(13)
	v_fma_f64 v[133:134], v[133:134], v[129:130], v[123:124]
	ds_read2_b64 v[123:126], v122 offset0:113 offset1:114
	ds_read2_b64 v[127:130], v122 offset0:115 offset1:116
	s_waitcnt vmcnt(12) lgkmcnt(1)
	v_fma_f64 v[123:124], v[147:148], v[123:124], v[133:134]
	s_waitcnt vmcnt(11)
	v_fma_f64 v[123:124], v[141:142], v[125:126], v[123:124]
	s_waitcnt vmcnt(10) lgkmcnt(0)
	v_fma_f64 v[123:124], v[139:140], v[127:128], v[123:124]
	s_waitcnt vmcnt(5)
	v_fma_f64 v[127:128], v[135:136], v[129:130], v[123:124]
	ds_read2_b64 v[123:126], v122 offset0:117 offset1:118
	ds_read_b64 v[129:130], v122 offset:952
	s_waitcnt vmcnt(4) lgkmcnt(1)
	v_fma_f64 v[123:124], v[151:152], v[123:124], v[127:128]
	s_waitcnt vmcnt(3)
	v_fma_f64 v[123:124], v[149:150], v[125:126], v[123:124]
	s_waitcnt vmcnt(2) lgkmcnt(0)
	v_fma_f64 v[123:124], v[137:138], v[129:130], v[123:124]
	s_waitcnt vmcnt(0)
	v_add_f64 v[123:124], v[131:132], -v[123:124]
	buffer_store_dword v124, off, s[0:3], 0 offset:100
	buffer_store_dword v123, off, s[0:3], 0 offset:96
	s_and_saveexec_b64 s[4:5], vcc
	s_cbranch_execz .LBB123_345
; %bb.344:
	buffer_load_dword v123, off, s[0:3], 0 offset:88
	buffer_load_dword v124, off, s[0:3], 0 offset:92
	s_waitcnt vmcnt(0)
	ds_write_b64 v121, v[123:124]
	buffer_store_dword v122, off, s[0:3], 0 offset:88
	buffer_store_dword v122, off, s[0:3], 0 offset:92
.LBB123_345:
	s_or_b64 exec, exec, s[4:5]
	s_waitcnt lgkmcnt(0)
	; wave barrier
	buffer_load_dword v131, off, s[0:3], 0 offset:96
	buffer_load_dword v132, off, s[0:3], 0 offset:100
	;; [unrolled: 1-line block ×21, first 2 shown]
	ds_read_b128 v[123:126], v122 offset:576
	ds_read_b128 v[127:130], v122 offset:592
	buffer_load_dword v148, off, s[0:3], 0 offset:180
	v_cmp_lt_u32_e32 vcc, 10, v0
	s_waitcnt vmcnt(20) lgkmcnt(1)
	v_fma_f64 v[123:124], v[131:132], v[123:124], 0
	s_waitcnt vmcnt(18)
	v_fma_f64 v[123:124], v[133:134], v[125:126], v[123:124]
	buffer_load_dword v132, off, s[0:3], 0 offset:188
	buffer_load_dword v133, off, s[0:3], 0 offset:208
	;; [unrolled: 1-line block ×7, first 2 shown]
	s_waitcnt vmcnt(23) lgkmcnt(0)
	v_fma_f64 v[123:124], v[135:136], v[127:128], v[123:124]
	s_waitcnt vmcnt(21)
	v_fma_f64 v[134:135], v[137:138], v[129:130], v[123:124]
	ds_read_b128 v[123:126], v122 offset:608
	ds_read_b128 v[127:130], v122 offset:624
	s_waitcnt vmcnt(19) lgkmcnt(1)
	v_fma_f64 v[123:124], v[139:140], v[123:124], v[134:135]
	buffer_load_dword v134, off, s[0:3], 0 offset:212
	s_waitcnt vmcnt(18)
	v_fma_f64 v[123:124], v[141:142], v[125:126], v[123:124]
	buffer_load_dword v136, off, s[0:3], 0 offset:220
	buffer_load_dword v137, off, s[0:3], 0 offset:240
	;; [unrolled: 1-line block ×8, first 2 shown]
	s_waitcnt vmcnt(24) lgkmcnt(0)
	v_fma_f64 v[123:124], v[143:144], v[127:128], v[123:124]
	s_waitcnt vmcnt(19)
	v_fma_f64 v[143:144], v[145:146], v[129:130], v[123:124]
	ds_read_b128 v[123:126], v122 offset:640
	ds_read_b128 v[127:130], v122 offset:656
	s_waitcnt vmcnt(18) lgkmcnt(1)
	v_fma_f64 v[123:124], v[151:152], v[123:124], v[143:144]
	s_waitcnt vmcnt(17)
	v_fma_f64 v[123:124], v[149:150], v[125:126], v[123:124]
	buffer_load_dword v144, off, s[0:3], 0 offset:252
	buffer_load_dword v145, off, s[0:3], 0 offset:272
	;; [unrolled: 1-line block ×7, first 2 shown]
	s_waitcnt vmcnt(23) lgkmcnt(0)
	v_fma_f64 v[123:124], v[147:148], v[127:128], v[123:124]
	s_waitcnt vmcnt(18)
	v_fma_f64 v[131:132], v[131:132], v[129:130], v[123:124]
	ds_read_b128 v[123:126], v122 offset:672
	ds_read_b128 v[127:130], v122 offset:688
	buffer_load_dword v146, off, s[0:3], 0 offset:276
	s_waitcnt vmcnt(18) lgkmcnt(1)
	v_fma_f64 v[123:124], v[155:156], v[123:124], v[131:132]
	s_waitcnt vmcnt(17)
	v_fma_f64 v[123:124], v[153:154], v[125:126], v[123:124]
	buffer_load_dword v132, off, s[0:3], 0 offset:284
	buffer_load_dword v147, off, s[0:3], 0 offset:304
	buffer_load_dword v153, off, s[0:3], 0 offset:296
	buffer_load_dword v155, off, s[0:3], 0 offset:288
	buffer_load_dword v131, off, s[0:3], 0 offset:280
	buffer_load_dword v156, off, s[0:3], 0 offset:292
	buffer_load_dword v154, off, s[0:3], 0 offset:300
	buffer_load_dword v148, off, s[0:3], 0 offset:308
	s_waitcnt vmcnt(24) lgkmcnt(0)
	v_fma_f64 v[123:124], v[133:134], v[127:128], v[123:124]
	s_waitcnt vmcnt(19)
	v_fma_f64 v[133:134], v[135:136], v[129:130], v[123:124]
	ds_read_b128 v[123:126], v122 offset:704
	ds_read_b128 v[127:130], v122 offset:720
	s_waitcnt vmcnt(18) lgkmcnt(1)
	v_fma_f64 v[123:124], v[141:142], v[123:124], v[133:134]
	s_waitcnt vmcnt(17)
	v_fma_f64 v[123:124], v[139:140], v[125:126], v[123:124]
	buffer_load_dword v134, off, s[0:3], 0 offset:316
	buffer_load_dword v135, off, s[0:3], 0 offset:336
	;; [unrolled: 1-line block ×7, first 2 shown]
	s_waitcnt vmcnt(23) lgkmcnt(0)
	v_fma_f64 v[123:124], v[137:138], v[127:128], v[123:124]
	s_waitcnt vmcnt(18)
	v_fma_f64 v[136:137], v[143:144], v[129:130], v[123:124]
	ds_read_b128 v[123:126], v122 offset:736
	ds_read_b128 v[127:130], v122 offset:752
	s_waitcnt vmcnt(17) lgkmcnt(1)
	v_fma_f64 v[123:124], v[151:152], v[123:124], v[136:137]
	buffer_load_dword v136, off, s[0:3], 0 offset:340
	s_waitcnt vmcnt(17)
	v_fma_f64 v[123:124], v[149:150], v[125:126], v[123:124]
	buffer_load_dword v138, off, s[0:3], 0 offset:348
	buffer_load_dword v143, off, s[0:3], 0 offset:368
	;; [unrolled: 1-line block ×7, first 2 shown]
	s_waitcnt vmcnt(23) lgkmcnt(0)
	v_fma_f64 v[123:124], v[145:146], v[127:128], v[123:124]
	s_waitcnt vmcnt(18)
	v_fma_f64 v[131:132], v[131:132], v[129:130], v[123:124]
	ds_read_b128 v[123:126], v122 offset:768
	ds_read_b128 v[127:130], v122 offset:784
	buffer_load_dword v144, off, s[0:3], 0 offset:372
	s_waitcnt vmcnt(18) lgkmcnt(1)
	v_fma_f64 v[123:124], v[155:156], v[123:124], v[131:132]
	s_waitcnt vmcnt(17)
	v_fma_f64 v[123:124], v[153:154], v[125:126], v[123:124]
	buffer_load_dword v132, off, s[0:3], 0 offset:380
	buffer_load_dword v145, off, s[0:3], 0 offset:400
	buffer_load_dword v153, off, s[0:3], 0 offset:392
	buffer_load_dword v155, off, s[0:3], 0 offset:384
	buffer_load_dword v131, off, s[0:3], 0 offset:376
	buffer_load_dword v156, off, s[0:3], 0 offset:388
	buffer_load_dword v154, off, s[0:3], 0 offset:396
	buffer_load_dword v146, off, s[0:3], 0 offset:404
	s_waitcnt vmcnt(24) lgkmcnt(0)
	v_fma_f64 v[123:124], v[147:148], v[127:128], v[123:124]
	s_waitcnt vmcnt(19)
	v_fma_f64 v[133:134], v[133:134], v[129:130], v[123:124]
	ds_read_b128 v[123:126], v122 offset:800
	ds_read_b128 v[127:130], v122 offset:816
	s_waitcnt vmcnt(18) lgkmcnt(1)
	v_fma_f64 v[123:124], v[141:142], v[123:124], v[133:134]
	s_waitcnt vmcnt(17)
	v_fma_f64 v[123:124], v[139:140], v[125:126], v[123:124]
	buffer_load_dword v134, off, s[0:3], 0 offset:412
	buffer_load_dword v139, off, s[0:3], 0 offset:432
	buffer_load_dword v141, off, s[0:3], 0 offset:424
	buffer_load_dword v147, off, s[0:3], 0 offset:416
	buffer_load_dword v133, off, s[0:3], 0 offset:408
	buffer_load_dword v148, off, s[0:3], 0 offset:420
	buffer_load_dword v142, off, s[0:3], 0 offset:428
	buffer_load_dword v140, off, s[0:3], 0 offset:436
	s_waitcnt vmcnt(24) lgkmcnt(0)
	v_fma_f64 v[123:124], v[135:136], v[127:128], v[123:124]
	s_waitcnt vmcnt(19)
	v_fma_f64 v[135:136], v[137:138], v[129:130], v[123:124]
	ds_read_b128 v[123:126], v122 offset:832
	ds_read_b128 v[127:130], v122 offset:848
	;; [unrolled: 18-line block ×3, first 2 shown]
	s_waitcnt vmcnt(18) lgkmcnt(1)
	v_fma_f64 v[123:124], v[155:156], v[123:124], v[131:132]
	buffer_load_dword v132, off, s[0:3], 0 offset:476
	buffer_load_dword v131, off, s[0:3], 0 offset:472
	;; [unrolled: 1-line block ×4, first 2 shown]
	s_waitcnt vmcnt(21)
	v_fma_f64 v[123:124], v[153:154], v[125:126], v[123:124]
	s_waitcnt vmcnt(20) lgkmcnt(0)
	v_fma_f64 v[123:124], v[145:146], v[127:128], v[123:124]
	s_waitcnt vmcnt(15)
	v_fma_f64 v[133:134], v[133:134], v[129:130], v[123:124]
	ds_read_b128 v[123:126], v122 offset:896
	ds_read_b128 v[127:130], v122 offset:912
	s_waitcnt vmcnt(14) lgkmcnt(1)
	v_fma_f64 v[123:124], v[147:148], v[123:124], v[133:134]
	s_waitcnt vmcnt(13)
	v_fma_f64 v[123:124], v[141:142], v[125:126], v[123:124]
	s_waitcnt vmcnt(12) lgkmcnt(0)
	v_fma_f64 v[123:124], v[139:140], v[127:128], v[123:124]
	s_waitcnt vmcnt(7)
	v_fma_f64 v[133:134], v[135:136], v[129:130], v[123:124]
	ds_read_b128 v[123:126], v122 offset:928
	ds_read_b128 v[127:130], v122 offset:944
	s_waitcnt vmcnt(6) lgkmcnt(1)
	v_fma_f64 v[122:123], v[151:152], v[123:124], v[133:134]
	s_waitcnt vmcnt(5)
	v_fma_f64 v[122:123], v[149:150], v[125:126], v[122:123]
	s_waitcnt vmcnt(4) lgkmcnt(0)
	v_fma_f64 v[122:123], v[137:138], v[127:128], v[122:123]
	s_waitcnt vmcnt(2)
	v_fma_f64 v[122:123], v[131:132], v[129:130], v[122:123]
	s_waitcnt vmcnt(0)
	v_add_f64 v[122:123], v[143:144], -v[122:123]
	buffer_store_dword v123, off, s[0:3], 0 offset:92
	buffer_store_dword v122, off, s[0:3], 0 offset:88
	s_and_saveexec_b64 s[4:5], vcc
	s_cbranch_execz .LBB123_347
; %bb.346:
	buffer_load_dword v122, off, s[0:3], 0 offset:80
	buffer_load_dword v123, off, s[0:3], 0 offset:84
	v_mov_b32_e32 v124, 0
	buffer_store_dword v124, off, s[0:3], 0 offset:80
	buffer_store_dword v124, off, s[0:3], 0 offset:84
	s_waitcnt vmcnt(2)
	ds_write_b64 v121, v[122:123]
.LBB123_347:
	s_or_b64 exec, exec, s[4:5]
	s_waitcnt lgkmcnt(0)
	; wave barrier
	buffer_load_dword v131, off, s[0:3], 0 offset:88
	buffer_load_dword v132, off, s[0:3], 0 offset:92
	;; [unrolled: 1-line block ×21, first 2 shown]
	v_mov_b32_e32 v122, 0
	ds_read2_b64 v[123:126], v122 offset0:71 offset1:72
	ds_read2_b64 v[127:130], v122 offset0:73 offset1:74
	buffer_load_dword v148, off, s[0:3], 0 offset:172
	v_cmp_lt_u32_e32 vcc, 9, v0
	s_waitcnt vmcnt(20) lgkmcnt(1)
	v_fma_f64 v[123:124], v[131:132], v[123:124], 0
	s_waitcnt vmcnt(18)
	v_fma_f64 v[123:124], v[133:134], v[125:126], v[123:124]
	buffer_load_dword v132, off, s[0:3], 0 offset:180
	buffer_load_dword v133, off, s[0:3], 0 offset:200
	;; [unrolled: 1-line block ×7, first 2 shown]
	s_waitcnt vmcnt(23) lgkmcnt(0)
	v_fma_f64 v[123:124], v[135:136], v[127:128], v[123:124]
	s_waitcnt vmcnt(21)
	v_fma_f64 v[134:135], v[137:138], v[129:130], v[123:124]
	ds_read2_b64 v[123:126], v122 offset0:75 offset1:76
	ds_read2_b64 v[127:130], v122 offset0:77 offset1:78
	s_waitcnt vmcnt(19) lgkmcnt(1)
	v_fma_f64 v[123:124], v[139:140], v[123:124], v[134:135]
	buffer_load_dword v134, off, s[0:3], 0 offset:204
	s_waitcnt vmcnt(18)
	v_fma_f64 v[123:124], v[141:142], v[125:126], v[123:124]
	buffer_load_dword v136, off, s[0:3], 0 offset:212
	buffer_load_dword v137, off, s[0:3], 0 offset:232
	;; [unrolled: 1-line block ×8, first 2 shown]
	s_waitcnt vmcnt(24) lgkmcnt(0)
	v_fma_f64 v[123:124], v[143:144], v[127:128], v[123:124]
	s_waitcnt vmcnt(19)
	v_fma_f64 v[143:144], v[145:146], v[129:130], v[123:124]
	ds_read2_b64 v[123:126], v122 offset0:79 offset1:80
	ds_read2_b64 v[127:130], v122 offset0:81 offset1:82
	s_waitcnt vmcnt(18) lgkmcnt(1)
	v_fma_f64 v[123:124], v[151:152], v[123:124], v[143:144]
	s_waitcnt vmcnt(17)
	v_fma_f64 v[123:124], v[149:150], v[125:126], v[123:124]
	buffer_load_dword v144, off, s[0:3], 0 offset:244
	buffer_load_dword v145, off, s[0:3], 0 offset:264
	buffer_load_dword v149, off, s[0:3], 0 offset:256
	buffer_load_dword v151, off, s[0:3], 0 offset:248
	buffer_load_dword v143, off, s[0:3], 0 offset:240
	buffer_load_dword v152, off, s[0:3], 0 offset:252
	buffer_load_dword v150, off, s[0:3], 0 offset:260
	s_waitcnt vmcnt(23) lgkmcnt(0)
	v_fma_f64 v[123:124], v[147:148], v[127:128], v[123:124]
	s_waitcnt vmcnt(18)
	v_fma_f64 v[131:132], v[131:132], v[129:130], v[123:124]
	ds_read2_b64 v[123:126], v122 offset0:83 offset1:84
	ds_read2_b64 v[127:130], v122 offset0:85 offset1:86
	buffer_load_dword v146, off, s[0:3], 0 offset:268
	s_waitcnt vmcnt(18) lgkmcnt(1)
	v_fma_f64 v[123:124], v[155:156], v[123:124], v[131:132]
	s_waitcnt vmcnt(17)
	v_fma_f64 v[123:124], v[153:154], v[125:126], v[123:124]
	buffer_load_dword v132, off, s[0:3], 0 offset:276
	buffer_load_dword v147, off, s[0:3], 0 offset:296
	;; [unrolled: 1-line block ×7, first 2 shown]
	s_waitcnt vmcnt(23) lgkmcnt(0)
	v_fma_f64 v[123:124], v[133:134], v[127:128], v[123:124]
	s_waitcnt vmcnt(18)
	v_fma_f64 v[133:134], v[135:136], v[129:130], v[123:124]
	ds_read2_b64 v[123:126], v122 offset0:87 offset1:88
	ds_read2_b64 v[127:130], v122 offset0:89 offset1:90
	buffer_load_dword v148, off, s[0:3], 0 offset:300
	s_waitcnt vmcnt(18) lgkmcnt(1)
	v_fma_f64 v[123:124], v[141:142], v[123:124], v[133:134]
	s_waitcnt vmcnt(17)
	v_fma_f64 v[123:124], v[139:140], v[125:126], v[123:124]
	buffer_load_dword v134, off, s[0:3], 0 offset:308
	buffer_load_dword v135, off, s[0:3], 0 offset:328
	;; [unrolled: 1-line block ×7, first 2 shown]
	s_waitcnt vmcnt(23) lgkmcnt(0)
	v_fma_f64 v[123:124], v[137:138], v[127:128], v[123:124]
	s_waitcnt vmcnt(18)
	v_fma_f64 v[136:137], v[143:144], v[129:130], v[123:124]
	ds_read2_b64 v[123:126], v122 offset0:91 offset1:92
	ds_read2_b64 v[127:130], v122 offset0:93 offset1:94
	s_waitcnt vmcnt(17) lgkmcnt(1)
	v_fma_f64 v[123:124], v[151:152], v[123:124], v[136:137]
	buffer_load_dword v136, off, s[0:3], 0 offset:332
	s_waitcnt vmcnt(17)
	v_fma_f64 v[123:124], v[149:150], v[125:126], v[123:124]
	buffer_load_dword v138, off, s[0:3], 0 offset:340
	buffer_load_dword v143, off, s[0:3], 0 offset:360
	;; [unrolled: 1-line block ×7, first 2 shown]
	s_waitcnt vmcnt(23) lgkmcnt(0)
	v_fma_f64 v[123:124], v[145:146], v[127:128], v[123:124]
	s_waitcnt vmcnt(18)
	v_fma_f64 v[131:132], v[131:132], v[129:130], v[123:124]
	ds_read2_b64 v[123:126], v122 offset0:95 offset1:96
	ds_read2_b64 v[127:130], v122 offset0:97 offset1:98
	buffer_load_dword v144, off, s[0:3], 0 offset:364
	s_waitcnt vmcnt(18) lgkmcnt(1)
	v_fma_f64 v[123:124], v[155:156], v[123:124], v[131:132]
	s_waitcnt vmcnt(17)
	v_fma_f64 v[123:124], v[153:154], v[125:126], v[123:124]
	buffer_load_dword v132, off, s[0:3], 0 offset:372
	buffer_load_dword v145, off, s[0:3], 0 offset:392
	;; [unrolled: 1-line block ×7, first 2 shown]
	s_waitcnt vmcnt(23) lgkmcnt(0)
	v_fma_f64 v[123:124], v[147:148], v[127:128], v[123:124]
	s_waitcnt vmcnt(18)
	v_fma_f64 v[133:134], v[133:134], v[129:130], v[123:124]
	ds_read2_b64 v[123:126], v122 offset0:99 offset1:100
	ds_read2_b64 v[127:130], v122 offset0:101 offset1:102
	buffer_load_dword v146, off, s[0:3], 0 offset:396
	s_waitcnt vmcnt(18) lgkmcnt(1)
	v_fma_f64 v[123:124], v[141:142], v[123:124], v[133:134]
	s_waitcnt vmcnt(17)
	v_fma_f64 v[123:124], v[139:140], v[125:126], v[123:124]
	buffer_load_dword v134, off, s[0:3], 0 offset:404
	buffer_load_dword v139, off, s[0:3], 0 offset:424
	;; [unrolled: 1-line block ×8, first 2 shown]
	s_waitcnt vmcnt(24) lgkmcnt(0)
	v_fma_f64 v[123:124], v[135:136], v[127:128], v[123:124]
	s_waitcnt vmcnt(19)
	v_fma_f64 v[135:136], v[137:138], v[129:130], v[123:124]
	ds_read2_b64 v[123:126], v122 offset0:103 offset1:104
	ds_read2_b64 v[127:130], v122 offset0:105 offset1:106
	s_waitcnt vmcnt(18) lgkmcnt(1)
	v_fma_f64 v[123:124], v[151:152], v[123:124], v[135:136]
	s_waitcnt vmcnt(17)
	v_fma_f64 v[123:124], v[149:150], v[125:126], v[123:124]
	buffer_load_dword v136, off, s[0:3], 0 offset:436
	buffer_load_dword v137, off, s[0:3], 0 offset:456
	;; [unrolled: 1-line block ×7, first 2 shown]
	s_waitcnt vmcnt(23) lgkmcnt(0)
	v_fma_f64 v[123:124], v[143:144], v[127:128], v[123:124]
	s_waitcnt vmcnt(18)
	v_fma_f64 v[131:132], v[131:132], v[129:130], v[123:124]
	ds_read2_b64 v[123:126], v122 offset0:107 offset1:108
	ds_read2_b64 v[127:130], v122 offset0:109 offset1:110
	buffer_load_dword v138, off, s[0:3], 0 offset:460
	s_waitcnt vmcnt(18) lgkmcnt(1)
	v_fma_f64 v[123:124], v[155:156], v[123:124], v[131:132]
	buffer_load_dword v132, off, s[0:3], 0 offset:468
	buffer_load_dword v143, off, s[0:3], 0 offset:472
	;; [unrolled: 1-line block ×4, first 2 shown]
	s_waitcnt vmcnt(21)
	v_fma_f64 v[123:124], v[153:154], v[125:126], v[123:124]
	s_waitcnt vmcnt(20) lgkmcnt(0)
	v_fma_f64 v[123:124], v[145:146], v[127:128], v[123:124]
	buffer_load_dword v145, off, s[0:3], 0 offset:80
	buffer_load_dword v146, off, s[0:3], 0 offset:84
	s_waitcnt vmcnt(17)
	v_fma_f64 v[133:134], v[133:134], v[129:130], v[123:124]
	ds_read2_b64 v[123:126], v122 offset0:111 offset1:112
	ds_read2_b64 v[127:130], v122 offset0:113 offset1:114
	s_waitcnt vmcnt(16) lgkmcnt(1)
	v_fma_f64 v[123:124], v[147:148], v[123:124], v[133:134]
	s_waitcnt vmcnt(15)
	v_fma_f64 v[123:124], v[141:142], v[125:126], v[123:124]
	s_waitcnt vmcnt(14) lgkmcnt(0)
	v_fma_f64 v[123:124], v[139:140], v[127:128], v[123:124]
	s_waitcnt vmcnt(9)
	v_fma_f64 v[133:134], v[135:136], v[129:130], v[123:124]
	ds_read2_b64 v[123:126], v122 offset0:115 offset1:116
	ds_read2_b64 v[127:130], v122 offset0:117 offset1:118
	s_waitcnt vmcnt(8) lgkmcnt(1)
	v_fma_f64 v[123:124], v[151:152], v[123:124], v[133:134]
	s_waitcnt vmcnt(7)
	v_fma_f64 v[123:124], v[149:150], v[125:126], v[123:124]
	ds_read_b64 v[125:126], v122 offset:952
	s_waitcnt vmcnt(6) lgkmcnt(1)
	v_fma_f64 v[123:124], v[137:138], v[127:128], v[123:124]
	s_waitcnt vmcnt(3)
	v_fma_f64 v[123:124], v[131:132], v[129:130], v[123:124]
	s_waitcnt vmcnt(2) lgkmcnt(0)
	v_fma_f64 v[123:124], v[143:144], v[125:126], v[123:124]
	s_waitcnt vmcnt(0)
	v_add_f64 v[123:124], v[145:146], -v[123:124]
	buffer_store_dword v124, off, s[0:3], 0 offset:84
	buffer_store_dword v123, off, s[0:3], 0 offset:80
	s_and_saveexec_b64 s[4:5], vcc
	s_cbranch_execz .LBB123_349
; %bb.348:
	buffer_load_dword v123, off, s[0:3], 0 offset:72
	buffer_load_dword v124, off, s[0:3], 0 offset:76
	s_waitcnt vmcnt(0)
	ds_write_b64 v121, v[123:124]
	buffer_store_dword v122, off, s[0:3], 0 offset:72
	buffer_store_dword v122, off, s[0:3], 0 offset:76
.LBB123_349:
	s_or_b64 exec, exec, s[4:5]
	s_waitcnt lgkmcnt(0)
	; wave barrier
	buffer_load_dword v131, off, s[0:3], 0 offset:80
	buffer_load_dword v132, off, s[0:3], 0 offset:84
	;; [unrolled: 1-line block ×22, first 2 shown]
	ds_read_b128 v[123:126], v122 offset:560
	ds_read_b128 v[127:130], v122 offset:576
	v_cmp_lt_u32_e32 vcc, 8, v0
	s_waitcnt vmcnt(20) lgkmcnt(1)
	v_fma_f64 v[123:124], v[131:132], v[123:124], 0
	s_waitcnt vmcnt(18)
	v_fma_f64 v[123:124], v[133:134], v[125:126], v[123:124]
	buffer_load_dword v132, off, s[0:3], 0 offset:172
	buffer_load_dword v133, off, s[0:3], 0 offset:192
	;; [unrolled: 1-line block ×7, first 2 shown]
	s_waitcnt vmcnt(23) lgkmcnt(0)
	v_fma_f64 v[123:124], v[135:136], v[127:128], v[123:124]
	s_waitcnt vmcnt(21)
	v_fma_f64 v[134:135], v[137:138], v[129:130], v[123:124]
	ds_read_b128 v[123:126], v122 offset:592
	ds_read_b128 v[127:130], v122 offset:608
	s_waitcnt vmcnt(19) lgkmcnt(1)
	v_fma_f64 v[123:124], v[139:140], v[123:124], v[134:135]
	buffer_load_dword v134, off, s[0:3], 0 offset:196
	s_waitcnt vmcnt(18)
	v_fma_f64 v[123:124], v[141:142], v[125:126], v[123:124]
	buffer_load_dword v136, off, s[0:3], 0 offset:204
	buffer_load_dword v137, off, s[0:3], 0 offset:224
	;; [unrolled: 1-line block ×8, first 2 shown]
	s_waitcnt vmcnt(24) lgkmcnt(0)
	v_fma_f64 v[123:124], v[143:144], v[127:128], v[123:124]
	s_waitcnt vmcnt(19)
	v_fma_f64 v[143:144], v[145:146], v[129:130], v[123:124]
	ds_read_b128 v[123:126], v122 offset:624
	ds_read_b128 v[127:130], v122 offset:640
	s_waitcnt vmcnt(18) lgkmcnt(1)
	v_fma_f64 v[123:124], v[151:152], v[123:124], v[143:144]
	s_waitcnt vmcnt(17)
	v_fma_f64 v[123:124], v[149:150], v[125:126], v[123:124]
	buffer_load_dword v144, off, s[0:3], 0 offset:236
	buffer_load_dword v145, off, s[0:3], 0 offset:256
	buffer_load_dword v149, off, s[0:3], 0 offset:248
	buffer_load_dword v151, off, s[0:3], 0 offset:240
	buffer_load_dword v143, off, s[0:3], 0 offset:232
	buffer_load_dword v152, off, s[0:3], 0 offset:244
	buffer_load_dword v150, off, s[0:3], 0 offset:252
	buffer_load_dword v146, off, s[0:3], 0 offset:260
	s_waitcnt vmcnt(24) lgkmcnt(0)
	v_fma_f64 v[123:124], v[147:148], v[127:128], v[123:124]
	s_waitcnt vmcnt(19)
	v_fma_f64 v[131:132], v[131:132], v[129:130], v[123:124]
	ds_read_b128 v[123:126], v122 offset:656
	ds_read_b128 v[127:130], v122 offset:672
	s_waitcnt vmcnt(18) lgkmcnt(1)
	v_fma_f64 v[123:124], v[155:156], v[123:124], v[131:132]
	s_waitcnt vmcnt(17)
	v_fma_f64 v[123:124], v[153:154], v[125:126], v[123:124]
	buffer_load_dword v132, off, s[0:3], 0 offset:268
	buffer_load_dword v147, off, s[0:3], 0 offset:288
	;; [unrolled: 1-line block ×7, first 2 shown]
	s_waitcnt vmcnt(23) lgkmcnt(0)
	v_fma_f64 v[123:124], v[133:134], v[127:128], v[123:124]
	s_waitcnt vmcnt(18)
	v_fma_f64 v[133:134], v[135:136], v[129:130], v[123:124]
	ds_read_b128 v[123:126], v122 offset:688
	ds_read_b128 v[127:130], v122 offset:704
	buffer_load_dword v148, off, s[0:3], 0 offset:292
	s_waitcnt vmcnt(18) lgkmcnt(1)
	v_fma_f64 v[123:124], v[141:142], v[123:124], v[133:134]
	s_waitcnt vmcnt(17)
	v_fma_f64 v[123:124], v[139:140], v[125:126], v[123:124]
	buffer_load_dword v134, off, s[0:3], 0 offset:300
	buffer_load_dword v135, off, s[0:3], 0 offset:320
	;; [unrolled: 1-line block ×7, first 2 shown]
	s_waitcnt vmcnt(23) lgkmcnt(0)
	v_fma_f64 v[123:124], v[137:138], v[127:128], v[123:124]
	s_waitcnt vmcnt(18)
	v_fma_f64 v[136:137], v[143:144], v[129:130], v[123:124]
	ds_read_b128 v[123:126], v122 offset:720
	ds_read_b128 v[127:130], v122 offset:736
	s_waitcnt vmcnt(17) lgkmcnt(1)
	v_fma_f64 v[123:124], v[151:152], v[123:124], v[136:137]
	buffer_load_dword v136, off, s[0:3], 0 offset:324
	s_waitcnt vmcnt(17)
	v_fma_f64 v[123:124], v[149:150], v[125:126], v[123:124]
	buffer_load_dword v138, off, s[0:3], 0 offset:332
	buffer_load_dword v143, off, s[0:3], 0 offset:352
	;; [unrolled: 1-line block ×8, first 2 shown]
	s_waitcnt vmcnt(24) lgkmcnt(0)
	v_fma_f64 v[123:124], v[145:146], v[127:128], v[123:124]
	s_waitcnt vmcnt(19)
	v_fma_f64 v[131:132], v[131:132], v[129:130], v[123:124]
	ds_read_b128 v[123:126], v122 offset:752
	ds_read_b128 v[127:130], v122 offset:768
	s_waitcnt vmcnt(18) lgkmcnt(1)
	v_fma_f64 v[123:124], v[155:156], v[123:124], v[131:132]
	s_waitcnt vmcnt(17)
	v_fma_f64 v[123:124], v[153:154], v[125:126], v[123:124]
	buffer_load_dword v132, off, s[0:3], 0 offset:364
	buffer_load_dword v145, off, s[0:3], 0 offset:384
	;; [unrolled: 1-line block ×7, first 2 shown]
	s_waitcnt vmcnt(23) lgkmcnt(0)
	v_fma_f64 v[123:124], v[147:148], v[127:128], v[123:124]
	s_waitcnt vmcnt(18)
	v_fma_f64 v[133:134], v[133:134], v[129:130], v[123:124]
	ds_read_b128 v[123:126], v122 offset:784
	ds_read_b128 v[127:130], v122 offset:800
	buffer_load_dword v146, off, s[0:3], 0 offset:388
	s_waitcnt vmcnt(18) lgkmcnt(1)
	v_fma_f64 v[123:124], v[141:142], v[123:124], v[133:134]
	s_waitcnt vmcnt(17)
	v_fma_f64 v[123:124], v[139:140], v[125:126], v[123:124]
	buffer_load_dword v134, off, s[0:3], 0 offset:396
	buffer_load_dword v139, off, s[0:3], 0 offset:416
	;; [unrolled: 1-line block ×8, first 2 shown]
	s_waitcnt vmcnt(24) lgkmcnt(0)
	v_fma_f64 v[123:124], v[135:136], v[127:128], v[123:124]
	s_waitcnt vmcnt(19)
	v_fma_f64 v[135:136], v[137:138], v[129:130], v[123:124]
	ds_read_b128 v[123:126], v122 offset:816
	ds_read_b128 v[127:130], v122 offset:832
	s_waitcnt vmcnt(18) lgkmcnt(1)
	v_fma_f64 v[123:124], v[151:152], v[123:124], v[135:136]
	s_waitcnt vmcnt(17)
	v_fma_f64 v[123:124], v[149:150], v[125:126], v[123:124]
	buffer_load_dword v136, off, s[0:3], 0 offset:428
	buffer_load_dword v137, off, s[0:3], 0 offset:448
	;; [unrolled: 1-line block ×8, first 2 shown]
	s_waitcnt vmcnt(24) lgkmcnt(0)
	v_fma_f64 v[123:124], v[143:144], v[127:128], v[123:124]
	s_waitcnt vmcnt(19)
	v_fma_f64 v[131:132], v[131:132], v[129:130], v[123:124]
	ds_read_b128 v[123:126], v122 offset:848
	ds_read_b128 v[127:130], v122 offset:864
	s_waitcnt vmcnt(18) lgkmcnt(1)
	v_fma_f64 v[123:124], v[155:156], v[123:124], v[131:132]
	s_waitcnt vmcnt(17)
	v_fma_f64 v[123:124], v[153:154], v[125:126], v[123:124]
	buffer_load_dword v132, off, s[0:3], 0 offset:460
	buffer_load_dword v143, off, s[0:3], 0 offset:472
	;; [unrolled: 1-line block ×6, first 2 shown]
	s_waitcnt vmcnt(22) lgkmcnt(0)
	v_fma_f64 v[123:124], v[145:146], v[127:128], v[123:124]
	s_waitcnt vmcnt(17)
	v_fma_f64 v[133:134], v[133:134], v[129:130], v[123:124]
	ds_read_b128 v[123:126], v122 offset:880
	buffer_load_dword v145, off, s[0:3], 0 offset:72
	buffer_load_dword v146, off, s[0:3], 0 offset:76
	ds_read_b128 v[127:130], v122 offset:896
	s_waitcnt vmcnt(18) lgkmcnt(1)
	v_fma_f64 v[123:124], v[147:148], v[123:124], v[133:134]
	s_waitcnt vmcnt(17)
	v_fma_f64 v[123:124], v[141:142], v[125:126], v[123:124]
	s_waitcnt vmcnt(16) lgkmcnt(0)
	v_fma_f64 v[123:124], v[139:140], v[127:128], v[123:124]
	s_waitcnt vmcnt(11)
	v_fma_f64 v[133:134], v[135:136], v[129:130], v[123:124]
	ds_read_b128 v[123:126], v122 offset:912
	ds_read_b128 v[127:130], v122 offset:928
	s_waitcnt vmcnt(10) lgkmcnt(1)
	v_fma_f64 v[123:124], v[151:152], v[123:124], v[133:134]
	s_waitcnt vmcnt(9)
	v_fma_f64 v[123:124], v[149:150], v[125:126], v[123:124]
	s_waitcnt vmcnt(8) lgkmcnt(0)
	v_fma_f64 v[123:124], v[137:138], v[127:128], v[123:124]
	s_waitcnt vmcnt(4)
	v_fma_f64 v[126:127], v[131:132], v[129:130], v[123:124]
	ds_read_b128 v[122:125], v122 offset:944
	s_waitcnt vmcnt(3) lgkmcnt(0)
	v_fma_f64 v[122:123], v[153:154], v[122:123], v[126:127]
	s_waitcnt vmcnt(2)
	v_fma_f64 v[122:123], v[143:144], v[124:125], v[122:123]
	s_waitcnt vmcnt(0)
	v_add_f64 v[122:123], v[145:146], -v[122:123]
	buffer_store_dword v123, off, s[0:3], 0 offset:76
	buffer_store_dword v122, off, s[0:3], 0 offset:72
	s_and_saveexec_b64 s[4:5], vcc
	s_cbranch_execz .LBB123_351
; %bb.350:
	buffer_load_dword v122, off, s[0:3], 0 offset:64
	buffer_load_dword v123, off, s[0:3], 0 offset:68
	v_mov_b32_e32 v124, 0
	buffer_store_dword v124, off, s[0:3], 0 offset:64
	buffer_store_dword v124, off, s[0:3], 0 offset:68
	s_waitcnt vmcnt(2)
	ds_write_b64 v121, v[122:123]
.LBB123_351:
	s_or_b64 exec, exec, s[4:5]
	s_waitcnt lgkmcnt(0)
	; wave barrier
	buffer_load_dword v131, off, s[0:3], 0 offset:72
	buffer_load_dword v132, off, s[0:3], 0 offset:76
	;; [unrolled: 1-line block ×22, first 2 shown]
	v_mov_b32_e32 v122, 0
	ds_read2_b64 v[123:126], v122 offset0:69 offset1:70
	ds_read2_b64 v[127:130], v122 offset0:71 offset1:72
	v_cmp_lt_u32_e32 vcc, 7, v0
	s_waitcnt vmcnt(20) lgkmcnt(1)
	v_fma_f64 v[123:124], v[131:132], v[123:124], 0
	s_waitcnt vmcnt(18)
	v_fma_f64 v[123:124], v[133:134], v[125:126], v[123:124]
	buffer_load_dword v132, off, s[0:3], 0 offset:164
	buffer_load_dword v133, off, s[0:3], 0 offset:184
	;; [unrolled: 1-line block ×7, first 2 shown]
	s_waitcnt vmcnt(23) lgkmcnt(0)
	v_fma_f64 v[123:124], v[135:136], v[127:128], v[123:124]
	s_waitcnt vmcnt(21)
	v_fma_f64 v[134:135], v[137:138], v[129:130], v[123:124]
	ds_read2_b64 v[123:126], v122 offset0:73 offset1:74
	ds_read2_b64 v[127:130], v122 offset0:75 offset1:76
	s_waitcnt vmcnt(19) lgkmcnt(1)
	v_fma_f64 v[123:124], v[139:140], v[123:124], v[134:135]
	buffer_load_dword v134, off, s[0:3], 0 offset:188
	s_waitcnt vmcnt(18)
	v_fma_f64 v[123:124], v[141:142], v[125:126], v[123:124]
	buffer_load_dword v136, off, s[0:3], 0 offset:196
	buffer_load_dword v137, off, s[0:3], 0 offset:216
	;; [unrolled: 1-line block ×8, first 2 shown]
	s_waitcnt vmcnt(24) lgkmcnt(0)
	v_fma_f64 v[123:124], v[143:144], v[127:128], v[123:124]
	s_waitcnt vmcnt(19)
	v_fma_f64 v[143:144], v[145:146], v[129:130], v[123:124]
	ds_read2_b64 v[123:126], v122 offset0:77 offset1:78
	ds_read2_b64 v[127:130], v122 offset0:79 offset1:80
	s_waitcnt vmcnt(18) lgkmcnt(1)
	v_fma_f64 v[123:124], v[151:152], v[123:124], v[143:144]
	s_waitcnt vmcnt(17)
	v_fma_f64 v[123:124], v[149:150], v[125:126], v[123:124]
	buffer_load_dword v144, off, s[0:3], 0 offset:228
	buffer_load_dword v145, off, s[0:3], 0 offset:248
	;; [unrolled: 1-line block ×8, first 2 shown]
	s_waitcnt vmcnt(24) lgkmcnt(0)
	v_fma_f64 v[123:124], v[147:148], v[127:128], v[123:124]
	s_waitcnt vmcnt(19)
	v_fma_f64 v[131:132], v[131:132], v[129:130], v[123:124]
	ds_read2_b64 v[123:126], v122 offset0:81 offset1:82
	ds_read2_b64 v[127:130], v122 offset0:83 offset1:84
	s_waitcnt vmcnt(18) lgkmcnt(1)
	v_fma_f64 v[123:124], v[155:156], v[123:124], v[131:132]
	s_waitcnt vmcnt(17)
	v_fma_f64 v[123:124], v[153:154], v[125:126], v[123:124]
	buffer_load_dword v132, off, s[0:3], 0 offset:260
	buffer_load_dword v147, off, s[0:3], 0 offset:280
	;; [unrolled: 1-line block ×7, first 2 shown]
	s_waitcnt vmcnt(23) lgkmcnt(0)
	v_fma_f64 v[123:124], v[133:134], v[127:128], v[123:124]
	s_waitcnt vmcnt(18)
	v_fma_f64 v[133:134], v[135:136], v[129:130], v[123:124]
	ds_read2_b64 v[123:126], v122 offset0:85 offset1:86
	ds_read2_b64 v[127:130], v122 offset0:87 offset1:88
	buffer_load_dword v148, off, s[0:3], 0 offset:284
	s_waitcnt vmcnt(18) lgkmcnt(1)
	v_fma_f64 v[123:124], v[141:142], v[123:124], v[133:134]
	s_waitcnt vmcnt(17)
	v_fma_f64 v[123:124], v[139:140], v[125:126], v[123:124]
	buffer_load_dword v134, off, s[0:3], 0 offset:292
	buffer_load_dword v135, off, s[0:3], 0 offset:312
	;; [unrolled: 1-line block ×7, first 2 shown]
	s_waitcnt vmcnt(23) lgkmcnt(0)
	v_fma_f64 v[123:124], v[137:138], v[127:128], v[123:124]
	s_waitcnt vmcnt(18)
	v_fma_f64 v[136:137], v[143:144], v[129:130], v[123:124]
	ds_read2_b64 v[123:126], v122 offset0:89 offset1:90
	ds_read2_b64 v[127:130], v122 offset0:91 offset1:92
	s_waitcnt vmcnt(17) lgkmcnt(1)
	v_fma_f64 v[123:124], v[151:152], v[123:124], v[136:137]
	buffer_load_dword v136, off, s[0:3], 0 offset:316
	s_waitcnt vmcnt(17)
	v_fma_f64 v[123:124], v[149:150], v[125:126], v[123:124]
	buffer_load_dword v138, off, s[0:3], 0 offset:324
	buffer_load_dword v143, off, s[0:3], 0 offset:344
	;; [unrolled: 1-line block ×8, first 2 shown]
	s_waitcnt vmcnt(24) lgkmcnt(0)
	v_fma_f64 v[123:124], v[145:146], v[127:128], v[123:124]
	s_waitcnt vmcnt(19)
	v_fma_f64 v[131:132], v[131:132], v[129:130], v[123:124]
	ds_read2_b64 v[123:126], v122 offset0:93 offset1:94
	ds_read2_b64 v[127:130], v122 offset0:95 offset1:96
	s_waitcnt vmcnt(18) lgkmcnt(1)
	v_fma_f64 v[123:124], v[155:156], v[123:124], v[131:132]
	s_waitcnt vmcnt(17)
	v_fma_f64 v[123:124], v[153:154], v[125:126], v[123:124]
	buffer_load_dword v132, off, s[0:3], 0 offset:356
	buffer_load_dword v145, off, s[0:3], 0 offset:376
	;; [unrolled: 1-line block ×7, first 2 shown]
	s_waitcnt vmcnt(23) lgkmcnt(0)
	v_fma_f64 v[123:124], v[147:148], v[127:128], v[123:124]
	s_waitcnt vmcnt(18)
	v_fma_f64 v[133:134], v[133:134], v[129:130], v[123:124]
	ds_read2_b64 v[123:126], v122 offset0:97 offset1:98
	ds_read2_b64 v[127:130], v122 offset0:99 offset1:100
	buffer_load_dword v146, off, s[0:3], 0 offset:380
	s_waitcnt vmcnt(18) lgkmcnt(1)
	v_fma_f64 v[123:124], v[141:142], v[123:124], v[133:134]
	s_waitcnt vmcnt(17)
	v_fma_f64 v[123:124], v[139:140], v[125:126], v[123:124]
	buffer_load_dword v134, off, s[0:3], 0 offset:388
	buffer_load_dword v139, off, s[0:3], 0 offset:408
	buffer_load_dword v141, off, s[0:3], 0 offset:400
	buffer_load_dword v147, off, s[0:3], 0 offset:392
	buffer_load_dword v133, off, s[0:3], 0 offset:384
	buffer_load_dword v148, off, s[0:3], 0 offset:396
	buffer_load_dword v142, off, s[0:3], 0 offset:404
	buffer_load_dword v140, off, s[0:3], 0 offset:412
	s_waitcnt vmcnt(24) lgkmcnt(0)
	v_fma_f64 v[123:124], v[135:136], v[127:128], v[123:124]
	s_waitcnt vmcnt(19)
	v_fma_f64 v[135:136], v[137:138], v[129:130], v[123:124]
	ds_read2_b64 v[123:126], v122 offset0:101 offset1:102
	ds_read2_b64 v[127:130], v122 offset0:103 offset1:104
	s_waitcnt vmcnt(18) lgkmcnt(1)
	v_fma_f64 v[123:124], v[151:152], v[123:124], v[135:136]
	s_waitcnt vmcnt(17)
	v_fma_f64 v[123:124], v[149:150], v[125:126], v[123:124]
	buffer_load_dword v136, off, s[0:3], 0 offset:420
	buffer_load_dword v137, off, s[0:3], 0 offset:440
	buffer_load_dword v149, off, s[0:3], 0 offset:432
	buffer_load_dword v151, off, s[0:3], 0 offset:424
	buffer_load_dword v135, off, s[0:3], 0 offset:416
	buffer_load_dword v152, off, s[0:3], 0 offset:428
	buffer_load_dword v150, off, s[0:3], 0 offset:436
	buffer_load_dword v138, off, s[0:3], 0 offset:444
	s_waitcnt vmcnt(24) lgkmcnt(0)
	v_fma_f64 v[123:124], v[143:144], v[127:128], v[123:124]
	s_waitcnt vmcnt(19)
	v_fma_f64 v[131:132], v[131:132], v[129:130], v[123:124]
	ds_read2_b64 v[123:126], v122 offset0:105 offset1:106
	ds_read2_b64 v[127:130], v122 offset0:107 offset1:108
	;; [unrolled: 18-line block ×3, first 2 shown]
	s_waitcnt vmcnt(18) lgkmcnt(1)
	v_fma_f64 v[123:124], v[147:148], v[123:124], v[133:134]
	buffer_load_dword v133, off, s[0:3], 0 offset:64
	buffer_load_dword v134, off, s[0:3], 0 offset:68
	s_waitcnt vmcnt(19)
	v_fma_f64 v[123:124], v[141:142], v[125:126], v[123:124]
	s_waitcnt vmcnt(18) lgkmcnt(0)
	v_fma_f64 v[123:124], v[139:140], v[127:128], v[123:124]
	s_waitcnt vmcnt(13)
	v_fma_f64 v[135:136], v[135:136], v[129:130], v[123:124]
	ds_read2_b64 v[123:126], v122 offset0:113 offset1:114
	ds_read2_b64 v[127:130], v122 offset0:115 offset1:116
	s_waitcnt vmcnt(12) lgkmcnt(1)
	v_fma_f64 v[123:124], v[151:152], v[123:124], v[135:136]
	s_waitcnt vmcnt(11)
	v_fma_f64 v[123:124], v[149:150], v[125:126], v[123:124]
	s_waitcnt vmcnt(10) lgkmcnt(0)
	v_fma_f64 v[123:124], v[137:138], v[127:128], v[123:124]
	s_waitcnt vmcnt(5)
	v_fma_f64 v[127:128], v[131:132], v[129:130], v[123:124]
	ds_read2_b64 v[123:126], v122 offset0:117 offset1:118
	ds_read_b64 v[129:130], v122 offset:952
	s_waitcnt vmcnt(4) lgkmcnt(1)
	v_fma_f64 v[123:124], v[155:156], v[123:124], v[127:128]
	s_waitcnt vmcnt(3)
	v_fma_f64 v[123:124], v[153:154], v[125:126], v[123:124]
	s_waitcnt vmcnt(2) lgkmcnt(0)
	v_fma_f64 v[123:124], v[143:144], v[129:130], v[123:124]
	s_waitcnt vmcnt(0)
	v_add_f64 v[123:124], v[133:134], -v[123:124]
	buffer_store_dword v124, off, s[0:3], 0 offset:68
	buffer_store_dword v123, off, s[0:3], 0 offset:64
	s_and_saveexec_b64 s[4:5], vcc
	s_cbranch_execz .LBB123_353
; %bb.352:
	buffer_load_dword v123, off, s[0:3], 0 offset:56
	buffer_load_dword v124, off, s[0:3], 0 offset:60
	s_waitcnt vmcnt(0)
	ds_write_b64 v121, v[123:124]
	buffer_store_dword v122, off, s[0:3], 0 offset:56
	buffer_store_dword v122, off, s[0:3], 0 offset:60
.LBB123_353:
	s_or_b64 exec, exec, s[4:5]
	s_waitcnt lgkmcnt(0)
	; wave barrier
	buffer_load_dword v131, off, s[0:3], 0 offset:64
	buffer_load_dword v132, off, s[0:3], 0 offset:68
	;; [unrolled: 1-line block ×22, first 2 shown]
	ds_read_b128 v[123:126], v122 offset:544
	ds_read_b128 v[127:130], v122 offset:560
	v_cmp_lt_u32_e32 vcc, 6, v0
	s_waitcnt vmcnt(20) lgkmcnt(1)
	v_fma_f64 v[123:124], v[131:132], v[123:124], 0
	s_waitcnt vmcnt(18)
	v_fma_f64 v[123:124], v[133:134], v[125:126], v[123:124]
	buffer_load_dword v132, off, s[0:3], 0 offset:156
	buffer_load_dword v133, off, s[0:3], 0 offset:176
	;; [unrolled: 1-line block ×7, first 2 shown]
	s_waitcnt vmcnt(23) lgkmcnt(0)
	v_fma_f64 v[123:124], v[135:136], v[127:128], v[123:124]
	s_waitcnt vmcnt(21)
	v_fma_f64 v[134:135], v[137:138], v[129:130], v[123:124]
	ds_read_b128 v[123:126], v122 offset:576
	ds_read_b128 v[127:130], v122 offset:592
	s_waitcnt vmcnt(19) lgkmcnt(1)
	v_fma_f64 v[123:124], v[139:140], v[123:124], v[134:135]
	buffer_load_dword v134, off, s[0:3], 0 offset:180
	s_waitcnt vmcnt(18)
	v_fma_f64 v[123:124], v[141:142], v[125:126], v[123:124]
	buffer_load_dword v136, off, s[0:3], 0 offset:188
	buffer_load_dword v137, off, s[0:3], 0 offset:208
	;; [unrolled: 1-line block ×8, first 2 shown]
	s_waitcnt vmcnt(24) lgkmcnt(0)
	v_fma_f64 v[123:124], v[143:144], v[127:128], v[123:124]
	s_waitcnt vmcnt(19)
	v_fma_f64 v[143:144], v[145:146], v[129:130], v[123:124]
	ds_read_b128 v[123:126], v122 offset:608
	ds_read_b128 v[127:130], v122 offset:624
	s_waitcnt vmcnt(18) lgkmcnt(1)
	v_fma_f64 v[123:124], v[151:152], v[123:124], v[143:144]
	s_waitcnt vmcnt(17)
	v_fma_f64 v[123:124], v[149:150], v[125:126], v[123:124]
	buffer_load_dword v144, off, s[0:3], 0 offset:220
	buffer_load_dword v145, off, s[0:3], 0 offset:240
	buffer_load_dword v149, off, s[0:3], 0 offset:232
	buffer_load_dword v151, off, s[0:3], 0 offset:224
	buffer_load_dword v143, off, s[0:3], 0 offset:216
	buffer_load_dword v152, off, s[0:3], 0 offset:228
	buffer_load_dword v150, off, s[0:3], 0 offset:236
	buffer_load_dword v146, off, s[0:3], 0 offset:244
	s_waitcnt vmcnt(24) lgkmcnt(0)
	v_fma_f64 v[123:124], v[147:148], v[127:128], v[123:124]
	s_waitcnt vmcnt(19)
	v_fma_f64 v[131:132], v[131:132], v[129:130], v[123:124]
	ds_read_b128 v[123:126], v122 offset:640
	ds_read_b128 v[127:130], v122 offset:656
	s_waitcnt vmcnt(18) lgkmcnt(1)
	v_fma_f64 v[123:124], v[155:156], v[123:124], v[131:132]
	s_waitcnt vmcnt(17)
	v_fma_f64 v[123:124], v[153:154], v[125:126], v[123:124]
	buffer_load_dword v132, off, s[0:3], 0 offset:252
	buffer_load_dword v147, off, s[0:3], 0 offset:272
	buffer_load_dword v153, off, s[0:3], 0 offset:264
	buffer_load_dword v155, off, s[0:3], 0 offset:256
	buffer_load_dword v131, off, s[0:3], 0 offset:248
	buffer_load_dword v156, off, s[0:3], 0 offset:260
	buffer_load_dword v154, off, s[0:3], 0 offset:268
	s_waitcnt vmcnt(23) lgkmcnt(0)
	v_fma_f64 v[123:124], v[133:134], v[127:128], v[123:124]
	s_waitcnt vmcnt(18)
	v_fma_f64 v[133:134], v[135:136], v[129:130], v[123:124]
	ds_read_b128 v[123:126], v122 offset:672
	ds_read_b128 v[127:130], v122 offset:688
	buffer_load_dword v148, off, s[0:3], 0 offset:276
	s_waitcnt vmcnt(18) lgkmcnt(1)
	v_fma_f64 v[123:124], v[141:142], v[123:124], v[133:134]
	s_waitcnt vmcnt(17)
	v_fma_f64 v[123:124], v[139:140], v[125:126], v[123:124]
	buffer_load_dword v134, off, s[0:3], 0 offset:284
	buffer_load_dword v135, off, s[0:3], 0 offset:304
	;; [unrolled: 1-line block ×7, first 2 shown]
	s_waitcnt vmcnt(23) lgkmcnt(0)
	v_fma_f64 v[123:124], v[137:138], v[127:128], v[123:124]
	s_waitcnt vmcnt(18)
	v_fma_f64 v[136:137], v[143:144], v[129:130], v[123:124]
	ds_read_b128 v[123:126], v122 offset:704
	ds_read_b128 v[127:130], v122 offset:720
	s_waitcnt vmcnt(17) lgkmcnt(1)
	v_fma_f64 v[123:124], v[151:152], v[123:124], v[136:137]
	buffer_load_dword v136, off, s[0:3], 0 offset:308
	s_waitcnt vmcnt(17)
	v_fma_f64 v[123:124], v[149:150], v[125:126], v[123:124]
	buffer_load_dword v138, off, s[0:3], 0 offset:316
	buffer_load_dword v143, off, s[0:3], 0 offset:336
	;; [unrolled: 1-line block ×8, first 2 shown]
	s_waitcnt vmcnt(24) lgkmcnt(0)
	v_fma_f64 v[123:124], v[145:146], v[127:128], v[123:124]
	s_waitcnt vmcnt(19)
	v_fma_f64 v[131:132], v[131:132], v[129:130], v[123:124]
	ds_read_b128 v[123:126], v122 offset:736
	ds_read_b128 v[127:130], v122 offset:752
	s_waitcnt vmcnt(18) lgkmcnt(1)
	v_fma_f64 v[123:124], v[155:156], v[123:124], v[131:132]
	s_waitcnt vmcnt(17)
	v_fma_f64 v[123:124], v[153:154], v[125:126], v[123:124]
	buffer_load_dword v132, off, s[0:3], 0 offset:348
	buffer_load_dword v145, off, s[0:3], 0 offset:368
	;; [unrolled: 1-line block ×7, first 2 shown]
	s_waitcnt vmcnt(23) lgkmcnt(0)
	v_fma_f64 v[123:124], v[147:148], v[127:128], v[123:124]
	s_waitcnt vmcnt(18)
	v_fma_f64 v[133:134], v[133:134], v[129:130], v[123:124]
	ds_read_b128 v[123:126], v122 offset:768
	ds_read_b128 v[127:130], v122 offset:784
	buffer_load_dword v146, off, s[0:3], 0 offset:372
	s_waitcnt vmcnt(18) lgkmcnt(1)
	v_fma_f64 v[123:124], v[141:142], v[123:124], v[133:134]
	s_waitcnt vmcnt(17)
	v_fma_f64 v[123:124], v[139:140], v[125:126], v[123:124]
	buffer_load_dword v134, off, s[0:3], 0 offset:380
	buffer_load_dword v139, off, s[0:3], 0 offset:400
	buffer_load_dword v141, off, s[0:3], 0 offset:392
	buffer_load_dword v147, off, s[0:3], 0 offset:384
	buffer_load_dword v133, off, s[0:3], 0 offset:376
	buffer_load_dword v148, off, s[0:3], 0 offset:388
	buffer_load_dword v142, off, s[0:3], 0 offset:396
	buffer_load_dword v140, off, s[0:3], 0 offset:404
	s_waitcnt vmcnt(24) lgkmcnt(0)
	v_fma_f64 v[123:124], v[135:136], v[127:128], v[123:124]
	s_waitcnt vmcnt(19)
	v_fma_f64 v[135:136], v[137:138], v[129:130], v[123:124]
	ds_read_b128 v[123:126], v122 offset:800
	ds_read_b128 v[127:130], v122 offset:816
	s_waitcnt vmcnt(18) lgkmcnt(1)
	v_fma_f64 v[123:124], v[151:152], v[123:124], v[135:136]
	s_waitcnt vmcnt(17)
	v_fma_f64 v[123:124], v[149:150], v[125:126], v[123:124]
	buffer_load_dword v136, off, s[0:3], 0 offset:412
	buffer_load_dword v137, off, s[0:3], 0 offset:432
	buffer_load_dword v149, off, s[0:3], 0 offset:424
	buffer_load_dword v151, off, s[0:3], 0 offset:416
	buffer_load_dword v135, off, s[0:3], 0 offset:408
	buffer_load_dword v152, off, s[0:3], 0 offset:420
	buffer_load_dword v150, off, s[0:3], 0 offset:428
	buffer_load_dword v138, off, s[0:3], 0 offset:436
	s_waitcnt vmcnt(24) lgkmcnt(0)
	v_fma_f64 v[123:124], v[143:144], v[127:128], v[123:124]
	s_waitcnt vmcnt(19)
	v_fma_f64 v[131:132], v[131:132], v[129:130], v[123:124]
	ds_read_b128 v[123:126], v122 offset:832
	ds_read_b128 v[127:130], v122 offset:848
	;; [unrolled: 18-line block ×3, first 2 shown]
	s_waitcnt vmcnt(18) lgkmcnt(1)
	v_fma_f64 v[123:124], v[147:148], v[123:124], v[133:134]
	buffer_load_dword v134, off, s[0:3], 0 offset:476
	buffer_load_dword v133, off, s[0:3], 0 offset:472
	s_waitcnt vmcnt(19)
	v_fma_f64 v[123:124], v[141:142], v[125:126], v[123:124]
	buffer_load_dword v141, off, s[0:3], 0 offset:56
	buffer_load_dword v142, off, s[0:3], 0 offset:60
	s_waitcnt vmcnt(20) lgkmcnt(0)
	v_fma_f64 v[123:124], v[139:140], v[127:128], v[123:124]
	s_waitcnt vmcnt(15)
	v_fma_f64 v[135:136], v[135:136], v[129:130], v[123:124]
	ds_read_b128 v[123:126], v122 offset:896
	ds_read_b128 v[127:130], v122 offset:912
	s_waitcnt vmcnt(14) lgkmcnt(1)
	v_fma_f64 v[123:124], v[151:152], v[123:124], v[135:136]
	s_waitcnt vmcnt(13)
	v_fma_f64 v[123:124], v[149:150], v[125:126], v[123:124]
	s_waitcnt vmcnt(12) lgkmcnt(0)
	v_fma_f64 v[123:124], v[137:138], v[127:128], v[123:124]
	s_waitcnt vmcnt(7)
	v_fma_f64 v[131:132], v[131:132], v[129:130], v[123:124]
	ds_read_b128 v[123:126], v122 offset:928
	ds_read_b128 v[127:130], v122 offset:944
	s_waitcnt vmcnt(6) lgkmcnt(1)
	v_fma_f64 v[122:123], v[155:156], v[123:124], v[131:132]
	s_waitcnt vmcnt(5)
	v_fma_f64 v[122:123], v[153:154], v[125:126], v[122:123]
	s_waitcnt vmcnt(4) lgkmcnt(0)
	v_fma_f64 v[122:123], v[143:144], v[127:128], v[122:123]
	s_waitcnt vmcnt(2)
	v_fma_f64 v[122:123], v[133:134], v[129:130], v[122:123]
	s_waitcnt vmcnt(0)
	v_add_f64 v[122:123], v[141:142], -v[122:123]
	buffer_store_dword v123, off, s[0:3], 0 offset:60
	buffer_store_dword v122, off, s[0:3], 0 offset:56
	s_and_saveexec_b64 s[4:5], vcc
	s_cbranch_execz .LBB123_355
; %bb.354:
	buffer_load_dword v122, off, s[0:3], 0 offset:48
	buffer_load_dword v123, off, s[0:3], 0 offset:52
	v_mov_b32_e32 v124, 0
	buffer_store_dword v124, off, s[0:3], 0 offset:48
	buffer_store_dword v124, off, s[0:3], 0 offset:52
	s_waitcnt vmcnt(2)
	ds_write_b64 v121, v[122:123]
.LBB123_355:
	s_or_b64 exec, exec, s[4:5]
	s_waitcnt lgkmcnt(0)
	; wave barrier
	buffer_load_dword v131, off, s[0:3], 0 offset:56
	buffer_load_dword v132, off, s[0:3], 0 offset:60
	;; [unrolled: 1-line block ×22, first 2 shown]
	v_mov_b32_e32 v122, 0
	ds_read2_b64 v[123:126], v122 offset0:67 offset1:68
	ds_read2_b64 v[127:130], v122 offset0:69 offset1:70
	v_cmp_lt_u32_e32 vcc, 5, v0
	s_waitcnt vmcnt(20) lgkmcnt(1)
	v_fma_f64 v[123:124], v[131:132], v[123:124], 0
	s_waitcnt vmcnt(18)
	v_fma_f64 v[123:124], v[133:134], v[125:126], v[123:124]
	buffer_load_dword v132, off, s[0:3], 0 offset:148
	buffer_load_dword v133, off, s[0:3], 0 offset:168
	;; [unrolled: 1-line block ×7, first 2 shown]
	s_waitcnt vmcnt(23) lgkmcnt(0)
	v_fma_f64 v[123:124], v[135:136], v[127:128], v[123:124]
	s_waitcnt vmcnt(21)
	v_fma_f64 v[134:135], v[137:138], v[129:130], v[123:124]
	ds_read2_b64 v[123:126], v122 offset0:71 offset1:72
	ds_read2_b64 v[127:130], v122 offset0:73 offset1:74
	s_waitcnt vmcnt(19) lgkmcnt(1)
	v_fma_f64 v[123:124], v[139:140], v[123:124], v[134:135]
	buffer_load_dword v134, off, s[0:3], 0 offset:172
	s_waitcnt vmcnt(18)
	v_fma_f64 v[123:124], v[141:142], v[125:126], v[123:124]
	buffer_load_dword v136, off, s[0:3], 0 offset:180
	buffer_load_dword v137, off, s[0:3], 0 offset:200
	;; [unrolled: 1-line block ×7, first 2 shown]
	s_waitcnt vmcnt(23) lgkmcnt(0)
	v_fma_f64 v[123:124], v[143:144], v[127:128], v[123:124]
	s_waitcnt vmcnt(18)
	v_fma_f64 v[143:144], v[145:146], v[129:130], v[123:124]
	ds_read2_b64 v[123:126], v122 offset0:75 offset1:76
	ds_read2_b64 v[127:130], v122 offset0:77 offset1:78
	buffer_load_dword v138, off, s[0:3], 0 offset:204
	s_waitcnt vmcnt(18) lgkmcnt(1)
	v_fma_f64 v[123:124], v[151:152], v[123:124], v[143:144]
	s_waitcnt vmcnt(17)
	v_fma_f64 v[123:124], v[149:150], v[125:126], v[123:124]
	buffer_load_dword v144, off, s[0:3], 0 offset:212
	buffer_load_dword v145, off, s[0:3], 0 offset:232
	;; [unrolled: 1-line block ×8, first 2 shown]
	s_waitcnt vmcnt(24) lgkmcnt(0)
	v_fma_f64 v[123:124], v[147:148], v[127:128], v[123:124]
	s_waitcnt vmcnt(19)
	v_fma_f64 v[131:132], v[131:132], v[129:130], v[123:124]
	ds_read2_b64 v[123:126], v122 offset0:79 offset1:80
	ds_read2_b64 v[127:130], v122 offset0:81 offset1:82
	s_waitcnt vmcnt(18) lgkmcnt(1)
	v_fma_f64 v[123:124], v[155:156], v[123:124], v[131:132]
	s_waitcnt vmcnt(17)
	v_fma_f64 v[123:124], v[153:154], v[125:126], v[123:124]
	buffer_load_dword v132, off, s[0:3], 0 offset:244
	buffer_load_dword v147, off, s[0:3], 0 offset:264
	;; [unrolled: 1-line block ×7, first 2 shown]
	s_waitcnt vmcnt(23) lgkmcnt(0)
	v_fma_f64 v[123:124], v[133:134], v[127:128], v[123:124]
	s_waitcnt vmcnt(18)
	v_fma_f64 v[133:134], v[135:136], v[129:130], v[123:124]
	ds_read2_b64 v[123:126], v122 offset0:83 offset1:84
	ds_read2_b64 v[127:130], v122 offset0:85 offset1:86
	buffer_load_dword v148, off, s[0:3], 0 offset:268
	s_waitcnt vmcnt(18) lgkmcnt(1)
	v_fma_f64 v[123:124], v[141:142], v[123:124], v[133:134]
	s_waitcnt vmcnt(17)
	v_fma_f64 v[123:124], v[139:140], v[125:126], v[123:124]
	buffer_load_dword v134, off, s[0:3], 0 offset:276
	buffer_load_dword v135, off, s[0:3], 0 offset:296
	;; [unrolled: 1-line block ×7, first 2 shown]
	s_waitcnt vmcnt(23) lgkmcnt(0)
	v_fma_f64 v[123:124], v[137:138], v[127:128], v[123:124]
	s_waitcnt vmcnt(18)
	v_fma_f64 v[136:137], v[143:144], v[129:130], v[123:124]
	ds_read2_b64 v[123:126], v122 offset0:87 offset1:88
	ds_read2_b64 v[127:130], v122 offset0:89 offset1:90
	s_waitcnt vmcnt(17) lgkmcnt(1)
	v_fma_f64 v[123:124], v[151:152], v[123:124], v[136:137]
	buffer_load_dword v136, off, s[0:3], 0 offset:300
	s_waitcnt vmcnt(17)
	v_fma_f64 v[123:124], v[149:150], v[125:126], v[123:124]
	buffer_load_dword v138, off, s[0:3], 0 offset:308
	buffer_load_dword v143, off, s[0:3], 0 offset:328
	;; [unrolled: 1-line block ×8, first 2 shown]
	s_waitcnt vmcnt(24) lgkmcnt(0)
	v_fma_f64 v[123:124], v[145:146], v[127:128], v[123:124]
	s_waitcnt vmcnt(19)
	v_fma_f64 v[131:132], v[131:132], v[129:130], v[123:124]
	ds_read2_b64 v[123:126], v122 offset0:91 offset1:92
	ds_read2_b64 v[127:130], v122 offset0:93 offset1:94
	s_waitcnt vmcnt(18) lgkmcnt(1)
	v_fma_f64 v[123:124], v[155:156], v[123:124], v[131:132]
	s_waitcnt vmcnt(17)
	v_fma_f64 v[123:124], v[153:154], v[125:126], v[123:124]
	buffer_load_dword v132, off, s[0:3], 0 offset:340
	buffer_load_dword v145, off, s[0:3], 0 offset:360
	;; [unrolled: 1-line block ×7, first 2 shown]
	s_waitcnt vmcnt(23) lgkmcnt(0)
	v_fma_f64 v[123:124], v[147:148], v[127:128], v[123:124]
	s_waitcnt vmcnt(18)
	v_fma_f64 v[133:134], v[133:134], v[129:130], v[123:124]
	ds_read2_b64 v[123:126], v122 offset0:95 offset1:96
	ds_read2_b64 v[127:130], v122 offset0:97 offset1:98
	buffer_load_dword v146, off, s[0:3], 0 offset:364
	s_waitcnt vmcnt(18) lgkmcnt(1)
	v_fma_f64 v[123:124], v[141:142], v[123:124], v[133:134]
	s_waitcnt vmcnt(17)
	v_fma_f64 v[123:124], v[139:140], v[125:126], v[123:124]
	buffer_load_dword v134, off, s[0:3], 0 offset:372
	buffer_load_dword v139, off, s[0:3], 0 offset:392
	;; [unrolled: 1-line block ×7, first 2 shown]
	s_waitcnt vmcnt(23) lgkmcnt(0)
	v_fma_f64 v[123:124], v[135:136], v[127:128], v[123:124]
	s_waitcnt vmcnt(18)
	v_fma_f64 v[135:136], v[137:138], v[129:130], v[123:124]
	ds_read2_b64 v[123:126], v122 offset0:99 offset1:100
	ds_read2_b64 v[127:130], v122 offset0:101 offset1:102
	buffer_load_dword v140, off, s[0:3], 0 offset:396
	s_waitcnt vmcnt(18) lgkmcnt(1)
	v_fma_f64 v[123:124], v[151:152], v[123:124], v[135:136]
	s_waitcnt vmcnt(17)
	v_fma_f64 v[123:124], v[149:150], v[125:126], v[123:124]
	buffer_load_dword v136, off, s[0:3], 0 offset:404
	buffer_load_dword v137, off, s[0:3], 0 offset:424
	;; [unrolled: 1-line block ×8, first 2 shown]
	s_waitcnt vmcnt(24) lgkmcnt(0)
	v_fma_f64 v[123:124], v[143:144], v[127:128], v[123:124]
	s_waitcnt vmcnt(19)
	v_fma_f64 v[131:132], v[131:132], v[129:130], v[123:124]
	ds_read2_b64 v[123:126], v122 offset0:103 offset1:104
	ds_read2_b64 v[127:130], v122 offset0:105 offset1:106
	s_waitcnt vmcnt(18) lgkmcnt(1)
	v_fma_f64 v[123:124], v[155:156], v[123:124], v[131:132]
	s_waitcnt vmcnt(17)
	v_fma_f64 v[123:124], v[153:154], v[125:126], v[123:124]
	buffer_load_dword v132, off, s[0:3], 0 offset:436
	buffer_load_dword v143, off, s[0:3], 0 offset:456
	;; [unrolled: 1-line block ×7, first 2 shown]
	s_waitcnt vmcnt(23) lgkmcnt(0)
	v_fma_f64 v[123:124], v[145:146], v[127:128], v[123:124]
	s_waitcnt vmcnt(18)
	v_fma_f64 v[133:134], v[133:134], v[129:130], v[123:124]
	ds_read2_b64 v[123:126], v122 offset0:107 offset1:108
	ds_read2_b64 v[127:130], v122 offset0:109 offset1:110
	buffer_load_dword v144, off, s[0:3], 0 offset:460
	s_waitcnt vmcnt(18) lgkmcnt(1)
	v_fma_f64 v[123:124], v[147:148], v[123:124], v[133:134]
	s_waitcnt vmcnt(17)
	v_fma_f64 v[123:124], v[141:142], v[125:126], v[123:124]
	buffer_load_dword v134, off, s[0:3], 0 offset:468
	buffer_load_dword v141, off, s[0:3], 0 offset:472
	;; [unrolled: 1-line block ×4, first 2 shown]
	s_waitcnt vmcnt(20) lgkmcnt(0)
	v_fma_f64 v[123:124], v[139:140], v[127:128], v[123:124]
	buffer_load_dword v139, off, s[0:3], 0 offset:48
	buffer_load_dword v140, off, s[0:3], 0 offset:52
	s_waitcnt vmcnt(17)
	v_fma_f64 v[135:136], v[135:136], v[129:130], v[123:124]
	ds_read2_b64 v[123:126], v122 offset0:111 offset1:112
	ds_read2_b64 v[127:130], v122 offset0:113 offset1:114
	s_waitcnt vmcnt(16) lgkmcnt(1)
	v_fma_f64 v[123:124], v[151:152], v[123:124], v[135:136]
	s_waitcnt vmcnt(15)
	v_fma_f64 v[123:124], v[149:150], v[125:126], v[123:124]
	s_waitcnt vmcnt(14) lgkmcnt(0)
	v_fma_f64 v[123:124], v[137:138], v[127:128], v[123:124]
	s_waitcnt vmcnt(9)
	v_fma_f64 v[131:132], v[131:132], v[129:130], v[123:124]
	ds_read2_b64 v[123:126], v122 offset0:115 offset1:116
	ds_read2_b64 v[127:130], v122 offset0:117 offset1:118
	s_waitcnt vmcnt(8) lgkmcnt(1)
	v_fma_f64 v[123:124], v[155:156], v[123:124], v[131:132]
	s_waitcnt vmcnt(7)
	v_fma_f64 v[123:124], v[153:154], v[125:126], v[123:124]
	ds_read_b64 v[125:126], v122 offset:952
	s_waitcnt vmcnt(6) lgkmcnt(1)
	v_fma_f64 v[123:124], v[143:144], v[127:128], v[123:124]
	s_waitcnt vmcnt(3)
	v_fma_f64 v[123:124], v[133:134], v[129:130], v[123:124]
	s_waitcnt vmcnt(2) lgkmcnt(0)
	v_fma_f64 v[123:124], v[141:142], v[125:126], v[123:124]
	s_waitcnt vmcnt(0)
	v_add_f64 v[123:124], v[139:140], -v[123:124]
	buffer_store_dword v124, off, s[0:3], 0 offset:52
	buffer_store_dword v123, off, s[0:3], 0 offset:48
	s_and_saveexec_b64 s[4:5], vcc
	s_cbranch_execz .LBB123_357
; %bb.356:
	buffer_load_dword v123, off, s[0:3], 0 offset:40
	buffer_load_dword v124, off, s[0:3], 0 offset:44
	s_waitcnt vmcnt(0)
	ds_write_b64 v121, v[123:124]
	buffer_store_dword v122, off, s[0:3], 0 offset:40
	buffer_store_dword v122, off, s[0:3], 0 offset:44
.LBB123_357:
	s_or_b64 exec, exec, s[4:5]
	s_waitcnt lgkmcnt(0)
	; wave barrier
	buffer_load_dword v131, off, s[0:3], 0 offset:48
	buffer_load_dword v132, off, s[0:3], 0 offset:52
	buffer_load_dword v133, off, s[0:3], 0 offset:56
	buffer_load_dword v134, off, s[0:3], 0 offset:60
	buffer_load_dword v135, off, s[0:3], 0 offset:64
	buffer_load_dword v136, off, s[0:3], 0 offset:68
	buffer_load_dword v137, off, s[0:3], 0 offset:72
	buffer_load_dword v138, off, s[0:3], 0 offset:76
	buffer_load_dword v139, off, s[0:3], 0 offset:80
	buffer_load_dword v140, off, s[0:3], 0 offset:84
	buffer_load_dword v141, off, s[0:3], 0 offset:88
	buffer_load_dword v142, off, s[0:3], 0 offset:92
	buffer_load_dword v143, off, s[0:3], 0 offset:96
	buffer_load_dword v144, off, s[0:3], 0 offset:100
	buffer_load_dword v146, off, s[0:3], 0 offset:108
	buffer_load_dword v147, off, s[0:3], 0 offset:128
	buffer_load_dword v149, off, s[0:3], 0 offset:120
	buffer_load_dword v151, off, s[0:3], 0 offset:112
	buffer_load_dword v145, off, s[0:3], 0 offset:104
	buffer_load_dword v152, off, s[0:3], 0 offset:116
	buffer_load_dword v150, off, s[0:3], 0 offset:124
	buffer_load_dword v148, off, s[0:3], 0 offset:132
	ds_read_b128 v[123:126], v122 offset:528
	ds_read_b128 v[127:130], v122 offset:544
	v_cmp_lt_u32_e32 vcc, 4, v0
	s_waitcnt vmcnt(20) lgkmcnt(1)
	v_fma_f64 v[123:124], v[131:132], v[123:124], 0
	s_waitcnt vmcnt(18)
	v_fma_f64 v[123:124], v[133:134], v[125:126], v[123:124]
	buffer_load_dword v132, off, s[0:3], 0 offset:140
	buffer_load_dword v133, off, s[0:3], 0 offset:160
	;; [unrolled: 1-line block ×7, first 2 shown]
	s_waitcnt vmcnt(23) lgkmcnt(0)
	v_fma_f64 v[123:124], v[135:136], v[127:128], v[123:124]
	s_waitcnt vmcnt(21)
	v_fma_f64 v[134:135], v[137:138], v[129:130], v[123:124]
	ds_read_b128 v[123:126], v122 offset:560
	ds_read_b128 v[127:130], v122 offset:576
	s_waitcnt vmcnt(19) lgkmcnt(1)
	v_fma_f64 v[123:124], v[139:140], v[123:124], v[134:135]
	buffer_load_dword v134, off, s[0:3], 0 offset:164
	s_waitcnt vmcnt(18)
	v_fma_f64 v[123:124], v[141:142], v[125:126], v[123:124]
	buffer_load_dword v136, off, s[0:3], 0 offset:172
	buffer_load_dword v137, off, s[0:3], 0 offset:192
	;; [unrolled: 1-line block ×7, first 2 shown]
	s_waitcnt vmcnt(23) lgkmcnt(0)
	v_fma_f64 v[123:124], v[143:144], v[127:128], v[123:124]
	s_waitcnt vmcnt(18)
	v_fma_f64 v[143:144], v[145:146], v[129:130], v[123:124]
	ds_read_b128 v[123:126], v122 offset:592
	ds_read_b128 v[127:130], v122 offset:608
	buffer_load_dword v138, off, s[0:3], 0 offset:196
	s_waitcnt vmcnt(18) lgkmcnt(1)
	v_fma_f64 v[123:124], v[151:152], v[123:124], v[143:144]
	s_waitcnt vmcnt(17)
	v_fma_f64 v[123:124], v[149:150], v[125:126], v[123:124]
	buffer_load_dword v144, off, s[0:3], 0 offset:204
	buffer_load_dword v145, off, s[0:3], 0 offset:224
	;; [unrolled: 1-line block ×8, first 2 shown]
	s_waitcnt vmcnt(24) lgkmcnt(0)
	v_fma_f64 v[123:124], v[147:148], v[127:128], v[123:124]
	s_waitcnt vmcnt(19)
	v_fma_f64 v[131:132], v[131:132], v[129:130], v[123:124]
	ds_read_b128 v[123:126], v122 offset:624
	ds_read_b128 v[127:130], v122 offset:640
	s_waitcnt vmcnt(18) lgkmcnt(1)
	v_fma_f64 v[123:124], v[155:156], v[123:124], v[131:132]
	s_waitcnt vmcnt(17)
	v_fma_f64 v[123:124], v[153:154], v[125:126], v[123:124]
	buffer_load_dword v132, off, s[0:3], 0 offset:236
	buffer_load_dword v147, off, s[0:3], 0 offset:256
	;; [unrolled: 1-line block ×8, first 2 shown]
	s_waitcnt vmcnt(24) lgkmcnt(0)
	v_fma_f64 v[123:124], v[133:134], v[127:128], v[123:124]
	s_waitcnt vmcnt(19)
	v_fma_f64 v[133:134], v[135:136], v[129:130], v[123:124]
	ds_read_b128 v[123:126], v122 offset:656
	ds_read_b128 v[127:130], v122 offset:672
	s_waitcnt vmcnt(18) lgkmcnt(1)
	v_fma_f64 v[123:124], v[141:142], v[123:124], v[133:134]
	s_waitcnt vmcnt(17)
	v_fma_f64 v[123:124], v[139:140], v[125:126], v[123:124]
	buffer_load_dword v134, off, s[0:3], 0 offset:268
	buffer_load_dword v135, off, s[0:3], 0 offset:288
	;; [unrolled: 1-line block ×7, first 2 shown]
	s_waitcnt vmcnt(23) lgkmcnt(0)
	v_fma_f64 v[123:124], v[137:138], v[127:128], v[123:124]
	s_waitcnt vmcnt(18)
	v_fma_f64 v[136:137], v[143:144], v[129:130], v[123:124]
	ds_read_b128 v[123:126], v122 offset:688
	ds_read_b128 v[127:130], v122 offset:704
	s_waitcnt vmcnt(17) lgkmcnt(1)
	v_fma_f64 v[123:124], v[151:152], v[123:124], v[136:137]
	buffer_load_dword v136, off, s[0:3], 0 offset:292
	s_waitcnt vmcnt(17)
	v_fma_f64 v[123:124], v[149:150], v[125:126], v[123:124]
	buffer_load_dword v138, off, s[0:3], 0 offset:300
	buffer_load_dword v143, off, s[0:3], 0 offset:320
	;; [unrolled: 1-line block ×8, first 2 shown]
	s_waitcnt vmcnt(24) lgkmcnt(0)
	v_fma_f64 v[123:124], v[145:146], v[127:128], v[123:124]
	s_waitcnt vmcnt(19)
	v_fma_f64 v[131:132], v[131:132], v[129:130], v[123:124]
	ds_read_b128 v[123:126], v122 offset:720
	ds_read_b128 v[127:130], v122 offset:736
	s_waitcnt vmcnt(18) lgkmcnt(1)
	v_fma_f64 v[123:124], v[155:156], v[123:124], v[131:132]
	s_waitcnt vmcnt(17)
	v_fma_f64 v[123:124], v[153:154], v[125:126], v[123:124]
	buffer_load_dword v132, off, s[0:3], 0 offset:332
	buffer_load_dword v145, off, s[0:3], 0 offset:352
	;; [unrolled: 1-line block ×8, first 2 shown]
	s_waitcnt vmcnt(24) lgkmcnt(0)
	v_fma_f64 v[123:124], v[147:148], v[127:128], v[123:124]
	s_waitcnt vmcnt(19)
	v_fma_f64 v[133:134], v[133:134], v[129:130], v[123:124]
	ds_read_b128 v[123:126], v122 offset:752
	ds_read_b128 v[127:130], v122 offset:768
	s_waitcnt vmcnt(18) lgkmcnt(1)
	v_fma_f64 v[123:124], v[141:142], v[123:124], v[133:134]
	s_waitcnt vmcnt(17)
	v_fma_f64 v[123:124], v[139:140], v[125:126], v[123:124]
	buffer_load_dword v134, off, s[0:3], 0 offset:364
	buffer_load_dword v139, off, s[0:3], 0 offset:384
	;; [unrolled: 1-line block ×7, first 2 shown]
	s_waitcnt vmcnt(23) lgkmcnt(0)
	v_fma_f64 v[123:124], v[135:136], v[127:128], v[123:124]
	s_waitcnt vmcnt(18)
	v_fma_f64 v[135:136], v[137:138], v[129:130], v[123:124]
	ds_read_b128 v[123:126], v122 offset:784
	ds_read_b128 v[127:130], v122 offset:800
	buffer_load_dword v140, off, s[0:3], 0 offset:388
	s_waitcnt vmcnt(18) lgkmcnt(1)
	v_fma_f64 v[123:124], v[151:152], v[123:124], v[135:136]
	s_waitcnt vmcnt(17)
	v_fma_f64 v[123:124], v[149:150], v[125:126], v[123:124]
	buffer_load_dword v136, off, s[0:3], 0 offset:396
	buffer_load_dword v137, off, s[0:3], 0 offset:416
	;; [unrolled: 1-line block ×8, first 2 shown]
	s_waitcnt vmcnt(24) lgkmcnt(0)
	v_fma_f64 v[123:124], v[143:144], v[127:128], v[123:124]
	s_waitcnt vmcnt(19)
	v_fma_f64 v[131:132], v[131:132], v[129:130], v[123:124]
	ds_read_b128 v[123:126], v122 offset:816
	ds_read_b128 v[127:130], v122 offset:832
	s_waitcnt vmcnt(18) lgkmcnt(1)
	v_fma_f64 v[123:124], v[155:156], v[123:124], v[131:132]
	s_waitcnt vmcnt(17)
	v_fma_f64 v[123:124], v[153:154], v[125:126], v[123:124]
	buffer_load_dword v132, off, s[0:3], 0 offset:428
	buffer_load_dword v143, off, s[0:3], 0 offset:448
	;; [unrolled: 1-line block ×8, first 2 shown]
	s_waitcnt vmcnt(24) lgkmcnt(0)
	v_fma_f64 v[123:124], v[145:146], v[127:128], v[123:124]
	s_waitcnt vmcnt(19)
	v_fma_f64 v[133:134], v[133:134], v[129:130], v[123:124]
	ds_read_b128 v[123:126], v122 offset:848
	ds_read_b128 v[127:130], v122 offset:864
	s_waitcnt vmcnt(18) lgkmcnt(1)
	v_fma_f64 v[123:124], v[147:148], v[123:124], v[133:134]
	s_waitcnt vmcnt(17)
	v_fma_f64 v[123:124], v[141:142], v[125:126], v[123:124]
	buffer_load_dword v134, off, s[0:3], 0 offset:460
	buffer_load_dword v141, off, s[0:3], 0 offset:472
	;; [unrolled: 1-line block ×6, first 2 shown]
	s_waitcnt vmcnt(22) lgkmcnt(0)
	v_fma_f64 v[123:124], v[139:140], v[127:128], v[123:124]
	s_waitcnt vmcnt(17)
	v_fma_f64 v[135:136], v[135:136], v[129:130], v[123:124]
	ds_read_b128 v[123:126], v122 offset:880
	buffer_load_dword v139, off, s[0:3], 0 offset:40
	buffer_load_dword v140, off, s[0:3], 0 offset:44
	ds_read_b128 v[127:130], v122 offset:896
	s_waitcnt vmcnt(18) lgkmcnt(1)
	v_fma_f64 v[123:124], v[151:152], v[123:124], v[135:136]
	s_waitcnt vmcnt(17)
	v_fma_f64 v[123:124], v[149:150], v[125:126], v[123:124]
	s_waitcnt vmcnt(16) lgkmcnt(0)
	v_fma_f64 v[123:124], v[137:138], v[127:128], v[123:124]
	s_waitcnt vmcnt(11)
	v_fma_f64 v[131:132], v[131:132], v[129:130], v[123:124]
	ds_read_b128 v[123:126], v122 offset:912
	ds_read_b128 v[127:130], v122 offset:928
	s_waitcnt vmcnt(10) lgkmcnt(1)
	v_fma_f64 v[123:124], v[155:156], v[123:124], v[131:132]
	s_waitcnt vmcnt(9)
	v_fma_f64 v[123:124], v[153:154], v[125:126], v[123:124]
	s_waitcnt vmcnt(8) lgkmcnt(0)
	v_fma_f64 v[123:124], v[143:144], v[127:128], v[123:124]
	s_waitcnt vmcnt(4)
	v_fma_f64 v[126:127], v[133:134], v[129:130], v[123:124]
	ds_read_b128 v[122:125], v122 offset:944
	s_waitcnt vmcnt(3) lgkmcnt(0)
	v_fma_f64 v[122:123], v[145:146], v[122:123], v[126:127]
	s_waitcnt vmcnt(2)
	v_fma_f64 v[122:123], v[141:142], v[124:125], v[122:123]
	s_waitcnt vmcnt(0)
	v_add_f64 v[122:123], v[139:140], -v[122:123]
	buffer_store_dword v123, off, s[0:3], 0 offset:44
	buffer_store_dword v122, off, s[0:3], 0 offset:40
	s_and_saveexec_b64 s[4:5], vcc
	s_cbranch_execz .LBB123_359
; %bb.358:
	buffer_load_dword v122, off, s[0:3], 0 offset:32
	buffer_load_dword v123, off, s[0:3], 0 offset:36
	v_mov_b32_e32 v124, 0
	buffer_store_dword v124, off, s[0:3], 0 offset:32
	buffer_store_dword v124, off, s[0:3], 0 offset:36
	s_waitcnt vmcnt(2)
	ds_write_b64 v121, v[122:123]
.LBB123_359:
	s_or_b64 exec, exec, s[4:5]
	s_waitcnt lgkmcnt(0)
	; wave barrier
	buffer_load_dword v131, off, s[0:3], 0 offset:40
	buffer_load_dword v132, off, s[0:3], 0 offset:44
	;; [unrolled: 1-line block ×22, first 2 shown]
	v_mov_b32_e32 v122, 0
	ds_read2_b64 v[123:126], v122 offset0:65 offset1:66
	ds_read2_b64 v[127:130], v122 offset0:67 offset1:68
	v_cmp_lt_u32_e32 vcc, 3, v0
	s_waitcnt vmcnt(20) lgkmcnt(1)
	v_fma_f64 v[123:124], v[131:132], v[123:124], 0
	s_waitcnt vmcnt(18)
	v_fma_f64 v[123:124], v[133:134], v[125:126], v[123:124]
	buffer_load_dword v132, off, s[0:3], 0 offset:132
	buffer_load_dword v133, off, s[0:3], 0 offset:152
	;; [unrolled: 1-line block ×7, first 2 shown]
	s_waitcnt vmcnt(23) lgkmcnt(0)
	v_fma_f64 v[123:124], v[135:136], v[127:128], v[123:124]
	s_waitcnt vmcnt(21)
	v_fma_f64 v[134:135], v[137:138], v[129:130], v[123:124]
	ds_read2_b64 v[123:126], v122 offset0:69 offset1:70
	ds_read2_b64 v[127:130], v122 offset0:71 offset1:72
	s_waitcnt vmcnt(19) lgkmcnt(1)
	v_fma_f64 v[123:124], v[139:140], v[123:124], v[134:135]
	buffer_load_dword v134, off, s[0:3], 0 offset:156
	s_waitcnt vmcnt(18)
	v_fma_f64 v[123:124], v[141:142], v[125:126], v[123:124]
	buffer_load_dword v136, off, s[0:3], 0 offset:164
	buffer_load_dword v137, off, s[0:3], 0 offset:184
	;; [unrolled: 1-line block ×7, first 2 shown]
	s_waitcnt vmcnt(23) lgkmcnt(0)
	v_fma_f64 v[123:124], v[143:144], v[127:128], v[123:124]
	s_waitcnt vmcnt(18)
	v_fma_f64 v[143:144], v[145:146], v[129:130], v[123:124]
	ds_read2_b64 v[123:126], v122 offset0:73 offset1:74
	ds_read2_b64 v[127:130], v122 offset0:75 offset1:76
	buffer_load_dword v138, off, s[0:3], 0 offset:188
	s_waitcnt vmcnt(18) lgkmcnt(1)
	v_fma_f64 v[123:124], v[151:152], v[123:124], v[143:144]
	s_waitcnt vmcnt(17)
	v_fma_f64 v[123:124], v[149:150], v[125:126], v[123:124]
	buffer_load_dword v144, off, s[0:3], 0 offset:196
	buffer_load_dword v145, off, s[0:3], 0 offset:216
	;; [unrolled: 1-line block ×8, first 2 shown]
	s_waitcnt vmcnt(24) lgkmcnt(0)
	v_fma_f64 v[123:124], v[147:148], v[127:128], v[123:124]
	s_waitcnt vmcnt(19)
	v_fma_f64 v[131:132], v[131:132], v[129:130], v[123:124]
	ds_read2_b64 v[123:126], v122 offset0:77 offset1:78
	ds_read2_b64 v[127:130], v122 offset0:79 offset1:80
	s_waitcnt vmcnt(18) lgkmcnt(1)
	v_fma_f64 v[123:124], v[155:156], v[123:124], v[131:132]
	s_waitcnt vmcnt(17)
	v_fma_f64 v[123:124], v[153:154], v[125:126], v[123:124]
	buffer_load_dword v132, off, s[0:3], 0 offset:228
	buffer_load_dword v147, off, s[0:3], 0 offset:248
	;; [unrolled: 1-line block ×8, first 2 shown]
	s_waitcnt vmcnt(24) lgkmcnt(0)
	v_fma_f64 v[123:124], v[133:134], v[127:128], v[123:124]
	s_waitcnt vmcnt(19)
	v_fma_f64 v[133:134], v[135:136], v[129:130], v[123:124]
	ds_read2_b64 v[123:126], v122 offset0:81 offset1:82
	ds_read2_b64 v[127:130], v122 offset0:83 offset1:84
	s_waitcnt vmcnt(18) lgkmcnt(1)
	v_fma_f64 v[123:124], v[141:142], v[123:124], v[133:134]
	s_waitcnt vmcnt(17)
	v_fma_f64 v[123:124], v[139:140], v[125:126], v[123:124]
	buffer_load_dword v134, off, s[0:3], 0 offset:260
	buffer_load_dword v135, off, s[0:3], 0 offset:280
	;; [unrolled: 1-line block ×7, first 2 shown]
	s_waitcnt vmcnt(23) lgkmcnt(0)
	v_fma_f64 v[123:124], v[137:138], v[127:128], v[123:124]
	s_waitcnt vmcnt(18)
	v_fma_f64 v[136:137], v[143:144], v[129:130], v[123:124]
	ds_read2_b64 v[123:126], v122 offset0:85 offset1:86
	ds_read2_b64 v[127:130], v122 offset0:87 offset1:88
	s_waitcnt vmcnt(17) lgkmcnt(1)
	v_fma_f64 v[123:124], v[151:152], v[123:124], v[136:137]
	buffer_load_dword v136, off, s[0:3], 0 offset:284
	s_waitcnt vmcnt(17)
	v_fma_f64 v[123:124], v[149:150], v[125:126], v[123:124]
	buffer_load_dword v138, off, s[0:3], 0 offset:292
	buffer_load_dword v143, off, s[0:3], 0 offset:312
	buffer_load_dword v149, off, s[0:3], 0 offset:304
	buffer_load_dword v151, off, s[0:3], 0 offset:296
	buffer_load_dword v137, off, s[0:3], 0 offset:288
	buffer_load_dword v152, off, s[0:3], 0 offset:300
	buffer_load_dword v150, off, s[0:3], 0 offset:308
	buffer_load_dword v144, off, s[0:3], 0 offset:316
	s_waitcnt vmcnt(24) lgkmcnt(0)
	v_fma_f64 v[123:124], v[145:146], v[127:128], v[123:124]
	s_waitcnt vmcnt(19)
	v_fma_f64 v[131:132], v[131:132], v[129:130], v[123:124]
	ds_read2_b64 v[123:126], v122 offset0:89 offset1:90
	ds_read2_b64 v[127:130], v122 offset0:91 offset1:92
	s_waitcnt vmcnt(18) lgkmcnt(1)
	v_fma_f64 v[123:124], v[155:156], v[123:124], v[131:132]
	s_waitcnt vmcnt(17)
	v_fma_f64 v[123:124], v[153:154], v[125:126], v[123:124]
	buffer_load_dword v132, off, s[0:3], 0 offset:324
	buffer_load_dword v145, off, s[0:3], 0 offset:344
	;; [unrolled: 1-line block ×8, first 2 shown]
	s_waitcnt vmcnt(24) lgkmcnt(0)
	v_fma_f64 v[123:124], v[147:148], v[127:128], v[123:124]
	s_waitcnt vmcnt(19)
	v_fma_f64 v[133:134], v[133:134], v[129:130], v[123:124]
	ds_read2_b64 v[123:126], v122 offset0:93 offset1:94
	ds_read2_b64 v[127:130], v122 offset0:95 offset1:96
	s_waitcnt vmcnt(18) lgkmcnt(1)
	v_fma_f64 v[123:124], v[141:142], v[123:124], v[133:134]
	s_waitcnt vmcnt(17)
	v_fma_f64 v[123:124], v[139:140], v[125:126], v[123:124]
	buffer_load_dword v134, off, s[0:3], 0 offset:356
	buffer_load_dword v139, off, s[0:3], 0 offset:376
	;; [unrolled: 1-line block ×7, first 2 shown]
	s_waitcnt vmcnt(23) lgkmcnt(0)
	v_fma_f64 v[123:124], v[135:136], v[127:128], v[123:124]
	s_waitcnt vmcnt(18)
	v_fma_f64 v[135:136], v[137:138], v[129:130], v[123:124]
	ds_read2_b64 v[123:126], v122 offset0:97 offset1:98
	ds_read2_b64 v[127:130], v122 offset0:99 offset1:100
	buffer_load_dword v140, off, s[0:3], 0 offset:380
	s_waitcnt vmcnt(18) lgkmcnt(1)
	v_fma_f64 v[123:124], v[151:152], v[123:124], v[135:136]
	s_waitcnt vmcnt(17)
	v_fma_f64 v[123:124], v[149:150], v[125:126], v[123:124]
	buffer_load_dword v136, off, s[0:3], 0 offset:388
	buffer_load_dword v137, off, s[0:3], 0 offset:408
	buffer_load_dword v149, off, s[0:3], 0 offset:400
	buffer_load_dword v151, off, s[0:3], 0 offset:392
	buffer_load_dword v135, off, s[0:3], 0 offset:384
	buffer_load_dword v152, off, s[0:3], 0 offset:396
	buffer_load_dword v150, off, s[0:3], 0 offset:404
	buffer_load_dword v138, off, s[0:3], 0 offset:412
	s_waitcnt vmcnt(24) lgkmcnt(0)
	v_fma_f64 v[123:124], v[143:144], v[127:128], v[123:124]
	s_waitcnt vmcnt(19)
	v_fma_f64 v[131:132], v[131:132], v[129:130], v[123:124]
	ds_read2_b64 v[123:126], v122 offset0:101 offset1:102
	ds_read2_b64 v[127:130], v122 offset0:103 offset1:104
	s_waitcnt vmcnt(18) lgkmcnt(1)
	v_fma_f64 v[123:124], v[155:156], v[123:124], v[131:132]
	s_waitcnt vmcnt(17)
	v_fma_f64 v[123:124], v[153:154], v[125:126], v[123:124]
	buffer_load_dword v132, off, s[0:3], 0 offset:420
	buffer_load_dword v143, off, s[0:3], 0 offset:440
	buffer_load_dword v153, off, s[0:3], 0 offset:432
	buffer_load_dword v155, off, s[0:3], 0 offset:424
	buffer_load_dword v131, off, s[0:3], 0 offset:416
	buffer_load_dword v156, off, s[0:3], 0 offset:428
	buffer_load_dword v154, off, s[0:3], 0 offset:436
	buffer_load_dword v144, off, s[0:3], 0 offset:444
	s_waitcnt vmcnt(24) lgkmcnt(0)
	v_fma_f64 v[123:124], v[145:146], v[127:128], v[123:124]
	s_waitcnt vmcnt(19)
	v_fma_f64 v[133:134], v[133:134], v[129:130], v[123:124]
	ds_read2_b64 v[123:126], v122 offset0:105 offset1:106
	ds_read2_b64 v[127:130], v122 offset0:107 offset1:108
	;; [unrolled: 18-line block ×3, first 2 shown]
	s_waitcnt vmcnt(18) lgkmcnt(1)
	v_fma_f64 v[123:124], v[151:152], v[123:124], v[135:136]
	buffer_load_dword v135, off, s[0:3], 0 offset:32
	buffer_load_dword v136, off, s[0:3], 0 offset:36
	s_waitcnt vmcnt(19)
	v_fma_f64 v[123:124], v[149:150], v[125:126], v[123:124]
	s_waitcnt vmcnt(18) lgkmcnt(0)
	v_fma_f64 v[123:124], v[137:138], v[127:128], v[123:124]
	s_waitcnt vmcnt(13)
	v_fma_f64 v[131:132], v[131:132], v[129:130], v[123:124]
	ds_read2_b64 v[123:126], v122 offset0:113 offset1:114
	ds_read2_b64 v[127:130], v122 offset0:115 offset1:116
	s_waitcnt vmcnt(12) lgkmcnt(1)
	v_fma_f64 v[123:124], v[155:156], v[123:124], v[131:132]
	s_waitcnt vmcnt(11)
	v_fma_f64 v[123:124], v[153:154], v[125:126], v[123:124]
	s_waitcnt vmcnt(10) lgkmcnt(0)
	v_fma_f64 v[123:124], v[143:144], v[127:128], v[123:124]
	s_waitcnt vmcnt(5)
	v_fma_f64 v[127:128], v[133:134], v[129:130], v[123:124]
	ds_read2_b64 v[123:126], v122 offset0:117 offset1:118
	ds_read_b64 v[129:130], v122 offset:952
	s_waitcnt vmcnt(4) lgkmcnt(1)
	v_fma_f64 v[123:124], v[147:148], v[123:124], v[127:128]
	s_waitcnt vmcnt(3)
	v_fma_f64 v[123:124], v[145:146], v[125:126], v[123:124]
	s_waitcnt vmcnt(2) lgkmcnt(0)
	v_fma_f64 v[123:124], v[141:142], v[129:130], v[123:124]
	s_waitcnt vmcnt(0)
	v_add_f64 v[123:124], v[135:136], -v[123:124]
	buffer_store_dword v124, off, s[0:3], 0 offset:36
	buffer_store_dword v123, off, s[0:3], 0 offset:32
	s_and_saveexec_b64 s[4:5], vcc
	s_cbranch_execz .LBB123_361
; %bb.360:
	buffer_load_dword v123, off, s[0:3], 0 offset:24
	buffer_load_dword v124, off, s[0:3], 0 offset:28
	s_waitcnt vmcnt(0)
	ds_write_b64 v121, v[123:124]
	buffer_store_dword v122, off, s[0:3], 0 offset:24
	buffer_store_dword v122, off, s[0:3], 0 offset:28
.LBB123_361:
	s_or_b64 exec, exec, s[4:5]
	s_waitcnt lgkmcnt(0)
	; wave barrier
	buffer_load_dword v131, off, s[0:3], 0 offset:32
	buffer_load_dword v132, off, s[0:3], 0 offset:36
	;; [unrolled: 1-line block ×22, first 2 shown]
	ds_read_b128 v[123:126], v122 offset:512
	ds_read_b128 v[127:130], v122 offset:528
	v_cmp_lt_u32_e32 vcc, 2, v0
	s_waitcnt vmcnt(20) lgkmcnt(1)
	v_fma_f64 v[123:124], v[131:132], v[123:124], 0
	s_waitcnt vmcnt(18)
	v_fma_f64 v[123:124], v[133:134], v[125:126], v[123:124]
	buffer_load_dword v132, off, s[0:3], 0 offset:124
	buffer_load_dword v133, off, s[0:3], 0 offset:144
	;; [unrolled: 1-line block ×7, first 2 shown]
	s_waitcnt vmcnt(23) lgkmcnt(0)
	v_fma_f64 v[123:124], v[135:136], v[127:128], v[123:124]
	s_waitcnt vmcnt(21)
	v_fma_f64 v[134:135], v[137:138], v[129:130], v[123:124]
	ds_read_b128 v[123:126], v122 offset:544
	ds_read_b128 v[127:130], v122 offset:560
	s_waitcnt vmcnt(19) lgkmcnt(1)
	v_fma_f64 v[123:124], v[139:140], v[123:124], v[134:135]
	buffer_load_dword v134, off, s[0:3], 0 offset:148
	s_waitcnt vmcnt(18)
	v_fma_f64 v[123:124], v[141:142], v[125:126], v[123:124]
	buffer_load_dword v136, off, s[0:3], 0 offset:156
	buffer_load_dword v137, off, s[0:3], 0 offset:176
	buffer_load_dword v139, off, s[0:3], 0 offset:168
	buffer_load_dword v141, off, s[0:3], 0 offset:160
	buffer_load_dword v135, off, s[0:3], 0 offset:152
	buffer_load_dword v142, off, s[0:3], 0 offset:164
	buffer_load_dword v140, off, s[0:3], 0 offset:172
	s_waitcnt vmcnt(23) lgkmcnt(0)
	v_fma_f64 v[123:124], v[143:144], v[127:128], v[123:124]
	s_waitcnt vmcnt(18)
	v_fma_f64 v[143:144], v[145:146], v[129:130], v[123:124]
	ds_read_b128 v[123:126], v122 offset:576
	ds_read_b128 v[127:130], v122 offset:592
	buffer_load_dword v138, off, s[0:3], 0 offset:180
	s_waitcnt vmcnt(18) lgkmcnt(1)
	v_fma_f64 v[123:124], v[151:152], v[123:124], v[143:144]
	s_waitcnt vmcnt(17)
	v_fma_f64 v[123:124], v[149:150], v[125:126], v[123:124]
	buffer_load_dword v144, off, s[0:3], 0 offset:188
	buffer_load_dword v145, off, s[0:3], 0 offset:208
	;; [unrolled: 1-line block ×8, first 2 shown]
	s_waitcnt vmcnt(24) lgkmcnt(0)
	v_fma_f64 v[123:124], v[147:148], v[127:128], v[123:124]
	s_waitcnt vmcnt(19)
	v_fma_f64 v[131:132], v[131:132], v[129:130], v[123:124]
	ds_read_b128 v[123:126], v122 offset:608
	ds_read_b128 v[127:130], v122 offset:624
	s_waitcnt vmcnt(18) lgkmcnt(1)
	v_fma_f64 v[123:124], v[155:156], v[123:124], v[131:132]
	s_waitcnt vmcnt(17)
	v_fma_f64 v[123:124], v[153:154], v[125:126], v[123:124]
	buffer_load_dword v132, off, s[0:3], 0 offset:220
	buffer_load_dword v147, off, s[0:3], 0 offset:240
	buffer_load_dword v153, off, s[0:3], 0 offset:232
	buffer_load_dword v155, off, s[0:3], 0 offset:224
	buffer_load_dword v131, off, s[0:3], 0 offset:216
	buffer_load_dword v156, off, s[0:3], 0 offset:228
	buffer_load_dword v154, off, s[0:3], 0 offset:236
	buffer_load_dword v148, off, s[0:3], 0 offset:244
	s_waitcnt vmcnt(24) lgkmcnt(0)
	v_fma_f64 v[123:124], v[133:134], v[127:128], v[123:124]
	s_waitcnt vmcnt(19)
	v_fma_f64 v[133:134], v[135:136], v[129:130], v[123:124]
	ds_read_b128 v[123:126], v122 offset:640
	ds_read_b128 v[127:130], v122 offset:656
	s_waitcnt vmcnt(18) lgkmcnt(1)
	v_fma_f64 v[123:124], v[141:142], v[123:124], v[133:134]
	s_waitcnt vmcnt(17)
	v_fma_f64 v[123:124], v[139:140], v[125:126], v[123:124]
	buffer_load_dword v134, off, s[0:3], 0 offset:252
	buffer_load_dword v135, off, s[0:3], 0 offset:272
	;; [unrolled: 1-line block ×7, first 2 shown]
	s_waitcnt vmcnt(23) lgkmcnt(0)
	v_fma_f64 v[123:124], v[137:138], v[127:128], v[123:124]
	s_waitcnt vmcnt(18)
	v_fma_f64 v[136:137], v[143:144], v[129:130], v[123:124]
	ds_read_b128 v[123:126], v122 offset:672
	ds_read_b128 v[127:130], v122 offset:688
	s_waitcnt vmcnt(17) lgkmcnt(1)
	v_fma_f64 v[123:124], v[151:152], v[123:124], v[136:137]
	buffer_load_dword v136, off, s[0:3], 0 offset:276
	s_waitcnt vmcnt(17)
	v_fma_f64 v[123:124], v[149:150], v[125:126], v[123:124]
	buffer_load_dword v138, off, s[0:3], 0 offset:284
	buffer_load_dword v143, off, s[0:3], 0 offset:304
	buffer_load_dword v149, off, s[0:3], 0 offset:296
	buffer_load_dword v151, off, s[0:3], 0 offset:288
	buffer_load_dword v137, off, s[0:3], 0 offset:280
	buffer_load_dword v152, off, s[0:3], 0 offset:292
	buffer_load_dword v150, off, s[0:3], 0 offset:300
	buffer_load_dword v144, off, s[0:3], 0 offset:308
	s_waitcnt vmcnt(24) lgkmcnt(0)
	v_fma_f64 v[123:124], v[145:146], v[127:128], v[123:124]
	s_waitcnt vmcnt(19)
	v_fma_f64 v[131:132], v[131:132], v[129:130], v[123:124]
	ds_read_b128 v[123:126], v122 offset:704
	ds_read_b128 v[127:130], v122 offset:720
	s_waitcnt vmcnt(18) lgkmcnt(1)
	v_fma_f64 v[123:124], v[155:156], v[123:124], v[131:132]
	s_waitcnt vmcnt(17)
	v_fma_f64 v[123:124], v[153:154], v[125:126], v[123:124]
	buffer_load_dword v132, off, s[0:3], 0 offset:316
	buffer_load_dword v145, off, s[0:3], 0 offset:336
	;; [unrolled: 1-line block ×8, first 2 shown]
	s_waitcnt vmcnt(24) lgkmcnt(0)
	v_fma_f64 v[123:124], v[147:148], v[127:128], v[123:124]
	s_waitcnt vmcnt(19)
	v_fma_f64 v[133:134], v[133:134], v[129:130], v[123:124]
	ds_read_b128 v[123:126], v122 offset:736
	ds_read_b128 v[127:130], v122 offset:752
	s_waitcnt vmcnt(18) lgkmcnt(1)
	v_fma_f64 v[123:124], v[141:142], v[123:124], v[133:134]
	s_waitcnt vmcnt(17)
	v_fma_f64 v[123:124], v[139:140], v[125:126], v[123:124]
	buffer_load_dword v134, off, s[0:3], 0 offset:348
	buffer_load_dword v139, off, s[0:3], 0 offset:368
	;; [unrolled: 1-line block ×7, first 2 shown]
	s_waitcnt vmcnt(23) lgkmcnt(0)
	v_fma_f64 v[123:124], v[135:136], v[127:128], v[123:124]
	s_waitcnt vmcnt(18)
	v_fma_f64 v[135:136], v[137:138], v[129:130], v[123:124]
	ds_read_b128 v[123:126], v122 offset:768
	ds_read_b128 v[127:130], v122 offset:784
	buffer_load_dword v140, off, s[0:3], 0 offset:372
	s_waitcnt vmcnt(18) lgkmcnt(1)
	v_fma_f64 v[123:124], v[151:152], v[123:124], v[135:136]
	s_waitcnt vmcnt(17)
	v_fma_f64 v[123:124], v[149:150], v[125:126], v[123:124]
	buffer_load_dword v136, off, s[0:3], 0 offset:380
	buffer_load_dword v137, off, s[0:3], 0 offset:400
	buffer_load_dword v149, off, s[0:3], 0 offset:392
	buffer_load_dword v151, off, s[0:3], 0 offset:384
	buffer_load_dword v135, off, s[0:3], 0 offset:376
	buffer_load_dword v152, off, s[0:3], 0 offset:388
	buffer_load_dword v150, off, s[0:3], 0 offset:396
	buffer_load_dword v138, off, s[0:3], 0 offset:404
	s_waitcnt vmcnt(24) lgkmcnt(0)
	v_fma_f64 v[123:124], v[143:144], v[127:128], v[123:124]
	s_waitcnt vmcnt(19)
	v_fma_f64 v[131:132], v[131:132], v[129:130], v[123:124]
	ds_read_b128 v[123:126], v122 offset:800
	ds_read_b128 v[127:130], v122 offset:816
	s_waitcnt vmcnt(18) lgkmcnt(1)
	v_fma_f64 v[123:124], v[155:156], v[123:124], v[131:132]
	s_waitcnt vmcnt(17)
	v_fma_f64 v[123:124], v[153:154], v[125:126], v[123:124]
	buffer_load_dword v132, off, s[0:3], 0 offset:412
	buffer_load_dword v143, off, s[0:3], 0 offset:432
	buffer_load_dword v153, off, s[0:3], 0 offset:424
	buffer_load_dword v155, off, s[0:3], 0 offset:416
	buffer_load_dword v131, off, s[0:3], 0 offset:408
	buffer_load_dword v156, off, s[0:3], 0 offset:420
	buffer_load_dword v154, off, s[0:3], 0 offset:428
	buffer_load_dword v144, off, s[0:3], 0 offset:436
	s_waitcnt vmcnt(24) lgkmcnt(0)
	v_fma_f64 v[123:124], v[145:146], v[127:128], v[123:124]
	s_waitcnt vmcnt(19)
	v_fma_f64 v[133:134], v[133:134], v[129:130], v[123:124]
	ds_read_b128 v[123:126], v122 offset:832
	ds_read_b128 v[127:130], v122 offset:848
	;; [unrolled: 18-line block ×3, first 2 shown]
	s_waitcnt vmcnt(18) lgkmcnt(1)
	v_fma_f64 v[123:124], v[151:152], v[123:124], v[135:136]
	buffer_load_dword v136, off, s[0:3], 0 offset:476
	buffer_load_dword v135, off, s[0:3], 0 offset:472
	;; [unrolled: 1-line block ×4, first 2 shown]
	s_waitcnt vmcnt(21)
	v_fma_f64 v[123:124], v[149:150], v[125:126], v[123:124]
	s_waitcnt vmcnt(20) lgkmcnt(0)
	v_fma_f64 v[123:124], v[137:138], v[127:128], v[123:124]
	s_waitcnt vmcnt(15)
	v_fma_f64 v[131:132], v[131:132], v[129:130], v[123:124]
	ds_read_b128 v[123:126], v122 offset:896
	ds_read_b128 v[127:130], v122 offset:912
	s_waitcnt vmcnt(14) lgkmcnt(1)
	v_fma_f64 v[123:124], v[155:156], v[123:124], v[131:132]
	s_waitcnt vmcnt(13)
	v_fma_f64 v[123:124], v[153:154], v[125:126], v[123:124]
	s_waitcnt vmcnt(12) lgkmcnt(0)
	v_fma_f64 v[123:124], v[143:144], v[127:128], v[123:124]
	s_waitcnt vmcnt(7)
	v_fma_f64 v[131:132], v[133:134], v[129:130], v[123:124]
	ds_read_b128 v[123:126], v122 offset:928
	ds_read_b128 v[127:130], v122 offset:944
	s_waitcnt vmcnt(6) lgkmcnt(1)
	v_fma_f64 v[122:123], v[147:148], v[123:124], v[131:132]
	s_waitcnt vmcnt(5)
	v_fma_f64 v[122:123], v[145:146], v[125:126], v[122:123]
	s_waitcnt vmcnt(4) lgkmcnt(0)
	v_fma_f64 v[122:123], v[141:142], v[127:128], v[122:123]
	s_waitcnt vmcnt(2)
	v_fma_f64 v[122:123], v[135:136], v[129:130], v[122:123]
	s_waitcnt vmcnt(0)
	v_add_f64 v[122:123], v[139:140], -v[122:123]
	buffer_store_dword v123, off, s[0:3], 0 offset:28
	buffer_store_dword v122, off, s[0:3], 0 offset:24
	s_and_saveexec_b64 s[4:5], vcc
	s_cbranch_execz .LBB123_363
; %bb.362:
	buffer_load_dword v122, off, s[0:3], 0 offset:16
	buffer_load_dword v123, off, s[0:3], 0 offset:20
	v_mov_b32_e32 v124, 0
	buffer_store_dword v124, off, s[0:3], 0 offset:16
	buffer_store_dword v124, off, s[0:3], 0 offset:20
	s_waitcnt vmcnt(2)
	ds_write_b64 v121, v[122:123]
.LBB123_363:
	s_or_b64 exec, exec, s[4:5]
	s_waitcnt lgkmcnt(0)
	; wave barrier
	buffer_load_dword v131, off, s[0:3], 0 offset:24
	buffer_load_dword v132, off, s[0:3], 0 offset:28
	;; [unrolled: 1-line block ×21, first 2 shown]
	v_mov_b32_e32 v122, 0
	ds_read2_b64 v[123:126], v122 offset0:63 offset1:64
	ds_read2_b64 v[127:130], v122 offset0:65 offset1:66
	buffer_load_dword v148, off, s[0:3], 0 offset:108
	v_cmp_lt_u32_e32 vcc, 1, v0
	s_waitcnt vmcnt(20) lgkmcnt(1)
	v_fma_f64 v[123:124], v[131:132], v[123:124], 0
	s_waitcnt vmcnt(18)
	v_fma_f64 v[123:124], v[133:134], v[125:126], v[123:124]
	buffer_load_dword v132, off, s[0:3], 0 offset:116
	buffer_load_dword v133, off, s[0:3], 0 offset:136
	;; [unrolled: 1-line block ×7, first 2 shown]
	s_waitcnt vmcnt(23) lgkmcnt(0)
	v_fma_f64 v[123:124], v[135:136], v[127:128], v[123:124]
	s_waitcnt vmcnt(21)
	v_fma_f64 v[134:135], v[137:138], v[129:130], v[123:124]
	ds_read2_b64 v[123:126], v122 offset0:67 offset1:68
	ds_read2_b64 v[127:130], v122 offset0:69 offset1:70
	s_waitcnt vmcnt(19) lgkmcnt(1)
	v_fma_f64 v[123:124], v[139:140], v[123:124], v[134:135]
	buffer_load_dword v134, off, s[0:3], 0 offset:140
	s_waitcnt vmcnt(18)
	v_fma_f64 v[123:124], v[141:142], v[125:126], v[123:124]
	buffer_load_dword v136, off, s[0:3], 0 offset:148
	buffer_load_dword v137, off, s[0:3], 0 offset:168
	buffer_load_dword v139, off, s[0:3], 0 offset:160
	buffer_load_dword v141, off, s[0:3], 0 offset:152
	buffer_load_dword v135, off, s[0:3], 0 offset:144
	buffer_load_dword v142, off, s[0:3], 0 offset:156
	buffer_load_dword v140, off, s[0:3], 0 offset:164
	s_waitcnt vmcnt(23) lgkmcnt(0)
	v_fma_f64 v[123:124], v[143:144], v[127:128], v[123:124]
	s_waitcnt vmcnt(18)
	v_fma_f64 v[143:144], v[145:146], v[129:130], v[123:124]
	ds_read2_b64 v[123:126], v122 offset0:71 offset1:72
	ds_read2_b64 v[127:130], v122 offset0:73 offset1:74
	buffer_load_dword v138, off, s[0:3], 0 offset:172
	s_waitcnt vmcnt(18) lgkmcnt(1)
	v_fma_f64 v[123:124], v[151:152], v[123:124], v[143:144]
	s_waitcnt vmcnt(17)
	v_fma_f64 v[123:124], v[149:150], v[125:126], v[123:124]
	buffer_load_dword v144, off, s[0:3], 0 offset:180
	buffer_load_dword v145, off, s[0:3], 0 offset:200
	;; [unrolled: 1-line block ×7, first 2 shown]
	s_waitcnt vmcnt(23) lgkmcnt(0)
	v_fma_f64 v[123:124], v[147:148], v[127:128], v[123:124]
	s_waitcnt vmcnt(18)
	v_fma_f64 v[131:132], v[131:132], v[129:130], v[123:124]
	ds_read2_b64 v[123:126], v122 offset0:75 offset1:76
	ds_read2_b64 v[127:130], v122 offset0:77 offset1:78
	buffer_load_dword v146, off, s[0:3], 0 offset:204
	s_waitcnt vmcnt(18) lgkmcnt(1)
	v_fma_f64 v[123:124], v[155:156], v[123:124], v[131:132]
	s_waitcnt vmcnt(17)
	v_fma_f64 v[123:124], v[153:154], v[125:126], v[123:124]
	buffer_load_dword v132, off, s[0:3], 0 offset:212
	buffer_load_dword v147, off, s[0:3], 0 offset:232
	;; [unrolled: 1-line block ×8, first 2 shown]
	s_waitcnt vmcnt(24) lgkmcnt(0)
	v_fma_f64 v[123:124], v[133:134], v[127:128], v[123:124]
	s_waitcnt vmcnt(19)
	v_fma_f64 v[133:134], v[135:136], v[129:130], v[123:124]
	ds_read2_b64 v[123:126], v122 offset0:79 offset1:80
	ds_read2_b64 v[127:130], v122 offset0:81 offset1:82
	s_waitcnt vmcnt(18) lgkmcnt(1)
	v_fma_f64 v[123:124], v[141:142], v[123:124], v[133:134]
	s_waitcnt vmcnt(17)
	v_fma_f64 v[123:124], v[139:140], v[125:126], v[123:124]
	buffer_load_dword v134, off, s[0:3], 0 offset:244
	buffer_load_dword v135, off, s[0:3], 0 offset:264
	;; [unrolled: 1-line block ×7, first 2 shown]
	s_waitcnt vmcnt(23) lgkmcnt(0)
	v_fma_f64 v[123:124], v[137:138], v[127:128], v[123:124]
	s_waitcnt vmcnt(18)
	v_fma_f64 v[136:137], v[143:144], v[129:130], v[123:124]
	ds_read2_b64 v[123:126], v122 offset0:83 offset1:84
	ds_read2_b64 v[127:130], v122 offset0:85 offset1:86
	s_waitcnt vmcnt(17) lgkmcnt(1)
	v_fma_f64 v[123:124], v[151:152], v[123:124], v[136:137]
	buffer_load_dword v136, off, s[0:3], 0 offset:268
	s_waitcnt vmcnt(17)
	v_fma_f64 v[123:124], v[149:150], v[125:126], v[123:124]
	buffer_load_dword v138, off, s[0:3], 0 offset:276
	buffer_load_dword v143, off, s[0:3], 0 offset:296
	;; [unrolled: 1-line block ×7, first 2 shown]
	s_waitcnt vmcnt(23) lgkmcnt(0)
	v_fma_f64 v[123:124], v[145:146], v[127:128], v[123:124]
	s_waitcnt vmcnt(18)
	v_fma_f64 v[131:132], v[131:132], v[129:130], v[123:124]
	ds_read2_b64 v[123:126], v122 offset0:87 offset1:88
	ds_read2_b64 v[127:130], v122 offset0:89 offset1:90
	buffer_load_dword v144, off, s[0:3], 0 offset:300
	s_waitcnt vmcnt(18) lgkmcnt(1)
	v_fma_f64 v[123:124], v[155:156], v[123:124], v[131:132]
	s_waitcnt vmcnt(17)
	v_fma_f64 v[123:124], v[153:154], v[125:126], v[123:124]
	buffer_load_dword v132, off, s[0:3], 0 offset:308
	buffer_load_dword v145, off, s[0:3], 0 offset:328
	;; [unrolled: 1-line block ×8, first 2 shown]
	s_waitcnt vmcnt(24) lgkmcnt(0)
	v_fma_f64 v[123:124], v[147:148], v[127:128], v[123:124]
	s_waitcnt vmcnt(19)
	v_fma_f64 v[133:134], v[133:134], v[129:130], v[123:124]
	ds_read2_b64 v[123:126], v122 offset0:91 offset1:92
	ds_read2_b64 v[127:130], v122 offset0:93 offset1:94
	s_waitcnt vmcnt(18) lgkmcnt(1)
	v_fma_f64 v[123:124], v[141:142], v[123:124], v[133:134]
	s_waitcnt vmcnt(17)
	v_fma_f64 v[123:124], v[139:140], v[125:126], v[123:124]
	buffer_load_dword v134, off, s[0:3], 0 offset:340
	buffer_load_dword v139, off, s[0:3], 0 offset:360
	;; [unrolled: 1-line block ×7, first 2 shown]
	s_waitcnt vmcnt(23) lgkmcnt(0)
	v_fma_f64 v[123:124], v[135:136], v[127:128], v[123:124]
	s_waitcnt vmcnt(18)
	v_fma_f64 v[135:136], v[137:138], v[129:130], v[123:124]
	ds_read2_b64 v[123:126], v122 offset0:95 offset1:96
	ds_read2_b64 v[127:130], v122 offset0:97 offset1:98
	buffer_load_dword v140, off, s[0:3], 0 offset:364
	s_waitcnt vmcnt(18) lgkmcnt(1)
	v_fma_f64 v[123:124], v[151:152], v[123:124], v[135:136]
	s_waitcnt vmcnt(17)
	v_fma_f64 v[123:124], v[149:150], v[125:126], v[123:124]
	buffer_load_dword v136, off, s[0:3], 0 offset:372
	buffer_load_dword v137, off, s[0:3], 0 offset:392
	;; [unrolled: 1-line block ×7, first 2 shown]
	s_waitcnt vmcnt(23) lgkmcnt(0)
	v_fma_f64 v[123:124], v[143:144], v[127:128], v[123:124]
	s_waitcnt vmcnt(18)
	v_fma_f64 v[131:132], v[131:132], v[129:130], v[123:124]
	ds_read2_b64 v[123:126], v122 offset0:99 offset1:100
	ds_read2_b64 v[127:130], v122 offset0:101 offset1:102
	buffer_load_dword v138, off, s[0:3], 0 offset:396
	s_waitcnt vmcnt(18) lgkmcnt(1)
	v_fma_f64 v[123:124], v[155:156], v[123:124], v[131:132]
	s_waitcnt vmcnt(17)
	v_fma_f64 v[123:124], v[153:154], v[125:126], v[123:124]
	buffer_load_dword v132, off, s[0:3], 0 offset:404
	buffer_load_dword v143, off, s[0:3], 0 offset:424
	buffer_load_dword v153, off, s[0:3], 0 offset:416
	buffer_load_dword v155, off, s[0:3], 0 offset:408
	buffer_load_dword v131, off, s[0:3], 0 offset:400
	buffer_load_dword v156, off, s[0:3], 0 offset:412
	buffer_load_dword v154, off, s[0:3], 0 offset:420
	buffer_load_dword v144, off, s[0:3], 0 offset:428
	s_waitcnt vmcnt(24) lgkmcnt(0)
	v_fma_f64 v[123:124], v[145:146], v[127:128], v[123:124]
	s_waitcnt vmcnt(19)
	v_fma_f64 v[133:134], v[133:134], v[129:130], v[123:124]
	ds_read2_b64 v[123:126], v122 offset0:103 offset1:104
	ds_read2_b64 v[127:130], v122 offset0:105 offset1:106
	s_waitcnt vmcnt(18) lgkmcnt(1)
	v_fma_f64 v[123:124], v[147:148], v[123:124], v[133:134]
	s_waitcnt vmcnt(17)
	v_fma_f64 v[123:124], v[141:142], v[125:126], v[123:124]
	buffer_load_dword v134, off, s[0:3], 0 offset:436
	buffer_load_dword v141, off, s[0:3], 0 offset:456
	;; [unrolled: 1-line block ×7, first 2 shown]
	s_waitcnt vmcnt(23) lgkmcnt(0)
	v_fma_f64 v[123:124], v[139:140], v[127:128], v[123:124]
	s_waitcnt vmcnt(18)
	v_fma_f64 v[135:136], v[135:136], v[129:130], v[123:124]
	ds_read2_b64 v[123:126], v122 offset0:107 offset1:108
	ds_read2_b64 v[127:130], v122 offset0:109 offset1:110
	buffer_load_dword v142, off, s[0:3], 0 offset:460
	s_waitcnt vmcnt(18) lgkmcnt(1)
	v_fma_f64 v[123:124], v[151:152], v[123:124], v[135:136]
	buffer_load_dword v136, off, s[0:3], 0 offset:468
	buffer_load_dword v139, off, s[0:3], 0 offset:472
	;; [unrolled: 1-line block ×4, first 2 shown]
	s_waitcnt vmcnt(21)
	v_fma_f64 v[123:124], v[149:150], v[125:126], v[123:124]
	s_waitcnt vmcnt(20) lgkmcnt(0)
	v_fma_f64 v[123:124], v[137:138], v[127:128], v[123:124]
	buffer_load_dword v137, off, s[0:3], 0 offset:16
	buffer_load_dword v138, off, s[0:3], 0 offset:20
	s_waitcnt vmcnt(17)
	v_fma_f64 v[131:132], v[131:132], v[129:130], v[123:124]
	ds_read2_b64 v[123:126], v122 offset0:111 offset1:112
	ds_read2_b64 v[127:130], v122 offset0:113 offset1:114
	s_waitcnt vmcnt(16) lgkmcnt(1)
	v_fma_f64 v[123:124], v[155:156], v[123:124], v[131:132]
	s_waitcnt vmcnt(15)
	v_fma_f64 v[123:124], v[153:154], v[125:126], v[123:124]
	s_waitcnt vmcnt(14) lgkmcnt(0)
	v_fma_f64 v[123:124], v[143:144], v[127:128], v[123:124]
	s_waitcnt vmcnt(9)
	v_fma_f64 v[131:132], v[133:134], v[129:130], v[123:124]
	ds_read2_b64 v[123:126], v122 offset0:115 offset1:116
	ds_read2_b64 v[127:130], v122 offset0:117 offset1:118
	s_waitcnt vmcnt(8) lgkmcnt(1)
	v_fma_f64 v[123:124], v[147:148], v[123:124], v[131:132]
	s_waitcnt vmcnt(7)
	v_fma_f64 v[123:124], v[145:146], v[125:126], v[123:124]
	ds_read_b64 v[125:126], v122 offset:952
	s_waitcnt vmcnt(6) lgkmcnt(1)
	v_fma_f64 v[123:124], v[141:142], v[127:128], v[123:124]
	s_waitcnt vmcnt(3)
	v_fma_f64 v[123:124], v[135:136], v[129:130], v[123:124]
	s_waitcnt vmcnt(2) lgkmcnt(0)
	v_fma_f64 v[123:124], v[139:140], v[125:126], v[123:124]
	s_waitcnt vmcnt(0)
	v_add_f64 v[123:124], v[137:138], -v[123:124]
	buffer_store_dword v124, off, s[0:3], 0 offset:20
	buffer_store_dword v123, off, s[0:3], 0 offset:16
	s_and_saveexec_b64 s[4:5], vcc
	s_cbranch_execz .LBB123_365
; %bb.364:
	buffer_load_dword v123, off, s[0:3], 0 offset:8
	buffer_load_dword v124, off, s[0:3], 0 offset:12
	s_waitcnt vmcnt(0)
	ds_write_b64 v121, v[123:124]
	buffer_store_dword v122, off, s[0:3], 0 offset:8
	buffer_store_dword v122, off, s[0:3], 0 offset:12
.LBB123_365:
	s_or_b64 exec, exec, s[4:5]
	s_waitcnt lgkmcnt(0)
	; wave barrier
	buffer_load_dword v131, off, s[0:3], 0 offset:16
	buffer_load_dword v132, off, s[0:3], 0 offset:20
	buffer_load_dword v133, off, s[0:3], 0 offset:24
	buffer_load_dword v134, off, s[0:3], 0 offset:28
	buffer_load_dword v135, off, s[0:3], 0 offset:32
	buffer_load_dword v136, off, s[0:3], 0 offset:36
	buffer_load_dword v137, off, s[0:3], 0 offset:40
	buffer_load_dword v138, off, s[0:3], 0 offset:44
	buffer_load_dword v139, off, s[0:3], 0 offset:48
	buffer_load_dword v140, off, s[0:3], 0 offset:52
	buffer_load_dword v141, off, s[0:3], 0 offset:56
	buffer_load_dword v142, off, s[0:3], 0 offset:60
	buffer_load_dword v143, off, s[0:3], 0 offset:64
	buffer_load_dword v144, off, s[0:3], 0 offset:68
	buffer_load_dword v146, off, s[0:3], 0 offset:76
	buffer_load_dword v147, off, s[0:3], 0 offset:96
	buffer_load_dword v149, off, s[0:3], 0 offset:88
	buffer_load_dword v151, off, s[0:3], 0 offset:80
	buffer_load_dword v145, off, s[0:3], 0 offset:72
	buffer_load_dword v152, off, s[0:3], 0 offset:84
	buffer_load_dword v150, off, s[0:3], 0 offset:92
	ds_read_b128 v[123:126], v122 offset:496
	ds_read_b128 v[127:130], v122 offset:512
	buffer_load_dword v148, off, s[0:3], 0 offset:100
	v_cmp_ne_u32_e32 vcc, 0, v0
	s_waitcnt vmcnt(20) lgkmcnt(1)
	v_fma_f64 v[123:124], v[131:132], v[123:124], 0
	s_waitcnt vmcnt(18)
	v_fma_f64 v[123:124], v[133:134], v[125:126], v[123:124]
	buffer_load_dword v132, off, s[0:3], 0 offset:108
	buffer_load_dword v133, off, s[0:3], 0 offset:128
	;; [unrolled: 1-line block ×7, first 2 shown]
	s_waitcnt vmcnt(23) lgkmcnt(0)
	v_fma_f64 v[123:124], v[135:136], v[127:128], v[123:124]
	s_waitcnt vmcnt(21)
	v_fma_f64 v[134:135], v[137:138], v[129:130], v[123:124]
	ds_read_b128 v[123:126], v122 offset:528
	ds_read_b128 v[127:130], v122 offset:544
	s_waitcnt vmcnt(19) lgkmcnt(1)
	v_fma_f64 v[123:124], v[139:140], v[123:124], v[134:135]
	buffer_load_dword v134, off, s[0:3], 0 offset:132
	s_waitcnt vmcnt(18)
	v_fma_f64 v[123:124], v[141:142], v[125:126], v[123:124]
	buffer_load_dword v136, off, s[0:3], 0 offset:140
	buffer_load_dword v137, off, s[0:3], 0 offset:160
	;; [unrolled: 1-line block ×8, first 2 shown]
	s_waitcnt vmcnt(24) lgkmcnt(0)
	v_fma_f64 v[123:124], v[143:144], v[127:128], v[123:124]
	s_waitcnt vmcnt(19)
	v_fma_f64 v[143:144], v[145:146], v[129:130], v[123:124]
	ds_read_b128 v[123:126], v122 offset:560
	ds_read_b128 v[127:130], v122 offset:576
	s_waitcnt vmcnt(18) lgkmcnt(1)
	v_fma_f64 v[123:124], v[151:152], v[123:124], v[143:144]
	s_waitcnt vmcnt(17)
	v_fma_f64 v[123:124], v[149:150], v[125:126], v[123:124]
	buffer_load_dword v144, off, s[0:3], 0 offset:172
	buffer_load_dword v145, off, s[0:3], 0 offset:192
	;; [unrolled: 1-line block ×7, first 2 shown]
	s_waitcnt vmcnt(23) lgkmcnt(0)
	v_fma_f64 v[123:124], v[147:148], v[127:128], v[123:124]
	s_waitcnt vmcnt(18)
	v_fma_f64 v[131:132], v[131:132], v[129:130], v[123:124]
	ds_read_b128 v[123:126], v122 offset:592
	ds_read_b128 v[127:130], v122 offset:608
	buffer_load_dword v146, off, s[0:3], 0 offset:196
	s_waitcnt vmcnt(18) lgkmcnt(1)
	v_fma_f64 v[123:124], v[155:156], v[123:124], v[131:132]
	s_waitcnt vmcnt(17)
	v_fma_f64 v[123:124], v[153:154], v[125:126], v[123:124]
	buffer_load_dword v132, off, s[0:3], 0 offset:204
	buffer_load_dword v147, off, s[0:3], 0 offset:224
	;; [unrolled: 1-line block ×8, first 2 shown]
	s_waitcnt vmcnt(24) lgkmcnt(0)
	v_fma_f64 v[123:124], v[133:134], v[127:128], v[123:124]
	s_waitcnt vmcnt(19)
	v_fma_f64 v[133:134], v[135:136], v[129:130], v[123:124]
	ds_read_b128 v[123:126], v122 offset:624
	ds_read_b128 v[127:130], v122 offset:640
	s_waitcnt vmcnt(18) lgkmcnt(1)
	v_fma_f64 v[123:124], v[141:142], v[123:124], v[133:134]
	s_waitcnt vmcnt(17)
	v_fma_f64 v[123:124], v[139:140], v[125:126], v[123:124]
	buffer_load_dword v134, off, s[0:3], 0 offset:236
	buffer_load_dword v135, off, s[0:3], 0 offset:256
	;; [unrolled: 1-line block ×7, first 2 shown]
	s_waitcnt vmcnt(23) lgkmcnt(0)
	v_fma_f64 v[123:124], v[137:138], v[127:128], v[123:124]
	s_waitcnt vmcnt(18)
	v_fma_f64 v[136:137], v[143:144], v[129:130], v[123:124]
	ds_read_b128 v[123:126], v122 offset:656
	ds_read_b128 v[127:130], v122 offset:672
	s_waitcnt vmcnt(17) lgkmcnt(1)
	v_fma_f64 v[123:124], v[151:152], v[123:124], v[136:137]
	buffer_load_dword v136, off, s[0:3], 0 offset:260
	s_waitcnt vmcnt(17)
	v_fma_f64 v[123:124], v[149:150], v[125:126], v[123:124]
	buffer_load_dword v138, off, s[0:3], 0 offset:268
	buffer_load_dword v143, off, s[0:3], 0 offset:288
	;; [unrolled: 1-line block ×7, first 2 shown]
	s_waitcnt vmcnt(23) lgkmcnt(0)
	v_fma_f64 v[123:124], v[145:146], v[127:128], v[123:124]
	s_waitcnt vmcnt(18)
	v_fma_f64 v[131:132], v[131:132], v[129:130], v[123:124]
	ds_read_b128 v[123:126], v122 offset:688
	ds_read_b128 v[127:130], v122 offset:704
	buffer_load_dword v144, off, s[0:3], 0 offset:292
	s_waitcnt vmcnt(18) lgkmcnt(1)
	v_fma_f64 v[123:124], v[155:156], v[123:124], v[131:132]
	s_waitcnt vmcnt(17)
	v_fma_f64 v[123:124], v[153:154], v[125:126], v[123:124]
	buffer_load_dword v132, off, s[0:3], 0 offset:300
	buffer_load_dword v145, off, s[0:3], 0 offset:320
	buffer_load_dword v153, off, s[0:3], 0 offset:312
	buffer_load_dword v155, off, s[0:3], 0 offset:304
	buffer_load_dword v131, off, s[0:3], 0 offset:296
	buffer_load_dword v156, off, s[0:3], 0 offset:308
	buffer_load_dword v154, off, s[0:3], 0 offset:316
	buffer_load_dword v146, off, s[0:3], 0 offset:324
	s_waitcnt vmcnt(24) lgkmcnt(0)
	v_fma_f64 v[123:124], v[147:148], v[127:128], v[123:124]
	s_waitcnt vmcnt(19)
	v_fma_f64 v[133:134], v[133:134], v[129:130], v[123:124]
	ds_read_b128 v[123:126], v122 offset:720
	ds_read_b128 v[127:130], v122 offset:736
	s_waitcnt vmcnt(18) lgkmcnt(1)
	v_fma_f64 v[123:124], v[141:142], v[123:124], v[133:134]
	s_waitcnt vmcnt(17)
	v_fma_f64 v[123:124], v[139:140], v[125:126], v[123:124]
	buffer_load_dword v134, off, s[0:3], 0 offset:332
	buffer_load_dword v139, off, s[0:3], 0 offset:352
	;; [unrolled: 1-line block ×8, first 2 shown]
	s_waitcnt vmcnt(24) lgkmcnt(0)
	v_fma_f64 v[123:124], v[135:136], v[127:128], v[123:124]
	s_waitcnt vmcnt(19)
	v_fma_f64 v[135:136], v[137:138], v[129:130], v[123:124]
	ds_read_b128 v[123:126], v122 offset:752
	ds_read_b128 v[127:130], v122 offset:768
	s_waitcnt vmcnt(18) lgkmcnt(1)
	v_fma_f64 v[123:124], v[151:152], v[123:124], v[135:136]
	s_waitcnt vmcnt(17)
	v_fma_f64 v[123:124], v[149:150], v[125:126], v[123:124]
	buffer_load_dword v136, off, s[0:3], 0 offset:364
	buffer_load_dword v137, off, s[0:3], 0 offset:384
	;; [unrolled: 1-line block ×7, first 2 shown]
	s_waitcnt vmcnt(23) lgkmcnt(0)
	v_fma_f64 v[123:124], v[143:144], v[127:128], v[123:124]
	s_waitcnt vmcnt(18)
	v_fma_f64 v[131:132], v[131:132], v[129:130], v[123:124]
	ds_read_b128 v[123:126], v122 offset:784
	ds_read_b128 v[127:130], v122 offset:800
	buffer_load_dword v138, off, s[0:3], 0 offset:388
	s_waitcnt vmcnt(18) lgkmcnt(1)
	v_fma_f64 v[123:124], v[155:156], v[123:124], v[131:132]
	s_waitcnt vmcnt(17)
	v_fma_f64 v[123:124], v[153:154], v[125:126], v[123:124]
	buffer_load_dword v132, off, s[0:3], 0 offset:396
	buffer_load_dword v143, off, s[0:3], 0 offset:416
	;; [unrolled: 1-line block ×8, first 2 shown]
	s_waitcnt vmcnt(24) lgkmcnt(0)
	v_fma_f64 v[123:124], v[145:146], v[127:128], v[123:124]
	s_waitcnt vmcnt(19)
	v_fma_f64 v[133:134], v[133:134], v[129:130], v[123:124]
	ds_read_b128 v[123:126], v122 offset:816
	ds_read_b128 v[127:130], v122 offset:832
	s_waitcnt vmcnt(18) lgkmcnt(1)
	v_fma_f64 v[123:124], v[147:148], v[123:124], v[133:134]
	s_waitcnt vmcnt(17)
	v_fma_f64 v[123:124], v[141:142], v[125:126], v[123:124]
	buffer_load_dword v134, off, s[0:3], 0 offset:428
	buffer_load_dword v141, off, s[0:3], 0 offset:448
	;; [unrolled: 1-line block ×8, first 2 shown]
	s_waitcnt vmcnt(24) lgkmcnt(0)
	v_fma_f64 v[123:124], v[139:140], v[127:128], v[123:124]
	s_waitcnt vmcnt(19)
	v_fma_f64 v[135:136], v[135:136], v[129:130], v[123:124]
	ds_read_b128 v[123:126], v122 offset:848
	ds_read_b128 v[127:130], v122 offset:864
	s_waitcnt vmcnt(18) lgkmcnt(1)
	v_fma_f64 v[123:124], v[151:152], v[123:124], v[135:136]
	s_waitcnt vmcnt(17)
	v_fma_f64 v[123:124], v[149:150], v[125:126], v[123:124]
	buffer_load_dword v136, off, s[0:3], 0 offset:460
	buffer_load_dword v139, off, s[0:3], 0 offset:472
	;; [unrolled: 1-line block ×6, first 2 shown]
	s_waitcnt vmcnt(22) lgkmcnt(0)
	v_fma_f64 v[123:124], v[137:138], v[127:128], v[123:124]
	s_waitcnt vmcnt(17)
	v_fma_f64 v[131:132], v[131:132], v[129:130], v[123:124]
	ds_read_b128 v[123:126], v122 offset:880
	buffer_load_dword v137, off, s[0:3], 0 offset:8
	buffer_load_dword v138, off, s[0:3], 0 offset:12
	ds_read_b128 v[127:130], v122 offset:896
	s_waitcnt vmcnt(18) lgkmcnt(1)
	v_fma_f64 v[123:124], v[155:156], v[123:124], v[131:132]
	s_waitcnt vmcnt(17)
	v_fma_f64 v[123:124], v[153:154], v[125:126], v[123:124]
	s_waitcnt vmcnt(16) lgkmcnt(0)
	v_fma_f64 v[123:124], v[143:144], v[127:128], v[123:124]
	s_waitcnt vmcnt(11)
	v_fma_f64 v[131:132], v[133:134], v[129:130], v[123:124]
	ds_read_b128 v[123:126], v122 offset:912
	ds_read_b128 v[127:130], v122 offset:928
	s_waitcnt vmcnt(10) lgkmcnt(1)
	v_fma_f64 v[123:124], v[147:148], v[123:124], v[131:132]
	s_waitcnt vmcnt(9)
	v_fma_f64 v[123:124], v[145:146], v[125:126], v[123:124]
	s_waitcnt vmcnt(8) lgkmcnt(0)
	v_fma_f64 v[123:124], v[141:142], v[127:128], v[123:124]
	s_waitcnt vmcnt(4)
	v_fma_f64 v[126:127], v[135:136], v[129:130], v[123:124]
	ds_read_b128 v[122:125], v122 offset:944
	s_waitcnt vmcnt(3) lgkmcnt(0)
	v_fma_f64 v[122:123], v[149:150], v[122:123], v[126:127]
	s_waitcnt vmcnt(2)
	v_fma_f64 v[122:123], v[139:140], v[124:125], v[122:123]
	s_waitcnt vmcnt(0)
	v_add_f64 v[122:123], v[137:138], -v[122:123]
	buffer_store_dword v123, off, s[0:3], 0 offset:12
	buffer_store_dword v122, off, s[0:3], 0 offset:8
	s_and_saveexec_b64 s[4:5], vcc
	s_cbranch_execz .LBB123_367
; %bb.366:
	buffer_load_dword v122, off, s[0:3], 0
	buffer_load_dword v123, off, s[0:3], 0 offset:4
	v_mov_b32_e32 v0, 0
	buffer_store_dword v0, off, s[0:3], 0
	buffer_store_dword v0, off, s[0:3], 0 offset:4
	s_waitcnt vmcnt(2)
	ds_write_b64 v121, v[122:123]
.LBB123_367:
	s_or_b64 exec, exec, s[4:5]
	s_waitcnt lgkmcnt(0)
	; wave barrier
	buffer_load_dword v129, off, s[0:3], 0 offset:8
	buffer_load_dword v130, off, s[0:3], 0 offset:12
	;; [unrolled: 1-line block ×21, first 2 shown]
	v_mov_b32_e32 v0, 0
	ds_read2_b64 v[121:124], v0 offset0:61 offset1:62
	ds_read2_b64 v[125:128], v0 offset0:63 offset1:64
	buffer_load_dword v146, off, s[0:3], 0 offset:92
	s_and_b64 vcc, exec, s[14:15]
	s_waitcnt vmcnt(20) lgkmcnt(1)
	v_fma_f64 v[121:122], v[129:130], v[121:122], 0
	s_waitcnt vmcnt(18)
	v_fma_f64 v[121:122], v[131:132], v[123:124], v[121:122]
	buffer_load_dword v130, off, s[0:3], 0 offset:100
	buffer_load_dword v131, off, s[0:3], 0 offset:120
	;; [unrolled: 1-line block ×7, first 2 shown]
	s_waitcnt vmcnt(23) lgkmcnt(0)
	v_fma_f64 v[121:122], v[133:134], v[125:126], v[121:122]
	s_waitcnt vmcnt(21)
	v_fma_f64 v[132:133], v[135:136], v[127:128], v[121:122]
	ds_read2_b64 v[121:124], v0 offset0:65 offset1:66
	ds_read2_b64 v[125:128], v0 offset0:67 offset1:68
	s_waitcnt vmcnt(19) lgkmcnt(1)
	v_fma_f64 v[121:122], v[137:138], v[121:122], v[132:133]
	buffer_load_dword v132, off, s[0:3], 0 offset:124
	s_waitcnt vmcnt(18)
	v_fma_f64 v[121:122], v[139:140], v[123:124], v[121:122]
	buffer_load_dword v134, off, s[0:3], 0 offset:132
	buffer_load_dword v135, off, s[0:3], 0 offset:152
	buffer_load_dword v137, off, s[0:3], 0 offset:144
	buffer_load_dword v139, off, s[0:3], 0 offset:136
	buffer_load_dword v133, off, s[0:3], 0 offset:128
	buffer_load_dword v140, off, s[0:3], 0 offset:140
	buffer_load_dword v138, off, s[0:3], 0 offset:148
	buffer_load_dword v136, off, s[0:3], 0 offset:156
	s_waitcnt vmcnt(24) lgkmcnt(0)
	v_fma_f64 v[121:122], v[141:142], v[125:126], v[121:122]
	s_waitcnt vmcnt(19)
	v_fma_f64 v[141:142], v[143:144], v[127:128], v[121:122]
	ds_read2_b64 v[121:124], v0 offset0:69 offset1:70
	ds_read2_b64 v[125:128], v0 offset0:71 offset1:72
	s_waitcnt vmcnt(18) lgkmcnt(1)
	v_fma_f64 v[121:122], v[149:150], v[121:122], v[141:142]
	s_waitcnt vmcnt(17)
	v_fma_f64 v[121:122], v[147:148], v[123:124], v[121:122]
	buffer_load_dword v142, off, s[0:3], 0 offset:164
	buffer_load_dword v143, off, s[0:3], 0 offset:184
	;; [unrolled: 1-line block ×7, first 2 shown]
	s_waitcnt vmcnt(23) lgkmcnt(0)
	v_fma_f64 v[121:122], v[145:146], v[125:126], v[121:122]
	s_waitcnt vmcnt(18)
	v_fma_f64 v[129:130], v[129:130], v[127:128], v[121:122]
	ds_read2_b64 v[121:124], v0 offset0:73 offset1:74
	ds_read2_b64 v[125:128], v0 offset0:75 offset1:76
	buffer_load_dword v144, off, s[0:3], 0 offset:188
	s_waitcnt vmcnt(18) lgkmcnt(1)
	v_fma_f64 v[121:122], v[153:154], v[121:122], v[129:130]
	s_waitcnt vmcnt(17)
	v_fma_f64 v[121:122], v[151:152], v[123:124], v[121:122]
	buffer_load_dword v130, off, s[0:3], 0 offset:196
	buffer_load_dword v145, off, s[0:3], 0 offset:216
	;; [unrolled: 1-line block ×8, first 2 shown]
	s_waitcnt vmcnt(24) lgkmcnt(0)
	v_fma_f64 v[121:122], v[131:132], v[125:126], v[121:122]
	s_waitcnt vmcnt(19)
	v_fma_f64 v[131:132], v[133:134], v[127:128], v[121:122]
	ds_read2_b64 v[121:124], v0 offset0:77 offset1:78
	ds_read2_b64 v[125:128], v0 offset0:79 offset1:80
	s_waitcnt vmcnt(18) lgkmcnt(1)
	v_fma_f64 v[121:122], v[139:140], v[121:122], v[131:132]
	s_waitcnt vmcnt(17)
	v_fma_f64 v[121:122], v[137:138], v[123:124], v[121:122]
	buffer_load_dword v132, off, s[0:3], 0 offset:228
	buffer_load_dword v133, off, s[0:3], 0 offset:248
	;; [unrolled: 1-line block ×7, first 2 shown]
	s_waitcnt vmcnt(23) lgkmcnt(0)
	v_fma_f64 v[121:122], v[135:136], v[125:126], v[121:122]
	s_waitcnt vmcnt(18)
	v_fma_f64 v[134:135], v[141:142], v[127:128], v[121:122]
	ds_read2_b64 v[121:124], v0 offset0:81 offset1:82
	ds_read2_b64 v[125:128], v0 offset0:83 offset1:84
	s_waitcnt vmcnt(17) lgkmcnt(1)
	v_fma_f64 v[121:122], v[149:150], v[121:122], v[134:135]
	buffer_load_dword v134, off, s[0:3], 0 offset:252
	s_waitcnt vmcnt(17)
	v_fma_f64 v[121:122], v[147:148], v[123:124], v[121:122]
	buffer_load_dword v136, off, s[0:3], 0 offset:260
	buffer_load_dword v141, off, s[0:3], 0 offset:280
	;; [unrolled: 1-line block ×7, first 2 shown]
	s_waitcnt vmcnt(23) lgkmcnt(0)
	v_fma_f64 v[121:122], v[143:144], v[125:126], v[121:122]
	s_waitcnt vmcnt(18)
	v_fma_f64 v[129:130], v[129:130], v[127:128], v[121:122]
	ds_read2_b64 v[121:124], v0 offset0:85 offset1:86
	ds_read2_b64 v[125:128], v0 offset0:87 offset1:88
	buffer_load_dword v142, off, s[0:3], 0 offset:284
	s_waitcnt vmcnt(18) lgkmcnt(1)
	v_fma_f64 v[121:122], v[153:154], v[121:122], v[129:130]
	s_waitcnt vmcnt(17)
	v_fma_f64 v[121:122], v[151:152], v[123:124], v[121:122]
	buffer_load_dword v130, off, s[0:3], 0 offset:292
	buffer_load_dword v143, off, s[0:3], 0 offset:312
	;; [unrolled: 1-line block ×8, first 2 shown]
	s_waitcnt vmcnt(24) lgkmcnt(0)
	v_fma_f64 v[121:122], v[145:146], v[125:126], v[121:122]
	s_waitcnt vmcnt(19)
	v_fma_f64 v[131:132], v[131:132], v[127:128], v[121:122]
	ds_read2_b64 v[121:124], v0 offset0:89 offset1:90
	ds_read2_b64 v[125:128], v0 offset0:91 offset1:92
	s_waitcnt vmcnt(18) lgkmcnt(1)
	v_fma_f64 v[121:122], v[139:140], v[121:122], v[131:132]
	s_waitcnt vmcnt(17)
	v_fma_f64 v[121:122], v[137:138], v[123:124], v[121:122]
	buffer_load_dword v132, off, s[0:3], 0 offset:324
	buffer_load_dword v137, off, s[0:3], 0 offset:344
	;; [unrolled: 1-line block ×8, first 2 shown]
	s_waitcnt vmcnt(24) lgkmcnt(0)
	v_fma_f64 v[121:122], v[133:134], v[125:126], v[121:122]
	s_waitcnt vmcnt(19)
	v_fma_f64 v[133:134], v[135:136], v[127:128], v[121:122]
	ds_read2_b64 v[121:124], v0 offset0:93 offset1:94
	ds_read2_b64 v[125:128], v0 offset0:95 offset1:96
	s_waitcnt vmcnt(18) lgkmcnt(1)
	v_fma_f64 v[121:122], v[149:150], v[121:122], v[133:134]
	s_waitcnt vmcnt(17)
	v_fma_f64 v[121:122], v[147:148], v[123:124], v[121:122]
	buffer_load_dword v134, off, s[0:3], 0 offset:356
	buffer_load_dword v135, off, s[0:3], 0 offset:376
	;; [unrolled: 1-line block ×7, first 2 shown]
	s_waitcnt vmcnt(23) lgkmcnt(0)
	v_fma_f64 v[121:122], v[141:142], v[125:126], v[121:122]
	s_waitcnt vmcnt(18)
	v_fma_f64 v[129:130], v[129:130], v[127:128], v[121:122]
	ds_read2_b64 v[121:124], v0 offset0:97 offset1:98
	ds_read2_b64 v[125:128], v0 offset0:99 offset1:100
	buffer_load_dword v136, off, s[0:3], 0 offset:380
	s_waitcnt vmcnt(18) lgkmcnt(1)
	v_fma_f64 v[121:122], v[153:154], v[121:122], v[129:130]
	s_waitcnt vmcnt(17)
	v_fma_f64 v[121:122], v[151:152], v[123:124], v[121:122]
	buffer_load_dword v130, off, s[0:3], 0 offset:388
	buffer_load_dword v141, off, s[0:3], 0 offset:408
	;; [unrolled: 1-line block ×8, first 2 shown]
	s_waitcnt vmcnt(24) lgkmcnt(0)
	v_fma_f64 v[121:122], v[143:144], v[125:126], v[121:122]
	s_waitcnt vmcnt(19)
	v_fma_f64 v[131:132], v[131:132], v[127:128], v[121:122]
	ds_read2_b64 v[121:124], v0 offset0:101 offset1:102
	ds_read2_b64 v[125:128], v0 offset0:103 offset1:104
	s_waitcnt vmcnt(18) lgkmcnt(1)
	v_fma_f64 v[121:122], v[145:146], v[121:122], v[131:132]
	s_waitcnt vmcnt(17)
	v_fma_f64 v[121:122], v[139:140], v[123:124], v[121:122]
	buffer_load_dword v132, off, s[0:3], 0 offset:420
	buffer_load_dword v139, off, s[0:3], 0 offset:440
	;; [unrolled: 1-line block ×8, first 2 shown]
	s_waitcnt vmcnt(24) lgkmcnt(0)
	v_fma_f64 v[121:122], v[137:138], v[125:126], v[121:122]
	s_waitcnt vmcnt(19)
	v_fma_f64 v[133:134], v[133:134], v[127:128], v[121:122]
	ds_read2_b64 v[121:124], v0 offset0:105 offset1:106
	ds_read2_b64 v[125:128], v0 offset0:107 offset1:108
	s_waitcnt vmcnt(18) lgkmcnt(1)
	v_fma_f64 v[121:122], v[149:150], v[121:122], v[133:134]
	s_waitcnt vmcnt(17)
	v_fma_f64 v[122:123], v[147:148], v[123:124], v[121:122]
	buffer_load_dword v134, off, s[0:3], 0 offset:452
	buffer_load_dword v137, off, s[0:3], 0 offset:472
	;; [unrolled: 1-line block ×5, first 2 shown]
	s_waitcnt vmcnt(21) lgkmcnt(0)
	v_fma_f64 v[123:124], v[135:136], v[125:126], v[122:123]
	buffer_load_dword v148, off, s[0:3], 0 offset:460
	buffer_load_dword v122, off, s[0:3], 0 offset:468
	;; [unrolled: 1-line block ×3, first 2 shown]
	s_waitcnt vmcnt(19)
	v_fma_f64 v[135:136], v[129:130], v[127:128], v[123:124]
	ds_read2_b64 v[123:126], v0 offset0:109 offset1:110
	ds_read2_b64 v[127:130], v0 offset0:111 offset1:112
	s_waitcnt vmcnt(18) lgkmcnt(1)
	v_fma_f64 v[123:124], v[153:154], v[123:124], v[135:136]
	buffer_load_dword v135, off, s[0:3], 0
	buffer_load_dword v136, off, s[0:3], 0 offset:4
	s_waitcnt vmcnt(19)
	v_fma_f64 v[123:124], v[151:152], v[125:126], v[123:124]
	s_waitcnt vmcnt(18) lgkmcnt(0)
	v_fma_f64 v[123:124], v[141:142], v[127:128], v[123:124]
	s_waitcnt vmcnt(13)
	v_fma_f64 v[131:132], v[131:132], v[129:130], v[123:124]
	ds_read2_b64 v[123:126], v0 offset0:113 offset1:114
	ds_read2_b64 v[127:130], v0 offset0:115 offset1:116
	s_waitcnt vmcnt(12) lgkmcnt(1)
	v_fma_f64 v[123:124], v[145:146], v[123:124], v[131:132]
	s_waitcnt vmcnt(11)
	v_fma_f64 v[123:124], v[143:144], v[125:126], v[123:124]
	s_waitcnt vmcnt(10) lgkmcnt(0)
	v_fma_f64 v[123:124], v[139:140], v[127:128], v[123:124]
	s_waitcnt vmcnt(5)
	v_fma_f64 v[127:128], v[133:134], v[129:130], v[123:124]
	ds_read2_b64 v[123:126], v0 offset0:117 offset1:118
	ds_read_b64 v[129:130], v0 offset:952
	s_waitcnt vmcnt(4) lgkmcnt(1)
	v_fma_f64 v[123:124], v[147:148], v[123:124], v[127:128]
	s_waitcnt vmcnt(3)
	v_fma_f64 v[123:124], v[121:122], v[125:126], v[123:124]
	s_waitcnt vmcnt(2) lgkmcnt(0)
	v_fma_f64 v[123:124], v[137:138], v[129:130], v[123:124]
	s_waitcnt vmcnt(0)
	v_add_f64 v[123:124], v[135:136], -v[123:124]
	buffer_store_dword v124, off, s[0:3], 0 offset:4
	buffer_store_dword v123, off, s[0:3], 0
	s_cbranch_vccz .LBB123_486
; %bb.368:
	global_load_dword v0, v0, s[12:13] offset:232
	s_waitcnt vmcnt(0)
	v_add_u32_e32 v0, -1, v0
	v_cmp_ne_u32_e32 vcc, 58, v0
	s_cbranch_vccz .LBB123_370
; %bb.369:
	v_lshlrev_b32_e32 v0, 3, v0
	buffer_load_dword v123, v0, s[0:3], 0 offen offset:4
	buffer_load_dword v124, v0, s[0:3], 0 offen
	s_waitcnt vmcnt(1)
	buffer_store_dword v123, off, s[0:3], 0 offset:468
	s_waitcnt vmcnt(1)
	buffer_store_dword v124, off, s[0:3], 0 offset:464
	buffer_store_dword v122, v0, s[0:3], 0 offen offset:4
	buffer_store_dword v121, v0, s[0:3], 0 offen
.LBB123_370:
	v_mov_b32_e32 v0, 0
	global_load_dword v121, v0, s[12:13] offset:228
	s_waitcnt vmcnt(0)
	v_add_u32_e32 v121, -1, v121
	v_cmp_eq_u32_e32 vcc, 57, v121
	s_cbranch_vccnz .LBB123_372
; %bb.371:
	v_lshlrev_b32_e32 v121, 3, v121
	buffer_load_dword v122, v121, s[0:3], 0 offen
	buffer_load_dword v123, v121, s[0:3], 0 offen offset:4
	buffer_load_dword v124, off, s[0:3], 0 offset:456
	buffer_load_dword v125, off, s[0:3], 0 offset:460
	s_waitcnt vmcnt(3)
	buffer_store_dword v122, off, s[0:3], 0 offset:456
	s_waitcnt vmcnt(3)
	buffer_store_dword v123, off, s[0:3], 0 offset:460
	s_waitcnt vmcnt(3)
	buffer_store_dword v124, v121, s[0:3], 0 offen
	s_waitcnt vmcnt(3)
	buffer_store_dword v125, v121, s[0:3], 0 offen offset:4
.LBB123_372:
	global_load_dword v0, v0, s[12:13] offset:224
	s_waitcnt vmcnt(0)
	v_add_u32_e32 v0, -1, v0
	v_cmp_eq_u32_e32 vcc, 56, v0
	s_cbranch_vccnz .LBB123_374
; %bb.373:
	v_lshlrev_b32_e32 v0, 3, v0
	buffer_load_dword v121, v0, s[0:3], 0 offen
	buffer_load_dword v122, v0, s[0:3], 0 offen offset:4
	buffer_load_dword v123, off, s[0:3], 0 offset:452
	buffer_load_dword v124, off, s[0:3], 0 offset:448
	s_waitcnt vmcnt(3)
	buffer_store_dword v121, off, s[0:3], 0 offset:448
	s_waitcnt vmcnt(3)
	buffer_store_dword v122, off, s[0:3], 0 offset:452
	s_waitcnt vmcnt(3)
	buffer_store_dword v123, v0, s[0:3], 0 offen offset:4
	s_waitcnt vmcnt(3)
	buffer_store_dword v124, v0, s[0:3], 0 offen
.LBB123_374:
	v_mov_b32_e32 v0, 0
	global_load_dword v121, v0, s[12:13] offset:220
	s_waitcnt vmcnt(0)
	v_add_u32_e32 v121, -1, v121
	v_cmp_eq_u32_e32 vcc, 55, v121
	s_cbranch_vccnz .LBB123_376
; %bb.375:
	v_lshlrev_b32_e32 v121, 3, v121
	buffer_load_dword v122, v121, s[0:3], 0 offen
	buffer_load_dword v123, v121, s[0:3], 0 offen offset:4
	buffer_load_dword v124, off, s[0:3], 0 offset:440
	buffer_load_dword v125, off, s[0:3], 0 offset:444
	s_waitcnt vmcnt(3)
	buffer_store_dword v122, off, s[0:3], 0 offset:440
	s_waitcnt vmcnt(3)
	buffer_store_dword v123, off, s[0:3], 0 offset:444
	s_waitcnt vmcnt(3)
	buffer_store_dword v124, v121, s[0:3], 0 offen
	s_waitcnt vmcnt(3)
	buffer_store_dword v125, v121, s[0:3], 0 offen offset:4
.LBB123_376:
	global_load_dword v0, v0, s[12:13] offset:216
	s_waitcnt vmcnt(0)
	v_add_u32_e32 v0, -1, v0
	v_cmp_eq_u32_e32 vcc, 54, v0
	s_cbranch_vccnz .LBB123_378
; %bb.377:
	v_lshlrev_b32_e32 v0, 3, v0
	buffer_load_dword v121, v0, s[0:3], 0 offen
	buffer_load_dword v122, v0, s[0:3], 0 offen offset:4
	buffer_load_dword v123, off, s[0:3], 0 offset:436
	buffer_load_dword v124, off, s[0:3], 0 offset:432
	s_waitcnt vmcnt(3)
	buffer_store_dword v121, off, s[0:3], 0 offset:432
	s_waitcnt vmcnt(3)
	buffer_store_dword v122, off, s[0:3], 0 offset:436
	s_waitcnt vmcnt(3)
	buffer_store_dword v123, v0, s[0:3], 0 offen offset:4
	s_waitcnt vmcnt(3)
	buffer_store_dword v124, v0, s[0:3], 0 offen
.LBB123_378:
	;; [unrolled: 41-line block ×28, first 2 shown]
	v_mov_b32_e32 v0, 0
	global_load_dword v121, v0, s[12:13] offset:4
	s_waitcnt vmcnt(0)
	v_add_u32_e32 v121, -1, v121
	v_cmp_eq_u32_e32 vcc, 1, v121
	s_cbranch_vccnz .LBB123_484
; %bb.483:
	v_lshlrev_b32_e32 v121, 3, v121
	buffer_load_dword v122, v121, s[0:3], 0 offen
	buffer_load_dword v123, v121, s[0:3], 0 offen offset:4
	buffer_load_dword v124, off, s[0:3], 0 offset:8
	buffer_load_dword v125, off, s[0:3], 0 offset:12
	s_waitcnt vmcnt(3)
	buffer_store_dword v122, off, s[0:3], 0 offset:8
	s_waitcnt vmcnt(3)
	buffer_store_dword v123, off, s[0:3], 0 offset:12
	s_waitcnt vmcnt(3)
	buffer_store_dword v124, v121, s[0:3], 0 offen
	s_waitcnt vmcnt(3)
	buffer_store_dword v125, v121, s[0:3], 0 offen offset:4
.LBB123_484:
	global_load_dword v0, v0, s[12:13]
	s_nop 0
	buffer_load_dword v123, off, s[0:3], 0
	buffer_load_dword v124, off, s[0:3], 0 offset:4
	s_waitcnt vmcnt(2)
	v_add_u32_e32 v0, -1, v0
	v_cmp_eq_u32_e32 vcc, 0, v0
	s_cbranch_vccnz .LBB123_486
; %bb.485:
	v_lshlrev_b32_e32 v0, 3, v0
	buffer_load_dword v121, v0, s[0:3], 0 offen offset:4
	buffer_load_dword v122, v0, s[0:3], 0 offen
	s_waitcnt vmcnt(1)
	buffer_store_dword v121, off, s[0:3], 0 offset:4
	s_waitcnt vmcnt(1)
	buffer_store_dword v122, off, s[0:3], 0
	buffer_store_dword v124, v0, s[0:3], 0 offen offset:4
	buffer_store_dword v123, v0, s[0:3], 0 offen
	buffer_load_dword v123, off, s[0:3], 0
	s_nop 0
	buffer_load_dword v124, off, s[0:3], 0 offset:4
.LBB123_486:
	s_waitcnt vmcnt(0)
	flat_store_dwordx2 v[1:2], v[123:124]
	buffer_load_dword v0, off, s[0:3], 0 offset:8
	s_nop 0
	buffer_load_dword v1, off, s[0:3], 0 offset:12
	s_waitcnt vmcnt(0)
	flat_store_dwordx2 v[3:4], v[0:1]
	buffer_load_dword v0, off, s[0:3], 0 offset:16
	s_nop 0
	buffer_load_dword v1, off, s[0:3], 0 offset:20
	;; [unrolled: 5-line block ×59, first 2 shown]
	s_waitcnt vmcnt(0)
	flat_store_dwordx2 v[119:120], v[0:1]
	s_endpgm
	.section	.rodata,"a",@progbits
	.p2align	6, 0x0
	.amdhsa_kernel _ZN9rocsolver6v33100L18getri_kernel_smallILi60EdPKPdEEvT1_iilPiilS6_bb
		.amdhsa_group_segment_fixed_size 968
		.amdhsa_private_segment_fixed_size 496
		.amdhsa_kernarg_size 60
		.amdhsa_user_sgpr_count 6
		.amdhsa_user_sgpr_private_segment_buffer 1
		.amdhsa_user_sgpr_dispatch_ptr 0
		.amdhsa_user_sgpr_queue_ptr 0
		.amdhsa_user_sgpr_kernarg_segment_ptr 1
		.amdhsa_user_sgpr_dispatch_id 0
		.amdhsa_user_sgpr_flat_scratch_init 0
		.amdhsa_user_sgpr_private_segment_size 0
		.amdhsa_uses_dynamic_stack 0
		.amdhsa_system_sgpr_private_segment_wavefront_offset 1
		.amdhsa_system_sgpr_workgroup_id_x 1
		.amdhsa_system_sgpr_workgroup_id_y 0
		.amdhsa_system_sgpr_workgroup_id_z 0
		.amdhsa_system_sgpr_workgroup_info 0
		.amdhsa_system_vgpr_workitem_id 0
		.amdhsa_next_free_vgpr 157
		.amdhsa_next_free_sgpr 21
		.amdhsa_reserve_vcc 1
		.amdhsa_reserve_flat_scratch 0
		.amdhsa_float_round_mode_32 0
		.amdhsa_float_round_mode_16_64 0
		.amdhsa_float_denorm_mode_32 3
		.amdhsa_float_denorm_mode_16_64 3
		.amdhsa_dx10_clamp 1
		.amdhsa_ieee_mode 1
		.amdhsa_fp16_overflow 0
		.amdhsa_exception_fp_ieee_invalid_op 0
		.amdhsa_exception_fp_denorm_src 0
		.amdhsa_exception_fp_ieee_div_zero 0
		.amdhsa_exception_fp_ieee_overflow 0
		.amdhsa_exception_fp_ieee_underflow 0
		.amdhsa_exception_fp_ieee_inexact 0
		.amdhsa_exception_int_div_zero 0
	.end_amdhsa_kernel
	.section	.text._ZN9rocsolver6v33100L18getri_kernel_smallILi60EdPKPdEEvT1_iilPiilS6_bb,"axG",@progbits,_ZN9rocsolver6v33100L18getri_kernel_smallILi60EdPKPdEEvT1_iilPiilS6_bb,comdat
.Lfunc_end123:
	.size	_ZN9rocsolver6v33100L18getri_kernel_smallILi60EdPKPdEEvT1_iilPiilS6_bb, .Lfunc_end123-_ZN9rocsolver6v33100L18getri_kernel_smallILi60EdPKPdEEvT1_iilPiilS6_bb
                                        ; -- End function
	.set _ZN9rocsolver6v33100L18getri_kernel_smallILi60EdPKPdEEvT1_iilPiilS6_bb.num_vgpr, 157
	.set _ZN9rocsolver6v33100L18getri_kernel_smallILi60EdPKPdEEvT1_iilPiilS6_bb.num_agpr, 0
	.set _ZN9rocsolver6v33100L18getri_kernel_smallILi60EdPKPdEEvT1_iilPiilS6_bb.numbered_sgpr, 21
	.set _ZN9rocsolver6v33100L18getri_kernel_smallILi60EdPKPdEEvT1_iilPiilS6_bb.num_named_barrier, 0
	.set _ZN9rocsolver6v33100L18getri_kernel_smallILi60EdPKPdEEvT1_iilPiilS6_bb.private_seg_size, 496
	.set _ZN9rocsolver6v33100L18getri_kernel_smallILi60EdPKPdEEvT1_iilPiilS6_bb.uses_vcc, 1
	.set _ZN9rocsolver6v33100L18getri_kernel_smallILi60EdPKPdEEvT1_iilPiilS6_bb.uses_flat_scratch, 0
	.set _ZN9rocsolver6v33100L18getri_kernel_smallILi60EdPKPdEEvT1_iilPiilS6_bb.has_dyn_sized_stack, 0
	.set _ZN9rocsolver6v33100L18getri_kernel_smallILi60EdPKPdEEvT1_iilPiilS6_bb.has_recursion, 0
	.set _ZN9rocsolver6v33100L18getri_kernel_smallILi60EdPKPdEEvT1_iilPiilS6_bb.has_indirect_call, 0
	.section	.AMDGPU.csdata,"",@progbits
; Kernel info:
; codeLenInByte = 86548
; TotalNumSgprs: 25
; NumVgprs: 157
; ScratchSize: 496
; MemoryBound: 1
; FloatMode: 240
; IeeeMode: 1
; LDSByteSize: 968 bytes/workgroup (compile time only)
; SGPRBlocks: 3
; VGPRBlocks: 39
; NumSGPRsForWavesPerEU: 25
; NumVGPRsForWavesPerEU: 157
; Occupancy: 1
; WaveLimiterHint : 1
; COMPUTE_PGM_RSRC2:SCRATCH_EN: 1
; COMPUTE_PGM_RSRC2:USER_SGPR: 6
; COMPUTE_PGM_RSRC2:TRAP_HANDLER: 0
; COMPUTE_PGM_RSRC2:TGID_X_EN: 1
; COMPUTE_PGM_RSRC2:TGID_Y_EN: 0
; COMPUTE_PGM_RSRC2:TGID_Z_EN: 0
; COMPUTE_PGM_RSRC2:TIDIG_COMP_CNT: 0
	.section	.text._ZN9rocsolver6v33100L18getri_kernel_smallILi61EdPKPdEEvT1_iilPiilS6_bb,"axG",@progbits,_ZN9rocsolver6v33100L18getri_kernel_smallILi61EdPKPdEEvT1_iilPiilS6_bb,comdat
	.globl	_ZN9rocsolver6v33100L18getri_kernel_smallILi61EdPKPdEEvT1_iilPiilS6_bb ; -- Begin function _ZN9rocsolver6v33100L18getri_kernel_smallILi61EdPKPdEEvT1_iilPiilS6_bb
	.p2align	8
	.type	_ZN9rocsolver6v33100L18getri_kernel_smallILi61EdPKPdEEvT1_iilPiilS6_bb,@function
_ZN9rocsolver6v33100L18getri_kernel_smallILi61EdPKPdEEvT1_iilPiilS6_bb: ; @_ZN9rocsolver6v33100L18getri_kernel_smallILi61EdPKPdEEvT1_iilPiilS6_bb
; %bb.0:
	s_add_u32 s0, s0, s7
	s_addc_u32 s1, s1, 0
	v_cmp_gt_u32_e32 vcc, 61, v0
	s_and_saveexec_b64 s[8:9], vcc
	s_cbranch_execz .LBB124_252
; %bb.1:
	s_load_dword s18, s[4:5], 0x38
	s_load_dwordx2 s[12:13], s[4:5], 0x0
	s_load_dwordx4 s[8:11], s[4:5], 0x28
	s_waitcnt lgkmcnt(0)
	s_bitcmp1_b32 s18, 8
	s_cselect_b64 s[14:15], -1, 0
	s_ashr_i32 s7, s6, 31
	s_lshl_b64 s[16:17], s[6:7], 3
	s_add_u32 s12, s12, s16
	s_addc_u32 s13, s13, s17
	s_load_dwordx2 s[16:17], s[12:13], 0x0
	s_bfe_u32 s12, s18, 0x10008
	s_cmp_eq_u32 s12, 0
                                        ; implicit-def: $sgpr12_sgpr13
	s_cbranch_scc1 .LBB124_3
; %bb.2:
	s_load_dword s12, s[4:5], 0x20
	s_load_dwordx2 s[18:19], s[4:5], 0x18
	s_mul_i32 s13, s8, s7
	s_mul_hi_u32 s20, s8, s6
	s_add_i32 s20, s20, s13
	s_mul_i32 s9, s9, s6
	s_add_i32 s9, s20, s9
	s_mul_i32 s8, s8, s6
	s_waitcnt lgkmcnt(0)
	s_ashr_i32 s13, s12, 31
	s_lshl_b64 s[8:9], s[8:9], 2
	s_add_u32 s18, s18, s8
	s_addc_u32 s19, s19, s9
	s_lshl_b64 s[8:9], s[12:13], 2
	s_add_u32 s12, s18, s8
	s_addc_u32 s13, s19, s9
.LBB124_3:
	s_load_dwordx2 s[8:9], s[4:5], 0x8
	s_load_dword s18, s[4:5], 0x38
	v_lshlrev_b32_e32 v125, 3, v0
	s_waitcnt lgkmcnt(0)
	s_ashr_i32 s5, s8, 31
	s_mov_b32 s4, s8
	s_lshl_b64 s[4:5], s[4:5], 3
	s_add_u32 s4, s16, s4
	s_addc_u32 s5, s17, s5
	v_mov_b32_e32 v2, s5
	v_add_co_u32_e32 v1, vcc, s4, v125
	v_addc_co_u32_e32 v2, vcc, 0, v2, vcc
	flat_load_dwordx2 v[5:6], v[1:2]
	s_mov_b32 s16, s9
	s_ashr_i32 s17, s9, 31
	s_lshl_b64 s[16:17], s[16:17], 3
	v_mov_b32_e32 v4, s17
	v_add_co_u32_e32 v3, vcc, s16, v1
	v_addc_co_u32_e32 v4, vcc, v2, v4, vcc
	s_add_i32 s8, s9, s9
	v_add_u32_e32 v9, s8, v0
	v_ashrrev_i32_e32 v10, 31, v9
	v_mov_b32_e32 v11, s5
	v_add_u32_e32 v12, s9, v9
	v_ashrrev_i32_e32 v13, 31, v12
	v_mov_b32_e32 v14, s5
	v_mov_b32_e32 v15, s5
	;; [unrolled: 1-line block ×57, first 2 shown]
	s_bitcmp0_b32 s18, 0
	s_waitcnt vmcnt(0) lgkmcnt(0)
	buffer_store_dword v6, off, s[0:3], 0 offset:4
	buffer_store_dword v5, off, s[0:3], 0
	flat_load_dwordx2 v[7:8], v[3:4]
	v_lshlrev_b64 v[5:6], 3, v[9:10]
	s_waitcnt vmcnt(0) lgkmcnt(0)
	buffer_store_dword v8, off, s[0:3], 0 offset:12
	buffer_store_dword v7, off, s[0:3], 0 offset:8
	v_add_co_u32_e32 v5, vcc, s4, v5
	v_addc_co_u32_e32 v6, vcc, v11, v6, vcc
	flat_load_dwordx2 v[10:11], v[5:6]
	v_lshlrev_b64 v[7:8], 3, v[12:13]
	s_waitcnt vmcnt(0) lgkmcnt(0)
	buffer_store_dword v11, off, s[0:3], 0 offset:20
	buffer_store_dword v10, off, s[0:3], 0 offset:16
	v_add_co_u32_e32 v7, vcc, s4, v7
	v_addc_co_u32_e32 v8, vcc, v14, v8, vcc
	flat_load_dwordx2 v[13:14], v[7:8]
	v_add_u32_e32 v11, s9, v12
	v_ashrrev_i32_e32 v12, 31, v11
	v_lshlrev_b64 v[9:10], 3, v[11:12]
	s_waitcnt vmcnt(0) lgkmcnt(0)
	buffer_store_dword v14, off, s[0:3], 0 offset:28
	buffer_store_dword v13, off, s[0:3], 0 offset:24
	v_add_co_u32_e32 v9, vcc, s4, v9
	v_addc_co_u32_e32 v10, vcc, v15, v10, vcc
	flat_load_dwordx2 v[13:14], v[9:10]
	v_add_u32_e32 v15, s9, v11
	v_ashrrev_i32_e32 v16, 31, v15
	v_lshlrev_b64 v[11:12], 3, v[15:16]
	v_add_u32_e32 v18, s9, v15
	v_add_co_u32_e32 v11, vcc, s4, v11
	v_addc_co_u32_e32 v12, vcc, v17, v12, vcc
	v_ashrrev_i32_e32 v19, 31, v18
	s_waitcnt vmcnt(0) lgkmcnt(0)
	buffer_store_dword v14, off, s[0:3], 0 offset:36
	buffer_store_dword v13, off, s[0:3], 0 offset:32
	flat_load_dwordx2 v[16:17], v[11:12]
	v_lshlrev_b64 v[13:14], 3, v[18:19]
	s_waitcnt vmcnt(0) lgkmcnt(0)
	buffer_store_dword v17, off, s[0:3], 0 offset:44
	buffer_store_dword v16, off, s[0:3], 0 offset:40
	v_add_co_u32_e32 v13, vcc, s4, v13
	v_addc_co_u32_e32 v14, vcc, v20, v14, vcc
	flat_load_dwordx2 v[19:20], v[13:14]
	v_add_u32_e32 v17, s9, v18
	v_ashrrev_i32_e32 v18, 31, v17
	v_lshlrev_b64 v[15:16], 3, v[17:18]
	s_waitcnt vmcnt(0) lgkmcnt(0)
	buffer_store_dword v20, off, s[0:3], 0 offset:52
	buffer_store_dword v19, off, s[0:3], 0 offset:48
	v_add_co_u32_e32 v15, vcc, s4, v15
	v_addc_co_u32_e32 v16, vcc, v21, v16, vcc
	flat_load_dwordx2 v[19:20], v[15:16]
	v_add_u32_e32 v21, s9, v17
	v_ashrrev_i32_e32 v22, 31, v21
	v_lshlrev_b64 v[17:18], 3, v[21:22]
	v_add_u32_e32 v24, s9, v21
	v_add_co_u32_e32 v17, vcc, s4, v17
	v_addc_co_u32_e32 v18, vcc, v23, v18, vcc
	v_ashrrev_i32_e32 v25, 31, v24
	s_waitcnt vmcnt(0) lgkmcnt(0)
	buffer_store_dword v20, off, s[0:3], 0 offset:60
	buffer_store_dword v19, off, s[0:3], 0 offset:56
	;; [unrolled: 27-line block ×7, first 2 shown]
	flat_load_dwordx2 v[52:53], v[47:48]
	v_lshlrev_b64 v[49:50], 3, v[54:55]
	s_waitcnt vmcnt(0) lgkmcnt(0)
	buffer_store_dword v53, off, s[0:3], 0 offset:188
	buffer_store_dword v52, off, s[0:3], 0 offset:184
	v_add_co_u32_e32 v49, vcc, s4, v49
	v_addc_co_u32_e32 v50, vcc, v56, v50, vcc
	flat_load_dwordx2 v[55:56], v[49:50]
	v_add_u32_e32 v53, s9, v54
	v_ashrrev_i32_e32 v54, 31, v53
	v_lshlrev_b64 v[51:52], 3, v[53:54]
	s_waitcnt vmcnt(0) lgkmcnt(0)
	buffer_store_dword v56, off, s[0:3], 0 offset:196
	buffer_store_dword v55, off, s[0:3], 0 offset:192
	v_add_co_u32_e32 v51, vcc, s4, v51
	v_addc_co_u32_e32 v52, vcc, v57, v52, vcc
	flat_load_dwordx2 v[55:56], v[51:52]
	v_add_u32_e32 v57, s9, v53
	v_ashrrev_i32_e32 v58, 31, v57
	v_lshlrev_b64 v[53:54], 3, v[57:58]
	v_add_u32_e32 v60, s9, v57
	v_add_co_u32_e32 v53, vcc, s4, v53
	v_addc_co_u32_e32 v54, vcc, v59, v54, vcc
	s_waitcnt vmcnt(0) lgkmcnt(0)
	buffer_store_dword v56, off, s[0:3], 0 offset:204
	buffer_store_dword v55, off, s[0:3], 0 offset:200
	flat_load_dwordx2 v[58:59], v[53:54]
	v_ashrrev_i32_e32 v61, 31, v60
	v_lshlrev_b64 v[55:56], 3, v[60:61]
	s_waitcnt vmcnt(0) lgkmcnt(0)
	buffer_store_dword v59, off, s[0:3], 0 offset:212
	buffer_store_dword v58, off, s[0:3], 0 offset:208
	v_add_co_u32_e32 v55, vcc, s4, v55
	v_addc_co_u32_e32 v56, vcc, v62, v56, vcc
	flat_load_dwordx2 v[61:62], v[55:56]
	v_add_u32_e32 v59, s9, v60
	v_ashrrev_i32_e32 v60, 31, v59
	v_lshlrev_b64 v[57:58], 3, v[59:60]
	s_waitcnt vmcnt(0) lgkmcnt(0)
	buffer_store_dword v62, off, s[0:3], 0 offset:220
	buffer_store_dword v61, off, s[0:3], 0 offset:216
	v_add_co_u32_e32 v57, vcc, s4, v57
	v_addc_co_u32_e32 v58, vcc, v63, v58, vcc
	flat_load_dwordx2 v[61:62], v[57:58]
	v_add_u32_e32 v63, s9, v59
	;; [unrolled: 9-line block ×33, first 2 shown]
	v_ashrrev_i32_e32 v122, 31, v121
	v_lshlrev_b64 v[121:122], 3, v[121:122]
	v_mov_b32_e32 v124, s5
	v_add_co_u32_e32 v121, vcc, s4, v121
	v_addc_co_u32_e32 v122, vcc, v124, v122, vcc
	s_waitcnt vmcnt(0) lgkmcnt(0)
	buffer_store_dword v127, off, s[0:3], 0 offset:476
	buffer_store_dword v126, off, s[0:3], 0 offset:472
	flat_load_dwordx2 v[123:124], v[121:122]
	s_mov_b64 s[8:9], -1
	s_waitcnt vmcnt(0) lgkmcnt(0)
	buffer_store_dword v124, off, s[0:3], 0 offset:484
	buffer_store_dword v123, off, s[0:3], 0 offset:480
	s_cbranch_scc1 .LBB124_250
; %bb.4:
	v_cmp_eq_u32_e64 s[4:5], 0, v0
	s_and_saveexec_b64 s[8:9], s[4:5]
; %bb.5:
	v_mov_b32_e32 v123, 0
	ds_write_b32 v123, v123 offset:488
; %bb.6:
	s_or_b64 exec, exec, s[8:9]
	v_mov_b32_e32 v123, 0
	v_lshl_add_u32 v123, v0, 3, v123
	s_waitcnt lgkmcnt(0)
	; wave barrier
	buffer_load_dword v126, v123, s[0:3], 0 offen
	buffer_load_dword v127, v123, s[0:3], 0 offen offset:4
	s_waitcnt vmcnt(0)
	v_cmp_eq_f64_e32 vcc, 0, v[126:127]
	s_and_saveexec_b64 s[16:17], vcc
	s_cbranch_execz .LBB124_10
; %bb.7:
	v_mov_b32_e32 v124, 0
	ds_read_b32 v127, v124 offset:488
	v_add_u32_e32 v126, 1, v0
	s_waitcnt lgkmcnt(0)
	v_readfirstlane_b32 s8, v127
	s_cmp_eq_u32 s8, 0
	s_cselect_b64 s[18:19], -1, 0
	v_cmp_gt_i32_e32 vcc, s8, v126
	s_or_b64 s[18:19], s[18:19], vcc
	s_and_b64 exec, exec, s[18:19]
	s_cbranch_execz .LBB124_10
; %bb.8:
	s_mov_b64 s[18:19], 0
	v_mov_b32_e32 v127, s8
.LBB124_9:                              ; =>This Inner Loop Header: Depth=1
	ds_cmpst_rtn_b32 v127, v124, v127, v126 offset:488
	s_waitcnt lgkmcnt(0)
	v_cmp_ne_u32_e32 vcc, 0, v127
	v_cmp_le_i32_e64 s[8:9], v127, v126
	s_and_b64 s[8:9], vcc, s[8:9]
	s_and_b64 s[8:9], exec, s[8:9]
	s_or_b64 s[18:19], s[8:9], s[18:19]
	s_andn2_b64 exec, exec, s[18:19]
	s_cbranch_execnz .LBB124_9
.LBB124_10:
	s_or_b64 exec, exec, s[16:17]
	v_mov_b32_e32 v126, 0
	; wave barrier
	ds_read_b32 v124, v126 offset:488
	s_and_saveexec_b64 s[8:9], s[4:5]
	s_cbranch_execz .LBB124_12
; %bb.11:
	s_lshl_b64 s[16:17], s[6:7], 2
	s_add_u32 s16, s10, s16
	s_addc_u32 s17, s11, s17
	s_waitcnt lgkmcnt(0)
	global_store_dword v126, v124, s[16:17]
.LBB124_12:
	s_or_b64 exec, exec, s[8:9]
	s_waitcnt lgkmcnt(0)
	v_cmp_ne_u32_e32 vcc, 0, v124
	s_mov_b64 s[8:9], 0
	s_cbranch_vccnz .LBB124_250
; %bb.13:
	buffer_load_dword v126, v123, s[0:3], 0 offen
	buffer_load_dword v127, v123, s[0:3], 0 offen offset:4
	s_waitcnt vmcnt(0)
	v_div_scale_f64 v[128:129], s[8:9], v[126:127], v[126:127], 1.0
	v_rcp_f64_e32 v[130:131], v[128:129]
	v_fma_f64 v[132:133], -v[128:129], v[130:131], 1.0
	v_fma_f64 v[130:131], v[130:131], v[132:133], v[130:131]
	v_div_scale_f64 v[132:133], vcc, 1.0, v[126:127], 1.0
	v_fma_f64 v[134:135], -v[128:129], v[130:131], 1.0
	v_fma_f64 v[130:131], v[130:131], v[134:135], v[130:131]
	v_mul_f64 v[134:135], v[132:133], v[130:131]
	v_fma_f64 v[128:129], -v[128:129], v[134:135], v[132:133]
	v_div_fmas_f64 v[128:129], v[128:129], v[130:131], v[134:135]
	v_div_fixup_f64 v[127:128], v[128:129], v[126:127], 1.0
	v_add_u32_e32 v126, 0x1f0, v125
	buffer_store_dword v128, v123, s[0:3], 0 offen offset:4
	buffer_store_dword v127, v123, s[0:3], 0 offen
	buffer_load_dword v130, off, s[0:3], 0 offset:12
	buffer_load_dword v129, off, s[0:3], 0 offset:8
	v_xor_b32_e32 v128, 0x80000000, v128
	s_waitcnt vmcnt(0)
	ds_write2_b64 v125, v[127:128], v[129:130] offset1:62
	s_waitcnt lgkmcnt(0)
	; wave barrier
	s_and_saveexec_b64 s[8:9], s[4:5]
	s_cbranch_execz .LBB124_15
; %bb.14:
	buffer_load_dword v127, v123, s[0:3], 0 offen
	buffer_load_dword v128, v123, s[0:3], 0 offen offset:4
	ds_read_b64 v[129:130], v126
	v_mov_b32_e32 v124, 0
	ds_read_b64 v[131:132], v124 offset:8
	s_waitcnt vmcnt(0) lgkmcnt(1)
	v_fma_f64 v[127:128], v[127:128], v[129:130], 0
	s_waitcnt lgkmcnt(0)
	v_mul_f64 v[127:128], v[127:128], v[131:132]
	buffer_store_dword v127, off, s[0:3], 0 offset:8
	buffer_store_dword v128, off, s[0:3], 0 offset:12
.LBB124_15:
	s_or_b64 exec, exec, s[8:9]
	; wave barrier
	buffer_load_dword v127, off, s[0:3], 0 offset:16
	buffer_load_dword v128, off, s[0:3], 0 offset:20
	v_cmp_gt_u32_e32 vcc, 2, v0
	s_waitcnt vmcnt(0)
	ds_write_b64 v126, v[127:128]
	s_waitcnt lgkmcnt(0)
	; wave barrier
	s_and_saveexec_b64 s[8:9], vcc
	s_cbranch_execz .LBB124_17
; %bb.16:
	buffer_load_dword v127, v123, s[0:3], 0 offen
	buffer_load_dword v128, v123, s[0:3], 0 offen offset:4
                                        ; kill: killed $vgpr123
	s_nop 0
	buffer_load_dword v123, off, s[0:3], 0 offset:8
	buffer_load_dword v124, off, s[0:3], 0 offset:12
	ds_read_b64 v[129:130], v126
	s_waitcnt vmcnt(2) lgkmcnt(0)
	v_fma_f64 v[131:132], v[127:128], v[129:130], 0
	v_mov_b32_e32 v127, 0
	ds_read2_b64 v[127:130], v127 offset0:2 offset1:63
	s_waitcnt vmcnt(0) lgkmcnt(0)
	v_fma_f64 v[123:124], v[123:124], v[129:130], v[131:132]
	v_cndmask_b32_e64 v124, v132, v124, s[4:5]
	v_cndmask_b32_e64 v123, v131, v123, s[4:5]
	v_mul_f64 v[123:124], v[123:124], v[127:128]
	buffer_store_dword v124, off, s[0:3], 0 offset:20
	buffer_store_dword v123, off, s[0:3], 0 offset:16
.LBB124_17:
	s_or_b64 exec, exec, s[8:9]
	; wave barrier
	buffer_load_dword v123, off, s[0:3], 0 offset:24
	buffer_load_dword v124, off, s[0:3], 0 offset:28
	v_cmp_gt_u32_e32 vcc, 3, v0
	v_add_u32_e32 v127, -1, v0
	s_waitcnt vmcnt(0)
	ds_write_b64 v126, v[123:124]
	s_waitcnt lgkmcnt(0)
	; wave barrier
	s_and_saveexec_b64 s[4:5], vcc
	s_cbranch_execz .LBB124_21
; %bb.18:
	v_mov_b32_e32 v123, 0
	v_add_u32_e32 v128, -1, v0
	v_add_u32_e32 v129, 0x1f0, v125
	v_mov_b32_e32 v130, v125
	v_mov_b32_e32 v124, 0
	s_mov_b64 s[8:9], 0
.LBB124_19:                             ; =>This Inner Loop Header: Depth=1
	buffer_load_dword v131, v130, s[0:3], 0 offen
	buffer_load_dword v132, v130, s[0:3], 0 offen offset:4
	ds_read_b64 v[133:134], v129
	v_add_u32_e32 v128, 1, v128
	v_cmp_lt_u32_e32 vcc, 1, v128
	v_add_u32_e32 v129, 8, v129
	s_or_b64 s[8:9], vcc, s[8:9]
	v_add_u32_e32 v130, 8, v130
	s_waitcnt vmcnt(0) lgkmcnt(0)
	v_fma_f64 v[123:124], v[131:132], v[133:134], v[123:124]
	s_andn2_b64 exec, exec, s[8:9]
	s_cbranch_execnz .LBB124_19
; %bb.20:
	s_or_b64 exec, exec, s[8:9]
	v_mov_b32_e32 v128, 0
	ds_read_b64 v[128:129], v128 offset:24
	s_waitcnt lgkmcnt(0)
	v_mul_f64 v[123:124], v[123:124], v[128:129]
	buffer_store_dword v124, off, s[0:3], 0 offset:28
	buffer_store_dword v123, off, s[0:3], 0 offset:24
.LBB124_21:
	s_or_b64 exec, exec, s[4:5]
	; wave barrier
	buffer_load_dword v123, off, s[0:3], 0 offset:32
	buffer_load_dword v124, off, s[0:3], 0 offset:36
	v_cmp_gt_u32_e32 vcc, 4, v0
	s_waitcnt vmcnt(0)
	ds_write_b64 v126, v[123:124]
	s_waitcnt lgkmcnt(0)
	; wave barrier
	s_and_saveexec_b64 s[4:5], vcc
	s_cbranch_execz .LBB124_25
; %bb.22:
	v_mov_b32_e32 v123, 0
	v_add_u32_e32 v128, -1, v0
	v_add_u32_e32 v129, 0x1f0, v125
	v_mov_b32_e32 v130, v125
	v_mov_b32_e32 v124, 0
	s_mov_b64 s[8:9], 0
.LBB124_23:                             ; =>This Inner Loop Header: Depth=1
	buffer_load_dword v131, v130, s[0:3], 0 offen
	buffer_load_dword v132, v130, s[0:3], 0 offen offset:4
	ds_read_b64 v[133:134], v129
	v_add_u32_e32 v128, 1, v128
	v_cmp_lt_u32_e32 vcc, 2, v128
	v_add_u32_e32 v129, 8, v129
	s_or_b64 s[8:9], vcc, s[8:9]
	v_add_u32_e32 v130, 8, v130
	s_waitcnt vmcnt(0) lgkmcnt(0)
	v_fma_f64 v[123:124], v[131:132], v[133:134], v[123:124]
	s_andn2_b64 exec, exec, s[8:9]
	s_cbranch_execnz .LBB124_23
; %bb.24:
	s_or_b64 exec, exec, s[8:9]
	v_mov_b32_e32 v128, 0
	ds_read_b64 v[128:129], v128 offset:32
	s_waitcnt lgkmcnt(0)
	v_mul_f64 v[123:124], v[123:124], v[128:129]
	buffer_store_dword v124, off, s[0:3], 0 offset:36
	buffer_store_dword v123, off, s[0:3], 0 offset:32
.LBB124_25:
	s_or_b64 exec, exec, s[4:5]
	; wave barrier
	buffer_load_dword v123, off, s[0:3], 0 offset:40
	buffer_load_dword v124, off, s[0:3], 0 offset:44
	v_cmp_gt_u32_e32 vcc, 5, v0
	;; [unrolled: 40-line block ×21, first 2 shown]
	s_waitcnt vmcnt(0)
	ds_write_b64 v126, v[123:124]
	s_waitcnt lgkmcnt(0)
	; wave barrier
	s_and_saveexec_b64 s[4:5], vcc
	s_cbranch_execz .LBB124_105
; %bb.102:
	v_mov_b32_e32 v123, 0
	v_add_u32_e32 v128, -1, v0
	v_add_u32_e32 v129, 0x1f0, v125
	v_mov_b32_e32 v130, v125
	v_mov_b32_e32 v124, 0
	s_mov_b64 s[8:9], 0
.LBB124_103:                            ; =>This Inner Loop Header: Depth=1
	buffer_load_dword v131, v130, s[0:3], 0 offen
	buffer_load_dword v132, v130, s[0:3], 0 offen offset:4
	ds_read_b64 v[133:134], v129
	v_add_u32_e32 v128, 1, v128
	v_cmp_lt_u32_e32 vcc, 22, v128
	v_add_u32_e32 v129, 8, v129
	s_or_b64 s[8:9], vcc, s[8:9]
	v_add_u32_e32 v130, 8, v130
	s_waitcnt vmcnt(0) lgkmcnt(0)
	v_fma_f64 v[123:124], v[131:132], v[133:134], v[123:124]
	s_andn2_b64 exec, exec, s[8:9]
	s_cbranch_execnz .LBB124_103
; %bb.104:
	s_or_b64 exec, exec, s[8:9]
	v_mov_b32_e32 v128, 0
	ds_read_b64 v[128:129], v128 offset:192
	s_waitcnt lgkmcnt(0)
	v_mul_f64 v[123:124], v[123:124], v[128:129]
	buffer_store_dword v124, off, s[0:3], 0 offset:196
	buffer_store_dword v123, off, s[0:3], 0 offset:192
.LBB124_105:
	s_or_b64 exec, exec, s[4:5]
	; wave barrier
	buffer_load_dword v123, off, s[0:3], 0 offset:200
	buffer_load_dword v124, off, s[0:3], 0 offset:204
	v_cmp_gt_u32_e32 vcc, 25, v0
	s_waitcnt vmcnt(0)
	ds_write_b64 v126, v[123:124]
	s_waitcnt lgkmcnt(0)
	; wave barrier
	s_and_saveexec_b64 s[4:5], vcc
	s_cbranch_execz .LBB124_109
; %bb.106:
	v_mov_b32_e32 v123, 0
	v_add_u32_e32 v128, -1, v0
	v_add_u32_e32 v129, 0x1f0, v125
	v_mov_b32_e32 v130, v125
	v_mov_b32_e32 v124, 0
	s_mov_b64 s[8:9], 0
.LBB124_107:                            ; =>This Inner Loop Header: Depth=1
	buffer_load_dword v131, v130, s[0:3], 0 offen
	buffer_load_dword v132, v130, s[0:3], 0 offen offset:4
	ds_read_b64 v[133:134], v129
	v_add_u32_e32 v128, 1, v128
	v_cmp_lt_u32_e32 vcc, 23, v128
	v_add_u32_e32 v129, 8, v129
	s_or_b64 s[8:9], vcc, s[8:9]
	v_add_u32_e32 v130, 8, v130
	s_waitcnt vmcnt(0) lgkmcnt(0)
	v_fma_f64 v[123:124], v[131:132], v[133:134], v[123:124]
	s_andn2_b64 exec, exec, s[8:9]
	s_cbranch_execnz .LBB124_107
; %bb.108:
	s_or_b64 exec, exec, s[8:9]
	v_mov_b32_e32 v128, 0
	ds_read_b64 v[128:129], v128 offset:200
	s_waitcnt lgkmcnt(0)
	v_mul_f64 v[123:124], v[123:124], v[128:129]
	buffer_store_dword v124, off, s[0:3], 0 offset:204
	buffer_store_dword v123, off, s[0:3], 0 offset:200
.LBB124_109:
	s_or_b64 exec, exec, s[4:5]
	; wave barrier
	buffer_load_dword v123, off, s[0:3], 0 offset:208
	buffer_load_dword v124, off, s[0:3], 0 offset:212
	v_cmp_gt_u32_e32 vcc, 26, v0
	;; [unrolled: 40-line block ×35, first 2 shown]
	s_waitcnt vmcnt(0)
	ds_write_b64 v126, v[123:124]
	s_waitcnt lgkmcnt(0)
	; wave barrier
	s_and_saveexec_b64 s[4:5], vcc
	s_cbranch_execz .LBB124_245
; %bb.242:
	v_mov_b32_e32 v123, 0
	v_add_u32_e32 v128, -1, v0
	v_add_u32_e32 v129, 0x1f0, v125
	v_mov_b32_e32 v130, v125
	v_mov_b32_e32 v124, 0
	s_mov_b64 s[8:9], 0
.LBB124_243:                            ; =>This Inner Loop Header: Depth=1
	buffer_load_dword v131, v130, s[0:3], 0 offen
	buffer_load_dword v132, v130, s[0:3], 0 offen offset:4
	ds_read_b64 v[133:134], v129
	v_add_u32_e32 v128, 1, v128
	v_cmp_lt_u32_e32 vcc, 57, v128
	v_add_u32_e32 v129, 8, v129
	s_or_b64 s[8:9], vcc, s[8:9]
	v_add_u32_e32 v130, 8, v130
	s_waitcnt vmcnt(0) lgkmcnt(0)
	v_fma_f64 v[123:124], v[131:132], v[133:134], v[123:124]
	s_andn2_b64 exec, exec, s[8:9]
	s_cbranch_execnz .LBB124_243
; %bb.244:
	s_or_b64 exec, exec, s[8:9]
	v_mov_b32_e32 v128, 0
	ds_read_b64 v[128:129], v128 offset:472
	s_waitcnt lgkmcnt(0)
	v_mul_f64 v[123:124], v[123:124], v[128:129]
	buffer_store_dword v124, off, s[0:3], 0 offset:476
	buffer_store_dword v123, off, s[0:3], 0 offset:472
.LBB124_245:
	s_or_b64 exec, exec, s[4:5]
	; wave barrier
	buffer_load_dword v123, off, s[0:3], 0 offset:480
	buffer_load_dword v124, off, s[0:3], 0 offset:484
	v_cmp_ne_u32_e32 vcc, 60, v0
	s_waitcnt vmcnt(0)
	ds_write_b64 v126, v[123:124]
	s_waitcnt lgkmcnt(0)
	; wave barrier
	s_and_saveexec_b64 s[4:5], vcc
	s_cbranch_execz .LBB124_249
; %bb.246:
	v_mov_b32_e32 v123, 0
	v_add_u32_e32 v126, 0x1f0, v125
	v_mov_b32_e32 v124, 0
	s_mov_b64 s[8:9], 0
.LBB124_247:                            ; =>This Inner Loop Header: Depth=1
	buffer_load_dword v128, v125, s[0:3], 0 offen
	buffer_load_dword v129, v125, s[0:3], 0 offen offset:4
	ds_read_b64 v[130:131], v126
	v_add_u32_e32 v127, 1, v127
	v_cmp_lt_u32_e32 vcc, 58, v127
	v_add_u32_e32 v126, 8, v126
	s_or_b64 s[8:9], vcc, s[8:9]
	v_add_u32_e32 v125, 8, v125
	s_waitcnt vmcnt(0) lgkmcnt(0)
	v_fma_f64 v[123:124], v[128:129], v[130:131], v[123:124]
	s_andn2_b64 exec, exec, s[8:9]
	s_cbranch_execnz .LBB124_247
; %bb.248:
	s_or_b64 exec, exec, s[8:9]
	v_mov_b32_e32 v125, 0
	ds_read_b64 v[125:126], v125 offset:480
	s_waitcnt lgkmcnt(0)
	v_mul_f64 v[123:124], v[123:124], v[125:126]
	buffer_store_dword v124, off, s[0:3], 0 offset:484
	buffer_store_dword v123, off, s[0:3], 0 offset:480
.LBB124_249:
	s_or_b64 exec, exec, s[4:5]
	s_mov_b64 s[8:9], -1
	; wave barrier
.LBB124_250:
	s_and_b64 vcc, exec, s[8:9]
	s_cbranch_vccz .LBB124_252
; %bb.251:
	s_lshl_b64 s[4:5], s[6:7], 2
	s_add_u32 s4, s10, s4
	s_addc_u32 s5, s11, s5
	v_mov_b32_e32 v123, 0
	global_load_dword v123, v123, s[4:5]
	s_waitcnt vmcnt(0)
	v_cmp_ne_u32_e32 vcc, 0, v123
	s_cbranch_vccz .LBB124_253
.LBB124_252:
	s_endpgm
.LBB124_253:
	v_mov_b32_e32 v123, 0x1f0
	v_lshl_add_u32 v123, v0, 3, v123
	v_cmp_eq_u32_e32 vcc, 60, v0
	s_and_saveexec_b64 s[4:5], vcc
	s_cbranch_execz .LBB124_255
; %bb.254:
	buffer_load_dword v124, off, s[0:3], 0 offset:472
	buffer_load_dword v125, off, s[0:3], 0 offset:476
	v_mov_b32_e32 v126, 0
	buffer_store_dword v126, off, s[0:3], 0 offset:472
	buffer_store_dword v126, off, s[0:3], 0 offset:476
	s_waitcnt vmcnt(2)
	ds_write_b64 v123, v[124:125]
.LBB124_255:
	s_or_b64 exec, exec, s[4:5]
	s_waitcnt lgkmcnt(0)
	; wave barrier
	buffer_load_dword v125, off, s[0:3], 0 offset:480
	buffer_load_dword v126, off, s[0:3], 0 offset:484
	;; [unrolled: 1-line block ×4, first 2 shown]
	v_mov_b32_e32 v124, 0
	ds_read_b64 v[129:130], v124 offset:976
	v_cmp_lt_u32_e32 vcc, 58, v0
	s_waitcnt vmcnt(2) lgkmcnt(0)
	v_fma_f64 v[125:126], v[125:126], v[129:130], 0
	s_waitcnt vmcnt(0)
	v_add_f64 v[125:126], v[127:128], -v[125:126]
	buffer_store_dword v125, off, s[0:3], 0 offset:472
	buffer_store_dword v126, off, s[0:3], 0 offset:476
	s_and_saveexec_b64 s[4:5], vcc
	s_cbranch_execz .LBB124_257
; %bb.256:
	buffer_load_dword v125, off, s[0:3], 0 offset:464
	buffer_load_dword v126, off, s[0:3], 0 offset:468
	s_waitcnt vmcnt(0)
	ds_write_b64 v123, v[125:126]
	buffer_store_dword v124, off, s[0:3], 0 offset:464
	buffer_store_dword v124, off, s[0:3], 0 offset:468
.LBB124_257:
	s_or_b64 exec, exec, s[4:5]
	s_waitcnt lgkmcnt(0)
	; wave barrier
	buffer_load_dword v128, off, s[0:3], 0 offset:472
	buffer_load_dword v129, off, s[0:3], 0 offset:476
	;; [unrolled: 1-line block ×6, first 2 shown]
	ds_read2_b64 v[124:127], v124 offset0:121 offset1:122
	v_cmp_lt_u32_e32 vcc, 57, v0
	s_waitcnt vmcnt(4) lgkmcnt(0)
	v_fma_f64 v[124:125], v[128:129], v[124:125], 0
	s_waitcnt vmcnt(2)
	v_fma_f64 v[124:125], v[130:131], v[126:127], v[124:125]
	s_waitcnt vmcnt(0)
	v_add_f64 v[124:125], v[132:133], -v[124:125]
	buffer_store_dword v124, off, s[0:3], 0 offset:464
	buffer_store_dword v125, off, s[0:3], 0 offset:468
	s_and_saveexec_b64 s[4:5], vcc
	s_cbranch_execz .LBB124_259
; %bb.258:
	buffer_load_dword v124, off, s[0:3], 0 offset:456
	buffer_load_dword v125, off, s[0:3], 0 offset:460
	v_mov_b32_e32 v126, 0
	buffer_store_dword v126, off, s[0:3], 0 offset:456
	buffer_store_dword v126, off, s[0:3], 0 offset:460
	s_waitcnt vmcnt(2)
	ds_write_b64 v123, v[124:125]
.LBB124_259:
	s_or_b64 exec, exec, s[4:5]
	s_waitcnt lgkmcnt(0)
	; wave barrier
	buffer_load_dword v129, off, s[0:3], 0 offset:464
	buffer_load_dword v130, off, s[0:3], 0 offset:468
	;; [unrolled: 1-line block ×8, first 2 shown]
	v_mov_b32_e32 v124, 0
	ds_read_b128 v[125:128], v124 offset:960
	ds_read_b64 v[137:138], v124 offset:976
	v_cmp_lt_u32_e32 vcc, 56, v0
	s_waitcnt vmcnt(6) lgkmcnt(1)
	v_fma_f64 v[125:126], v[129:130], v[125:126], 0
	s_waitcnt vmcnt(4)
	v_fma_f64 v[125:126], v[131:132], v[127:128], v[125:126]
	s_waitcnt vmcnt(2) lgkmcnt(0)
	v_fma_f64 v[125:126], v[133:134], v[137:138], v[125:126]
	s_waitcnt vmcnt(0)
	v_add_f64 v[125:126], v[135:136], -v[125:126]
	buffer_store_dword v125, off, s[0:3], 0 offset:456
	buffer_store_dword v126, off, s[0:3], 0 offset:460
	s_and_saveexec_b64 s[4:5], vcc
	s_cbranch_execz .LBB124_261
; %bb.260:
	buffer_load_dword v125, off, s[0:3], 0 offset:448
	buffer_load_dword v126, off, s[0:3], 0 offset:452
	s_waitcnt vmcnt(0)
	ds_write_b64 v123, v[125:126]
	buffer_store_dword v124, off, s[0:3], 0 offset:448
	buffer_store_dword v124, off, s[0:3], 0 offset:452
.LBB124_261:
	s_or_b64 exec, exec, s[4:5]
	s_waitcnt lgkmcnt(0)
	; wave barrier
	buffer_load_dword v133, off, s[0:3], 0 offset:456
	buffer_load_dword v134, off, s[0:3], 0 offset:460
	;; [unrolled: 1-line block ×10, first 2 shown]
	ds_read2_b64 v[125:128], v124 offset0:119 offset1:120
	ds_read2_b64 v[129:132], v124 offset0:121 offset1:122
	v_cmp_lt_u32_e32 vcc, 55, v0
	s_waitcnt vmcnt(8) lgkmcnt(1)
	v_fma_f64 v[124:125], v[133:134], v[125:126], 0
	s_waitcnt vmcnt(6)
	v_fma_f64 v[124:125], v[135:136], v[127:128], v[124:125]
	s_waitcnt vmcnt(4) lgkmcnt(0)
	v_fma_f64 v[124:125], v[137:138], v[129:130], v[124:125]
	s_waitcnt vmcnt(2)
	v_fma_f64 v[124:125], v[139:140], v[131:132], v[124:125]
	s_waitcnt vmcnt(0)
	v_add_f64 v[124:125], v[141:142], -v[124:125]
	buffer_store_dword v124, off, s[0:3], 0 offset:448
	buffer_store_dword v125, off, s[0:3], 0 offset:452
	s_and_saveexec_b64 s[4:5], vcc
	s_cbranch_execz .LBB124_263
; %bb.262:
	buffer_load_dword v124, off, s[0:3], 0 offset:440
	buffer_load_dword v125, off, s[0:3], 0 offset:444
	v_mov_b32_e32 v126, 0
	buffer_store_dword v126, off, s[0:3], 0 offset:440
	buffer_store_dword v126, off, s[0:3], 0 offset:444
	s_waitcnt vmcnt(2)
	ds_write_b64 v123, v[124:125]
.LBB124_263:
	s_or_b64 exec, exec, s[4:5]
	s_waitcnt lgkmcnt(0)
	; wave barrier
	buffer_load_dword v133, off, s[0:3], 0 offset:448
	buffer_load_dword v134, off, s[0:3], 0 offset:452
	;; [unrolled: 1-line block ×12, first 2 shown]
	v_mov_b32_e32 v124, 0
	ds_read_b128 v[125:128], v124 offset:944
	ds_read_b128 v[129:132], v124 offset:960
	v_cmp_lt_u32_e32 vcc, 54, v0
	s_waitcnt vmcnt(10) lgkmcnt(1)
	v_fma_f64 v[125:126], v[133:134], v[125:126], 0
	s_waitcnt vmcnt(8)
	v_fma_f64 v[125:126], v[135:136], v[127:128], v[125:126]
	ds_read_b64 v[127:128], v124 offset:976
	s_waitcnt vmcnt(6) lgkmcnt(1)
	v_fma_f64 v[125:126], v[137:138], v[129:130], v[125:126]
	s_waitcnt vmcnt(4)
	v_fma_f64 v[125:126], v[139:140], v[131:132], v[125:126]
	s_waitcnt vmcnt(2) lgkmcnt(0)
	v_fma_f64 v[125:126], v[141:142], v[127:128], v[125:126]
	s_waitcnt vmcnt(0)
	v_add_f64 v[125:126], v[143:144], -v[125:126]
	buffer_store_dword v125, off, s[0:3], 0 offset:440
	buffer_store_dword v126, off, s[0:3], 0 offset:444
	s_and_saveexec_b64 s[4:5], vcc
	s_cbranch_execz .LBB124_265
; %bb.264:
	buffer_load_dword v125, off, s[0:3], 0 offset:432
	buffer_load_dword v126, off, s[0:3], 0 offset:436
	s_waitcnt vmcnt(0)
	ds_write_b64 v123, v[125:126]
	buffer_store_dword v124, off, s[0:3], 0 offset:432
	buffer_store_dword v124, off, s[0:3], 0 offset:436
.LBB124_265:
	s_or_b64 exec, exec, s[4:5]
	s_waitcnt lgkmcnt(0)
	; wave barrier
	buffer_load_dword v133, off, s[0:3], 0 offset:440
	buffer_load_dword v134, off, s[0:3], 0 offset:444
	;; [unrolled: 1-line block ×14, first 2 shown]
	ds_read2_b64 v[125:128], v124 offset0:117 offset1:118
	ds_read2_b64 v[129:132], v124 offset0:119 offset1:120
	v_cmp_lt_u32_e32 vcc, 53, v0
	s_waitcnt vmcnt(12) lgkmcnt(1)
	v_fma_f64 v[125:126], v[133:134], v[125:126], 0
	s_waitcnt vmcnt(10)
	v_fma_f64 v[125:126], v[135:136], v[127:128], v[125:126]
	s_waitcnt vmcnt(8) lgkmcnt(0)
	v_fma_f64 v[125:126], v[137:138], v[129:130], v[125:126]
	s_waitcnt vmcnt(6)
	v_fma_f64 v[128:129], v[139:140], v[131:132], v[125:126]
	ds_read2_b64 v[124:127], v124 offset0:121 offset1:122
	s_waitcnt vmcnt(4) lgkmcnt(0)
	v_fma_f64 v[124:125], v[141:142], v[124:125], v[128:129]
	s_waitcnt vmcnt(2)
	v_fma_f64 v[124:125], v[143:144], v[126:127], v[124:125]
	s_waitcnt vmcnt(0)
	v_add_f64 v[124:125], v[145:146], -v[124:125]
	buffer_store_dword v124, off, s[0:3], 0 offset:432
	buffer_store_dword v125, off, s[0:3], 0 offset:436
	s_and_saveexec_b64 s[4:5], vcc
	s_cbranch_execz .LBB124_267
; %bb.266:
	buffer_load_dword v124, off, s[0:3], 0 offset:424
	buffer_load_dword v125, off, s[0:3], 0 offset:428
	v_mov_b32_e32 v126, 0
	buffer_store_dword v126, off, s[0:3], 0 offset:424
	buffer_store_dword v126, off, s[0:3], 0 offset:428
	s_waitcnt vmcnt(2)
	ds_write_b64 v123, v[124:125]
.LBB124_267:
	s_or_b64 exec, exec, s[4:5]
	s_waitcnt lgkmcnt(0)
	; wave barrier
	buffer_load_dword v133, off, s[0:3], 0 offset:432
	buffer_load_dword v134, off, s[0:3], 0 offset:436
	;; [unrolled: 1-line block ×16, first 2 shown]
	v_mov_b32_e32 v124, 0
	ds_read_b128 v[125:128], v124 offset:928
	ds_read_b128 v[129:132], v124 offset:944
	v_cmp_lt_u32_e32 vcc, 52, v0
	s_waitcnt vmcnt(14) lgkmcnt(1)
	v_fma_f64 v[125:126], v[133:134], v[125:126], 0
	s_waitcnt vmcnt(12)
	v_fma_f64 v[125:126], v[135:136], v[127:128], v[125:126]
	s_waitcnt vmcnt(10) lgkmcnt(0)
	v_fma_f64 v[125:126], v[137:138], v[129:130], v[125:126]
	s_waitcnt vmcnt(8)
	v_fma_f64 v[129:130], v[139:140], v[131:132], v[125:126]
	ds_read_b128 v[125:128], v124 offset:960
	ds_read_b64 v[131:132], v124 offset:976
	s_waitcnt vmcnt(6) lgkmcnt(1)
	v_fma_f64 v[125:126], v[141:142], v[125:126], v[129:130]
	s_waitcnt vmcnt(4)
	v_fma_f64 v[125:126], v[143:144], v[127:128], v[125:126]
	s_waitcnt vmcnt(2) lgkmcnt(0)
	v_fma_f64 v[125:126], v[145:146], v[131:132], v[125:126]
	s_waitcnt vmcnt(0)
	v_add_f64 v[125:126], v[147:148], -v[125:126]
	buffer_store_dword v125, off, s[0:3], 0 offset:424
	buffer_store_dword v126, off, s[0:3], 0 offset:428
	s_and_saveexec_b64 s[4:5], vcc
	s_cbranch_execz .LBB124_269
; %bb.268:
	buffer_load_dword v125, off, s[0:3], 0 offset:416
	buffer_load_dword v126, off, s[0:3], 0 offset:420
	s_waitcnt vmcnt(0)
	ds_write_b64 v123, v[125:126]
	buffer_store_dword v124, off, s[0:3], 0 offset:416
	buffer_store_dword v124, off, s[0:3], 0 offset:420
.LBB124_269:
	s_or_b64 exec, exec, s[4:5]
	s_waitcnt lgkmcnt(0)
	; wave barrier
	buffer_load_dword v133, off, s[0:3], 0 offset:424
	buffer_load_dword v134, off, s[0:3], 0 offset:428
	;; [unrolled: 1-line block ×18, first 2 shown]
	ds_read2_b64 v[125:128], v124 offset0:115 offset1:116
	ds_read2_b64 v[129:132], v124 offset0:117 offset1:118
	v_cmp_lt_u32_e32 vcc, 51, v0
	s_waitcnt vmcnt(16) lgkmcnt(1)
	v_fma_f64 v[125:126], v[133:134], v[125:126], 0
	s_waitcnt vmcnt(14)
	v_fma_f64 v[125:126], v[135:136], v[127:128], v[125:126]
	s_waitcnt vmcnt(12) lgkmcnt(0)
	v_fma_f64 v[125:126], v[137:138], v[129:130], v[125:126]
	s_waitcnt vmcnt(10)
	v_fma_f64 v[133:134], v[139:140], v[131:132], v[125:126]
	ds_read2_b64 v[125:128], v124 offset0:119 offset1:120
	ds_read2_b64 v[129:132], v124 offset0:121 offset1:122
	s_waitcnt vmcnt(8) lgkmcnt(1)
	v_fma_f64 v[124:125], v[141:142], v[125:126], v[133:134]
	s_waitcnt vmcnt(6)
	v_fma_f64 v[124:125], v[143:144], v[127:128], v[124:125]
	s_waitcnt vmcnt(4) lgkmcnt(0)
	v_fma_f64 v[124:125], v[145:146], v[129:130], v[124:125]
	s_waitcnt vmcnt(2)
	v_fma_f64 v[124:125], v[147:148], v[131:132], v[124:125]
	s_waitcnt vmcnt(0)
	v_add_f64 v[124:125], v[149:150], -v[124:125]
	buffer_store_dword v124, off, s[0:3], 0 offset:416
	buffer_store_dword v125, off, s[0:3], 0 offset:420
	s_and_saveexec_b64 s[4:5], vcc
	s_cbranch_execz .LBB124_271
; %bb.270:
	buffer_load_dword v124, off, s[0:3], 0 offset:408
	buffer_load_dword v125, off, s[0:3], 0 offset:412
	v_mov_b32_e32 v126, 0
	buffer_store_dword v126, off, s[0:3], 0 offset:408
	buffer_store_dword v126, off, s[0:3], 0 offset:412
	s_waitcnt vmcnt(2)
	ds_write_b64 v123, v[124:125]
.LBB124_271:
	s_or_b64 exec, exec, s[4:5]
	s_waitcnt lgkmcnt(0)
	; wave barrier
	buffer_load_dword v133, off, s[0:3], 0 offset:416
	buffer_load_dword v134, off, s[0:3], 0 offset:420
	;; [unrolled: 1-line block ×20, first 2 shown]
	v_mov_b32_e32 v124, 0
	ds_read_b128 v[125:128], v124 offset:912
	ds_read_b128 v[129:132], v124 offset:928
	v_cmp_lt_u32_e32 vcc, 50, v0
	s_waitcnt vmcnt(18) lgkmcnt(1)
	v_fma_f64 v[125:126], v[133:134], v[125:126], 0
	s_waitcnt vmcnt(16)
	v_fma_f64 v[125:126], v[135:136], v[127:128], v[125:126]
	s_waitcnt vmcnt(14) lgkmcnt(0)
	v_fma_f64 v[125:126], v[137:138], v[129:130], v[125:126]
	s_waitcnt vmcnt(12)
	v_fma_f64 v[133:134], v[139:140], v[131:132], v[125:126]
	ds_read_b128 v[125:128], v124 offset:944
	ds_read_b128 v[129:132], v124 offset:960
	s_waitcnt vmcnt(10) lgkmcnt(1)
	v_fma_f64 v[125:126], v[141:142], v[125:126], v[133:134]
	s_waitcnt vmcnt(8)
	v_fma_f64 v[125:126], v[143:144], v[127:128], v[125:126]
	ds_read_b64 v[127:128], v124 offset:976
	s_waitcnt vmcnt(6) lgkmcnt(1)
	v_fma_f64 v[125:126], v[145:146], v[129:130], v[125:126]
	s_waitcnt vmcnt(3)
	v_fma_f64 v[125:126], v[147:148], v[131:132], v[125:126]
	s_waitcnt vmcnt(2) lgkmcnt(0)
	v_fma_f64 v[125:126], v[149:150], v[127:128], v[125:126]
	s_waitcnt vmcnt(0)
	v_add_f64 v[125:126], v[151:152], -v[125:126]
	buffer_store_dword v125, off, s[0:3], 0 offset:408
	buffer_store_dword v126, off, s[0:3], 0 offset:412
	s_and_saveexec_b64 s[4:5], vcc
	s_cbranch_execz .LBB124_273
; %bb.272:
	buffer_load_dword v125, off, s[0:3], 0 offset:400
	buffer_load_dword v126, off, s[0:3], 0 offset:404
	s_waitcnt vmcnt(0)
	ds_write_b64 v123, v[125:126]
	buffer_store_dword v124, off, s[0:3], 0 offset:400
	buffer_store_dword v124, off, s[0:3], 0 offset:404
.LBB124_273:
	s_or_b64 exec, exec, s[4:5]
	s_waitcnt lgkmcnt(0)
	; wave barrier
	buffer_load_dword v133, off, s[0:3], 0 offset:408
	buffer_load_dword v134, off, s[0:3], 0 offset:412
	;; [unrolled: 1-line block ×20, first 2 shown]
	ds_read2_b64 v[125:128], v124 offset0:113 offset1:114
	buffer_load_dword v153, off, s[0:3], 0 offset:400
	buffer_load_dword v154, off, s[0:3], 0 offset:404
	ds_read2_b64 v[129:132], v124 offset0:115 offset1:116
	v_cmp_lt_u32_e32 vcc, 49, v0
	s_waitcnt vmcnt(20) lgkmcnt(1)
	v_fma_f64 v[125:126], v[133:134], v[125:126], 0
	s_waitcnt vmcnt(18)
	v_fma_f64 v[125:126], v[135:136], v[127:128], v[125:126]
	s_waitcnt vmcnt(16) lgkmcnt(0)
	v_fma_f64 v[125:126], v[137:138], v[129:130], v[125:126]
	s_waitcnt vmcnt(14)
	v_fma_f64 v[133:134], v[139:140], v[131:132], v[125:126]
	ds_read2_b64 v[125:128], v124 offset0:117 offset1:118
	ds_read2_b64 v[129:132], v124 offset0:119 offset1:120
	s_waitcnt vmcnt(12) lgkmcnt(1)
	v_fma_f64 v[125:126], v[141:142], v[125:126], v[133:134]
	s_waitcnt vmcnt(10)
	v_fma_f64 v[125:126], v[143:144], v[127:128], v[125:126]
	s_waitcnt vmcnt(8) lgkmcnt(0)
	v_fma_f64 v[125:126], v[145:146], v[129:130], v[125:126]
	s_waitcnt vmcnt(4)
	v_fma_f64 v[128:129], v[147:148], v[131:132], v[125:126]
	ds_read2_b64 v[124:127], v124 offset0:121 offset1:122
	s_waitcnt vmcnt(3) lgkmcnt(0)
	v_fma_f64 v[124:125], v[151:152], v[124:125], v[128:129]
	s_waitcnt vmcnt(2)
	v_fma_f64 v[124:125], v[149:150], v[126:127], v[124:125]
	s_waitcnt vmcnt(0)
	v_add_f64 v[124:125], v[153:154], -v[124:125]
	buffer_store_dword v124, off, s[0:3], 0 offset:400
	buffer_store_dword v125, off, s[0:3], 0 offset:404
	s_and_saveexec_b64 s[4:5], vcc
	s_cbranch_execz .LBB124_275
; %bb.274:
	buffer_load_dword v124, off, s[0:3], 0 offset:392
	buffer_load_dword v125, off, s[0:3], 0 offset:396
	v_mov_b32_e32 v126, 0
	buffer_store_dword v126, off, s[0:3], 0 offset:392
	buffer_store_dword v126, off, s[0:3], 0 offset:396
	s_waitcnt vmcnt(2)
	ds_write_b64 v123, v[124:125]
.LBB124_275:
	s_or_b64 exec, exec, s[4:5]
	s_waitcnt lgkmcnt(0)
	; wave barrier
	buffer_load_dword v133, off, s[0:3], 0 offset:400
	buffer_load_dword v134, off, s[0:3], 0 offset:404
	;; [unrolled: 1-line block ×21, first 2 shown]
	v_mov_b32_e32 v124, 0
	ds_read_b128 v[125:128], v124 offset:896
	ds_read_b128 v[129:132], v124 offset:912
	buffer_load_dword v150, off, s[0:3], 0 offset:484
	v_cmp_lt_u32_e32 vcc, 48, v0
	s_waitcnt vmcnt(20) lgkmcnt(1)
	v_fma_f64 v[125:126], v[133:134], v[125:126], 0
	buffer_load_dword v133, off, s[0:3], 0 offset:392
	buffer_load_dword v134, off, s[0:3], 0 offset:396
	s_waitcnt vmcnt(20)
	v_fma_f64 v[125:126], v[135:136], v[127:128], v[125:126]
	s_waitcnt vmcnt(18) lgkmcnt(0)
	v_fma_f64 v[125:126], v[137:138], v[129:130], v[125:126]
	s_waitcnt vmcnt(16)
	v_fma_f64 v[135:136], v[139:140], v[131:132], v[125:126]
	ds_read_b128 v[125:128], v124 offset:928
	ds_read_b128 v[129:132], v124 offset:944
	s_waitcnt vmcnt(14) lgkmcnt(1)
	v_fma_f64 v[125:126], v[141:142], v[125:126], v[135:136]
	s_waitcnt vmcnt(12)
	v_fma_f64 v[125:126], v[143:144], v[127:128], v[125:126]
	s_waitcnt vmcnt(10) lgkmcnt(0)
	v_fma_f64 v[125:126], v[145:146], v[129:130], v[125:126]
	s_waitcnt vmcnt(5)
	v_fma_f64 v[129:130], v[147:148], v[131:132], v[125:126]
	ds_read_b128 v[125:128], v124 offset:960
	ds_read_b64 v[131:132], v124 offset:976
	s_waitcnt vmcnt(4) lgkmcnt(1)
	v_fma_f64 v[125:126], v[153:154], v[125:126], v[129:130]
	s_waitcnt vmcnt(3)
	v_fma_f64 v[125:126], v[151:152], v[127:128], v[125:126]
	s_waitcnt vmcnt(2) lgkmcnt(0)
	v_fma_f64 v[125:126], v[149:150], v[131:132], v[125:126]
	s_waitcnt vmcnt(0)
	v_add_f64 v[125:126], v[133:134], -v[125:126]
	buffer_store_dword v126, off, s[0:3], 0 offset:396
	buffer_store_dword v125, off, s[0:3], 0 offset:392
	s_and_saveexec_b64 s[4:5], vcc
	s_cbranch_execz .LBB124_277
; %bb.276:
	buffer_load_dword v125, off, s[0:3], 0 offset:384
	buffer_load_dword v126, off, s[0:3], 0 offset:388
	s_waitcnt vmcnt(0)
	ds_write_b64 v123, v[125:126]
	buffer_store_dword v124, off, s[0:3], 0 offset:384
	buffer_store_dword v124, off, s[0:3], 0 offset:388
.LBB124_277:
	s_or_b64 exec, exec, s[4:5]
	s_waitcnt lgkmcnt(0)
	; wave barrier
	buffer_load_dword v133, off, s[0:3], 0 offset:392
	buffer_load_dword v134, off, s[0:3], 0 offset:396
	;; [unrolled: 1-line block ×21, first 2 shown]
	ds_read2_b64 v[125:128], v124 offset0:111 offset1:112
	ds_read2_b64 v[129:132], v124 offset0:113 offset1:114
	buffer_load_dword v150, off, s[0:3], 0 offset:476
	v_cmp_lt_u32_e32 vcc, 47, v0
	s_waitcnt vmcnt(20) lgkmcnt(1)
	v_fma_f64 v[125:126], v[133:134], v[125:126], 0
	buffer_load_dword v134, off, s[0:3], 0 offset:484
	buffer_load_dword v133, off, s[0:3], 0 offset:480
	s_waitcnt vmcnt(20)
	v_fma_f64 v[125:126], v[135:136], v[127:128], v[125:126]
	buffer_load_dword v135, off, s[0:3], 0 offset:384
	buffer_load_dword v136, off, s[0:3], 0 offset:388
	s_waitcnt vmcnt(20) lgkmcnt(0)
	v_fma_f64 v[125:126], v[137:138], v[129:130], v[125:126]
	s_waitcnt vmcnt(18)
	v_fma_f64 v[137:138], v[139:140], v[131:132], v[125:126]
	ds_read2_b64 v[125:128], v124 offset0:115 offset1:116
	ds_read2_b64 v[129:132], v124 offset0:117 offset1:118
	s_waitcnt vmcnt(16) lgkmcnt(1)
	v_fma_f64 v[125:126], v[141:142], v[125:126], v[137:138]
	s_waitcnt vmcnt(14)
	v_fma_f64 v[125:126], v[143:144], v[127:128], v[125:126]
	s_waitcnt vmcnt(12) lgkmcnt(0)
	v_fma_f64 v[125:126], v[145:146], v[129:130], v[125:126]
	s_waitcnt vmcnt(7)
	v_fma_f64 v[137:138], v[147:148], v[131:132], v[125:126]
	ds_read2_b64 v[125:128], v124 offset0:119 offset1:120
	ds_read2_b64 v[129:132], v124 offset0:121 offset1:122
	s_waitcnt vmcnt(6) lgkmcnt(1)
	v_fma_f64 v[124:125], v[153:154], v[125:126], v[137:138]
	s_waitcnt vmcnt(5)
	v_fma_f64 v[124:125], v[151:152], v[127:128], v[124:125]
	s_waitcnt vmcnt(4) lgkmcnt(0)
	v_fma_f64 v[124:125], v[149:150], v[129:130], v[124:125]
	s_waitcnt vmcnt(2)
	v_fma_f64 v[124:125], v[133:134], v[131:132], v[124:125]
	s_waitcnt vmcnt(0)
	v_add_f64 v[124:125], v[135:136], -v[124:125]
	buffer_store_dword v125, off, s[0:3], 0 offset:388
	buffer_store_dword v124, off, s[0:3], 0 offset:384
	s_and_saveexec_b64 s[4:5], vcc
	s_cbranch_execz .LBB124_279
; %bb.278:
	buffer_load_dword v124, off, s[0:3], 0 offset:376
	buffer_load_dword v125, off, s[0:3], 0 offset:380
	v_mov_b32_e32 v126, 0
	buffer_store_dword v126, off, s[0:3], 0 offset:376
	buffer_store_dword v126, off, s[0:3], 0 offset:380
	s_waitcnt vmcnt(2)
	ds_write_b64 v123, v[124:125]
.LBB124_279:
	s_or_b64 exec, exec, s[4:5]
	s_waitcnt lgkmcnt(0)
	; wave barrier
	buffer_load_dword v133, off, s[0:3], 0 offset:384
	buffer_load_dword v134, off, s[0:3], 0 offset:388
	buffer_load_dword v135, off, s[0:3], 0 offset:392
	buffer_load_dword v136, off, s[0:3], 0 offset:396
	buffer_load_dword v137, off, s[0:3], 0 offset:400
	buffer_load_dword v138, off, s[0:3], 0 offset:404
	buffer_load_dword v139, off, s[0:3], 0 offset:408
	buffer_load_dword v140, off, s[0:3], 0 offset:412
	buffer_load_dword v141, off, s[0:3], 0 offset:416
	buffer_load_dword v142, off, s[0:3], 0 offset:420
	buffer_load_dword v143, off, s[0:3], 0 offset:424
	buffer_load_dword v144, off, s[0:3], 0 offset:428
	buffer_load_dword v145, off, s[0:3], 0 offset:432
	buffer_load_dword v146, off, s[0:3], 0 offset:436
	buffer_load_dword v148, off, s[0:3], 0 offset:444
	buffer_load_dword v149, off, s[0:3], 0 offset:464
	buffer_load_dword v151, off, s[0:3], 0 offset:456
	buffer_load_dword v153, off, s[0:3], 0 offset:448
	buffer_load_dword v147, off, s[0:3], 0 offset:440
	buffer_load_dword v154, off, s[0:3], 0 offset:452
	buffer_load_dword v152, off, s[0:3], 0 offset:460
	v_mov_b32_e32 v124, 0
	ds_read_b128 v[125:128], v124 offset:880
	ds_read_b128 v[129:132], v124 offset:896
	buffer_load_dword v150, off, s[0:3], 0 offset:468
	v_cmp_lt_u32_e32 vcc, 46, v0
	s_waitcnt vmcnt(20) lgkmcnt(1)
	v_fma_f64 v[125:126], v[133:134], v[125:126], 0
	s_waitcnt vmcnt(18)
	v_fma_f64 v[125:126], v[135:136], v[127:128], v[125:126]
	buffer_load_dword v134, off, s[0:3], 0 offset:476
	buffer_load_dword v135, off, s[0:3], 0 offset:480
	;; [unrolled: 1-line block ×4, first 2 shown]
	s_waitcnt vmcnt(20) lgkmcnt(0)
	v_fma_f64 v[125:126], v[137:138], v[129:130], v[125:126]
	buffer_load_dword v137, off, s[0:3], 0 offset:376
	buffer_load_dword v138, off, s[0:3], 0 offset:380
	s_waitcnt vmcnt(20)
	v_fma_f64 v[139:140], v[139:140], v[131:132], v[125:126]
	ds_read_b128 v[125:128], v124 offset:912
	ds_read_b128 v[129:132], v124 offset:928
	s_waitcnt vmcnt(18) lgkmcnt(1)
	v_fma_f64 v[125:126], v[141:142], v[125:126], v[139:140]
	s_waitcnt vmcnt(16)
	v_fma_f64 v[125:126], v[143:144], v[127:128], v[125:126]
	s_waitcnt vmcnt(14) lgkmcnt(0)
	v_fma_f64 v[125:126], v[145:146], v[129:130], v[125:126]
	s_waitcnt vmcnt(9)
	v_fma_f64 v[139:140], v[147:148], v[131:132], v[125:126]
	ds_read_b128 v[125:128], v124 offset:944
	ds_read_b128 v[129:132], v124 offset:960
	s_waitcnt vmcnt(8) lgkmcnt(1)
	v_fma_f64 v[125:126], v[153:154], v[125:126], v[139:140]
	s_waitcnt vmcnt(7)
	v_fma_f64 v[125:126], v[151:152], v[127:128], v[125:126]
	ds_read_b64 v[127:128], v124 offset:976
	s_waitcnt vmcnt(6) lgkmcnt(1)
	v_fma_f64 v[125:126], v[149:150], v[129:130], v[125:126]
	s_waitcnt vmcnt(3)
	v_fma_f64 v[125:126], v[133:134], v[131:132], v[125:126]
	s_waitcnt vmcnt(2) lgkmcnt(0)
	v_fma_f64 v[125:126], v[135:136], v[127:128], v[125:126]
	s_waitcnt vmcnt(0)
	v_add_f64 v[125:126], v[137:138], -v[125:126]
	buffer_store_dword v126, off, s[0:3], 0 offset:380
	buffer_store_dword v125, off, s[0:3], 0 offset:376
	s_and_saveexec_b64 s[4:5], vcc
	s_cbranch_execz .LBB124_281
; %bb.280:
	buffer_load_dword v125, off, s[0:3], 0 offset:368
	buffer_load_dword v126, off, s[0:3], 0 offset:372
	s_waitcnt vmcnt(0)
	ds_write_b64 v123, v[125:126]
	buffer_store_dword v124, off, s[0:3], 0 offset:368
	buffer_store_dword v124, off, s[0:3], 0 offset:372
.LBB124_281:
	s_or_b64 exec, exec, s[4:5]
	s_waitcnt lgkmcnt(0)
	; wave barrier
	buffer_load_dword v133, off, s[0:3], 0 offset:376
	buffer_load_dword v134, off, s[0:3], 0 offset:380
	;; [unrolled: 1-line block ×22, first 2 shown]
	ds_read2_b64 v[125:128], v124 offset0:109 offset1:110
	ds_read2_b64 v[129:132], v124 offset0:111 offset1:112
	v_cmp_lt_u32_e32 vcc, 45, v0
	s_waitcnt vmcnt(20) lgkmcnt(1)
	v_fma_f64 v[125:126], v[133:134], v[125:126], 0
	s_waitcnt vmcnt(18)
	v_fma_f64 v[125:126], v[135:136], v[127:128], v[125:126]
	buffer_load_dword v134, off, s[0:3], 0 offset:468
	buffer_load_dword v135, off, s[0:3], 0 offset:480
	;; [unrolled: 1-line block ×6, first 2 shown]
	s_waitcnt vmcnt(22) lgkmcnt(0)
	v_fma_f64 v[125:126], v[137:138], v[129:130], v[125:126]
	s_waitcnt vmcnt(20)
	v_fma_f64 v[137:138], v[139:140], v[131:132], v[125:126]
	ds_read2_b64 v[125:128], v124 offset0:113 offset1:114
	buffer_load_dword v139, off, s[0:3], 0 offset:368
	buffer_load_dword v140, off, s[0:3], 0 offset:372
	ds_read2_b64 v[129:132], v124 offset0:115 offset1:116
	s_waitcnt vmcnt(20) lgkmcnt(1)
	v_fma_f64 v[125:126], v[141:142], v[125:126], v[137:138]
	s_waitcnt vmcnt(18)
	v_fma_f64 v[125:126], v[143:144], v[127:128], v[125:126]
	s_waitcnt vmcnt(16) lgkmcnt(0)
	v_fma_f64 v[125:126], v[145:146], v[129:130], v[125:126]
	s_waitcnt vmcnt(11)
	v_fma_f64 v[137:138], v[147:148], v[131:132], v[125:126]
	ds_read2_b64 v[125:128], v124 offset0:117 offset1:118
	ds_read2_b64 v[129:132], v124 offset0:119 offset1:120
	s_waitcnt vmcnt(10) lgkmcnt(1)
	v_fma_f64 v[125:126], v[153:154], v[125:126], v[137:138]
	s_waitcnt vmcnt(9)
	v_fma_f64 v[125:126], v[151:152], v[127:128], v[125:126]
	s_waitcnt vmcnt(8) lgkmcnt(0)
	v_fma_f64 v[125:126], v[149:150], v[129:130], v[125:126]
	s_waitcnt vmcnt(4)
	v_fma_f64 v[128:129], v[133:134], v[131:132], v[125:126]
	ds_read2_b64 v[124:127], v124 offset0:121 offset1:122
	s_waitcnt vmcnt(3) lgkmcnt(0)
	v_fma_f64 v[124:125], v[155:156], v[124:125], v[128:129]
	s_waitcnt vmcnt(2)
	v_fma_f64 v[124:125], v[135:136], v[126:127], v[124:125]
	s_waitcnt vmcnt(0)
	v_add_f64 v[124:125], v[139:140], -v[124:125]
	buffer_store_dword v125, off, s[0:3], 0 offset:372
	buffer_store_dword v124, off, s[0:3], 0 offset:368
	s_and_saveexec_b64 s[4:5], vcc
	s_cbranch_execz .LBB124_283
; %bb.282:
	buffer_load_dword v124, off, s[0:3], 0 offset:360
	buffer_load_dword v125, off, s[0:3], 0 offset:364
	v_mov_b32_e32 v126, 0
	buffer_store_dword v126, off, s[0:3], 0 offset:360
	buffer_store_dword v126, off, s[0:3], 0 offset:364
	s_waitcnt vmcnt(2)
	ds_write_b64 v123, v[124:125]
.LBB124_283:
	s_or_b64 exec, exec, s[4:5]
	s_waitcnt lgkmcnt(0)
	; wave barrier
	buffer_load_dword v133, off, s[0:3], 0 offset:368
	buffer_load_dword v134, off, s[0:3], 0 offset:372
	;; [unrolled: 1-line block ×22, first 2 shown]
	v_mov_b32_e32 v124, 0
	ds_read_b128 v[125:128], v124 offset:864
	ds_read_b128 v[129:132], v124 offset:880
	v_cmp_lt_u32_e32 vcc, 44, v0
	s_waitcnt vmcnt(20) lgkmcnt(1)
	v_fma_f64 v[125:126], v[133:134], v[125:126], 0
	s_waitcnt vmcnt(18)
	v_fma_f64 v[125:126], v[135:136], v[127:128], v[125:126]
	buffer_load_dword v134, off, s[0:3], 0 offset:460
	buffer_load_dword v135, off, s[0:3], 0 offset:480
	;; [unrolled: 1-line block ×8, first 2 shown]
	s_waitcnt vmcnt(24) lgkmcnt(0)
	v_fma_f64 v[125:126], v[137:138], v[129:130], v[125:126]
	s_waitcnt vmcnt(22)
	v_fma_f64 v[137:138], v[139:140], v[131:132], v[125:126]
	ds_read_b128 v[125:128], v124 offset:896
	ds_read_b128 v[129:132], v124 offset:912
	s_waitcnt vmcnt(20) lgkmcnt(1)
	v_fma_f64 v[125:126], v[141:142], v[125:126], v[137:138]
	buffer_load_dword v137, off, s[0:3], 0 offset:360
	buffer_load_dword v138, off, s[0:3], 0 offset:364
	s_waitcnt vmcnt(20)
	v_fma_f64 v[125:126], v[143:144], v[127:128], v[125:126]
	s_waitcnt vmcnt(18) lgkmcnt(0)
	v_fma_f64 v[125:126], v[145:146], v[129:130], v[125:126]
	s_waitcnt vmcnt(13)
	v_fma_f64 v[139:140], v[147:148], v[131:132], v[125:126]
	ds_read_b128 v[125:128], v124 offset:928
	ds_read_b128 v[129:132], v124 offset:944
	s_waitcnt vmcnt(12) lgkmcnt(1)
	v_fma_f64 v[125:126], v[153:154], v[125:126], v[139:140]
	s_waitcnt vmcnt(11)
	v_fma_f64 v[125:126], v[151:152], v[127:128], v[125:126]
	s_waitcnt vmcnt(10) lgkmcnt(0)
	v_fma_f64 v[125:126], v[149:150], v[129:130], v[125:126]
	s_waitcnt vmcnt(5)
	v_fma_f64 v[129:130], v[133:134], v[131:132], v[125:126]
	ds_read_b128 v[125:128], v124 offset:960
	ds_read_b64 v[131:132], v124 offset:976
	s_waitcnt vmcnt(4) lgkmcnt(1)
	v_fma_f64 v[125:126], v[157:158], v[125:126], v[129:130]
	s_waitcnt vmcnt(3)
	v_fma_f64 v[125:126], v[155:156], v[127:128], v[125:126]
	s_waitcnt vmcnt(2) lgkmcnt(0)
	v_fma_f64 v[125:126], v[135:136], v[131:132], v[125:126]
	s_waitcnt vmcnt(0)
	v_add_f64 v[125:126], v[137:138], -v[125:126]
	buffer_store_dword v126, off, s[0:3], 0 offset:364
	buffer_store_dword v125, off, s[0:3], 0 offset:360
	s_and_saveexec_b64 s[4:5], vcc
	s_cbranch_execz .LBB124_285
; %bb.284:
	buffer_load_dword v125, off, s[0:3], 0 offset:352
	buffer_load_dword v126, off, s[0:3], 0 offset:356
	s_waitcnt vmcnt(0)
	ds_write_b64 v123, v[125:126]
	buffer_store_dword v124, off, s[0:3], 0 offset:352
	buffer_store_dword v124, off, s[0:3], 0 offset:356
.LBB124_285:
	s_or_b64 exec, exec, s[4:5]
	s_waitcnt lgkmcnt(0)
	; wave barrier
	buffer_load_dword v133, off, s[0:3], 0 offset:360
	buffer_load_dword v134, off, s[0:3], 0 offset:364
	;; [unrolled: 1-line block ×22, first 2 shown]
	ds_read2_b64 v[125:128], v124 offset0:107 offset1:108
	ds_read2_b64 v[129:132], v124 offset0:109 offset1:110
	v_cmp_lt_u32_e32 vcc, 43, v0
	s_waitcnt vmcnt(20) lgkmcnt(1)
	v_fma_f64 v[125:126], v[133:134], v[125:126], 0
	s_waitcnt vmcnt(18)
	v_fma_f64 v[125:126], v[135:136], v[127:128], v[125:126]
	buffer_load_dword v134, off, s[0:3], 0 offset:452
	buffer_load_dword v135, off, s[0:3], 0 offset:472
	;; [unrolled: 1-line block ×8, first 2 shown]
	s_waitcnt vmcnt(24) lgkmcnt(0)
	v_fma_f64 v[125:126], v[137:138], v[129:130], v[125:126]
	s_waitcnt vmcnt(22)
	v_fma_f64 v[137:138], v[139:140], v[131:132], v[125:126]
	ds_read2_b64 v[125:128], v124 offset0:111 offset1:112
	ds_read2_b64 v[129:132], v124 offset0:113 offset1:114
	s_waitcnt vmcnt(20) lgkmcnt(1)
	v_fma_f64 v[125:126], v[141:142], v[125:126], v[137:138]
	buffer_load_dword v138, off, s[0:3], 0 offset:484
	buffer_load_dword v137, off, s[0:3], 0 offset:480
	;; [unrolled: 1-line block ×4, first 2 shown]
	s_waitcnt vmcnt(22)
	v_fma_f64 v[125:126], v[143:144], v[127:128], v[125:126]
	s_waitcnt vmcnt(20) lgkmcnt(0)
	v_fma_f64 v[125:126], v[145:146], v[129:130], v[125:126]
	s_waitcnt vmcnt(15)
	v_fma_f64 v[141:142], v[147:148], v[131:132], v[125:126]
	ds_read2_b64 v[125:128], v124 offset0:115 offset1:116
	ds_read2_b64 v[129:132], v124 offset0:117 offset1:118
	s_waitcnt vmcnt(14) lgkmcnt(1)
	v_fma_f64 v[125:126], v[153:154], v[125:126], v[141:142]
	s_waitcnt vmcnt(13)
	v_fma_f64 v[125:126], v[151:152], v[127:128], v[125:126]
	s_waitcnt vmcnt(12) lgkmcnt(0)
	v_fma_f64 v[125:126], v[149:150], v[129:130], v[125:126]
	s_waitcnt vmcnt(7)
	v_fma_f64 v[133:134], v[133:134], v[131:132], v[125:126]
	ds_read2_b64 v[125:128], v124 offset0:119 offset1:120
	ds_read2_b64 v[129:132], v124 offset0:121 offset1:122
	s_waitcnt vmcnt(6) lgkmcnt(1)
	v_fma_f64 v[124:125], v[157:158], v[125:126], v[133:134]
	s_waitcnt vmcnt(5)
	v_fma_f64 v[124:125], v[155:156], v[127:128], v[124:125]
	s_waitcnt vmcnt(4) lgkmcnt(0)
	v_fma_f64 v[124:125], v[135:136], v[129:130], v[124:125]
	s_waitcnt vmcnt(2)
	v_fma_f64 v[124:125], v[137:138], v[131:132], v[124:125]
	s_waitcnt vmcnt(0)
	v_add_f64 v[124:125], v[139:140], -v[124:125]
	buffer_store_dword v125, off, s[0:3], 0 offset:356
	buffer_store_dword v124, off, s[0:3], 0 offset:352
	s_and_saveexec_b64 s[4:5], vcc
	s_cbranch_execz .LBB124_287
; %bb.286:
	buffer_load_dword v124, off, s[0:3], 0 offset:344
	buffer_load_dword v125, off, s[0:3], 0 offset:348
	v_mov_b32_e32 v126, 0
	buffer_store_dword v126, off, s[0:3], 0 offset:344
	buffer_store_dword v126, off, s[0:3], 0 offset:348
	s_waitcnt vmcnt(2)
	ds_write_b64 v123, v[124:125]
.LBB124_287:
	s_or_b64 exec, exec, s[4:5]
	s_waitcnt lgkmcnt(0)
	; wave barrier
	buffer_load_dword v133, off, s[0:3], 0 offset:352
	buffer_load_dword v134, off, s[0:3], 0 offset:356
	;; [unrolled: 1-line block ×22, first 2 shown]
	v_mov_b32_e32 v124, 0
	ds_read_b128 v[125:128], v124 offset:848
	ds_read_b128 v[129:132], v124 offset:864
	v_cmp_lt_u32_e32 vcc, 42, v0
	s_waitcnt vmcnt(20) lgkmcnt(1)
	v_fma_f64 v[125:126], v[133:134], v[125:126], 0
	s_waitcnt vmcnt(18)
	v_fma_f64 v[125:126], v[135:136], v[127:128], v[125:126]
	buffer_load_dword v134, off, s[0:3], 0 offset:444
	buffer_load_dword v135, off, s[0:3], 0 offset:464
	;; [unrolled: 1-line block ×7, first 2 shown]
	s_waitcnt vmcnt(23) lgkmcnt(0)
	v_fma_f64 v[125:126], v[137:138], v[129:130], v[125:126]
	s_waitcnt vmcnt(21)
	v_fma_f64 v[136:137], v[139:140], v[131:132], v[125:126]
	ds_read_b128 v[125:128], v124 offset:880
	ds_read_b128 v[129:132], v124 offset:896
	s_waitcnt vmcnt(19) lgkmcnt(1)
	v_fma_f64 v[125:126], v[141:142], v[125:126], v[136:137]
	buffer_load_dword v136, off, s[0:3], 0 offset:468
	buffer_load_dword v138, off, s[0:3], 0 offset:476
	;; [unrolled: 1-line block ×7, first 2 shown]
	s_waitcnt vmcnt(24)
	v_fma_f64 v[125:126], v[143:144], v[127:128], v[125:126]
	s_waitcnt vmcnt(22) lgkmcnt(0)
	v_fma_f64 v[125:126], v[145:146], v[129:130], v[125:126]
	s_waitcnt vmcnt(17)
	v_fma_f64 v[143:144], v[147:148], v[131:132], v[125:126]
	ds_read_b128 v[125:128], v124 offset:912
	ds_read_b128 v[129:132], v124 offset:928
	s_waitcnt vmcnt(16) lgkmcnt(1)
	v_fma_f64 v[125:126], v[153:154], v[125:126], v[143:144]
	s_waitcnt vmcnt(15)
	v_fma_f64 v[125:126], v[151:152], v[127:128], v[125:126]
	s_waitcnt vmcnt(14) lgkmcnt(0)
	v_fma_f64 v[125:126], v[149:150], v[129:130], v[125:126]
	s_waitcnt vmcnt(9)
	v_fma_f64 v[133:134], v[133:134], v[131:132], v[125:126]
	ds_read_b128 v[125:128], v124 offset:944
	ds_read_b128 v[129:132], v124 offset:960
	s_waitcnt vmcnt(8) lgkmcnt(1)
	v_fma_f64 v[125:126], v[157:158], v[125:126], v[133:134]
	s_waitcnt vmcnt(7)
	v_fma_f64 v[125:126], v[155:156], v[127:128], v[125:126]
	ds_read_b64 v[127:128], v124 offset:976
	s_waitcnt vmcnt(6) lgkmcnt(1)
	v_fma_f64 v[125:126], v[135:136], v[129:130], v[125:126]
	s_waitcnt vmcnt(3)
	v_fma_f64 v[125:126], v[137:138], v[131:132], v[125:126]
	s_waitcnt vmcnt(2) lgkmcnt(0)
	v_fma_f64 v[125:126], v[139:140], v[127:128], v[125:126]
	s_waitcnt vmcnt(0)
	v_add_f64 v[125:126], v[141:142], -v[125:126]
	buffer_store_dword v126, off, s[0:3], 0 offset:348
	buffer_store_dword v125, off, s[0:3], 0 offset:344
	s_and_saveexec_b64 s[4:5], vcc
	s_cbranch_execz .LBB124_289
; %bb.288:
	buffer_load_dword v125, off, s[0:3], 0 offset:336
	buffer_load_dword v126, off, s[0:3], 0 offset:340
	s_waitcnt vmcnt(0)
	ds_write_b64 v123, v[125:126]
	buffer_store_dword v124, off, s[0:3], 0 offset:336
	buffer_store_dword v124, off, s[0:3], 0 offset:340
.LBB124_289:
	s_or_b64 exec, exec, s[4:5]
	s_waitcnt lgkmcnt(0)
	; wave barrier
	buffer_load_dword v133, off, s[0:3], 0 offset:344
	buffer_load_dword v134, off, s[0:3], 0 offset:348
	;; [unrolled: 1-line block ×22, first 2 shown]
	ds_read2_b64 v[125:128], v124 offset0:105 offset1:106
	ds_read2_b64 v[129:132], v124 offset0:107 offset1:108
	v_cmp_lt_u32_e32 vcc, 41, v0
	s_waitcnt vmcnt(20) lgkmcnt(1)
	v_fma_f64 v[125:126], v[133:134], v[125:126], 0
	s_waitcnt vmcnt(18)
	v_fma_f64 v[125:126], v[135:136], v[127:128], v[125:126]
	buffer_load_dword v134, off, s[0:3], 0 offset:436
	buffer_load_dword v135, off, s[0:3], 0 offset:456
	;; [unrolled: 1-line block ×7, first 2 shown]
	s_waitcnt vmcnt(23) lgkmcnt(0)
	v_fma_f64 v[125:126], v[137:138], v[129:130], v[125:126]
	s_waitcnt vmcnt(21)
	v_fma_f64 v[136:137], v[139:140], v[131:132], v[125:126]
	ds_read2_b64 v[125:128], v124 offset0:109 offset1:110
	ds_read2_b64 v[129:132], v124 offset0:111 offset1:112
	s_waitcnt vmcnt(19) lgkmcnt(1)
	v_fma_f64 v[125:126], v[141:142], v[125:126], v[136:137]
	buffer_load_dword v136, off, s[0:3], 0 offset:460
	buffer_load_dword v138, off, s[0:3], 0 offset:468
	;; [unrolled: 1-line block ×7, first 2 shown]
	s_waitcnt vmcnt(24)
	v_fma_f64 v[125:126], v[143:144], v[127:128], v[125:126]
	s_waitcnt vmcnt(22) lgkmcnt(0)
	v_fma_f64 v[125:126], v[145:146], v[129:130], v[125:126]
	s_waitcnt vmcnt(17)
	v_fma_f64 v[143:144], v[147:148], v[131:132], v[125:126]
	ds_read2_b64 v[125:128], v124 offset0:113 offset1:114
	buffer_load_dword v145, off, s[0:3], 0 offset:336
	buffer_load_dword v146, off, s[0:3], 0 offset:340
	ds_read2_b64 v[129:132], v124 offset0:115 offset1:116
	s_waitcnt vmcnt(18) lgkmcnt(1)
	v_fma_f64 v[125:126], v[153:154], v[125:126], v[143:144]
	s_waitcnt vmcnt(17)
	v_fma_f64 v[125:126], v[151:152], v[127:128], v[125:126]
	s_waitcnt vmcnt(16) lgkmcnt(0)
	v_fma_f64 v[125:126], v[149:150], v[129:130], v[125:126]
	s_waitcnt vmcnt(11)
	v_fma_f64 v[133:134], v[133:134], v[131:132], v[125:126]
	ds_read2_b64 v[125:128], v124 offset0:117 offset1:118
	ds_read2_b64 v[129:132], v124 offset0:119 offset1:120
	s_waitcnt vmcnt(10) lgkmcnt(1)
	v_fma_f64 v[125:126], v[157:158], v[125:126], v[133:134]
	s_waitcnt vmcnt(9)
	v_fma_f64 v[125:126], v[155:156], v[127:128], v[125:126]
	s_waitcnt vmcnt(8) lgkmcnt(0)
	v_fma_f64 v[125:126], v[135:136], v[129:130], v[125:126]
	s_waitcnt vmcnt(4)
	v_fma_f64 v[128:129], v[137:138], v[131:132], v[125:126]
	ds_read2_b64 v[124:127], v124 offset0:121 offset1:122
	s_waitcnt vmcnt(3) lgkmcnt(0)
	v_fma_f64 v[124:125], v[141:142], v[124:125], v[128:129]
	s_waitcnt vmcnt(2)
	v_fma_f64 v[124:125], v[139:140], v[126:127], v[124:125]
	s_waitcnt vmcnt(0)
	v_add_f64 v[124:125], v[145:146], -v[124:125]
	buffer_store_dword v125, off, s[0:3], 0 offset:340
	buffer_store_dword v124, off, s[0:3], 0 offset:336
	s_and_saveexec_b64 s[4:5], vcc
	s_cbranch_execz .LBB124_291
; %bb.290:
	buffer_load_dword v124, off, s[0:3], 0 offset:328
	buffer_load_dword v125, off, s[0:3], 0 offset:332
	v_mov_b32_e32 v126, 0
	buffer_store_dword v126, off, s[0:3], 0 offset:328
	buffer_store_dword v126, off, s[0:3], 0 offset:332
	s_waitcnt vmcnt(2)
	ds_write_b64 v123, v[124:125]
.LBB124_291:
	s_or_b64 exec, exec, s[4:5]
	s_waitcnt lgkmcnt(0)
	; wave barrier
	buffer_load_dword v133, off, s[0:3], 0 offset:336
	buffer_load_dword v134, off, s[0:3], 0 offset:340
	;; [unrolled: 1-line block ×22, first 2 shown]
	v_mov_b32_e32 v124, 0
	ds_read_b128 v[125:128], v124 offset:832
	ds_read_b128 v[129:132], v124 offset:848
	v_cmp_lt_u32_e32 vcc, 40, v0
	s_waitcnt vmcnt(20) lgkmcnt(1)
	v_fma_f64 v[125:126], v[133:134], v[125:126], 0
	s_waitcnt vmcnt(18)
	v_fma_f64 v[125:126], v[135:136], v[127:128], v[125:126]
	buffer_load_dword v134, off, s[0:3], 0 offset:428
	buffer_load_dword v135, off, s[0:3], 0 offset:448
	;; [unrolled: 1-line block ×7, first 2 shown]
	s_waitcnt vmcnt(23) lgkmcnt(0)
	v_fma_f64 v[125:126], v[137:138], v[129:130], v[125:126]
	s_waitcnt vmcnt(21)
	v_fma_f64 v[136:137], v[139:140], v[131:132], v[125:126]
	ds_read_b128 v[125:128], v124 offset:864
	ds_read_b128 v[129:132], v124 offset:880
	s_waitcnt vmcnt(19) lgkmcnt(1)
	v_fma_f64 v[125:126], v[141:142], v[125:126], v[136:137]
	buffer_load_dword v136, off, s[0:3], 0 offset:452
	s_waitcnt vmcnt(18)
	v_fma_f64 v[125:126], v[143:144], v[127:128], v[125:126]
	buffer_load_dword v138, off, s[0:3], 0 offset:460
	buffer_load_dword v139, off, s[0:3], 0 offset:480
	;; [unrolled: 1-line block ×8, first 2 shown]
	s_waitcnt vmcnt(24) lgkmcnt(0)
	v_fma_f64 v[125:126], v[145:146], v[129:130], v[125:126]
	s_waitcnt vmcnt(19)
	v_fma_f64 v[145:146], v[147:148], v[131:132], v[125:126]
	ds_read_b128 v[125:128], v124 offset:896
	ds_read_b128 v[129:132], v124 offset:912
	s_waitcnt vmcnt(18) lgkmcnt(1)
	v_fma_f64 v[125:126], v[153:154], v[125:126], v[145:146]
	buffer_load_dword v145, off, s[0:3], 0 offset:328
	buffer_load_dword v146, off, s[0:3], 0 offset:332
	s_waitcnt vmcnt(19)
	v_fma_f64 v[125:126], v[151:152], v[127:128], v[125:126]
	s_waitcnt vmcnt(18) lgkmcnt(0)
	v_fma_f64 v[125:126], v[149:150], v[129:130], v[125:126]
	s_waitcnt vmcnt(13)
	v_fma_f64 v[133:134], v[133:134], v[131:132], v[125:126]
	ds_read_b128 v[125:128], v124 offset:928
	ds_read_b128 v[129:132], v124 offset:944
	s_waitcnt vmcnt(12) lgkmcnt(1)
	v_fma_f64 v[125:126], v[157:158], v[125:126], v[133:134]
	s_waitcnt vmcnt(11)
	v_fma_f64 v[125:126], v[155:156], v[127:128], v[125:126]
	s_waitcnt vmcnt(10) lgkmcnt(0)
	v_fma_f64 v[125:126], v[135:136], v[129:130], v[125:126]
	s_waitcnt vmcnt(5)
	v_fma_f64 v[129:130], v[137:138], v[131:132], v[125:126]
	ds_read_b128 v[125:128], v124 offset:960
	ds_read_b64 v[131:132], v124 offset:976
	s_waitcnt vmcnt(4) lgkmcnt(1)
	v_fma_f64 v[125:126], v[143:144], v[125:126], v[129:130]
	s_waitcnt vmcnt(3)
	v_fma_f64 v[125:126], v[141:142], v[127:128], v[125:126]
	s_waitcnt vmcnt(2) lgkmcnt(0)
	v_fma_f64 v[125:126], v[139:140], v[131:132], v[125:126]
	s_waitcnt vmcnt(0)
	v_add_f64 v[125:126], v[145:146], -v[125:126]
	buffer_store_dword v126, off, s[0:3], 0 offset:332
	buffer_store_dword v125, off, s[0:3], 0 offset:328
	s_and_saveexec_b64 s[4:5], vcc
	s_cbranch_execz .LBB124_293
; %bb.292:
	buffer_load_dword v125, off, s[0:3], 0 offset:320
	buffer_load_dword v126, off, s[0:3], 0 offset:324
	s_waitcnt vmcnt(0)
	ds_write_b64 v123, v[125:126]
	buffer_store_dword v124, off, s[0:3], 0 offset:320
	buffer_store_dword v124, off, s[0:3], 0 offset:324
.LBB124_293:
	s_or_b64 exec, exec, s[4:5]
	s_waitcnt lgkmcnt(0)
	; wave barrier
	buffer_load_dword v133, off, s[0:3], 0 offset:328
	buffer_load_dword v134, off, s[0:3], 0 offset:332
	;; [unrolled: 1-line block ×22, first 2 shown]
	ds_read2_b64 v[125:128], v124 offset0:103 offset1:104
	ds_read2_b64 v[129:132], v124 offset0:105 offset1:106
	v_cmp_lt_u32_e32 vcc, 39, v0
	s_waitcnt vmcnt(20) lgkmcnt(1)
	v_fma_f64 v[125:126], v[133:134], v[125:126], 0
	s_waitcnt vmcnt(18)
	v_fma_f64 v[125:126], v[135:136], v[127:128], v[125:126]
	buffer_load_dword v134, off, s[0:3], 0 offset:420
	buffer_load_dword v135, off, s[0:3], 0 offset:440
	;; [unrolled: 1-line block ×7, first 2 shown]
	s_waitcnt vmcnt(23) lgkmcnt(0)
	v_fma_f64 v[125:126], v[137:138], v[129:130], v[125:126]
	s_waitcnt vmcnt(21)
	v_fma_f64 v[136:137], v[139:140], v[131:132], v[125:126]
	ds_read2_b64 v[125:128], v124 offset0:107 offset1:108
	ds_read2_b64 v[129:132], v124 offset0:109 offset1:110
	s_waitcnt vmcnt(19) lgkmcnt(1)
	v_fma_f64 v[125:126], v[141:142], v[125:126], v[136:137]
	buffer_load_dword v136, off, s[0:3], 0 offset:444
	s_waitcnt vmcnt(18)
	v_fma_f64 v[125:126], v[143:144], v[127:128], v[125:126]
	buffer_load_dword v138, off, s[0:3], 0 offset:452
	buffer_load_dword v139, off, s[0:3], 0 offset:472
	;; [unrolled: 1-line block ×8, first 2 shown]
	s_waitcnt vmcnt(24) lgkmcnt(0)
	v_fma_f64 v[125:126], v[145:146], v[129:130], v[125:126]
	s_waitcnt vmcnt(19)
	v_fma_f64 v[145:146], v[147:148], v[131:132], v[125:126]
	ds_read2_b64 v[125:128], v124 offset0:111 offset1:112
	ds_read2_b64 v[129:132], v124 offset0:113 offset1:114
	s_waitcnt vmcnt(18) lgkmcnt(1)
	v_fma_f64 v[125:126], v[153:154], v[125:126], v[145:146]
	buffer_load_dword v146, off, s[0:3], 0 offset:484
	buffer_load_dword v145, off, s[0:3], 0 offset:480
	;; [unrolled: 1-line block ×4, first 2 shown]
	s_waitcnt vmcnt(21)
	v_fma_f64 v[125:126], v[151:152], v[127:128], v[125:126]
	s_waitcnt vmcnt(20) lgkmcnt(0)
	v_fma_f64 v[125:126], v[149:150], v[129:130], v[125:126]
	s_waitcnt vmcnt(15)
	v_fma_f64 v[133:134], v[133:134], v[131:132], v[125:126]
	ds_read2_b64 v[125:128], v124 offset0:115 offset1:116
	ds_read2_b64 v[129:132], v124 offset0:117 offset1:118
	s_waitcnt vmcnt(14) lgkmcnt(1)
	v_fma_f64 v[125:126], v[157:158], v[125:126], v[133:134]
	s_waitcnt vmcnt(13)
	v_fma_f64 v[125:126], v[155:156], v[127:128], v[125:126]
	s_waitcnt vmcnt(12) lgkmcnt(0)
	v_fma_f64 v[125:126], v[135:136], v[129:130], v[125:126]
	s_waitcnt vmcnt(7)
	v_fma_f64 v[133:134], v[137:138], v[131:132], v[125:126]
	ds_read2_b64 v[125:128], v124 offset0:119 offset1:120
	ds_read2_b64 v[129:132], v124 offset0:121 offset1:122
	s_waitcnt vmcnt(6) lgkmcnt(1)
	v_fma_f64 v[124:125], v[143:144], v[125:126], v[133:134]
	s_waitcnt vmcnt(5)
	v_fma_f64 v[124:125], v[141:142], v[127:128], v[124:125]
	s_waitcnt vmcnt(4) lgkmcnt(0)
	v_fma_f64 v[124:125], v[139:140], v[129:130], v[124:125]
	s_waitcnt vmcnt(2)
	v_fma_f64 v[124:125], v[145:146], v[131:132], v[124:125]
	s_waitcnt vmcnt(0)
	v_add_f64 v[124:125], v[147:148], -v[124:125]
	buffer_store_dword v125, off, s[0:3], 0 offset:324
	buffer_store_dword v124, off, s[0:3], 0 offset:320
	s_and_saveexec_b64 s[4:5], vcc
	s_cbranch_execz .LBB124_295
; %bb.294:
	buffer_load_dword v124, off, s[0:3], 0 offset:312
	buffer_load_dword v125, off, s[0:3], 0 offset:316
	v_mov_b32_e32 v126, 0
	buffer_store_dword v126, off, s[0:3], 0 offset:312
	buffer_store_dword v126, off, s[0:3], 0 offset:316
	s_waitcnt vmcnt(2)
	ds_write_b64 v123, v[124:125]
.LBB124_295:
	s_or_b64 exec, exec, s[4:5]
	s_waitcnt lgkmcnt(0)
	; wave barrier
	buffer_load_dword v133, off, s[0:3], 0 offset:320
	buffer_load_dword v134, off, s[0:3], 0 offset:324
	;; [unrolled: 1-line block ×21, first 2 shown]
	v_mov_b32_e32 v124, 0
	ds_read_b128 v[125:128], v124 offset:816
	ds_read_b128 v[129:132], v124 offset:832
	buffer_load_dword v150, off, s[0:3], 0 offset:404
	v_cmp_lt_u32_e32 vcc, 38, v0
	s_waitcnt vmcnt(20) lgkmcnt(1)
	v_fma_f64 v[125:126], v[133:134], v[125:126], 0
	s_waitcnt vmcnt(18)
	v_fma_f64 v[125:126], v[135:136], v[127:128], v[125:126]
	buffer_load_dword v134, off, s[0:3], 0 offset:412
	buffer_load_dword v135, off, s[0:3], 0 offset:432
	;; [unrolled: 1-line block ×7, first 2 shown]
	s_waitcnt vmcnt(23) lgkmcnt(0)
	v_fma_f64 v[125:126], v[137:138], v[129:130], v[125:126]
	s_waitcnt vmcnt(21)
	v_fma_f64 v[136:137], v[139:140], v[131:132], v[125:126]
	ds_read_b128 v[125:128], v124 offset:848
	ds_read_b128 v[129:132], v124 offset:864
	s_waitcnt vmcnt(19) lgkmcnt(1)
	v_fma_f64 v[125:126], v[141:142], v[125:126], v[136:137]
	buffer_load_dword v136, off, s[0:3], 0 offset:436
	s_waitcnt vmcnt(18)
	v_fma_f64 v[125:126], v[143:144], v[127:128], v[125:126]
	buffer_load_dword v138, off, s[0:3], 0 offset:444
	buffer_load_dword v139, off, s[0:3], 0 offset:464
	;; [unrolled: 1-line block ×7, first 2 shown]
	s_waitcnt vmcnt(23) lgkmcnt(0)
	v_fma_f64 v[125:126], v[145:146], v[129:130], v[125:126]
	s_waitcnt vmcnt(18)
	v_fma_f64 v[145:146], v[147:148], v[131:132], v[125:126]
	ds_read_b128 v[125:128], v124 offset:880
	ds_read_b128 v[129:132], v124 offset:896
	buffer_load_dword v140, off, s[0:3], 0 offset:468
	s_waitcnt vmcnt(18) lgkmcnt(1)
	v_fma_f64 v[125:126], v[153:154], v[125:126], v[145:146]
	buffer_load_dword v146, off, s[0:3], 0 offset:476
	buffer_load_dword v147, off, s[0:3], 0 offset:480
	;; [unrolled: 1-line block ×4, first 2 shown]
	s_waitcnt vmcnt(21)
	v_fma_f64 v[125:126], v[151:152], v[127:128], v[125:126]
	s_waitcnt vmcnt(20) lgkmcnt(0)
	v_fma_f64 v[125:126], v[149:150], v[129:130], v[125:126]
	buffer_load_dword v149, off, s[0:3], 0 offset:312
	buffer_load_dword v150, off, s[0:3], 0 offset:316
	s_waitcnt vmcnt(17)
	v_fma_f64 v[133:134], v[133:134], v[131:132], v[125:126]
	ds_read_b128 v[125:128], v124 offset:912
	ds_read_b128 v[129:132], v124 offset:928
	s_waitcnt vmcnt(16) lgkmcnt(1)
	v_fma_f64 v[125:126], v[157:158], v[125:126], v[133:134]
	s_waitcnt vmcnt(15)
	v_fma_f64 v[125:126], v[155:156], v[127:128], v[125:126]
	s_waitcnt vmcnt(14) lgkmcnt(0)
	v_fma_f64 v[125:126], v[135:136], v[129:130], v[125:126]
	s_waitcnt vmcnt(9)
	v_fma_f64 v[133:134], v[137:138], v[131:132], v[125:126]
	ds_read_b128 v[125:128], v124 offset:944
	ds_read_b128 v[129:132], v124 offset:960
	s_waitcnt vmcnt(8) lgkmcnt(1)
	v_fma_f64 v[125:126], v[143:144], v[125:126], v[133:134]
	s_waitcnt vmcnt(7)
	v_fma_f64 v[125:126], v[141:142], v[127:128], v[125:126]
	ds_read_b64 v[127:128], v124 offset:976
	s_waitcnt vmcnt(6) lgkmcnt(1)
	v_fma_f64 v[125:126], v[139:140], v[129:130], v[125:126]
	s_waitcnt vmcnt(3)
	v_fma_f64 v[125:126], v[145:146], v[131:132], v[125:126]
	s_waitcnt vmcnt(2) lgkmcnt(0)
	v_fma_f64 v[125:126], v[147:148], v[127:128], v[125:126]
	s_waitcnt vmcnt(0)
	v_add_f64 v[125:126], v[149:150], -v[125:126]
	buffer_store_dword v126, off, s[0:3], 0 offset:316
	buffer_store_dword v125, off, s[0:3], 0 offset:312
	s_and_saveexec_b64 s[4:5], vcc
	s_cbranch_execz .LBB124_297
; %bb.296:
	buffer_load_dword v125, off, s[0:3], 0 offset:304
	buffer_load_dword v126, off, s[0:3], 0 offset:308
	s_waitcnt vmcnt(0)
	ds_write_b64 v123, v[125:126]
	buffer_store_dword v124, off, s[0:3], 0 offset:304
	buffer_store_dword v124, off, s[0:3], 0 offset:308
.LBB124_297:
	s_or_b64 exec, exec, s[4:5]
	s_waitcnt lgkmcnt(0)
	; wave barrier
	buffer_load_dword v133, off, s[0:3], 0 offset:312
	buffer_load_dword v134, off, s[0:3], 0 offset:316
	;; [unrolled: 1-line block ×21, first 2 shown]
	ds_read2_b64 v[125:128], v124 offset0:101 offset1:102
	ds_read2_b64 v[129:132], v124 offset0:103 offset1:104
	buffer_load_dword v150, off, s[0:3], 0 offset:396
	v_cmp_lt_u32_e32 vcc, 37, v0
	s_waitcnt vmcnt(20) lgkmcnt(1)
	v_fma_f64 v[125:126], v[133:134], v[125:126], 0
	s_waitcnt vmcnt(18)
	v_fma_f64 v[125:126], v[135:136], v[127:128], v[125:126]
	buffer_load_dword v134, off, s[0:3], 0 offset:404
	buffer_load_dword v135, off, s[0:3], 0 offset:424
	;; [unrolled: 1-line block ×7, first 2 shown]
	s_waitcnt vmcnt(23) lgkmcnt(0)
	v_fma_f64 v[125:126], v[137:138], v[129:130], v[125:126]
	s_waitcnt vmcnt(21)
	v_fma_f64 v[136:137], v[139:140], v[131:132], v[125:126]
	ds_read2_b64 v[125:128], v124 offset0:105 offset1:106
	ds_read2_b64 v[129:132], v124 offset0:107 offset1:108
	s_waitcnt vmcnt(19) lgkmcnt(1)
	v_fma_f64 v[125:126], v[141:142], v[125:126], v[136:137]
	buffer_load_dword v136, off, s[0:3], 0 offset:428
	s_waitcnt vmcnt(18)
	v_fma_f64 v[125:126], v[143:144], v[127:128], v[125:126]
	buffer_load_dword v138, off, s[0:3], 0 offset:436
	buffer_load_dword v139, off, s[0:3], 0 offset:456
	;; [unrolled: 1-line block ×8, first 2 shown]
	s_waitcnt vmcnt(24) lgkmcnt(0)
	v_fma_f64 v[125:126], v[145:146], v[129:130], v[125:126]
	s_waitcnt vmcnt(19)
	v_fma_f64 v[145:146], v[147:148], v[131:132], v[125:126]
	ds_read2_b64 v[125:128], v124 offset0:109 offset1:110
	ds_read2_b64 v[129:132], v124 offset0:111 offset1:112
	s_waitcnt vmcnt(18) lgkmcnt(1)
	v_fma_f64 v[125:126], v[153:154], v[125:126], v[145:146]
	s_waitcnt vmcnt(17)
	v_fma_f64 v[125:126], v[151:152], v[127:128], v[125:126]
	buffer_load_dword v146, off, s[0:3], 0 offset:468
	buffer_load_dword v147, off, s[0:3], 0 offset:480
	;; [unrolled: 1-line block ×6, first 2 shown]
	s_waitcnt vmcnt(22) lgkmcnt(0)
	v_fma_f64 v[125:126], v[149:150], v[129:130], v[125:126]
	s_waitcnt vmcnt(17)
	v_fma_f64 v[133:134], v[133:134], v[131:132], v[125:126]
	ds_read2_b64 v[125:128], v124 offset0:113 offset1:114
	buffer_load_dword v149, off, s[0:3], 0 offset:304
	buffer_load_dword v150, off, s[0:3], 0 offset:308
	ds_read2_b64 v[129:132], v124 offset0:115 offset1:116
	s_waitcnt vmcnt(18) lgkmcnt(1)
	v_fma_f64 v[125:126], v[157:158], v[125:126], v[133:134]
	s_waitcnt vmcnt(17)
	v_fma_f64 v[125:126], v[155:156], v[127:128], v[125:126]
	s_waitcnt vmcnt(16) lgkmcnt(0)
	v_fma_f64 v[125:126], v[135:136], v[129:130], v[125:126]
	s_waitcnt vmcnt(11)
	v_fma_f64 v[133:134], v[137:138], v[131:132], v[125:126]
	ds_read2_b64 v[125:128], v124 offset0:117 offset1:118
	ds_read2_b64 v[129:132], v124 offset0:119 offset1:120
	s_waitcnt vmcnt(10) lgkmcnt(1)
	v_fma_f64 v[125:126], v[143:144], v[125:126], v[133:134]
	s_waitcnt vmcnt(9)
	v_fma_f64 v[125:126], v[141:142], v[127:128], v[125:126]
	s_waitcnt vmcnt(8) lgkmcnt(0)
	v_fma_f64 v[125:126], v[139:140], v[129:130], v[125:126]
	s_waitcnt vmcnt(4)
	v_fma_f64 v[128:129], v[145:146], v[131:132], v[125:126]
	ds_read2_b64 v[124:127], v124 offset0:121 offset1:122
	s_waitcnt vmcnt(3) lgkmcnt(0)
	v_fma_f64 v[124:125], v[151:152], v[124:125], v[128:129]
	s_waitcnt vmcnt(2)
	v_fma_f64 v[124:125], v[147:148], v[126:127], v[124:125]
	s_waitcnt vmcnt(0)
	v_add_f64 v[124:125], v[149:150], -v[124:125]
	buffer_store_dword v125, off, s[0:3], 0 offset:308
	buffer_store_dword v124, off, s[0:3], 0 offset:304
	s_and_saveexec_b64 s[4:5], vcc
	s_cbranch_execz .LBB124_299
; %bb.298:
	buffer_load_dword v124, off, s[0:3], 0 offset:296
	buffer_load_dword v125, off, s[0:3], 0 offset:300
	v_mov_b32_e32 v126, 0
	buffer_store_dword v126, off, s[0:3], 0 offset:296
	buffer_store_dword v126, off, s[0:3], 0 offset:300
	s_waitcnt vmcnt(2)
	ds_write_b64 v123, v[124:125]
.LBB124_299:
	s_or_b64 exec, exec, s[4:5]
	s_waitcnt lgkmcnt(0)
	; wave barrier
	buffer_load_dword v133, off, s[0:3], 0 offset:304
	buffer_load_dword v134, off, s[0:3], 0 offset:308
	;; [unrolled: 1-line block ×21, first 2 shown]
	v_mov_b32_e32 v124, 0
	ds_read_b128 v[125:128], v124 offset:800
	ds_read_b128 v[129:132], v124 offset:816
	buffer_load_dword v150, off, s[0:3], 0 offset:388
	v_cmp_lt_u32_e32 vcc, 36, v0
	s_waitcnt vmcnt(20) lgkmcnt(1)
	v_fma_f64 v[125:126], v[133:134], v[125:126], 0
	s_waitcnt vmcnt(18)
	v_fma_f64 v[125:126], v[135:136], v[127:128], v[125:126]
	buffer_load_dword v134, off, s[0:3], 0 offset:396
	buffer_load_dword v135, off, s[0:3], 0 offset:416
	;; [unrolled: 1-line block ×7, first 2 shown]
	s_waitcnt vmcnt(23) lgkmcnt(0)
	v_fma_f64 v[125:126], v[137:138], v[129:130], v[125:126]
	s_waitcnt vmcnt(21)
	v_fma_f64 v[136:137], v[139:140], v[131:132], v[125:126]
	ds_read_b128 v[125:128], v124 offset:832
	ds_read_b128 v[129:132], v124 offset:848
	s_waitcnt vmcnt(19) lgkmcnt(1)
	v_fma_f64 v[125:126], v[141:142], v[125:126], v[136:137]
	buffer_load_dword v136, off, s[0:3], 0 offset:420
	s_waitcnt vmcnt(18)
	v_fma_f64 v[125:126], v[143:144], v[127:128], v[125:126]
	buffer_load_dword v138, off, s[0:3], 0 offset:428
	buffer_load_dword v139, off, s[0:3], 0 offset:448
	;; [unrolled: 1-line block ×8, first 2 shown]
	s_waitcnt vmcnt(24) lgkmcnt(0)
	v_fma_f64 v[125:126], v[145:146], v[129:130], v[125:126]
	s_waitcnt vmcnt(19)
	v_fma_f64 v[145:146], v[147:148], v[131:132], v[125:126]
	ds_read_b128 v[125:128], v124 offset:864
	ds_read_b128 v[129:132], v124 offset:880
	s_waitcnt vmcnt(18) lgkmcnt(1)
	v_fma_f64 v[125:126], v[153:154], v[125:126], v[145:146]
	s_waitcnt vmcnt(17)
	v_fma_f64 v[125:126], v[151:152], v[127:128], v[125:126]
	buffer_load_dword v146, off, s[0:3], 0 offset:460
	buffer_load_dword v147, off, s[0:3], 0 offset:480
	;; [unrolled: 1-line block ×8, first 2 shown]
	s_waitcnt vmcnt(24) lgkmcnt(0)
	v_fma_f64 v[125:126], v[149:150], v[129:130], v[125:126]
	s_waitcnt vmcnt(19)
	v_fma_f64 v[133:134], v[133:134], v[131:132], v[125:126]
	ds_read_b128 v[125:128], v124 offset:896
	ds_read_b128 v[129:132], v124 offset:912
	s_waitcnt vmcnt(18) lgkmcnt(1)
	v_fma_f64 v[125:126], v[157:158], v[125:126], v[133:134]
	buffer_load_dword v133, off, s[0:3], 0 offset:296
	buffer_load_dword v134, off, s[0:3], 0 offset:300
	s_waitcnt vmcnt(19)
	v_fma_f64 v[125:126], v[155:156], v[127:128], v[125:126]
	s_waitcnt vmcnt(18) lgkmcnt(0)
	v_fma_f64 v[125:126], v[135:136], v[129:130], v[125:126]
	s_waitcnt vmcnt(13)
	v_fma_f64 v[135:136], v[137:138], v[131:132], v[125:126]
	ds_read_b128 v[125:128], v124 offset:928
	ds_read_b128 v[129:132], v124 offset:944
	s_waitcnt vmcnt(12) lgkmcnt(1)
	v_fma_f64 v[125:126], v[143:144], v[125:126], v[135:136]
	s_waitcnt vmcnt(11)
	v_fma_f64 v[125:126], v[141:142], v[127:128], v[125:126]
	s_waitcnt vmcnt(10) lgkmcnt(0)
	v_fma_f64 v[125:126], v[139:140], v[129:130], v[125:126]
	s_waitcnt vmcnt(5)
	v_fma_f64 v[129:130], v[145:146], v[131:132], v[125:126]
	ds_read_b128 v[125:128], v124 offset:960
	ds_read_b64 v[131:132], v124 offset:976
	s_waitcnt vmcnt(4) lgkmcnt(1)
	v_fma_f64 v[125:126], v[153:154], v[125:126], v[129:130]
	s_waitcnt vmcnt(3)
	v_fma_f64 v[125:126], v[151:152], v[127:128], v[125:126]
	s_waitcnt vmcnt(2) lgkmcnt(0)
	v_fma_f64 v[125:126], v[147:148], v[131:132], v[125:126]
	s_waitcnt vmcnt(0)
	v_add_f64 v[125:126], v[133:134], -v[125:126]
	buffer_store_dword v126, off, s[0:3], 0 offset:300
	buffer_store_dword v125, off, s[0:3], 0 offset:296
	s_and_saveexec_b64 s[4:5], vcc
	s_cbranch_execz .LBB124_301
; %bb.300:
	buffer_load_dword v125, off, s[0:3], 0 offset:288
	buffer_load_dword v126, off, s[0:3], 0 offset:292
	s_waitcnt vmcnt(0)
	ds_write_b64 v123, v[125:126]
	buffer_store_dword v124, off, s[0:3], 0 offset:288
	buffer_store_dword v124, off, s[0:3], 0 offset:292
.LBB124_301:
	s_or_b64 exec, exec, s[4:5]
	s_waitcnt lgkmcnt(0)
	; wave barrier
	buffer_load_dword v133, off, s[0:3], 0 offset:296
	buffer_load_dword v134, off, s[0:3], 0 offset:300
	;; [unrolled: 1-line block ×21, first 2 shown]
	ds_read2_b64 v[125:128], v124 offset0:99 offset1:100
	ds_read2_b64 v[129:132], v124 offset0:101 offset1:102
	buffer_load_dword v150, off, s[0:3], 0 offset:380
	v_cmp_lt_u32_e32 vcc, 35, v0
	s_waitcnt vmcnt(20) lgkmcnt(1)
	v_fma_f64 v[125:126], v[133:134], v[125:126], 0
	s_waitcnt vmcnt(18)
	v_fma_f64 v[125:126], v[135:136], v[127:128], v[125:126]
	buffer_load_dword v134, off, s[0:3], 0 offset:388
	buffer_load_dword v135, off, s[0:3], 0 offset:408
	;; [unrolled: 1-line block ×7, first 2 shown]
	s_waitcnt vmcnt(23) lgkmcnt(0)
	v_fma_f64 v[125:126], v[137:138], v[129:130], v[125:126]
	s_waitcnt vmcnt(21)
	v_fma_f64 v[136:137], v[139:140], v[131:132], v[125:126]
	ds_read2_b64 v[125:128], v124 offset0:103 offset1:104
	ds_read2_b64 v[129:132], v124 offset0:105 offset1:106
	s_waitcnt vmcnt(19) lgkmcnt(1)
	v_fma_f64 v[125:126], v[141:142], v[125:126], v[136:137]
	buffer_load_dword v136, off, s[0:3], 0 offset:412
	s_waitcnt vmcnt(18)
	v_fma_f64 v[125:126], v[143:144], v[127:128], v[125:126]
	buffer_load_dword v138, off, s[0:3], 0 offset:420
	buffer_load_dword v139, off, s[0:3], 0 offset:440
	;; [unrolled: 1-line block ×8, first 2 shown]
	s_waitcnt vmcnt(24) lgkmcnt(0)
	v_fma_f64 v[125:126], v[145:146], v[129:130], v[125:126]
	s_waitcnt vmcnt(19)
	v_fma_f64 v[145:146], v[147:148], v[131:132], v[125:126]
	ds_read2_b64 v[125:128], v124 offset0:107 offset1:108
	ds_read2_b64 v[129:132], v124 offset0:109 offset1:110
	s_waitcnt vmcnt(18) lgkmcnt(1)
	v_fma_f64 v[125:126], v[153:154], v[125:126], v[145:146]
	s_waitcnt vmcnt(17)
	v_fma_f64 v[125:126], v[151:152], v[127:128], v[125:126]
	buffer_load_dword v146, off, s[0:3], 0 offset:452
	buffer_load_dword v147, off, s[0:3], 0 offset:472
	;; [unrolled: 1-line block ×8, first 2 shown]
	s_waitcnt vmcnt(24) lgkmcnt(0)
	v_fma_f64 v[125:126], v[149:150], v[129:130], v[125:126]
	s_waitcnt vmcnt(19)
	v_fma_f64 v[133:134], v[133:134], v[131:132], v[125:126]
	ds_read2_b64 v[125:128], v124 offset0:111 offset1:112
	ds_read2_b64 v[129:132], v124 offset0:113 offset1:114
	s_waitcnt vmcnt(18) lgkmcnt(1)
	v_fma_f64 v[125:126], v[157:158], v[125:126], v[133:134]
	buffer_load_dword v134, off, s[0:3], 0 offset:484
	buffer_load_dword v133, off, s[0:3], 0 offset:480
	;; [unrolled: 1-line block ×4, first 2 shown]
	s_waitcnt vmcnt(21)
	v_fma_f64 v[125:126], v[155:156], v[127:128], v[125:126]
	s_waitcnt vmcnt(20) lgkmcnt(0)
	v_fma_f64 v[125:126], v[135:136], v[129:130], v[125:126]
	s_waitcnt vmcnt(15)
	v_fma_f64 v[135:136], v[137:138], v[131:132], v[125:126]
	ds_read2_b64 v[125:128], v124 offset0:115 offset1:116
	ds_read2_b64 v[129:132], v124 offset0:117 offset1:118
	s_waitcnt vmcnt(14) lgkmcnt(1)
	v_fma_f64 v[125:126], v[143:144], v[125:126], v[135:136]
	s_waitcnt vmcnt(13)
	v_fma_f64 v[125:126], v[141:142], v[127:128], v[125:126]
	s_waitcnt vmcnt(12) lgkmcnt(0)
	v_fma_f64 v[125:126], v[139:140], v[129:130], v[125:126]
	s_waitcnt vmcnt(7)
	v_fma_f64 v[135:136], v[145:146], v[131:132], v[125:126]
	ds_read2_b64 v[125:128], v124 offset0:119 offset1:120
	ds_read2_b64 v[129:132], v124 offset0:121 offset1:122
	s_waitcnt vmcnt(6) lgkmcnt(1)
	v_fma_f64 v[124:125], v[153:154], v[125:126], v[135:136]
	s_waitcnt vmcnt(5)
	v_fma_f64 v[124:125], v[151:152], v[127:128], v[124:125]
	s_waitcnt vmcnt(4) lgkmcnt(0)
	v_fma_f64 v[124:125], v[147:148], v[129:130], v[124:125]
	s_waitcnt vmcnt(2)
	v_fma_f64 v[124:125], v[133:134], v[131:132], v[124:125]
	s_waitcnt vmcnt(0)
	v_add_f64 v[124:125], v[149:150], -v[124:125]
	buffer_store_dword v125, off, s[0:3], 0 offset:292
	buffer_store_dword v124, off, s[0:3], 0 offset:288
	s_and_saveexec_b64 s[4:5], vcc
	s_cbranch_execz .LBB124_303
; %bb.302:
	buffer_load_dword v124, off, s[0:3], 0 offset:280
	buffer_load_dword v125, off, s[0:3], 0 offset:284
	v_mov_b32_e32 v126, 0
	buffer_store_dword v126, off, s[0:3], 0 offset:280
	buffer_store_dword v126, off, s[0:3], 0 offset:284
	s_waitcnt vmcnt(2)
	ds_write_b64 v123, v[124:125]
.LBB124_303:
	s_or_b64 exec, exec, s[4:5]
	s_waitcnt lgkmcnt(0)
	; wave barrier
	buffer_load_dword v133, off, s[0:3], 0 offset:288
	buffer_load_dword v134, off, s[0:3], 0 offset:292
	;; [unrolled: 1-line block ×21, first 2 shown]
	v_mov_b32_e32 v124, 0
	ds_read_b128 v[125:128], v124 offset:784
	ds_read_b128 v[129:132], v124 offset:800
	buffer_load_dword v150, off, s[0:3], 0 offset:372
	v_cmp_lt_u32_e32 vcc, 34, v0
	s_waitcnt vmcnt(20) lgkmcnt(1)
	v_fma_f64 v[125:126], v[133:134], v[125:126], 0
	s_waitcnt vmcnt(18)
	v_fma_f64 v[125:126], v[135:136], v[127:128], v[125:126]
	buffer_load_dword v134, off, s[0:3], 0 offset:380
	buffer_load_dword v135, off, s[0:3], 0 offset:400
	;; [unrolled: 1-line block ×7, first 2 shown]
	s_waitcnt vmcnt(23) lgkmcnt(0)
	v_fma_f64 v[125:126], v[137:138], v[129:130], v[125:126]
	s_waitcnt vmcnt(21)
	v_fma_f64 v[136:137], v[139:140], v[131:132], v[125:126]
	ds_read_b128 v[125:128], v124 offset:816
	ds_read_b128 v[129:132], v124 offset:832
	s_waitcnt vmcnt(19) lgkmcnt(1)
	v_fma_f64 v[125:126], v[141:142], v[125:126], v[136:137]
	buffer_load_dword v136, off, s[0:3], 0 offset:404
	s_waitcnt vmcnt(18)
	v_fma_f64 v[125:126], v[143:144], v[127:128], v[125:126]
	buffer_load_dword v138, off, s[0:3], 0 offset:412
	buffer_load_dword v139, off, s[0:3], 0 offset:432
	;; [unrolled: 1-line block ×8, first 2 shown]
	s_waitcnt vmcnt(24) lgkmcnt(0)
	v_fma_f64 v[125:126], v[145:146], v[129:130], v[125:126]
	s_waitcnt vmcnt(19)
	v_fma_f64 v[145:146], v[147:148], v[131:132], v[125:126]
	ds_read_b128 v[125:128], v124 offset:848
	ds_read_b128 v[129:132], v124 offset:864
	s_waitcnt vmcnt(18) lgkmcnt(1)
	v_fma_f64 v[125:126], v[153:154], v[125:126], v[145:146]
	s_waitcnt vmcnt(17)
	v_fma_f64 v[125:126], v[151:152], v[127:128], v[125:126]
	buffer_load_dword v146, off, s[0:3], 0 offset:444
	buffer_load_dword v147, off, s[0:3], 0 offset:464
	;; [unrolled: 1-line block ×7, first 2 shown]
	s_waitcnt vmcnt(23) lgkmcnt(0)
	v_fma_f64 v[125:126], v[149:150], v[129:130], v[125:126]
	s_waitcnt vmcnt(18)
	v_fma_f64 v[133:134], v[133:134], v[131:132], v[125:126]
	ds_read_b128 v[125:128], v124 offset:880
	ds_read_b128 v[129:132], v124 offset:896
	buffer_load_dword v148, off, s[0:3], 0 offset:468
	s_waitcnt vmcnt(18) lgkmcnt(1)
	v_fma_f64 v[125:126], v[157:158], v[125:126], v[133:134]
	buffer_load_dword v134, off, s[0:3], 0 offset:476
	buffer_load_dword v149, off, s[0:3], 0 offset:480
	;; [unrolled: 1-line block ×4, first 2 shown]
	s_waitcnt vmcnt(21)
	v_fma_f64 v[125:126], v[155:156], v[127:128], v[125:126]
	s_waitcnt vmcnt(20) lgkmcnt(0)
	v_fma_f64 v[125:126], v[135:136], v[129:130], v[125:126]
	buffer_load_dword v135, off, s[0:3], 0 offset:280
	buffer_load_dword v136, off, s[0:3], 0 offset:284
	s_waitcnt vmcnt(17)
	v_fma_f64 v[137:138], v[137:138], v[131:132], v[125:126]
	ds_read_b128 v[125:128], v124 offset:912
	ds_read_b128 v[129:132], v124 offset:928
	s_waitcnt vmcnt(16) lgkmcnt(1)
	v_fma_f64 v[125:126], v[143:144], v[125:126], v[137:138]
	s_waitcnt vmcnt(15)
	v_fma_f64 v[125:126], v[141:142], v[127:128], v[125:126]
	s_waitcnt vmcnt(14) lgkmcnt(0)
	v_fma_f64 v[125:126], v[139:140], v[129:130], v[125:126]
	s_waitcnt vmcnt(9)
	v_fma_f64 v[137:138], v[145:146], v[131:132], v[125:126]
	ds_read_b128 v[125:128], v124 offset:944
	ds_read_b128 v[129:132], v124 offset:960
	s_waitcnt vmcnt(8) lgkmcnt(1)
	v_fma_f64 v[125:126], v[153:154], v[125:126], v[137:138]
	s_waitcnt vmcnt(7)
	v_fma_f64 v[125:126], v[151:152], v[127:128], v[125:126]
	ds_read_b64 v[127:128], v124 offset:976
	s_waitcnt vmcnt(6) lgkmcnt(1)
	v_fma_f64 v[125:126], v[147:148], v[129:130], v[125:126]
	s_waitcnt vmcnt(3)
	v_fma_f64 v[125:126], v[133:134], v[131:132], v[125:126]
	s_waitcnt vmcnt(2) lgkmcnt(0)
	v_fma_f64 v[125:126], v[149:150], v[127:128], v[125:126]
	s_waitcnt vmcnt(0)
	v_add_f64 v[125:126], v[135:136], -v[125:126]
	buffer_store_dword v126, off, s[0:3], 0 offset:284
	buffer_store_dword v125, off, s[0:3], 0 offset:280
	s_and_saveexec_b64 s[4:5], vcc
	s_cbranch_execz .LBB124_305
; %bb.304:
	buffer_load_dword v125, off, s[0:3], 0 offset:272
	buffer_load_dword v126, off, s[0:3], 0 offset:276
	s_waitcnt vmcnt(0)
	ds_write_b64 v123, v[125:126]
	buffer_store_dword v124, off, s[0:3], 0 offset:272
	buffer_store_dword v124, off, s[0:3], 0 offset:276
.LBB124_305:
	s_or_b64 exec, exec, s[4:5]
	s_waitcnt lgkmcnt(0)
	; wave barrier
	buffer_load_dword v133, off, s[0:3], 0 offset:280
	buffer_load_dword v134, off, s[0:3], 0 offset:284
	;; [unrolled: 1-line block ×22, first 2 shown]
	ds_read2_b64 v[125:128], v124 offset0:97 offset1:98
	ds_read2_b64 v[129:132], v124 offset0:99 offset1:100
	v_cmp_lt_u32_e32 vcc, 33, v0
	s_waitcnt vmcnt(20) lgkmcnt(1)
	v_fma_f64 v[125:126], v[133:134], v[125:126], 0
	s_waitcnt vmcnt(18)
	v_fma_f64 v[125:126], v[135:136], v[127:128], v[125:126]
	buffer_load_dword v134, off, s[0:3], 0 offset:372
	buffer_load_dword v135, off, s[0:3], 0 offset:392
	;; [unrolled: 1-line block ×7, first 2 shown]
	s_waitcnt vmcnt(23) lgkmcnt(0)
	v_fma_f64 v[125:126], v[137:138], v[129:130], v[125:126]
	s_waitcnt vmcnt(21)
	v_fma_f64 v[136:137], v[139:140], v[131:132], v[125:126]
	ds_read2_b64 v[125:128], v124 offset0:101 offset1:102
	ds_read2_b64 v[129:132], v124 offset0:103 offset1:104
	s_waitcnt vmcnt(19) lgkmcnt(1)
	v_fma_f64 v[125:126], v[141:142], v[125:126], v[136:137]
	buffer_load_dword v136, off, s[0:3], 0 offset:396
	s_waitcnt vmcnt(18)
	v_fma_f64 v[125:126], v[143:144], v[127:128], v[125:126]
	buffer_load_dword v138, off, s[0:3], 0 offset:404
	buffer_load_dword v139, off, s[0:3], 0 offset:424
	;; [unrolled: 1-line block ×8, first 2 shown]
	s_waitcnt vmcnt(24) lgkmcnt(0)
	v_fma_f64 v[125:126], v[145:146], v[129:130], v[125:126]
	s_waitcnt vmcnt(19)
	v_fma_f64 v[145:146], v[147:148], v[131:132], v[125:126]
	ds_read2_b64 v[125:128], v124 offset0:105 offset1:106
	ds_read2_b64 v[129:132], v124 offset0:107 offset1:108
	s_waitcnt vmcnt(18) lgkmcnt(1)
	v_fma_f64 v[125:126], v[153:154], v[125:126], v[145:146]
	s_waitcnt vmcnt(17)
	v_fma_f64 v[125:126], v[151:152], v[127:128], v[125:126]
	buffer_load_dword v146, off, s[0:3], 0 offset:436
	buffer_load_dword v147, off, s[0:3], 0 offset:456
	;; [unrolled: 1-line block ×8, first 2 shown]
	s_waitcnt vmcnt(24) lgkmcnt(0)
	v_fma_f64 v[125:126], v[149:150], v[129:130], v[125:126]
	s_waitcnt vmcnt(19)
	v_fma_f64 v[133:134], v[133:134], v[131:132], v[125:126]
	ds_read2_b64 v[125:128], v124 offset0:109 offset1:110
	ds_read2_b64 v[129:132], v124 offset0:111 offset1:112
	s_waitcnt vmcnt(18) lgkmcnt(1)
	v_fma_f64 v[125:126], v[157:158], v[125:126], v[133:134]
	s_waitcnt vmcnt(17)
	v_fma_f64 v[125:126], v[155:156], v[127:128], v[125:126]
	buffer_load_dword v134, off, s[0:3], 0 offset:468
	buffer_load_dword v149, off, s[0:3], 0 offset:480
	;; [unrolled: 1-line block ×6, first 2 shown]
	s_waitcnt vmcnt(22) lgkmcnt(0)
	v_fma_f64 v[125:126], v[135:136], v[129:130], v[125:126]
	s_waitcnt vmcnt(17)
	v_fma_f64 v[135:136], v[137:138], v[131:132], v[125:126]
	ds_read2_b64 v[125:128], v124 offset0:113 offset1:114
	buffer_load_dword v137, off, s[0:3], 0 offset:272
	buffer_load_dword v138, off, s[0:3], 0 offset:276
	ds_read2_b64 v[129:132], v124 offset0:115 offset1:116
	s_waitcnt vmcnt(18) lgkmcnt(1)
	v_fma_f64 v[125:126], v[143:144], v[125:126], v[135:136]
	s_waitcnt vmcnt(17)
	v_fma_f64 v[125:126], v[141:142], v[127:128], v[125:126]
	s_waitcnt vmcnt(16) lgkmcnt(0)
	v_fma_f64 v[125:126], v[139:140], v[129:130], v[125:126]
	s_waitcnt vmcnt(11)
	v_fma_f64 v[135:136], v[145:146], v[131:132], v[125:126]
	ds_read2_b64 v[125:128], v124 offset0:117 offset1:118
	ds_read2_b64 v[129:132], v124 offset0:119 offset1:120
	s_waitcnt vmcnt(10) lgkmcnt(1)
	v_fma_f64 v[125:126], v[153:154], v[125:126], v[135:136]
	s_waitcnt vmcnt(9)
	v_fma_f64 v[125:126], v[151:152], v[127:128], v[125:126]
	s_waitcnt vmcnt(8) lgkmcnt(0)
	v_fma_f64 v[125:126], v[147:148], v[129:130], v[125:126]
	s_waitcnt vmcnt(4)
	v_fma_f64 v[128:129], v[133:134], v[131:132], v[125:126]
	ds_read2_b64 v[124:127], v124 offset0:121 offset1:122
	s_waitcnt vmcnt(3) lgkmcnt(0)
	v_fma_f64 v[124:125], v[155:156], v[124:125], v[128:129]
	s_waitcnt vmcnt(2)
	v_fma_f64 v[124:125], v[149:150], v[126:127], v[124:125]
	s_waitcnt vmcnt(0)
	v_add_f64 v[124:125], v[137:138], -v[124:125]
	buffer_store_dword v125, off, s[0:3], 0 offset:276
	buffer_store_dword v124, off, s[0:3], 0 offset:272
	s_and_saveexec_b64 s[4:5], vcc
	s_cbranch_execz .LBB124_307
; %bb.306:
	buffer_load_dword v124, off, s[0:3], 0 offset:264
	buffer_load_dword v125, off, s[0:3], 0 offset:268
	v_mov_b32_e32 v126, 0
	buffer_store_dword v126, off, s[0:3], 0 offset:264
	buffer_store_dword v126, off, s[0:3], 0 offset:268
	s_waitcnt vmcnt(2)
	ds_write_b64 v123, v[124:125]
.LBB124_307:
	s_or_b64 exec, exec, s[4:5]
	s_waitcnt lgkmcnt(0)
	; wave barrier
	buffer_load_dword v133, off, s[0:3], 0 offset:272
	buffer_load_dword v134, off, s[0:3], 0 offset:276
	;; [unrolled: 1-line block ×22, first 2 shown]
	v_mov_b32_e32 v124, 0
	ds_read_b128 v[125:128], v124 offset:768
	ds_read_b128 v[129:132], v124 offset:784
	v_cmp_lt_u32_e32 vcc, 32, v0
	s_waitcnt vmcnt(20) lgkmcnt(1)
	v_fma_f64 v[125:126], v[133:134], v[125:126], 0
	s_waitcnt vmcnt(18)
	v_fma_f64 v[125:126], v[135:136], v[127:128], v[125:126]
	buffer_load_dword v134, off, s[0:3], 0 offset:364
	buffer_load_dword v135, off, s[0:3], 0 offset:384
	;; [unrolled: 1-line block ×7, first 2 shown]
	s_waitcnt vmcnt(23) lgkmcnt(0)
	v_fma_f64 v[125:126], v[137:138], v[129:130], v[125:126]
	s_waitcnt vmcnt(21)
	v_fma_f64 v[136:137], v[139:140], v[131:132], v[125:126]
	ds_read_b128 v[125:128], v124 offset:800
	ds_read_b128 v[129:132], v124 offset:816
	s_waitcnt vmcnt(19) lgkmcnt(1)
	v_fma_f64 v[125:126], v[141:142], v[125:126], v[136:137]
	buffer_load_dword v136, off, s[0:3], 0 offset:388
	s_waitcnt vmcnt(18)
	v_fma_f64 v[125:126], v[143:144], v[127:128], v[125:126]
	buffer_load_dword v138, off, s[0:3], 0 offset:396
	buffer_load_dword v139, off, s[0:3], 0 offset:416
	buffer_load_dword v141, off, s[0:3], 0 offset:408
	buffer_load_dword v143, off, s[0:3], 0 offset:400
	buffer_load_dword v137, off, s[0:3], 0 offset:392
	buffer_load_dword v144, off, s[0:3], 0 offset:404
	buffer_load_dword v142, off, s[0:3], 0 offset:412
	buffer_load_dword v140, off, s[0:3], 0 offset:420
	s_waitcnt vmcnt(24) lgkmcnt(0)
	v_fma_f64 v[125:126], v[145:146], v[129:130], v[125:126]
	s_waitcnt vmcnt(19)
	v_fma_f64 v[145:146], v[147:148], v[131:132], v[125:126]
	ds_read_b128 v[125:128], v124 offset:832
	ds_read_b128 v[129:132], v124 offset:848
	s_waitcnt vmcnt(18) lgkmcnt(1)
	v_fma_f64 v[125:126], v[153:154], v[125:126], v[145:146]
	s_waitcnt vmcnt(17)
	v_fma_f64 v[125:126], v[151:152], v[127:128], v[125:126]
	buffer_load_dword v146, off, s[0:3], 0 offset:428
	buffer_load_dword v147, off, s[0:3], 0 offset:448
	buffer_load_dword v151, off, s[0:3], 0 offset:440
	buffer_load_dword v153, off, s[0:3], 0 offset:432
	buffer_load_dword v145, off, s[0:3], 0 offset:424
	buffer_load_dword v154, off, s[0:3], 0 offset:436
	buffer_load_dword v152, off, s[0:3], 0 offset:444
	buffer_load_dword v148, off, s[0:3], 0 offset:452
	s_waitcnt vmcnt(24) lgkmcnt(0)
	v_fma_f64 v[125:126], v[149:150], v[129:130], v[125:126]
	s_waitcnt vmcnt(19)
	v_fma_f64 v[133:134], v[133:134], v[131:132], v[125:126]
	ds_read_b128 v[125:128], v124 offset:864
	ds_read_b128 v[129:132], v124 offset:880
	s_waitcnt vmcnt(18) lgkmcnt(1)
	v_fma_f64 v[125:126], v[157:158], v[125:126], v[133:134]
	;; [unrolled: 18-line block ×3, first 2 shown]
	buffer_load_dword v135, off, s[0:3], 0 offset:264
	buffer_load_dword v136, off, s[0:3], 0 offset:268
	s_waitcnt vmcnt(19)
	v_fma_f64 v[125:126], v[141:142], v[127:128], v[125:126]
	s_waitcnt vmcnt(18) lgkmcnt(0)
	v_fma_f64 v[125:126], v[139:140], v[129:130], v[125:126]
	s_waitcnt vmcnt(13)
	v_fma_f64 v[137:138], v[145:146], v[131:132], v[125:126]
	ds_read_b128 v[125:128], v124 offset:928
	ds_read_b128 v[129:132], v124 offset:944
	s_waitcnt vmcnt(12) lgkmcnt(1)
	v_fma_f64 v[125:126], v[153:154], v[125:126], v[137:138]
	s_waitcnt vmcnt(11)
	v_fma_f64 v[125:126], v[151:152], v[127:128], v[125:126]
	s_waitcnt vmcnt(10) lgkmcnt(0)
	v_fma_f64 v[125:126], v[147:148], v[129:130], v[125:126]
	s_waitcnt vmcnt(5)
	v_fma_f64 v[129:130], v[133:134], v[131:132], v[125:126]
	ds_read_b128 v[125:128], v124 offset:960
	ds_read_b64 v[131:132], v124 offset:976
	s_waitcnt vmcnt(4) lgkmcnt(1)
	v_fma_f64 v[125:126], v[157:158], v[125:126], v[129:130]
	s_waitcnt vmcnt(3)
	v_fma_f64 v[125:126], v[155:156], v[127:128], v[125:126]
	s_waitcnt vmcnt(2) lgkmcnt(0)
	v_fma_f64 v[125:126], v[149:150], v[131:132], v[125:126]
	s_waitcnt vmcnt(0)
	v_add_f64 v[125:126], v[135:136], -v[125:126]
	buffer_store_dword v126, off, s[0:3], 0 offset:268
	buffer_store_dword v125, off, s[0:3], 0 offset:264
	s_and_saveexec_b64 s[4:5], vcc
	s_cbranch_execz .LBB124_309
; %bb.308:
	buffer_load_dword v125, off, s[0:3], 0 offset:256
	buffer_load_dword v126, off, s[0:3], 0 offset:260
	s_waitcnt vmcnt(0)
	ds_write_b64 v123, v[125:126]
	buffer_store_dword v124, off, s[0:3], 0 offset:256
	buffer_store_dword v124, off, s[0:3], 0 offset:260
.LBB124_309:
	s_or_b64 exec, exec, s[4:5]
	s_waitcnt lgkmcnt(0)
	; wave barrier
	buffer_load_dword v133, off, s[0:3], 0 offset:264
	buffer_load_dword v134, off, s[0:3], 0 offset:268
	;; [unrolled: 1-line block ×22, first 2 shown]
	ds_read2_b64 v[125:128], v124 offset0:95 offset1:96
	ds_read2_b64 v[129:132], v124 offset0:97 offset1:98
	v_cmp_lt_u32_e32 vcc, 31, v0
	s_waitcnt vmcnt(20) lgkmcnt(1)
	v_fma_f64 v[125:126], v[133:134], v[125:126], 0
	s_waitcnt vmcnt(18)
	v_fma_f64 v[125:126], v[135:136], v[127:128], v[125:126]
	buffer_load_dword v134, off, s[0:3], 0 offset:356
	buffer_load_dword v135, off, s[0:3], 0 offset:376
	;; [unrolled: 1-line block ×7, first 2 shown]
	s_waitcnt vmcnt(23) lgkmcnt(0)
	v_fma_f64 v[125:126], v[137:138], v[129:130], v[125:126]
	s_waitcnt vmcnt(21)
	v_fma_f64 v[136:137], v[139:140], v[131:132], v[125:126]
	ds_read2_b64 v[125:128], v124 offset0:99 offset1:100
	ds_read2_b64 v[129:132], v124 offset0:101 offset1:102
	s_waitcnt vmcnt(19) lgkmcnt(1)
	v_fma_f64 v[125:126], v[141:142], v[125:126], v[136:137]
	buffer_load_dword v136, off, s[0:3], 0 offset:380
	s_waitcnt vmcnt(18)
	v_fma_f64 v[125:126], v[143:144], v[127:128], v[125:126]
	buffer_load_dword v138, off, s[0:3], 0 offset:388
	buffer_load_dword v139, off, s[0:3], 0 offset:408
	buffer_load_dword v141, off, s[0:3], 0 offset:400
	buffer_load_dword v143, off, s[0:3], 0 offset:392
	buffer_load_dword v137, off, s[0:3], 0 offset:384
	buffer_load_dword v144, off, s[0:3], 0 offset:396
	buffer_load_dword v142, off, s[0:3], 0 offset:404
	buffer_load_dword v140, off, s[0:3], 0 offset:412
	s_waitcnt vmcnt(24) lgkmcnt(0)
	v_fma_f64 v[125:126], v[145:146], v[129:130], v[125:126]
	s_waitcnt vmcnt(19)
	v_fma_f64 v[145:146], v[147:148], v[131:132], v[125:126]
	ds_read2_b64 v[125:128], v124 offset0:103 offset1:104
	ds_read2_b64 v[129:132], v124 offset0:105 offset1:106
	s_waitcnt vmcnt(18) lgkmcnt(1)
	v_fma_f64 v[125:126], v[153:154], v[125:126], v[145:146]
	s_waitcnt vmcnt(17)
	v_fma_f64 v[125:126], v[151:152], v[127:128], v[125:126]
	buffer_load_dword v146, off, s[0:3], 0 offset:420
	buffer_load_dword v147, off, s[0:3], 0 offset:440
	buffer_load_dword v151, off, s[0:3], 0 offset:432
	buffer_load_dword v153, off, s[0:3], 0 offset:424
	buffer_load_dword v145, off, s[0:3], 0 offset:416
	buffer_load_dword v154, off, s[0:3], 0 offset:428
	buffer_load_dword v152, off, s[0:3], 0 offset:436
	buffer_load_dword v148, off, s[0:3], 0 offset:444
	s_waitcnt vmcnt(24) lgkmcnt(0)
	v_fma_f64 v[125:126], v[149:150], v[129:130], v[125:126]
	s_waitcnt vmcnt(19)
	v_fma_f64 v[133:134], v[133:134], v[131:132], v[125:126]
	ds_read2_b64 v[125:128], v124 offset0:107 offset1:108
	ds_read2_b64 v[129:132], v124 offset0:109 offset1:110
	s_waitcnt vmcnt(18) lgkmcnt(1)
	v_fma_f64 v[125:126], v[157:158], v[125:126], v[133:134]
	;; [unrolled: 18-line block ×3, first 2 shown]
	buffer_load_dword v136, off, s[0:3], 0 offset:484
	buffer_load_dword v135, off, s[0:3], 0 offset:480
	;; [unrolled: 1-line block ×4, first 2 shown]
	s_waitcnt vmcnt(21)
	v_fma_f64 v[125:126], v[141:142], v[127:128], v[125:126]
	s_waitcnt vmcnt(20) lgkmcnt(0)
	v_fma_f64 v[125:126], v[139:140], v[129:130], v[125:126]
	s_waitcnt vmcnt(15)
	v_fma_f64 v[139:140], v[145:146], v[131:132], v[125:126]
	ds_read2_b64 v[125:128], v124 offset0:115 offset1:116
	ds_read2_b64 v[129:132], v124 offset0:117 offset1:118
	s_waitcnt vmcnt(14) lgkmcnt(1)
	v_fma_f64 v[125:126], v[153:154], v[125:126], v[139:140]
	s_waitcnt vmcnt(13)
	v_fma_f64 v[125:126], v[151:152], v[127:128], v[125:126]
	s_waitcnt vmcnt(12) lgkmcnt(0)
	v_fma_f64 v[125:126], v[147:148], v[129:130], v[125:126]
	s_waitcnt vmcnt(7)
	v_fma_f64 v[133:134], v[133:134], v[131:132], v[125:126]
	ds_read2_b64 v[125:128], v124 offset0:119 offset1:120
	ds_read2_b64 v[129:132], v124 offset0:121 offset1:122
	s_waitcnt vmcnt(6) lgkmcnt(1)
	v_fma_f64 v[124:125], v[157:158], v[125:126], v[133:134]
	s_waitcnt vmcnt(5)
	v_fma_f64 v[124:125], v[155:156], v[127:128], v[124:125]
	s_waitcnt vmcnt(4) lgkmcnt(0)
	v_fma_f64 v[124:125], v[149:150], v[129:130], v[124:125]
	s_waitcnt vmcnt(2)
	v_fma_f64 v[124:125], v[135:136], v[131:132], v[124:125]
	s_waitcnt vmcnt(0)
	v_add_f64 v[124:125], v[137:138], -v[124:125]
	buffer_store_dword v125, off, s[0:3], 0 offset:260
	buffer_store_dword v124, off, s[0:3], 0 offset:256
	s_and_saveexec_b64 s[4:5], vcc
	s_cbranch_execz .LBB124_311
; %bb.310:
	buffer_load_dword v124, off, s[0:3], 0 offset:248
	buffer_load_dword v125, off, s[0:3], 0 offset:252
	v_mov_b32_e32 v126, 0
	buffer_store_dword v126, off, s[0:3], 0 offset:248
	buffer_store_dword v126, off, s[0:3], 0 offset:252
	s_waitcnt vmcnt(2)
	ds_write_b64 v123, v[124:125]
.LBB124_311:
	s_or_b64 exec, exec, s[4:5]
	s_waitcnt lgkmcnt(0)
	; wave barrier
	buffer_load_dword v133, off, s[0:3], 0 offset:256
	buffer_load_dword v134, off, s[0:3], 0 offset:260
	buffer_load_dword v135, off, s[0:3], 0 offset:264
	buffer_load_dword v136, off, s[0:3], 0 offset:268
	buffer_load_dword v137, off, s[0:3], 0 offset:272
	buffer_load_dword v138, off, s[0:3], 0 offset:276
	buffer_load_dword v139, off, s[0:3], 0 offset:280
	buffer_load_dword v140, off, s[0:3], 0 offset:284
	buffer_load_dword v141, off, s[0:3], 0 offset:288
	buffer_load_dword v142, off, s[0:3], 0 offset:292
	buffer_load_dword v143, off, s[0:3], 0 offset:296
	buffer_load_dword v144, off, s[0:3], 0 offset:300
	buffer_load_dword v145, off, s[0:3], 0 offset:304
	buffer_load_dword v146, off, s[0:3], 0 offset:308
	buffer_load_dword v148, off, s[0:3], 0 offset:316
	buffer_load_dword v149, off, s[0:3], 0 offset:336
	buffer_load_dword v151, off, s[0:3], 0 offset:328
	buffer_load_dword v153, off, s[0:3], 0 offset:320
	buffer_load_dword v147, off, s[0:3], 0 offset:312
	buffer_load_dword v154, off, s[0:3], 0 offset:324
	buffer_load_dword v152, off, s[0:3], 0 offset:332
	buffer_load_dword v150, off, s[0:3], 0 offset:340
	v_mov_b32_e32 v124, 0
	ds_read_b128 v[125:128], v124 offset:752
	ds_read_b128 v[129:132], v124 offset:768
	v_cmp_lt_u32_e32 vcc, 30, v0
	s_waitcnt vmcnt(20) lgkmcnt(1)
	v_fma_f64 v[125:126], v[133:134], v[125:126], 0
	s_waitcnt vmcnt(18)
	v_fma_f64 v[125:126], v[135:136], v[127:128], v[125:126]
	buffer_load_dword v134, off, s[0:3], 0 offset:348
	buffer_load_dword v135, off, s[0:3], 0 offset:368
	;; [unrolled: 1-line block ×7, first 2 shown]
	s_waitcnt vmcnt(23) lgkmcnt(0)
	v_fma_f64 v[125:126], v[137:138], v[129:130], v[125:126]
	s_waitcnt vmcnt(21)
	v_fma_f64 v[136:137], v[139:140], v[131:132], v[125:126]
	ds_read_b128 v[125:128], v124 offset:784
	ds_read_b128 v[129:132], v124 offset:800
	s_waitcnt vmcnt(19) lgkmcnt(1)
	v_fma_f64 v[125:126], v[141:142], v[125:126], v[136:137]
	buffer_load_dword v136, off, s[0:3], 0 offset:372
	s_waitcnt vmcnt(18)
	v_fma_f64 v[125:126], v[143:144], v[127:128], v[125:126]
	buffer_load_dword v138, off, s[0:3], 0 offset:380
	buffer_load_dword v139, off, s[0:3], 0 offset:400
	buffer_load_dword v141, off, s[0:3], 0 offset:392
	buffer_load_dword v143, off, s[0:3], 0 offset:384
	buffer_load_dword v137, off, s[0:3], 0 offset:376
	buffer_load_dword v144, off, s[0:3], 0 offset:388
	buffer_load_dword v142, off, s[0:3], 0 offset:396
	s_waitcnt vmcnt(23) lgkmcnt(0)
	v_fma_f64 v[125:126], v[145:146], v[129:130], v[125:126]
	s_waitcnt vmcnt(18)
	v_fma_f64 v[145:146], v[147:148], v[131:132], v[125:126]
	ds_read_b128 v[125:128], v124 offset:816
	ds_read_b128 v[129:132], v124 offset:832
	buffer_load_dword v140, off, s[0:3], 0 offset:404
	s_waitcnt vmcnt(18) lgkmcnt(1)
	v_fma_f64 v[125:126], v[153:154], v[125:126], v[145:146]
	s_waitcnt vmcnt(17)
	v_fma_f64 v[125:126], v[151:152], v[127:128], v[125:126]
	buffer_load_dword v146, off, s[0:3], 0 offset:412
	buffer_load_dword v147, off, s[0:3], 0 offset:432
	;; [unrolled: 1-line block ×8, first 2 shown]
	s_waitcnt vmcnt(24) lgkmcnt(0)
	v_fma_f64 v[125:126], v[149:150], v[129:130], v[125:126]
	s_waitcnt vmcnt(19)
	v_fma_f64 v[133:134], v[133:134], v[131:132], v[125:126]
	ds_read_b128 v[125:128], v124 offset:848
	ds_read_b128 v[129:132], v124 offset:864
	s_waitcnt vmcnt(18) lgkmcnt(1)
	v_fma_f64 v[125:126], v[157:158], v[125:126], v[133:134]
	s_waitcnt vmcnt(17)
	v_fma_f64 v[125:126], v[155:156], v[127:128], v[125:126]
	buffer_load_dword v134, off, s[0:3], 0 offset:444
	buffer_load_dword v149, off, s[0:3], 0 offset:464
	;; [unrolled: 1-line block ×7, first 2 shown]
	s_waitcnt vmcnt(23) lgkmcnt(0)
	v_fma_f64 v[125:126], v[135:136], v[129:130], v[125:126]
	s_waitcnt vmcnt(18)
	v_fma_f64 v[135:136], v[137:138], v[131:132], v[125:126]
	ds_read_b128 v[125:128], v124 offset:880
	ds_read_b128 v[129:132], v124 offset:896
	buffer_load_dword v150, off, s[0:3], 0 offset:468
	s_waitcnt vmcnt(18) lgkmcnt(1)
	v_fma_f64 v[125:126], v[143:144], v[125:126], v[135:136]
	buffer_load_dword v136, off, s[0:3], 0 offset:476
	buffer_load_dword v137, off, s[0:3], 0 offset:480
	;; [unrolled: 1-line block ×4, first 2 shown]
	s_waitcnt vmcnt(21)
	v_fma_f64 v[125:126], v[141:142], v[127:128], v[125:126]
	s_waitcnt vmcnt(20) lgkmcnt(0)
	v_fma_f64 v[125:126], v[139:140], v[129:130], v[125:126]
	buffer_load_dword v139, off, s[0:3], 0 offset:248
	buffer_load_dword v140, off, s[0:3], 0 offset:252
	s_waitcnt vmcnt(17)
	v_fma_f64 v[141:142], v[145:146], v[131:132], v[125:126]
	ds_read_b128 v[125:128], v124 offset:912
	ds_read_b128 v[129:132], v124 offset:928
	s_waitcnt vmcnt(16) lgkmcnt(1)
	v_fma_f64 v[125:126], v[153:154], v[125:126], v[141:142]
	s_waitcnt vmcnt(15)
	v_fma_f64 v[125:126], v[151:152], v[127:128], v[125:126]
	s_waitcnt vmcnt(14) lgkmcnt(0)
	v_fma_f64 v[125:126], v[147:148], v[129:130], v[125:126]
	s_waitcnt vmcnt(9)
	v_fma_f64 v[133:134], v[133:134], v[131:132], v[125:126]
	ds_read_b128 v[125:128], v124 offset:944
	ds_read_b128 v[129:132], v124 offset:960
	s_waitcnt vmcnt(8) lgkmcnt(1)
	v_fma_f64 v[125:126], v[157:158], v[125:126], v[133:134]
	s_waitcnt vmcnt(7)
	v_fma_f64 v[125:126], v[155:156], v[127:128], v[125:126]
	ds_read_b64 v[127:128], v124 offset:976
	s_waitcnt vmcnt(6) lgkmcnt(1)
	v_fma_f64 v[125:126], v[149:150], v[129:130], v[125:126]
	s_waitcnt vmcnt(3)
	v_fma_f64 v[125:126], v[135:136], v[131:132], v[125:126]
	s_waitcnt vmcnt(2) lgkmcnt(0)
	v_fma_f64 v[125:126], v[137:138], v[127:128], v[125:126]
	s_waitcnt vmcnt(0)
	v_add_f64 v[125:126], v[139:140], -v[125:126]
	buffer_store_dword v126, off, s[0:3], 0 offset:252
	buffer_store_dword v125, off, s[0:3], 0 offset:248
	s_and_saveexec_b64 s[4:5], vcc
	s_cbranch_execz .LBB124_313
; %bb.312:
	buffer_load_dword v125, off, s[0:3], 0 offset:240
	buffer_load_dword v126, off, s[0:3], 0 offset:244
	s_waitcnt vmcnt(0)
	ds_write_b64 v123, v[125:126]
	buffer_store_dword v124, off, s[0:3], 0 offset:240
	buffer_store_dword v124, off, s[0:3], 0 offset:244
.LBB124_313:
	s_or_b64 exec, exec, s[4:5]
	s_waitcnt lgkmcnt(0)
	; wave barrier
	buffer_load_dword v133, off, s[0:3], 0 offset:248
	buffer_load_dword v134, off, s[0:3], 0 offset:252
	;; [unrolled: 1-line block ×22, first 2 shown]
	ds_read2_b64 v[125:128], v124 offset0:93 offset1:94
	ds_read2_b64 v[129:132], v124 offset0:95 offset1:96
	v_cmp_lt_u32_e32 vcc, 29, v0
	s_waitcnt vmcnt(20) lgkmcnt(1)
	v_fma_f64 v[125:126], v[133:134], v[125:126], 0
	s_waitcnt vmcnt(18)
	v_fma_f64 v[125:126], v[135:136], v[127:128], v[125:126]
	buffer_load_dword v134, off, s[0:3], 0 offset:340
	buffer_load_dword v135, off, s[0:3], 0 offset:360
	;; [unrolled: 1-line block ×7, first 2 shown]
	s_waitcnt vmcnt(23) lgkmcnt(0)
	v_fma_f64 v[125:126], v[137:138], v[129:130], v[125:126]
	s_waitcnt vmcnt(21)
	v_fma_f64 v[136:137], v[139:140], v[131:132], v[125:126]
	ds_read2_b64 v[125:128], v124 offset0:97 offset1:98
	ds_read2_b64 v[129:132], v124 offset0:99 offset1:100
	s_waitcnt vmcnt(19) lgkmcnt(1)
	v_fma_f64 v[125:126], v[141:142], v[125:126], v[136:137]
	buffer_load_dword v136, off, s[0:3], 0 offset:364
	s_waitcnt vmcnt(18)
	v_fma_f64 v[125:126], v[143:144], v[127:128], v[125:126]
	buffer_load_dword v138, off, s[0:3], 0 offset:372
	buffer_load_dword v139, off, s[0:3], 0 offset:392
	;; [unrolled: 1-line block ×7, first 2 shown]
	s_waitcnt vmcnt(23) lgkmcnt(0)
	v_fma_f64 v[125:126], v[145:146], v[129:130], v[125:126]
	s_waitcnt vmcnt(18)
	v_fma_f64 v[145:146], v[147:148], v[131:132], v[125:126]
	ds_read2_b64 v[125:128], v124 offset0:101 offset1:102
	ds_read2_b64 v[129:132], v124 offset0:103 offset1:104
	buffer_load_dword v140, off, s[0:3], 0 offset:396
	s_waitcnt vmcnt(18) lgkmcnt(1)
	v_fma_f64 v[125:126], v[153:154], v[125:126], v[145:146]
	s_waitcnt vmcnt(17)
	v_fma_f64 v[125:126], v[151:152], v[127:128], v[125:126]
	buffer_load_dword v146, off, s[0:3], 0 offset:404
	buffer_load_dword v147, off, s[0:3], 0 offset:424
	;; [unrolled: 1-line block ×8, first 2 shown]
	s_waitcnt vmcnt(24) lgkmcnt(0)
	v_fma_f64 v[125:126], v[149:150], v[129:130], v[125:126]
	s_waitcnt vmcnt(19)
	v_fma_f64 v[133:134], v[133:134], v[131:132], v[125:126]
	ds_read2_b64 v[125:128], v124 offset0:105 offset1:106
	ds_read2_b64 v[129:132], v124 offset0:107 offset1:108
	s_waitcnt vmcnt(18) lgkmcnt(1)
	v_fma_f64 v[125:126], v[157:158], v[125:126], v[133:134]
	s_waitcnt vmcnt(17)
	v_fma_f64 v[125:126], v[155:156], v[127:128], v[125:126]
	buffer_load_dword v134, off, s[0:3], 0 offset:436
	buffer_load_dword v149, off, s[0:3], 0 offset:456
	;; [unrolled: 1-line block ×8, first 2 shown]
	s_waitcnt vmcnt(24) lgkmcnt(0)
	v_fma_f64 v[125:126], v[135:136], v[129:130], v[125:126]
	s_waitcnt vmcnt(19)
	v_fma_f64 v[135:136], v[137:138], v[131:132], v[125:126]
	ds_read2_b64 v[125:128], v124 offset0:109 offset1:110
	ds_read2_b64 v[129:132], v124 offset0:111 offset1:112
	s_waitcnt vmcnt(18) lgkmcnt(1)
	v_fma_f64 v[125:126], v[143:144], v[125:126], v[135:136]
	s_waitcnt vmcnt(17)
	v_fma_f64 v[125:126], v[141:142], v[127:128], v[125:126]
	buffer_load_dword v136, off, s[0:3], 0 offset:468
	buffer_load_dword v137, off, s[0:3], 0 offset:480
	;; [unrolled: 1-line block ×6, first 2 shown]
	s_waitcnt vmcnt(22) lgkmcnt(0)
	v_fma_f64 v[125:126], v[139:140], v[129:130], v[125:126]
	s_waitcnt vmcnt(17)
	v_fma_f64 v[139:140], v[145:146], v[131:132], v[125:126]
	ds_read2_b64 v[125:128], v124 offset0:113 offset1:114
	buffer_load_dword v143, off, s[0:3], 0 offset:240
	buffer_load_dword v144, off, s[0:3], 0 offset:244
	ds_read2_b64 v[129:132], v124 offset0:115 offset1:116
	s_waitcnt vmcnt(18) lgkmcnt(1)
	v_fma_f64 v[125:126], v[153:154], v[125:126], v[139:140]
	s_waitcnt vmcnt(17)
	v_fma_f64 v[125:126], v[151:152], v[127:128], v[125:126]
	s_waitcnt vmcnt(16) lgkmcnt(0)
	v_fma_f64 v[125:126], v[147:148], v[129:130], v[125:126]
	s_waitcnt vmcnt(11)
	v_fma_f64 v[133:134], v[133:134], v[131:132], v[125:126]
	ds_read2_b64 v[125:128], v124 offset0:117 offset1:118
	ds_read2_b64 v[129:132], v124 offset0:119 offset1:120
	s_waitcnt vmcnt(10) lgkmcnt(1)
	v_fma_f64 v[125:126], v[157:158], v[125:126], v[133:134]
	s_waitcnt vmcnt(9)
	v_fma_f64 v[125:126], v[155:156], v[127:128], v[125:126]
	s_waitcnt vmcnt(8) lgkmcnt(0)
	v_fma_f64 v[125:126], v[149:150], v[129:130], v[125:126]
	s_waitcnt vmcnt(4)
	v_fma_f64 v[128:129], v[135:136], v[131:132], v[125:126]
	ds_read2_b64 v[124:127], v124 offset0:121 offset1:122
	s_waitcnt vmcnt(3) lgkmcnt(0)
	v_fma_f64 v[124:125], v[141:142], v[124:125], v[128:129]
	s_waitcnt vmcnt(2)
	v_fma_f64 v[124:125], v[137:138], v[126:127], v[124:125]
	s_waitcnt vmcnt(0)
	v_add_f64 v[124:125], v[143:144], -v[124:125]
	buffer_store_dword v125, off, s[0:3], 0 offset:244
	buffer_store_dword v124, off, s[0:3], 0 offset:240
	s_and_saveexec_b64 s[4:5], vcc
	s_cbranch_execz .LBB124_315
; %bb.314:
	buffer_load_dword v124, off, s[0:3], 0 offset:232
	buffer_load_dword v125, off, s[0:3], 0 offset:236
	v_mov_b32_e32 v126, 0
	buffer_store_dword v126, off, s[0:3], 0 offset:232
	buffer_store_dword v126, off, s[0:3], 0 offset:236
	s_waitcnt vmcnt(2)
	ds_write_b64 v123, v[124:125]
.LBB124_315:
	s_or_b64 exec, exec, s[4:5]
	s_waitcnt lgkmcnt(0)
	; wave barrier
	buffer_load_dword v133, off, s[0:3], 0 offset:240
	buffer_load_dword v134, off, s[0:3], 0 offset:244
	;; [unrolled: 1-line block ×22, first 2 shown]
	v_mov_b32_e32 v124, 0
	ds_read_b128 v[125:128], v124 offset:736
	ds_read_b128 v[129:132], v124 offset:752
	v_cmp_lt_u32_e32 vcc, 28, v0
	s_waitcnt vmcnt(20) lgkmcnt(1)
	v_fma_f64 v[125:126], v[133:134], v[125:126], 0
	s_waitcnt vmcnt(18)
	v_fma_f64 v[125:126], v[135:136], v[127:128], v[125:126]
	buffer_load_dword v134, off, s[0:3], 0 offset:332
	buffer_load_dword v135, off, s[0:3], 0 offset:352
	;; [unrolled: 1-line block ×7, first 2 shown]
	s_waitcnt vmcnt(23) lgkmcnt(0)
	v_fma_f64 v[125:126], v[137:138], v[129:130], v[125:126]
	s_waitcnt vmcnt(21)
	v_fma_f64 v[136:137], v[139:140], v[131:132], v[125:126]
	ds_read_b128 v[125:128], v124 offset:768
	ds_read_b128 v[129:132], v124 offset:784
	s_waitcnt vmcnt(19) lgkmcnt(1)
	v_fma_f64 v[125:126], v[141:142], v[125:126], v[136:137]
	buffer_load_dword v136, off, s[0:3], 0 offset:356
	s_waitcnt vmcnt(18)
	v_fma_f64 v[125:126], v[143:144], v[127:128], v[125:126]
	buffer_load_dword v138, off, s[0:3], 0 offset:364
	buffer_load_dword v139, off, s[0:3], 0 offset:384
	;; [unrolled: 1-line block ×7, first 2 shown]
	s_waitcnt vmcnt(23) lgkmcnt(0)
	v_fma_f64 v[125:126], v[145:146], v[129:130], v[125:126]
	s_waitcnt vmcnt(18)
	v_fma_f64 v[145:146], v[147:148], v[131:132], v[125:126]
	ds_read_b128 v[125:128], v124 offset:800
	ds_read_b128 v[129:132], v124 offset:816
	buffer_load_dword v140, off, s[0:3], 0 offset:388
	s_waitcnt vmcnt(18) lgkmcnt(1)
	v_fma_f64 v[125:126], v[153:154], v[125:126], v[145:146]
	s_waitcnt vmcnt(17)
	v_fma_f64 v[125:126], v[151:152], v[127:128], v[125:126]
	buffer_load_dword v146, off, s[0:3], 0 offset:396
	buffer_load_dword v147, off, s[0:3], 0 offset:416
	buffer_load_dword v151, off, s[0:3], 0 offset:408
	buffer_load_dword v153, off, s[0:3], 0 offset:400
	buffer_load_dword v145, off, s[0:3], 0 offset:392
	buffer_load_dword v154, off, s[0:3], 0 offset:404
	buffer_load_dword v152, off, s[0:3], 0 offset:412
	buffer_load_dword v148, off, s[0:3], 0 offset:420
	s_waitcnt vmcnt(24) lgkmcnt(0)
	v_fma_f64 v[125:126], v[149:150], v[129:130], v[125:126]
	s_waitcnt vmcnt(19)
	v_fma_f64 v[133:134], v[133:134], v[131:132], v[125:126]
	ds_read_b128 v[125:128], v124 offset:832
	ds_read_b128 v[129:132], v124 offset:848
	s_waitcnt vmcnt(18) lgkmcnt(1)
	v_fma_f64 v[125:126], v[157:158], v[125:126], v[133:134]
	s_waitcnt vmcnt(17)
	v_fma_f64 v[125:126], v[155:156], v[127:128], v[125:126]
	buffer_load_dword v134, off, s[0:3], 0 offset:428
	buffer_load_dword v149, off, s[0:3], 0 offset:448
	buffer_load_dword v155, off, s[0:3], 0 offset:440
	buffer_load_dword v157, off, s[0:3], 0 offset:432
	buffer_load_dword v133, off, s[0:3], 0 offset:424
	buffer_load_dword v158, off, s[0:3], 0 offset:436
	buffer_load_dword v156, off, s[0:3], 0 offset:444
	buffer_load_dword v150, off, s[0:3], 0 offset:452
	s_waitcnt vmcnt(24) lgkmcnt(0)
	v_fma_f64 v[125:126], v[135:136], v[129:130], v[125:126]
	s_waitcnt vmcnt(19)
	v_fma_f64 v[135:136], v[137:138], v[131:132], v[125:126]
	ds_read_b128 v[125:128], v124 offset:864
	ds_read_b128 v[129:132], v124 offset:880
	;; [unrolled: 18-line block ×3, first 2 shown]
	s_waitcnt vmcnt(18) lgkmcnt(1)
	v_fma_f64 v[125:126], v[153:154], v[125:126], v[139:140]
	buffer_load_dword v139, off, s[0:3], 0 offset:232
	buffer_load_dword v140, off, s[0:3], 0 offset:236
	s_waitcnt vmcnt(19)
	v_fma_f64 v[125:126], v[151:152], v[127:128], v[125:126]
	s_waitcnt vmcnt(18) lgkmcnt(0)
	v_fma_f64 v[125:126], v[147:148], v[129:130], v[125:126]
	s_waitcnt vmcnt(13)
	v_fma_f64 v[133:134], v[133:134], v[131:132], v[125:126]
	ds_read_b128 v[125:128], v124 offset:928
	ds_read_b128 v[129:132], v124 offset:944
	s_waitcnt vmcnt(12) lgkmcnt(1)
	v_fma_f64 v[125:126], v[157:158], v[125:126], v[133:134]
	s_waitcnt vmcnt(11)
	v_fma_f64 v[125:126], v[155:156], v[127:128], v[125:126]
	s_waitcnt vmcnt(10) lgkmcnt(0)
	v_fma_f64 v[125:126], v[149:150], v[129:130], v[125:126]
	s_waitcnt vmcnt(5)
	v_fma_f64 v[129:130], v[135:136], v[131:132], v[125:126]
	ds_read_b128 v[125:128], v124 offset:960
	ds_read_b64 v[131:132], v124 offset:976
	s_waitcnt vmcnt(4) lgkmcnt(1)
	v_fma_f64 v[125:126], v[143:144], v[125:126], v[129:130]
	s_waitcnt vmcnt(3)
	v_fma_f64 v[125:126], v[141:142], v[127:128], v[125:126]
	s_waitcnt vmcnt(2) lgkmcnt(0)
	v_fma_f64 v[125:126], v[137:138], v[131:132], v[125:126]
	s_waitcnt vmcnt(0)
	v_add_f64 v[125:126], v[139:140], -v[125:126]
	buffer_store_dword v126, off, s[0:3], 0 offset:236
	buffer_store_dword v125, off, s[0:3], 0 offset:232
	s_and_saveexec_b64 s[4:5], vcc
	s_cbranch_execz .LBB124_317
; %bb.316:
	buffer_load_dword v125, off, s[0:3], 0 offset:224
	buffer_load_dword v126, off, s[0:3], 0 offset:228
	s_waitcnt vmcnt(0)
	ds_write_b64 v123, v[125:126]
	buffer_store_dword v124, off, s[0:3], 0 offset:224
	buffer_store_dword v124, off, s[0:3], 0 offset:228
.LBB124_317:
	s_or_b64 exec, exec, s[4:5]
	s_waitcnt lgkmcnt(0)
	; wave barrier
	buffer_load_dword v133, off, s[0:3], 0 offset:232
	buffer_load_dword v134, off, s[0:3], 0 offset:236
	buffer_load_dword v135, off, s[0:3], 0 offset:240
	buffer_load_dword v136, off, s[0:3], 0 offset:244
	buffer_load_dword v137, off, s[0:3], 0 offset:248
	buffer_load_dword v138, off, s[0:3], 0 offset:252
	buffer_load_dword v139, off, s[0:3], 0 offset:256
	buffer_load_dword v140, off, s[0:3], 0 offset:260
	buffer_load_dword v141, off, s[0:3], 0 offset:264
	buffer_load_dword v142, off, s[0:3], 0 offset:268
	buffer_load_dword v143, off, s[0:3], 0 offset:272
	buffer_load_dword v144, off, s[0:3], 0 offset:276
	buffer_load_dword v145, off, s[0:3], 0 offset:280
	buffer_load_dword v146, off, s[0:3], 0 offset:284
	buffer_load_dword v148, off, s[0:3], 0 offset:292
	buffer_load_dword v149, off, s[0:3], 0 offset:312
	buffer_load_dword v151, off, s[0:3], 0 offset:304
	buffer_load_dword v153, off, s[0:3], 0 offset:296
	buffer_load_dword v147, off, s[0:3], 0 offset:288
	buffer_load_dword v154, off, s[0:3], 0 offset:300
	buffer_load_dword v152, off, s[0:3], 0 offset:308
	buffer_load_dword v150, off, s[0:3], 0 offset:316
	ds_read2_b64 v[125:128], v124 offset0:91 offset1:92
	ds_read2_b64 v[129:132], v124 offset0:93 offset1:94
	v_cmp_lt_u32_e32 vcc, 27, v0
	s_waitcnt vmcnt(20) lgkmcnt(1)
	v_fma_f64 v[125:126], v[133:134], v[125:126], 0
	s_waitcnt vmcnt(18)
	v_fma_f64 v[125:126], v[135:136], v[127:128], v[125:126]
	buffer_load_dword v134, off, s[0:3], 0 offset:324
	buffer_load_dword v135, off, s[0:3], 0 offset:344
	;; [unrolled: 1-line block ×7, first 2 shown]
	s_waitcnt vmcnt(23) lgkmcnt(0)
	v_fma_f64 v[125:126], v[137:138], v[129:130], v[125:126]
	s_waitcnt vmcnt(21)
	v_fma_f64 v[136:137], v[139:140], v[131:132], v[125:126]
	ds_read2_b64 v[125:128], v124 offset0:95 offset1:96
	ds_read2_b64 v[129:132], v124 offset0:97 offset1:98
	s_waitcnt vmcnt(19) lgkmcnt(1)
	v_fma_f64 v[125:126], v[141:142], v[125:126], v[136:137]
	buffer_load_dword v136, off, s[0:3], 0 offset:348
	s_waitcnt vmcnt(18)
	v_fma_f64 v[125:126], v[143:144], v[127:128], v[125:126]
	buffer_load_dword v138, off, s[0:3], 0 offset:356
	buffer_load_dword v139, off, s[0:3], 0 offset:376
	;; [unrolled: 1-line block ×7, first 2 shown]
	s_waitcnt vmcnt(23) lgkmcnt(0)
	v_fma_f64 v[125:126], v[145:146], v[129:130], v[125:126]
	s_waitcnt vmcnt(18)
	v_fma_f64 v[145:146], v[147:148], v[131:132], v[125:126]
	ds_read2_b64 v[125:128], v124 offset0:99 offset1:100
	ds_read2_b64 v[129:132], v124 offset0:101 offset1:102
	buffer_load_dword v140, off, s[0:3], 0 offset:380
	s_waitcnt vmcnt(18) lgkmcnt(1)
	v_fma_f64 v[125:126], v[153:154], v[125:126], v[145:146]
	s_waitcnt vmcnt(17)
	v_fma_f64 v[125:126], v[151:152], v[127:128], v[125:126]
	buffer_load_dword v146, off, s[0:3], 0 offset:388
	buffer_load_dword v147, off, s[0:3], 0 offset:408
	buffer_load_dword v151, off, s[0:3], 0 offset:400
	buffer_load_dword v153, off, s[0:3], 0 offset:392
	buffer_load_dword v145, off, s[0:3], 0 offset:384
	buffer_load_dword v154, off, s[0:3], 0 offset:396
	buffer_load_dword v152, off, s[0:3], 0 offset:404
	buffer_load_dword v148, off, s[0:3], 0 offset:412
	s_waitcnt vmcnt(24) lgkmcnt(0)
	v_fma_f64 v[125:126], v[149:150], v[129:130], v[125:126]
	s_waitcnt vmcnt(19)
	v_fma_f64 v[133:134], v[133:134], v[131:132], v[125:126]
	ds_read2_b64 v[125:128], v124 offset0:103 offset1:104
	ds_read2_b64 v[129:132], v124 offset0:105 offset1:106
	s_waitcnt vmcnt(18) lgkmcnt(1)
	v_fma_f64 v[125:126], v[157:158], v[125:126], v[133:134]
	s_waitcnt vmcnt(17)
	v_fma_f64 v[125:126], v[155:156], v[127:128], v[125:126]
	buffer_load_dword v134, off, s[0:3], 0 offset:420
	buffer_load_dword v149, off, s[0:3], 0 offset:440
	buffer_load_dword v155, off, s[0:3], 0 offset:432
	buffer_load_dword v157, off, s[0:3], 0 offset:424
	buffer_load_dword v133, off, s[0:3], 0 offset:416
	buffer_load_dword v158, off, s[0:3], 0 offset:428
	buffer_load_dword v156, off, s[0:3], 0 offset:436
	buffer_load_dword v150, off, s[0:3], 0 offset:444
	s_waitcnt vmcnt(24) lgkmcnt(0)
	v_fma_f64 v[125:126], v[135:136], v[129:130], v[125:126]
	s_waitcnt vmcnt(19)
	v_fma_f64 v[135:136], v[137:138], v[131:132], v[125:126]
	ds_read2_b64 v[125:128], v124 offset0:107 offset1:108
	ds_read2_b64 v[129:132], v124 offset0:109 offset1:110
	;; [unrolled: 18-line block ×3, first 2 shown]
	s_waitcnt vmcnt(18) lgkmcnt(1)
	v_fma_f64 v[125:126], v[153:154], v[125:126], v[139:140]
	buffer_load_dword v140, off, s[0:3], 0 offset:484
	buffer_load_dword v139, off, s[0:3], 0 offset:480
	;; [unrolled: 1-line block ×4, first 2 shown]
	s_waitcnt vmcnt(21)
	v_fma_f64 v[125:126], v[151:152], v[127:128], v[125:126]
	s_waitcnt vmcnt(20) lgkmcnt(0)
	v_fma_f64 v[125:126], v[147:148], v[129:130], v[125:126]
	s_waitcnt vmcnt(15)
	v_fma_f64 v[133:134], v[133:134], v[131:132], v[125:126]
	ds_read2_b64 v[125:128], v124 offset0:115 offset1:116
	ds_read2_b64 v[129:132], v124 offset0:117 offset1:118
	s_waitcnt vmcnt(14) lgkmcnt(1)
	v_fma_f64 v[125:126], v[157:158], v[125:126], v[133:134]
	s_waitcnt vmcnt(13)
	v_fma_f64 v[125:126], v[155:156], v[127:128], v[125:126]
	s_waitcnt vmcnt(12) lgkmcnt(0)
	v_fma_f64 v[125:126], v[149:150], v[129:130], v[125:126]
	s_waitcnt vmcnt(7)
	v_fma_f64 v[133:134], v[135:136], v[131:132], v[125:126]
	ds_read2_b64 v[125:128], v124 offset0:119 offset1:120
	ds_read2_b64 v[129:132], v124 offset0:121 offset1:122
	s_waitcnt vmcnt(6) lgkmcnt(1)
	v_fma_f64 v[124:125], v[143:144], v[125:126], v[133:134]
	s_waitcnt vmcnt(5)
	v_fma_f64 v[124:125], v[141:142], v[127:128], v[124:125]
	s_waitcnt vmcnt(4) lgkmcnt(0)
	v_fma_f64 v[124:125], v[137:138], v[129:130], v[124:125]
	s_waitcnt vmcnt(2)
	v_fma_f64 v[124:125], v[139:140], v[131:132], v[124:125]
	s_waitcnt vmcnt(0)
	v_add_f64 v[124:125], v[145:146], -v[124:125]
	buffer_store_dword v125, off, s[0:3], 0 offset:228
	buffer_store_dword v124, off, s[0:3], 0 offset:224
	s_and_saveexec_b64 s[4:5], vcc
	s_cbranch_execz .LBB124_319
; %bb.318:
	buffer_load_dword v124, off, s[0:3], 0 offset:216
	buffer_load_dword v125, off, s[0:3], 0 offset:220
	v_mov_b32_e32 v126, 0
	buffer_store_dword v126, off, s[0:3], 0 offset:216
	buffer_store_dword v126, off, s[0:3], 0 offset:220
	s_waitcnt vmcnt(2)
	ds_write_b64 v123, v[124:125]
.LBB124_319:
	s_or_b64 exec, exec, s[4:5]
	s_waitcnt lgkmcnt(0)
	; wave barrier
	buffer_load_dword v133, off, s[0:3], 0 offset:224
	buffer_load_dword v134, off, s[0:3], 0 offset:228
	;; [unrolled: 1-line block ×21, first 2 shown]
	v_mov_b32_e32 v124, 0
	ds_read_b128 v[125:128], v124 offset:720
	ds_read_b128 v[129:132], v124 offset:736
	buffer_load_dword v150, off, s[0:3], 0 offset:308
	v_cmp_lt_u32_e32 vcc, 26, v0
	s_waitcnt vmcnt(20) lgkmcnt(1)
	v_fma_f64 v[125:126], v[133:134], v[125:126], 0
	s_waitcnt vmcnt(18)
	v_fma_f64 v[125:126], v[135:136], v[127:128], v[125:126]
	buffer_load_dword v134, off, s[0:3], 0 offset:316
	buffer_load_dword v135, off, s[0:3], 0 offset:336
	;; [unrolled: 1-line block ×7, first 2 shown]
	s_waitcnt vmcnt(23) lgkmcnt(0)
	v_fma_f64 v[125:126], v[137:138], v[129:130], v[125:126]
	s_waitcnt vmcnt(21)
	v_fma_f64 v[136:137], v[139:140], v[131:132], v[125:126]
	ds_read_b128 v[125:128], v124 offset:752
	ds_read_b128 v[129:132], v124 offset:768
	s_waitcnt vmcnt(19) lgkmcnt(1)
	v_fma_f64 v[125:126], v[141:142], v[125:126], v[136:137]
	buffer_load_dword v136, off, s[0:3], 0 offset:340
	s_waitcnt vmcnt(18)
	v_fma_f64 v[125:126], v[143:144], v[127:128], v[125:126]
	buffer_load_dword v138, off, s[0:3], 0 offset:348
	buffer_load_dword v139, off, s[0:3], 0 offset:368
	;; [unrolled: 1-line block ×7, first 2 shown]
	s_waitcnt vmcnt(23) lgkmcnt(0)
	v_fma_f64 v[125:126], v[145:146], v[129:130], v[125:126]
	s_waitcnt vmcnt(18)
	v_fma_f64 v[145:146], v[147:148], v[131:132], v[125:126]
	ds_read_b128 v[125:128], v124 offset:784
	ds_read_b128 v[129:132], v124 offset:800
	buffer_load_dword v140, off, s[0:3], 0 offset:372
	s_waitcnt vmcnt(18) lgkmcnt(1)
	v_fma_f64 v[125:126], v[153:154], v[125:126], v[145:146]
	s_waitcnt vmcnt(17)
	v_fma_f64 v[125:126], v[151:152], v[127:128], v[125:126]
	buffer_load_dword v146, off, s[0:3], 0 offset:380
	buffer_load_dword v147, off, s[0:3], 0 offset:400
	;; [unrolled: 1-line block ×7, first 2 shown]
	s_waitcnt vmcnt(23) lgkmcnt(0)
	v_fma_f64 v[125:126], v[149:150], v[129:130], v[125:126]
	s_waitcnt vmcnt(18)
	v_fma_f64 v[133:134], v[133:134], v[131:132], v[125:126]
	ds_read_b128 v[125:128], v124 offset:816
	ds_read_b128 v[129:132], v124 offset:832
	buffer_load_dword v148, off, s[0:3], 0 offset:404
	s_waitcnt vmcnt(18) lgkmcnt(1)
	v_fma_f64 v[125:126], v[157:158], v[125:126], v[133:134]
	s_waitcnt vmcnt(17)
	v_fma_f64 v[125:126], v[155:156], v[127:128], v[125:126]
	buffer_load_dword v134, off, s[0:3], 0 offset:412
	buffer_load_dword v149, off, s[0:3], 0 offset:432
	;; [unrolled: 1-line block ×8, first 2 shown]
	s_waitcnt vmcnt(24) lgkmcnt(0)
	v_fma_f64 v[125:126], v[135:136], v[129:130], v[125:126]
	s_waitcnt vmcnt(19)
	v_fma_f64 v[135:136], v[137:138], v[131:132], v[125:126]
	ds_read_b128 v[125:128], v124 offset:848
	ds_read_b128 v[129:132], v124 offset:864
	s_waitcnt vmcnt(18) lgkmcnt(1)
	v_fma_f64 v[125:126], v[143:144], v[125:126], v[135:136]
	s_waitcnt vmcnt(17)
	v_fma_f64 v[125:126], v[141:142], v[127:128], v[125:126]
	buffer_load_dword v136, off, s[0:3], 0 offset:444
	buffer_load_dword v137, off, s[0:3], 0 offset:464
	;; [unrolled: 1-line block ×7, first 2 shown]
	s_waitcnt vmcnt(23) lgkmcnt(0)
	v_fma_f64 v[125:126], v[139:140], v[129:130], v[125:126]
	s_waitcnt vmcnt(18)
	v_fma_f64 v[138:139], v[145:146], v[131:132], v[125:126]
	ds_read_b128 v[125:128], v124 offset:880
	ds_read_b128 v[129:132], v124 offset:896
	s_waitcnt vmcnt(17) lgkmcnt(1)
	v_fma_f64 v[125:126], v[153:154], v[125:126], v[138:139]
	buffer_load_dword v138, off, s[0:3], 0 offset:468
	buffer_load_dword v140, off, s[0:3], 0 offset:476
	;; [unrolled: 1-line block ×5, first 2 shown]
	s_waitcnt vmcnt(21)
	v_fma_f64 v[125:126], v[151:152], v[127:128], v[125:126]
	s_waitcnt vmcnt(20) lgkmcnt(0)
	v_fma_f64 v[125:126], v[147:148], v[129:130], v[125:126]
	buffer_load_dword v147, off, s[0:3], 0 offset:216
	buffer_load_dword v148, off, s[0:3], 0 offset:220
	s_waitcnt vmcnt(17)
	v_fma_f64 v[133:134], v[133:134], v[131:132], v[125:126]
	ds_read_b128 v[125:128], v124 offset:912
	ds_read_b128 v[129:132], v124 offset:928
	s_waitcnt vmcnt(16) lgkmcnt(1)
	v_fma_f64 v[125:126], v[157:158], v[125:126], v[133:134]
	s_waitcnt vmcnt(15)
	v_fma_f64 v[125:126], v[155:156], v[127:128], v[125:126]
	s_waitcnt vmcnt(14) lgkmcnt(0)
	v_fma_f64 v[125:126], v[149:150], v[129:130], v[125:126]
	s_waitcnt vmcnt(9)
	v_fma_f64 v[133:134], v[135:136], v[131:132], v[125:126]
	ds_read_b128 v[125:128], v124 offset:944
	ds_read_b128 v[129:132], v124 offset:960
	s_waitcnt vmcnt(8) lgkmcnt(1)
	v_fma_f64 v[125:126], v[143:144], v[125:126], v[133:134]
	s_waitcnt vmcnt(7)
	v_fma_f64 v[125:126], v[141:142], v[127:128], v[125:126]
	ds_read_b64 v[127:128], v124 offset:976
	s_waitcnt vmcnt(6) lgkmcnt(1)
	v_fma_f64 v[125:126], v[137:138], v[129:130], v[125:126]
	s_waitcnt vmcnt(3)
	v_fma_f64 v[125:126], v[139:140], v[131:132], v[125:126]
	s_waitcnt vmcnt(2) lgkmcnt(0)
	v_fma_f64 v[125:126], v[145:146], v[127:128], v[125:126]
	s_waitcnt vmcnt(0)
	v_add_f64 v[125:126], v[147:148], -v[125:126]
	buffer_store_dword v126, off, s[0:3], 0 offset:220
	buffer_store_dword v125, off, s[0:3], 0 offset:216
	s_and_saveexec_b64 s[4:5], vcc
	s_cbranch_execz .LBB124_321
; %bb.320:
	buffer_load_dword v125, off, s[0:3], 0 offset:208
	buffer_load_dword v126, off, s[0:3], 0 offset:212
	s_waitcnt vmcnt(0)
	ds_write_b64 v123, v[125:126]
	buffer_store_dword v124, off, s[0:3], 0 offset:208
	buffer_store_dword v124, off, s[0:3], 0 offset:212
.LBB124_321:
	s_or_b64 exec, exec, s[4:5]
	s_waitcnt lgkmcnt(0)
	; wave barrier
	buffer_load_dword v133, off, s[0:3], 0 offset:216
	buffer_load_dword v134, off, s[0:3], 0 offset:220
	;; [unrolled: 1-line block ×21, first 2 shown]
	ds_read2_b64 v[125:128], v124 offset0:89 offset1:90
	ds_read2_b64 v[129:132], v124 offset0:91 offset1:92
	buffer_load_dword v150, off, s[0:3], 0 offset:300
	v_cmp_lt_u32_e32 vcc, 25, v0
	s_waitcnt vmcnt(20) lgkmcnt(1)
	v_fma_f64 v[125:126], v[133:134], v[125:126], 0
	s_waitcnt vmcnt(18)
	v_fma_f64 v[125:126], v[135:136], v[127:128], v[125:126]
	buffer_load_dword v134, off, s[0:3], 0 offset:308
	buffer_load_dword v135, off, s[0:3], 0 offset:328
	buffer_load_dword v155, off, s[0:3], 0 offset:320
	buffer_load_dword v157, off, s[0:3], 0 offset:312
	buffer_load_dword v133, off, s[0:3], 0 offset:304
	buffer_load_dword v158, off, s[0:3], 0 offset:316
	buffer_load_dword v156, off, s[0:3], 0 offset:324
	s_waitcnt vmcnt(23) lgkmcnt(0)
	v_fma_f64 v[125:126], v[137:138], v[129:130], v[125:126]
	s_waitcnt vmcnt(21)
	v_fma_f64 v[136:137], v[139:140], v[131:132], v[125:126]
	ds_read2_b64 v[125:128], v124 offset0:93 offset1:94
	ds_read2_b64 v[129:132], v124 offset0:95 offset1:96
	s_waitcnt vmcnt(19) lgkmcnt(1)
	v_fma_f64 v[125:126], v[141:142], v[125:126], v[136:137]
	buffer_load_dword v136, off, s[0:3], 0 offset:332
	s_waitcnt vmcnt(18)
	v_fma_f64 v[125:126], v[143:144], v[127:128], v[125:126]
	buffer_load_dword v138, off, s[0:3], 0 offset:340
	buffer_load_dword v139, off, s[0:3], 0 offset:360
	;; [unrolled: 1-line block ×8, first 2 shown]
	s_waitcnt vmcnt(24) lgkmcnt(0)
	v_fma_f64 v[125:126], v[145:146], v[129:130], v[125:126]
	s_waitcnt vmcnt(19)
	v_fma_f64 v[145:146], v[147:148], v[131:132], v[125:126]
	ds_read2_b64 v[125:128], v124 offset0:97 offset1:98
	ds_read2_b64 v[129:132], v124 offset0:99 offset1:100
	s_waitcnt vmcnt(18) lgkmcnt(1)
	v_fma_f64 v[125:126], v[153:154], v[125:126], v[145:146]
	s_waitcnt vmcnt(17)
	v_fma_f64 v[125:126], v[151:152], v[127:128], v[125:126]
	buffer_load_dword v146, off, s[0:3], 0 offset:372
	buffer_load_dword v147, off, s[0:3], 0 offset:392
	;; [unrolled: 1-line block ×7, first 2 shown]
	s_waitcnt vmcnt(23) lgkmcnt(0)
	v_fma_f64 v[125:126], v[149:150], v[129:130], v[125:126]
	s_waitcnt vmcnt(18)
	v_fma_f64 v[133:134], v[133:134], v[131:132], v[125:126]
	ds_read2_b64 v[125:128], v124 offset0:101 offset1:102
	ds_read2_b64 v[129:132], v124 offset0:103 offset1:104
	buffer_load_dword v148, off, s[0:3], 0 offset:396
	s_waitcnt vmcnt(18) lgkmcnt(1)
	v_fma_f64 v[125:126], v[157:158], v[125:126], v[133:134]
	s_waitcnt vmcnt(17)
	v_fma_f64 v[125:126], v[155:156], v[127:128], v[125:126]
	buffer_load_dword v134, off, s[0:3], 0 offset:404
	buffer_load_dword v149, off, s[0:3], 0 offset:424
	;; [unrolled: 1-line block ×8, first 2 shown]
	s_waitcnt vmcnt(24) lgkmcnt(0)
	v_fma_f64 v[125:126], v[135:136], v[129:130], v[125:126]
	s_waitcnt vmcnt(19)
	v_fma_f64 v[135:136], v[137:138], v[131:132], v[125:126]
	ds_read2_b64 v[125:128], v124 offset0:105 offset1:106
	ds_read2_b64 v[129:132], v124 offset0:107 offset1:108
	s_waitcnt vmcnt(18) lgkmcnt(1)
	v_fma_f64 v[125:126], v[143:144], v[125:126], v[135:136]
	s_waitcnt vmcnt(17)
	v_fma_f64 v[125:126], v[141:142], v[127:128], v[125:126]
	buffer_load_dword v136, off, s[0:3], 0 offset:436
	buffer_load_dword v137, off, s[0:3], 0 offset:456
	;; [unrolled: 1-line block ×7, first 2 shown]
	s_waitcnt vmcnt(23) lgkmcnt(0)
	v_fma_f64 v[125:126], v[139:140], v[129:130], v[125:126]
	s_waitcnt vmcnt(18)
	v_fma_f64 v[138:139], v[145:146], v[131:132], v[125:126]
	ds_read2_b64 v[125:128], v124 offset0:109 offset1:110
	ds_read2_b64 v[129:132], v124 offset0:111 offset1:112
	s_waitcnt vmcnt(17) lgkmcnt(1)
	v_fma_f64 v[125:126], v[153:154], v[125:126], v[138:139]
	buffer_load_dword v138, off, s[0:3], 0 offset:460
	s_waitcnt vmcnt(17)
	v_fma_f64 v[125:126], v[151:152], v[127:128], v[125:126]
	buffer_load_dword v140, off, s[0:3], 0 offset:468
	buffer_load_dword v145, off, s[0:3], 0 offset:480
	;; [unrolled: 1-line block ×6, first 2 shown]
	s_waitcnt vmcnt(22) lgkmcnt(0)
	v_fma_f64 v[125:126], v[147:148], v[129:130], v[125:126]
	s_waitcnt vmcnt(17)
	v_fma_f64 v[133:134], v[133:134], v[131:132], v[125:126]
	ds_read2_b64 v[125:128], v124 offset0:113 offset1:114
	buffer_load_dword v147, off, s[0:3], 0 offset:208
	buffer_load_dword v148, off, s[0:3], 0 offset:212
	ds_read2_b64 v[129:132], v124 offset0:115 offset1:116
	s_waitcnt vmcnt(18) lgkmcnt(1)
	v_fma_f64 v[125:126], v[157:158], v[125:126], v[133:134]
	s_waitcnt vmcnt(17)
	v_fma_f64 v[125:126], v[155:156], v[127:128], v[125:126]
	s_waitcnt vmcnt(16) lgkmcnt(0)
	v_fma_f64 v[125:126], v[149:150], v[129:130], v[125:126]
	s_waitcnt vmcnt(11)
	v_fma_f64 v[133:134], v[135:136], v[131:132], v[125:126]
	ds_read2_b64 v[125:128], v124 offset0:117 offset1:118
	ds_read2_b64 v[129:132], v124 offset0:119 offset1:120
	s_waitcnt vmcnt(10) lgkmcnt(1)
	v_fma_f64 v[125:126], v[143:144], v[125:126], v[133:134]
	s_waitcnt vmcnt(9)
	v_fma_f64 v[125:126], v[141:142], v[127:128], v[125:126]
	s_waitcnt vmcnt(8) lgkmcnt(0)
	v_fma_f64 v[125:126], v[137:138], v[129:130], v[125:126]
	s_waitcnt vmcnt(4)
	v_fma_f64 v[128:129], v[139:140], v[131:132], v[125:126]
	ds_read2_b64 v[124:127], v124 offset0:121 offset1:122
	s_waitcnt vmcnt(3) lgkmcnt(0)
	v_fma_f64 v[124:125], v[151:152], v[124:125], v[128:129]
	s_waitcnt vmcnt(2)
	v_fma_f64 v[124:125], v[145:146], v[126:127], v[124:125]
	s_waitcnt vmcnt(0)
	v_add_f64 v[124:125], v[147:148], -v[124:125]
	buffer_store_dword v125, off, s[0:3], 0 offset:212
	buffer_store_dword v124, off, s[0:3], 0 offset:208
	s_and_saveexec_b64 s[4:5], vcc
	s_cbranch_execz .LBB124_323
; %bb.322:
	buffer_load_dword v124, off, s[0:3], 0 offset:200
	buffer_load_dword v125, off, s[0:3], 0 offset:204
	v_mov_b32_e32 v126, 0
	buffer_store_dword v126, off, s[0:3], 0 offset:200
	buffer_store_dword v126, off, s[0:3], 0 offset:204
	s_waitcnt vmcnt(2)
	ds_write_b64 v123, v[124:125]
.LBB124_323:
	s_or_b64 exec, exec, s[4:5]
	s_waitcnt lgkmcnt(0)
	; wave barrier
	buffer_load_dword v133, off, s[0:3], 0 offset:208
	buffer_load_dword v134, off, s[0:3], 0 offset:212
	;; [unrolled: 1-line block ×21, first 2 shown]
	v_mov_b32_e32 v124, 0
	ds_read_b128 v[125:128], v124 offset:704
	ds_read_b128 v[129:132], v124 offset:720
	buffer_load_dword v150, off, s[0:3], 0 offset:292
	v_cmp_lt_u32_e32 vcc, 24, v0
	s_waitcnt vmcnt(20) lgkmcnt(1)
	v_fma_f64 v[125:126], v[133:134], v[125:126], 0
	s_waitcnt vmcnt(18)
	v_fma_f64 v[125:126], v[135:136], v[127:128], v[125:126]
	buffer_load_dword v134, off, s[0:3], 0 offset:300
	buffer_load_dword v135, off, s[0:3], 0 offset:320
	;; [unrolled: 1-line block ×7, first 2 shown]
	s_waitcnt vmcnt(23) lgkmcnt(0)
	v_fma_f64 v[125:126], v[137:138], v[129:130], v[125:126]
	s_waitcnt vmcnt(21)
	v_fma_f64 v[136:137], v[139:140], v[131:132], v[125:126]
	ds_read_b128 v[125:128], v124 offset:736
	ds_read_b128 v[129:132], v124 offset:752
	s_waitcnt vmcnt(19) lgkmcnt(1)
	v_fma_f64 v[125:126], v[141:142], v[125:126], v[136:137]
	buffer_load_dword v136, off, s[0:3], 0 offset:324
	s_waitcnt vmcnt(18)
	v_fma_f64 v[125:126], v[143:144], v[127:128], v[125:126]
	buffer_load_dword v138, off, s[0:3], 0 offset:332
	buffer_load_dword v139, off, s[0:3], 0 offset:352
	;; [unrolled: 1-line block ×8, first 2 shown]
	s_waitcnt vmcnt(24) lgkmcnt(0)
	v_fma_f64 v[125:126], v[145:146], v[129:130], v[125:126]
	s_waitcnt vmcnt(19)
	v_fma_f64 v[145:146], v[147:148], v[131:132], v[125:126]
	ds_read_b128 v[125:128], v124 offset:768
	ds_read_b128 v[129:132], v124 offset:784
	s_waitcnt vmcnt(18) lgkmcnt(1)
	v_fma_f64 v[125:126], v[153:154], v[125:126], v[145:146]
	s_waitcnt vmcnt(17)
	v_fma_f64 v[125:126], v[151:152], v[127:128], v[125:126]
	buffer_load_dword v146, off, s[0:3], 0 offset:364
	buffer_load_dword v147, off, s[0:3], 0 offset:384
	;; [unrolled: 1-line block ×7, first 2 shown]
	s_waitcnt vmcnt(23) lgkmcnt(0)
	v_fma_f64 v[125:126], v[149:150], v[129:130], v[125:126]
	s_waitcnt vmcnt(18)
	v_fma_f64 v[133:134], v[133:134], v[131:132], v[125:126]
	ds_read_b128 v[125:128], v124 offset:800
	ds_read_b128 v[129:132], v124 offset:816
	buffer_load_dword v148, off, s[0:3], 0 offset:388
	s_waitcnt vmcnt(18) lgkmcnt(1)
	v_fma_f64 v[125:126], v[157:158], v[125:126], v[133:134]
	s_waitcnt vmcnt(17)
	v_fma_f64 v[125:126], v[155:156], v[127:128], v[125:126]
	buffer_load_dword v134, off, s[0:3], 0 offset:396
	buffer_load_dword v149, off, s[0:3], 0 offset:416
	;; [unrolled: 1-line block ×8, first 2 shown]
	s_waitcnt vmcnt(24) lgkmcnt(0)
	v_fma_f64 v[125:126], v[135:136], v[129:130], v[125:126]
	s_waitcnt vmcnt(19)
	v_fma_f64 v[135:136], v[137:138], v[131:132], v[125:126]
	ds_read_b128 v[125:128], v124 offset:832
	ds_read_b128 v[129:132], v124 offset:848
	s_waitcnt vmcnt(18) lgkmcnt(1)
	v_fma_f64 v[125:126], v[143:144], v[125:126], v[135:136]
	s_waitcnt vmcnt(17)
	v_fma_f64 v[125:126], v[141:142], v[127:128], v[125:126]
	buffer_load_dword v136, off, s[0:3], 0 offset:428
	buffer_load_dword v137, off, s[0:3], 0 offset:448
	;; [unrolled: 1-line block ×7, first 2 shown]
	s_waitcnt vmcnt(23) lgkmcnt(0)
	v_fma_f64 v[125:126], v[139:140], v[129:130], v[125:126]
	s_waitcnt vmcnt(18)
	v_fma_f64 v[138:139], v[145:146], v[131:132], v[125:126]
	ds_read_b128 v[125:128], v124 offset:864
	ds_read_b128 v[129:132], v124 offset:880
	s_waitcnt vmcnt(17) lgkmcnt(1)
	v_fma_f64 v[125:126], v[153:154], v[125:126], v[138:139]
	buffer_load_dword v138, off, s[0:3], 0 offset:452
	s_waitcnt vmcnt(17)
	v_fma_f64 v[125:126], v[151:152], v[127:128], v[125:126]
	buffer_load_dword v140, off, s[0:3], 0 offset:460
	buffer_load_dword v145, off, s[0:3], 0 offset:480
	buffer_load_dword v151, off, s[0:3], 0 offset:472
	buffer_load_dword v153, off, s[0:3], 0 offset:464
	buffer_load_dword v139, off, s[0:3], 0 offset:456
	buffer_load_dword v154, off, s[0:3], 0 offset:468
	buffer_load_dword v152, off, s[0:3], 0 offset:476
	buffer_load_dword v146, off, s[0:3], 0 offset:484
	s_waitcnt vmcnt(24) lgkmcnt(0)
	v_fma_f64 v[125:126], v[147:148], v[129:130], v[125:126]
	s_waitcnt vmcnt(19)
	v_fma_f64 v[133:134], v[133:134], v[131:132], v[125:126]
	ds_read_b128 v[125:128], v124 offset:896
	ds_read_b128 v[129:132], v124 offset:912
	s_waitcnt vmcnt(18) lgkmcnt(1)
	v_fma_f64 v[125:126], v[157:158], v[125:126], v[133:134]
	buffer_load_dword v133, off, s[0:3], 0 offset:200
	buffer_load_dword v134, off, s[0:3], 0 offset:204
	s_waitcnt vmcnt(19)
	v_fma_f64 v[125:126], v[155:156], v[127:128], v[125:126]
	s_waitcnt vmcnt(18) lgkmcnt(0)
	v_fma_f64 v[125:126], v[149:150], v[129:130], v[125:126]
	s_waitcnt vmcnt(13)
	v_fma_f64 v[135:136], v[135:136], v[131:132], v[125:126]
	ds_read_b128 v[125:128], v124 offset:928
	ds_read_b128 v[129:132], v124 offset:944
	s_waitcnt vmcnt(12) lgkmcnt(1)
	v_fma_f64 v[125:126], v[143:144], v[125:126], v[135:136]
	s_waitcnt vmcnt(11)
	v_fma_f64 v[125:126], v[141:142], v[127:128], v[125:126]
	s_waitcnt vmcnt(10) lgkmcnt(0)
	v_fma_f64 v[125:126], v[137:138], v[129:130], v[125:126]
	s_waitcnt vmcnt(5)
	v_fma_f64 v[129:130], v[139:140], v[131:132], v[125:126]
	ds_read_b128 v[125:128], v124 offset:960
	ds_read_b64 v[131:132], v124 offset:976
	s_waitcnt vmcnt(4) lgkmcnt(1)
	v_fma_f64 v[125:126], v[153:154], v[125:126], v[129:130]
	s_waitcnt vmcnt(3)
	v_fma_f64 v[125:126], v[151:152], v[127:128], v[125:126]
	s_waitcnt vmcnt(2) lgkmcnt(0)
	v_fma_f64 v[125:126], v[145:146], v[131:132], v[125:126]
	s_waitcnt vmcnt(0)
	v_add_f64 v[125:126], v[133:134], -v[125:126]
	buffer_store_dword v126, off, s[0:3], 0 offset:204
	buffer_store_dword v125, off, s[0:3], 0 offset:200
	s_and_saveexec_b64 s[4:5], vcc
	s_cbranch_execz .LBB124_325
; %bb.324:
	buffer_load_dword v125, off, s[0:3], 0 offset:192
	buffer_load_dword v126, off, s[0:3], 0 offset:196
	s_waitcnt vmcnt(0)
	ds_write_b64 v123, v[125:126]
	buffer_store_dword v124, off, s[0:3], 0 offset:192
	buffer_store_dword v124, off, s[0:3], 0 offset:196
.LBB124_325:
	s_or_b64 exec, exec, s[4:5]
	s_waitcnt lgkmcnt(0)
	; wave barrier
	buffer_load_dword v133, off, s[0:3], 0 offset:200
	buffer_load_dword v134, off, s[0:3], 0 offset:204
	buffer_load_dword v135, off, s[0:3], 0 offset:208
	buffer_load_dword v136, off, s[0:3], 0 offset:212
	buffer_load_dword v137, off, s[0:3], 0 offset:216
	buffer_load_dword v138, off, s[0:3], 0 offset:220
	buffer_load_dword v139, off, s[0:3], 0 offset:224
	buffer_load_dword v140, off, s[0:3], 0 offset:228
	buffer_load_dword v141, off, s[0:3], 0 offset:232
	buffer_load_dword v142, off, s[0:3], 0 offset:236
	buffer_load_dword v143, off, s[0:3], 0 offset:240
	buffer_load_dword v144, off, s[0:3], 0 offset:244
	buffer_load_dword v145, off, s[0:3], 0 offset:248
	buffer_load_dword v146, off, s[0:3], 0 offset:252
	buffer_load_dword v148, off, s[0:3], 0 offset:260
	buffer_load_dword v149, off, s[0:3], 0 offset:280
	buffer_load_dword v151, off, s[0:3], 0 offset:272
	buffer_load_dword v153, off, s[0:3], 0 offset:264
	buffer_load_dword v147, off, s[0:3], 0 offset:256
	buffer_load_dword v154, off, s[0:3], 0 offset:268
	buffer_load_dword v152, off, s[0:3], 0 offset:276
	ds_read2_b64 v[125:128], v124 offset0:87 offset1:88
	ds_read2_b64 v[129:132], v124 offset0:89 offset1:90
	buffer_load_dword v150, off, s[0:3], 0 offset:284
	v_cmp_lt_u32_e32 vcc, 23, v0
	s_waitcnt vmcnt(20) lgkmcnt(1)
	v_fma_f64 v[125:126], v[133:134], v[125:126], 0
	s_waitcnt vmcnt(18)
	v_fma_f64 v[125:126], v[135:136], v[127:128], v[125:126]
	buffer_load_dword v134, off, s[0:3], 0 offset:292
	buffer_load_dword v135, off, s[0:3], 0 offset:312
	;; [unrolled: 1-line block ×7, first 2 shown]
	s_waitcnt vmcnt(23) lgkmcnt(0)
	v_fma_f64 v[125:126], v[137:138], v[129:130], v[125:126]
	s_waitcnt vmcnt(21)
	v_fma_f64 v[136:137], v[139:140], v[131:132], v[125:126]
	ds_read2_b64 v[125:128], v124 offset0:91 offset1:92
	ds_read2_b64 v[129:132], v124 offset0:93 offset1:94
	s_waitcnt vmcnt(19) lgkmcnt(1)
	v_fma_f64 v[125:126], v[141:142], v[125:126], v[136:137]
	buffer_load_dword v136, off, s[0:3], 0 offset:316
	s_waitcnt vmcnt(18)
	v_fma_f64 v[125:126], v[143:144], v[127:128], v[125:126]
	buffer_load_dword v138, off, s[0:3], 0 offset:324
	buffer_load_dword v139, off, s[0:3], 0 offset:344
	;; [unrolled: 1-line block ×8, first 2 shown]
	s_waitcnt vmcnt(24) lgkmcnt(0)
	v_fma_f64 v[125:126], v[145:146], v[129:130], v[125:126]
	s_waitcnt vmcnt(19)
	v_fma_f64 v[145:146], v[147:148], v[131:132], v[125:126]
	ds_read2_b64 v[125:128], v124 offset0:95 offset1:96
	ds_read2_b64 v[129:132], v124 offset0:97 offset1:98
	s_waitcnt vmcnt(18) lgkmcnt(1)
	v_fma_f64 v[125:126], v[153:154], v[125:126], v[145:146]
	s_waitcnt vmcnt(17)
	v_fma_f64 v[125:126], v[151:152], v[127:128], v[125:126]
	buffer_load_dword v146, off, s[0:3], 0 offset:356
	buffer_load_dword v147, off, s[0:3], 0 offset:376
	;; [unrolled: 1-line block ×7, first 2 shown]
	s_waitcnt vmcnt(23) lgkmcnt(0)
	v_fma_f64 v[125:126], v[149:150], v[129:130], v[125:126]
	s_waitcnt vmcnt(18)
	v_fma_f64 v[133:134], v[133:134], v[131:132], v[125:126]
	ds_read2_b64 v[125:128], v124 offset0:99 offset1:100
	ds_read2_b64 v[129:132], v124 offset0:101 offset1:102
	buffer_load_dword v148, off, s[0:3], 0 offset:380
	s_waitcnt vmcnt(18) lgkmcnt(1)
	v_fma_f64 v[125:126], v[157:158], v[125:126], v[133:134]
	s_waitcnt vmcnt(17)
	v_fma_f64 v[125:126], v[155:156], v[127:128], v[125:126]
	buffer_load_dword v134, off, s[0:3], 0 offset:388
	buffer_load_dword v149, off, s[0:3], 0 offset:408
	;; [unrolled: 1-line block ×8, first 2 shown]
	s_waitcnt vmcnt(24) lgkmcnt(0)
	v_fma_f64 v[125:126], v[135:136], v[129:130], v[125:126]
	s_waitcnt vmcnt(19)
	v_fma_f64 v[135:136], v[137:138], v[131:132], v[125:126]
	ds_read2_b64 v[125:128], v124 offset0:103 offset1:104
	ds_read2_b64 v[129:132], v124 offset0:105 offset1:106
	s_waitcnt vmcnt(18) lgkmcnt(1)
	v_fma_f64 v[125:126], v[143:144], v[125:126], v[135:136]
	s_waitcnt vmcnt(17)
	v_fma_f64 v[125:126], v[141:142], v[127:128], v[125:126]
	buffer_load_dword v136, off, s[0:3], 0 offset:420
	buffer_load_dword v137, off, s[0:3], 0 offset:440
	;; [unrolled: 1-line block ×7, first 2 shown]
	s_waitcnt vmcnt(23) lgkmcnt(0)
	v_fma_f64 v[125:126], v[139:140], v[129:130], v[125:126]
	s_waitcnt vmcnt(18)
	v_fma_f64 v[138:139], v[145:146], v[131:132], v[125:126]
	ds_read2_b64 v[125:128], v124 offset0:107 offset1:108
	ds_read2_b64 v[129:132], v124 offset0:109 offset1:110
	s_waitcnt vmcnt(17) lgkmcnt(1)
	v_fma_f64 v[125:126], v[153:154], v[125:126], v[138:139]
	buffer_load_dword v138, off, s[0:3], 0 offset:444
	s_waitcnt vmcnt(17)
	v_fma_f64 v[125:126], v[151:152], v[127:128], v[125:126]
	buffer_load_dword v140, off, s[0:3], 0 offset:452
	buffer_load_dword v145, off, s[0:3], 0 offset:472
	;; [unrolled: 1-line block ×8, first 2 shown]
	s_waitcnt vmcnt(24) lgkmcnt(0)
	v_fma_f64 v[125:126], v[147:148], v[129:130], v[125:126]
	s_waitcnt vmcnt(19)
	v_fma_f64 v[133:134], v[133:134], v[131:132], v[125:126]
	ds_read2_b64 v[125:128], v124 offset0:111 offset1:112
	ds_read2_b64 v[129:132], v124 offset0:113 offset1:114
	s_waitcnt vmcnt(18) lgkmcnt(1)
	v_fma_f64 v[125:126], v[157:158], v[125:126], v[133:134]
	buffer_load_dword v134, off, s[0:3], 0 offset:484
	buffer_load_dword v133, off, s[0:3], 0 offset:480
	;; [unrolled: 1-line block ×4, first 2 shown]
	s_waitcnt vmcnt(21)
	v_fma_f64 v[125:126], v[155:156], v[127:128], v[125:126]
	s_waitcnt vmcnt(20) lgkmcnt(0)
	v_fma_f64 v[125:126], v[149:150], v[129:130], v[125:126]
	s_waitcnt vmcnt(15)
	v_fma_f64 v[135:136], v[135:136], v[131:132], v[125:126]
	ds_read2_b64 v[125:128], v124 offset0:115 offset1:116
	ds_read2_b64 v[129:132], v124 offset0:117 offset1:118
	s_waitcnt vmcnt(14) lgkmcnt(1)
	v_fma_f64 v[125:126], v[143:144], v[125:126], v[135:136]
	s_waitcnt vmcnt(13)
	v_fma_f64 v[125:126], v[141:142], v[127:128], v[125:126]
	s_waitcnt vmcnt(12) lgkmcnt(0)
	v_fma_f64 v[125:126], v[137:138], v[129:130], v[125:126]
	s_waitcnt vmcnt(7)
	v_fma_f64 v[135:136], v[139:140], v[131:132], v[125:126]
	ds_read2_b64 v[125:128], v124 offset0:119 offset1:120
	ds_read2_b64 v[129:132], v124 offset0:121 offset1:122
	s_waitcnt vmcnt(6) lgkmcnt(1)
	v_fma_f64 v[124:125], v[153:154], v[125:126], v[135:136]
	s_waitcnt vmcnt(5)
	v_fma_f64 v[124:125], v[151:152], v[127:128], v[124:125]
	s_waitcnt vmcnt(4) lgkmcnt(0)
	v_fma_f64 v[124:125], v[145:146], v[129:130], v[124:125]
	s_waitcnt vmcnt(2)
	v_fma_f64 v[124:125], v[133:134], v[131:132], v[124:125]
	s_waitcnt vmcnt(0)
	v_add_f64 v[124:125], v[147:148], -v[124:125]
	buffer_store_dword v125, off, s[0:3], 0 offset:196
	buffer_store_dword v124, off, s[0:3], 0 offset:192
	s_and_saveexec_b64 s[4:5], vcc
	s_cbranch_execz .LBB124_327
; %bb.326:
	buffer_load_dword v124, off, s[0:3], 0 offset:184
	buffer_load_dword v125, off, s[0:3], 0 offset:188
	v_mov_b32_e32 v126, 0
	buffer_store_dword v126, off, s[0:3], 0 offset:184
	buffer_store_dword v126, off, s[0:3], 0 offset:188
	s_waitcnt vmcnt(2)
	ds_write_b64 v123, v[124:125]
.LBB124_327:
	s_or_b64 exec, exec, s[4:5]
	s_waitcnt lgkmcnt(0)
	; wave barrier
	buffer_load_dword v133, off, s[0:3], 0 offset:192
	buffer_load_dword v134, off, s[0:3], 0 offset:196
	;; [unrolled: 1-line block ×21, first 2 shown]
	v_mov_b32_e32 v124, 0
	ds_read_b128 v[125:128], v124 offset:688
	ds_read_b128 v[129:132], v124 offset:704
	buffer_load_dword v150, off, s[0:3], 0 offset:276
	v_cmp_lt_u32_e32 vcc, 22, v0
	s_waitcnt vmcnt(20) lgkmcnt(1)
	v_fma_f64 v[125:126], v[133:134], v[125:126], 0
	s_waitcnt vmcnt(18)
	v_fma_f64 v[125:126], v[135:136], v[127:128], v[125:126]
	buffer_load_dword v134, off, s[0:3], 0 offset:284
	buffer_load_dword v135, off, s[0:3], 0 offset:304
	;; [unrolled: 1-line block ×7, first 2 shown]
	s_waitcnt vmcnt(23) lgkmcnt(0)
	v_fma_f64 v[125:126], v[137:138], v[129:130], v[125:126]
	s_waitcnt vmcnt(21)
	v_fma_f64 v[136:137], v[139:140], v[131:132], v[125:126]
	ds_read_b128 v[125:128], v124 offset:720
	ds_read_b128 v[129:132], v124 offset:736
	s_waitcnt vmcnt(19) lgkmcnt(1)
	v_fma_f64 v[125:126], v[141:142], v[125:126], v[136:137]
	buffer_load_dword v136, off, s[0:3], 0 offset:308
	s_waitcnt vmcnt(18)
	v_fma_f64 v[125:126], v[143:144], v[127:128], v[125:126]
	buffer_load_dword v138, off, s[0:3], 0 offset:316
	buffer_load_dword v139, off, s[0:3], 0 offset:336
	;; [unrolled: 1-line block ×8, first 2 shown]
	s_waitcnt vmcnt(24) lgkmcnt(0)
	v_fma_f64 v[125:126], v[145:146], v[129:130], v[125:126]
	s_waitcnt vmcnt(19)
	v_fma_f64 v[145:146], v[147:148], v[131:132], v[125:126]
	ds_read_b128 v[125:128], v124 offset:752
	ds_read_b128 v[129:132], v124 offset:768
	s_waitcnt vmcnt(18) lgkmcnt(1)
	v_fma_f64 v[125:126], v[153:154], v[125:126], v[145:146]
	s_waitcnt vmcnt(17)
	v_fma_f64 v[125:126], v[151:152], v[127:128], v[125:126]
	buffer_load_dword v146, off, s[0:3], 0 offset:348
	buffer_load_dword v147, off, s[0:3], 0 offset:368
	;; [unrolled: 1-line block ×7, first 2 shown]
	s_waitcnt vmcnt(23) lgkmcnt(0)
	v_fma_f64 v[125:126], v[149:150], v[129:130], v[125:126]
	s_waitcnt vmcnt(18)
	v_fma_f64 v[133:134], v[133:134], v[131:132], v[125:126]
	ds_read_b128 v[125:128], v124 offset:784
	ds_read_b128 v[129:132], v124 offset:800
	buffer_load_dword v148, off, s[0:3], 0 offset:372
	s_waitcnt vmcnt(18) lgkmcnt(1)
	v_fma_f64 v[125:126], v[157:158], v[125:126], v[133:134]
	s_waitcnt vmcnt(17)
	v_fma_f64 v[125:126], v[155:156], v[127:128], v[125:126]
	buffer_load_dword v134, off, s[0:3], 0 offset:380
	buffer_load_dword v149, off, s[0:3], 0 offset:400
	;; [unrolled: 1-line block ×7, first 2 shown]
	s_waitcnt vmcnt(23) lgkmcnt(0)
	v_fma_f64 v[125:126], v[135:136], v[129:130], v[125:126]
	s_waitcnt vmcnt(18)
	v_fma_f64 v[135:136], v[137:138], v[131:132], v[125:126]
	ds_read_b128 v[125:128], v124 offset:816
	ds_read_b128 v[129:132], v124 offset:832
	buffer_load_dword v150, off, s[0:3], 0 offset:404
	s_waitcnt vmcnt(18) lgkmcnt(1)
	v_fma_f64 v[125:126], v[143:144], v[125:126], v[135:136]
	s_waitcnt vmcnt(17)
	v_fma_f64 v[125:126], v[141:142], v[127:128], v[125:126]
	buffer_load_dword v136, off, s[0:3], 0 offset:412
	buffer_load_dword v137, off, s[0:3], 0 offset:432
	;; [unrolled: 1-line block ×7, first 2 shown]
	s_waitcnt vmcnt(23) lgkmcnt(0)
	v_fma_f64 v[125:126], v[139:140], v[129:130], v[125:126]
	s_waitcnt vmcnt(18)
	v_fma_f64 v[138:139], v[145:146], v[131:132], v[125:126]
	ds_read_b128 v[125:128], v124 offset:848
	ds_read_b128 v[129:132], v124 offset:864
	s_waitcnt vmcnt(17) lgkmcnt(1)
	v_fma_f64 v[125:126], v[153:154], v[125:126], v[138:139]
	buffer_load_dword v138, off, s[0:3], 0 offset:436
	s_waitcnt vmcnt(17)
	v_fma_f64 v[125:126], v[151:152], v[127:128], v[125:126]
	buffer_load_dword v140, off, s[0:3], 0 offset:444
	buffer_load_dword v145, off, s[0:3], 0 offset:464
	;; [unrolled: 1-line block ×7, first 2 shown]
	s_waitcnt vmcnt(23) lgkmcnt(0)
	v_fma_f64 v[125:126], v[147:148], v[129:130], v[125:126]
	s_waitcnt vmcnt(18)
	v_fma_f64 v[133:134], v[133:134], v[131:132], v[125:126]
	ds_read_b128 v[125:128], v124 offset:880
	ds_read_b128 v[129:132], v124 offset:896
	buffer_load_dword v146, off, s[0:3], 0 offset:468
	s_waitcnt vmcnt(18) lgkmcnt(1)
	v_fma_f64 v[125:126], v[157:158], v[125:126], v[133:134]
	buffer_load_dword v134, off, s[0:3], 0 offset:476
	buffer_load_dword v147, off, s[0:3], 0 offset:480
	buffer_load_dword v133, off, s[0:3], 0 offset:472
	buffer_load_dword v148, off, s[0:3], 0 offset:484
	s_waitcnt vmcnt(21)
	v_fma_f64 v[125:126], v[155:156], v[127:128], v[125:126]
	s_waitcnt vmcnt(20) lgkmcnt(0)
	v_fma_f64 v[125:126], v[149:150], v[129:130], v[125:126]
	buffer_load_dword v149, off, s[0:3], 0 offset:184
	buffer_load_dword v150, off, s[0:3], 0 offset:188
	s_waitcnt vmcnt(17)
	v_fma_f64 v[135:136], v[135:136], v[131:132], v[125:126]
	ds_read_b128 v[125:128], v124 offset:912
	ds_read_b128 v[129:132], v124 offset:928
	s_waitcnt vmcnt(16) lgkmcnt(1)
	v_fma_f64 v[125:126], v[143:144], v[125:126], v[135:136]
	s_waitcnt vmcnt(15)
	v_fma_f64 v[125:126], v[141:142], v[127:128], v[125:126]
	s_waitcnt vmcnt(14) lgkmcnt(0)
	v_fma_f64 v[125:126], v[137:138], v[129:130], v[125:126]
	s_waitcnt vmcnt(9)
	v_fma_f64 v[135:136], v[139:140], v[131:132], v[125:126]
	ds_read_b128 v[125:128], v124 offset:944
	ds_read_b128 v[129:132], v124 offset:960
	s_waitcnt vmcnt(8) lgkmcnt(1)
	v_fma_f64 v[125:126], v[153:154], v[125:126], v[135:136]
	s_waitcnt vmcnt(7)
	v_fma_f64 v[125:126], v[151:152], v[127:128], v[125:126]
	ds_read_b64 v[127:128], v124 offset:976
	s_waitcnt vmcnt(6) lgkmcnt(1)
	v_fma_f64 v[125:126], v[145:146], v[129:130], v[125:126]
	s_waitcnt vmcnt(3)
	v_fma_f64 v[125:126], v[133:134], v[131:132], v[125:126]
	s_waitcnt vmcnt(2) lgkmcnt(0)
	v_fma_f64 v[125:126], v[147:148], v[127:128], v[125:126]
	s_waitcnt vmcnt(0)
	v_add_f64 v[125:126], v[149:150], -v[125:126]
	buffer_store_dword v126, off, s[0:3], 0 offset:188
	buffer_store_dword v125, off, s[0:3], 0 offset:184
	s_and_saveexec_b64 s[4:5], vcc
	s_cbranch_execz .LBB124_329
; %bb.328:
	buffer_load_dword v125, off, s[0:3], 0 offset:176
	buffer_load_dword v126, off, s[0:3], 0 offset:180
	s_waitcnt vmcnt(0)
	ds_write_b64 v123, v[125:126]
	buffer_store_dword v124, off, s[0:3], 0 offset:176
	buffer_store_dword v124, off, s[0:3], 0 offset:180
.LBB124_329:
	s_or_b64 exec, exec, s[4:5]
	s_waitcnt lgkmcnt(0)
	; wave barrier
	buffer_load_dword v133, off, s[0:3], 0 offset:184
	buffer_load_dword v134, off, s[0:3], 0 offset:188
	;; [unrolled: 1-line block ×22, first 2 shown]
	ds_read2_b64 v[125:128], v124 offset0:85 offset1:86
	ds_read2_b64 v[129:132], v124 offset0:87 offset1:88
	v_cmp_lt_u32_e32 vcc, 21, v0
	s_waitcnt vmcnt(20) lgkmcnt(1)
	v_fma_f64 v[125:126], v[133:134], v[125:126], 0
	s_waitcnt vmcnt(18)
	v_fma_f64 v[125:126], v[135:136], v[127:128], v[125:126]
	buffer_load_dword v134, off, s[0:3], 0 offset:276
	buffer_load_dword v135, off, s[0:3], 0 offset:296
	;; [unrolled: 1-line block ×7, first 2 shown]
	s_waitcnt vmcnt(23) lgkmcnt(0)
	v_fma_f64 v[125:126], v[137:138], v[129:130], v[125:126]
	s_waitcnt vmcnt(21)
	v_fma_f64 v[136:137], v[139:140], v[131:132], v[125:126]
	ds_read2_b64 v[125:128], v124 offset0:89 offset1:90
	ds_read2_b64 v[129:132], v124 offset0:91 offset1:92
	s_waitcnt vmcnt(19) lgkmcnt(1)
	v_fma_f64 v[125:126], v[141:142], v[125:126], v[136:137]
	buffer_load_dword v136, off, s[0:3], 0 offset:300
	s_waitcnt vmcnt(18)
	v_fma_f64 v[125:126], v[143:144], v[127:128], v[125:126]
	buffer_load_dword v138, off, s[0:3], 0 offset:308
	buffer_load_dword v139, off, s[0:3], 0 offset:328
	;; [unrolled: 1-line block ×8, first 2 shown]
	s_waitcnt vmcnt(24) lgkmcnt(0)
	v_fma_f64 v[125:126], v[145:146], v[129:130], v[125:126]
	s_waitcnt vmcnt(19)
	v_fma_f64 v[145:146], v[147:148], v[131:132], v[125:126]
	ds_read2_b64 v[125:128], v124 offset0:93 offset1:94
	ds_read2_b64 v[129:132], v124 offset0:95 offset1:96
	s_waitcnt vmcnt(18) lgkmcnt(1)
	v_fma_f64 v[125:126], v[153:154], v[125:126], v[145:146]
	s_waitcnt vmcnt(17)
	v_fma_f64 v[125:126], v[151:152], v[127:128], v[125:126]
	buffer_load_dword v146, off, s[0:3], 0 offset:340
	buffer_load_dword v147, off, s[0:3], 0 offset:360
	;; [unrolled: 1-line block ×8, first 2 shown]
	s_waitcnt vmcnt(24) lgkmcnt(0)
	v_fma_f64 v[125:126], v[149:150], v[129:130], v[125:126]
	s_waitcnt vmcnt(19)
	v_fma_f64 v[133:134], v[133:134], v[131:132], v[125:126]
	ds_read2_b64 v[125:128], v124 offset0:97 offset1:98
	ds_read2_b64 v[129:132], v124 offset0:99 offset1:100
	s_waitcnt vmcnt(18) lgkmcnt(1)
	v_fma_f64 v[125:126], v[157:158], v[125:126], v[133:134]
	s_waitcnt vmcnt(17)
	v_fma_f64 v[125:126], v[155:156], v[127:128], v[125:126]
	buffer_load_dword v134, off, s[0:3], 0 offset:372
	buffer_load_dword v149, off, s[0:3], 0 offset:392
	;; [unrolled: 1-line block ×7, first 2 shown]
	s_waitcnt vmcnt(23) lgkmcnt(0)
	v_fma_f64 v[125:126], v[135:136], v[129:130], v[125:126]
	s_waitcnt vmcnt(18)
	v_fma_f64 v[135:136], v[137:138], v[131:132], v[125:126]
	ds_read2_b64 v[125:128], v124 offset0:101 offset1:102
	ds_read2_b64 v[129:132], v124 offset0:103 offset1:104
	buffer_load_dword v150, off, s[0:3], 0 offset:396
	s_waitcnt vmcnt(18) lgkmcnt(1)
	v_fma_f64 v[125:126], v[143:144], v[125:126], v[135:136]
	s_waitcnt vmcnt(17)
	v_fma_f64 v[125:126], v[141:142], v[127:128], v[125:126]
	buffer_load_dword v136, off, s[0:3], 0 offset:404
	buffer_load_dword v137, off, s[0:3], 0 offset:424
	buffer_load_dword v141, off, s[0:3], 0 offset:416
	buffer_load_dword v143, off, s[0:3], 0 offset:408
	buffer_load_dword v135, off, s[0:3], 0 offset:400
	buffer_load_dword v144, off, s[0:3], 0 offset:412
	buffer_load_dword v142, off, s[0:3], 0 offset:420
	s_waitcnt vmcnt(23) lgkmcnt(0)
	v_fma_f64 v[125:126], v[139:140], v[129:130], v[125:126]
	s_waitcnt vmcnt(18)
	v_fma_f64 v[138:139], v[145:146], v[131:132], v[125:126]
	ds_read2_b64 v[125:128], v124 offset0:105 offset1:106
	ds_read2_b64 v[129:132], v124 offset0:107 offset1:108
	s_waitcnt vmcnt(17) lgkmcnt(1)
	v_fma_f64 v[125:126], v[153:154], v[125:126], v[138:139]
	buffer_load_dword v138, off, s[0:3], 0 offset:428
	s_waitcnt vmcnt(17)
	v_fma_f64 v[125:126], v[151:152], v[127:128], v[125:126]
	buffer_load_dword v140, off, s[0:3], 0 offset:436
	buffer_load_dword v145, off, s[0:3], 0 offset:456
	;; [unrolled: 1-line block ×8, first 2 shown]
	s_waitcnt vmcnt(24) lgkmcnt(0)
	v_fma_f64 v[125:126], v[147:148], v[129:130], v[125:126]
	s_waitcnt vmcnt(19)
	v_fma_f64 v[133:134], v[133:134], v[131:132], v[125:126]
	ds_read2_b64 v[125:128], v124 offset0:109 offset1:110
	ds_read2_b64 v[129:132], v124 offset0:111 offset1:112
	s_waitcnt vmcnt(18) lgkmcnt(1)
	v_fma_f64 v[125:126], v[157:158], v[125:126], v[133:134]
	s_waitcnt vmcnt(17)
	v_fma_f64 v[125:126], v[155:156], v[127:128], v[125:126]
	buffer_load_dword v134, off, s[0:3], 0 offset:468
	buffer_load_dword v147, off, s[0:3], 0 offset:480
	;; [unrolled: 1-line block ×6, first 2 shown]
	s_waitcnt vmcnt(22) lgkmcnt(0)
	v_fma_f64 v[125:126], v[149:150], v[129:130], v[125:126]
	s_waitcnt vmcnt(17)
	v_fma_f64 v[135:136], v[135:136], v[131:132], v[125:126]
	ds_read2_b64 v[125:128], v124 offset0:113 offset1:114
	buffer_load_dword v149, off, s[0:3], 0 offset:176
	buffer_load_dword v150, off, s[0:3], 0 offset:180
	ds_read2_b64 v[129:132], v124 offset0:115 offset1:116
	s_waitcnt vmcnt(18) lgkmcnt(1)
	v_fma_f64 v[125:126], v[143:144], v[125:126], v[135:136]
	s_waitcnt vmcnt(17)
	v_fma_f64 v[125:126], v[141:142], v[127:128], v[125:126]
	s_waitcnt vmcnt(16) lgkmcnt(0)
	v_fma_f64 v[125:126], v[137:138], v[129:130], v[125:126]
	s_waitcnt vmcnt(11)
	v_fma_f64 v[135:136], v[139:140], v[131:132], v[125:126]
	ds_read2_b64 v[125:128], v124 offset0:117 offset1:118
	ds_read2_b64 v[129:132], v124 offset0:119 offset1:120
	s_waitcnt vmcnt(10) lgkmcnt(1)
	v_fma_f64 v[125:126], v[153:154], v[125:126], v[135:136]
	s_waitcnt vmcnt(9)
	v_fma_f64 v[125:126], v[151:152], v[127:128], v[125:126]
	s_waitcnt vmcnt(8) lgkmcnt(0)
	v_fma_f64 v[125:126], v[145:146], v[129:130], v[125:126]
	s_waitcnt vmcnt(4)
	v_fma_f64 v[128:129], v[133:134], v[131:132], v[125:126]
	ds_read2_b64 v[124:127], v124 offset0:121 offset1:122
	s_waitcnt vmcnt(3) lgkmcnt(0)
	v_fma_f64 v[124:125], v[155:156], v[124:125], v[128:129]
	s_waitcnt vmcnt(2)
	v_fma_f64 v[124:125], v[147:148], v[126:127], v[124:125]
	s_waitcnt vmcnt(0)
	v_add_f64 v[124:125], v[149:150], -v[124:125]
	buffer_store_dword v125, off, s[0:3], 0 offset:180
	buffer_store_dword v124, off, s[0:3], 0 offset:176
	s_and_saveexec_b64 s[4:5], vcc
	s_cbranch_execz .LBB124_331
; %bb.330:
	buffer_load_dword v124, off, s[0:3], 0 offset:168
	buffer_load_dword v125, off, s[0:3], 0 offset:172
	v_mov_b32_e32 v126, 0
	buffer_store_dword v126, off, s[0:3], 0 offset:168
	buffer_store_dword v126, off, s[0:3], 0 offset:172
	s_waitcnt vmcnt(2)
	ds_write_b64 v123, v[124:125]
.LBB124_331:
	s_or_b64 exec, exec, s[4:5]
	s_waitcnt lgkmcnt(0)
	; wave barrier
	buffer_load_dword v133, off, s[0:3], 0 offset:176
	buffer_load_dword v134, off, s[0:3], 0 offset:180
	;; [unrolled: 1-line block ×22, first 2 shown]
	v_mov_b32_e32 v124, 0
	ds_read_b128 v[125:128], v124 offset:672
	ds_read_b128 v[129:132], v124 offset:688
	v_cmp_lt_u32_e32 vcc, 20, v0
	s_waitcnt vmcnt(20) lgkmcnt(1)
	v_fma_f64 v[125:126], v[133:134], v[125:126], 0
	s_waitcnt vmcnt(18)
	v_fma_f64 v[125:126], v[135:136], v[127:128], v[125:126]
	buffer_load_dword v134, off, s[0:3], 0 offset:268
	buffer_load_dword v135, off, s[0:3], 0 offset:288
	;; [unrolled: 1-line block ×7, first 2 shown]
	s_waitcnt vmcnt(23) lgkmcnt(0)
	v_fma_f64 v[125:126], v[137:138], v[129:130], v[125:126]
	s_waitcnt vmcnt(21)
	v_fma_f64 v[136:137], v[139:140], v[131:132], v[125:126]
	ds_read_b128 v[125:128], v124 offset:704
	ds_read_b128 v[129:132], v124 offset:720
	s_waitcnt vmcnt(19) lgkmcnt(1)
	v_fma_f64 v[125:126], v[141:142], v[125:126], v[136:137]
	buffer_load_dword v136, off, s[0:3], 0 offset:292
	s_waitcnt vmcnt(18)
	v_fma_f64 v[125:126], v[143:144], v[127:128], v[125:126]
	buffer_load_dword v138, off, s[0:3], 0 offset:300
	buffer_load_dword v139, off, s[0:3], 0 offset:320
	;; [unrolled: 1-line block ×8, first 2 shown]
	s_waitcnt vmcnt(24) lgkmcnt(0)
	v_fma_f64 v[125:126], v[145:146], v[129:130], v[125:126]
	s_waitcnt vmcnt(19)
	v_fma_f64 v[145:146], v[147:148], v[131:132], v[125:126]
	ds_read_b128 v[125:128], v124 offset:736
	ds_read_b128 v[129:132], v124 offset:752
	s_waitcnt vmcnt(18) lgkmcnt(1)
	v_fma_f64 v[125:126], v[153:154], v[125:126], v[145:146]
	s_waitcnt vmcnt(17)
	v_fma_f64 v[125:126], v[151:152], v[127:128], v[125:126]
	buffer_load_dword v146, off, s[0:3], 0 offset:332
	buffer_load_dword v147, off, s[0:3], 0 offset:352
	;; [unrolled: 1-line block ×8, first 2 shown]
	s_waitcnt vmcnt(24) lgkmcnt(0)
	v_fma_f64 v[125:126], v[149:150], v[129:130], v[125:126]
	s_waitcnt vmcnt(19)
	v_fma_f64 v[133:134], v[133:134], v[131:132], v[125:126]
	ds_read_b128 v[125:128], v124 offset:768
	ds_read_b128 v[129:132], v124 offset:784
	s_waitcnt vmcnt(18) lgkmcnt(1)
	v_fma_f64 v[125:126], v[157:158], v[125:126], v[133:134]
	s_waitcnt vmcnt(17)
	v_fma_f64 v[125:126], v[155:156], v[127:128], v[125:126]
	buffer_load_dword v134, off, s[0:3], 0 offset:364
	buffer_load_dword v149, off, s[0:3], 0 offset:384
	;; [unrolled: 1-line block ×7, first 2 shown]
	s_waitcnt vmcnt(23) lgkmcnt(0)
	v_fma_f64 v[125:126], v[135:136], v[129:130], v[125:126]
	s_waitcnt vmcnt(18)
	v_fma_f64 v[135:136], v[137:138], v[131:132], v[125:126]
	ds_read_b128 v[125:128], v124 offset:800
	ds_read_b128 v[129:132], v124 offset:816
	buffer_load_dword v150, off, s[0:3], 0 offset:388
	s_waitcnt vmcnt(18) lgkmcnt(1)
	v_fma_f64 v[125:126], v[143:144], v[125:126], v[135:136]
	s_waitcnt vmcnt(17)
	v_fma_f64 v[125:126], v[141:142], v[127:128], v[125:126]
	buffer_load_dword v136, off, s[0:3], 0 offset:396
	buffer_load_dword v137, off, s[0:3], 0 offset:416
	;; [unrolled: 1-line block ×7, first 2 shown]
	s_waitcnt vmcnt(23) lgkmcnt(0)
	v_fma_f64 v[125:126], v[139:140], v[129:130], v[125:126]
	s_waitcnt vmcnt(18)
	v_fma_f64 v[138:139], v[145:146], v[131:132], v[125:126]
	ds_read_b128 v[125:128], v124 offset:832
	ds_read_b128 v[129:132], v124 offset:848
	s_waitcnt vmcnt(17) lgkmcnt(1)
	v_fma_f64 v[125:126], v[153:154], v[125:126], v[138:139]
	buffer_load_dword v138, off, s[0:3], 0 offset:420
	s_waitcnt vmcnt(17)
	v_fma_f64 v[125:126], v[151:152], v[127:128], v[125:126]
	buffer_load_dword v140, off, s[0:3], 0 offset:428
	buffer_load_dword v145, off, s[0:3], 0 offset:448
	;; [unrolled: 1-line block ×8, first 2 shown]
	s_waitcnt vmcnt(24) lgkmcnt(0)
	v_fma_f64 v[125:126], v[147:148], v[129:130], v[125:126]
	s_waitcnt vmcnt(19)
	v_fma_f64 v[133:134], v[133:134], v[131:132], v[125:126]
	ds_read_b128 v[125:128], v124 offset:864
	ds_read_b128 v[129:132], v124 offset:880
	s_waitcnt vmcnt(18) lgkmcnt(1)
	v_fma_f64 v[125:126], v[157:158], v[125:126], v[133:134]
	s_waitcnt vmcnt(17)
	v_fma_f64 v[125:126], v[155:156], v[127:128], v[125:126]
	buffer_load_dword v134, off, s[0:3], 0 offset:460
	buffer_load_dword v147, off, s[0:3], 0 offset:480
	;; [unrolled: 1-line block ×8, first 2 shown]
	s_waitcnt vmcnt(24) lgkmcnt(0)
	v_fma_f64 v[125:126], v[149:150], v[129:130], v[125:126]
	s_waitcnt vmcnt(19)
	v_fma_f64 v[135:136], v[135:136], v[131:132], v[125:126]
	ds_read_b128 v[125:128], v124 offset:896
	ds_read_b128 v[129:132], v124 offset:912
	s_waitcnt vmcnt(18) lgkmcnt(1)
	v_fma_f64 v[125:126], v[143:144], v[125:126], v[135:136]
	buffer_load_dword v135, off, s[0:3], 0 offset:168
	buffer_load_dword v136, off, s[0:3], 0 offset:172
	s_waitcnt vmcnt(19)
	v_fma_f64 v[125:126], v[141:142], v[127:128], v[125:126]
	s_waitcnt vmcnt(18) lgkmcnt(0)
	v_fma_f64 v[125:126], v[137:138], v[129:130], v[125:126]
	s_waitcnt vmcnt(13)
	v_fma_f64 v[137:138], v[139:140], v[131:132], v[125:126]
	ds_read_b128 v[125:128], v124 offset:928
	ds_read_b128 v[129:132], v124 offset:944
	s_waitcnt vmcnt(12) lgkmcnt(1)
	v_fma_f64 v[125:126], v[153:154], v[125:126], v[137:138]
	s_waitcnt vmcnt(11)
	v_fma_f64 v[125:126], v[151:152], v[127:128], v[125:126]
	s_waitcnt vmcnt(10) lgkmcnt(0)
	v_fma_f64 v[125:126], v[145:146], v[129:130], v[125:126]
	s_waitcnt vmcnt(5)
	v_fma_f64 v[129:130], v[133:134], v[131:132], v[125:126]
	ds_read_b128 v[125:128], v124 offset:960
	ds_read_b64 v[131:132], v124 offset:976
	s_waitcnt vmcnt(4) lgkmcnt(1)
	v_fma_f64 v[125:126], v[157:158], v[125:126], v[129:130]
	s_waitcnt vmcnt(3)
	v_fma_f64 v[125:126], v[155:156], v[127:128], v[125:126]
	s_waitcnt vmcnt(2) lgkmcnt(0)
	v_fma_f64 v[125:126], v[147:148], v[131:132], v[125:126]
	s_waitcnt vmcnt(0)
	v_add_f64 v[125:126], v[135:136], -v[125:126]
	buffer_store_dword v126, off, s[0:3], 0 offset:172
	buffer_store_dword v125, off, s[0:3], 0 offset:168
	s_and_saveexec_b64 s[4:5], vcc
	s_cbranch_execz .LBB124_333
; %bb.332:
	buffer_load_dword v125, off, s[0:3], 0 offset:160
	buffer_load_dword v126, off, s[0:3], 0 offset:164
	s_waitcnt vmcnt(0)
	ds_write_b64 v123, v[125:126]
	buffer_store_dword v124, off, s[0:3], 0 offset:160
	buffer_store_dword v124, off, s[0:3], 0 offset:164
.LBB124_333:
	s_or_b64 exec, exec, s[4:5]
	s_waitcnt lgkmcnt(0)
	; wave barrier
	buffer_load_dword v133, off, s[0:3], 0 offset:168
	buffer_load_dword v134, off, s[0:3], 0 offset:172
	;; [unrolled: 1-line block ×22, first 2 shown]
	ds_read2_b64 v[125:128], v124 offset0:83 offset1:84
	ds_read2_b64 v[129:132], v124 offset0:85 offset1:86
	v_cmp_lt_u32_e32 vcc, 19, v0
	s_waitcnt vmcnt(20) lgkmcnt(1)
	v_fma_f64 v[125:126], v[133:134], v[125:126], 0
	s_waitcnt vmcnt(18)
	v_fma_f64 v[125:126], v[135:136], v[127:128], v[125:126]
	buffer_load_dword v134, off, s[0:3], 0 offset:260
	buffer_load_dword v135, off, s[0:3], 0 offset:280
	;; [unrolled: 1-line block ×7, first 2 shown]
	s_waitcnt vmcnt(23) lgkmcnt(0)
	v_fma_f64 v[125:126], v[137:138], v[129:130], v[125:126]
	s_waitcnt vmcnt(21)
	v_fma_f64 v[136:137], v[139:140], v[131:132], v[125:126]
	ds_read2_b64 v[125:128], v124 offset0:87 offset1:88
	ds_read2_b64 v[129:132], v124 offset0:89 offset1:90
	s_waitcnt vmcnt(19) lgkmcnt(1)
	v_fma_f64 v[125:126], v[141:142], v[125:126], v[136:137]
	buffer_load_dword v136, off, s[0:3], 0 offset:284
	s_waitcnt vmcnt(18)
	v_fma_f64 v[125:126], v[143:144], v[127:128], v[125:126]
	buffer_load_dword v138, off, s[0:3], 0 offset:292
	buffer_load_dword v139, off, s[0:3], 0 offset:312
	;; [unrolled: 1-line block ×8, first 2 shown]
	s_waitcnt vmcnt(24) lgkmcnt(0)
	v_fma_f64 v[125:126], v[145:146], v[129:130], v[125:126]
	s_waitcnt vmcnt(19)
	v_fma_f64 v[145:146], v[147:148], v[131:132], v[125:126]
	ds_read2_b64 v[125:128], v124 offset0:91 offset1:92
	ds_read2_b64 v[129:132], v124 offset0:93 offset1:94
	s_waitcnt vmcnt(18) lgkmcnt(1)
	v_fma_f64 v[125:126], v[153:154], v[125:126], v[145:146]
	s_waitcnt vmcnt(17)
	v_fma_f64 v[125:126], v[151:152], v[127:128], v[125:126]
	buffer_load_dword v146, off, s[0:3], 0 offset:324
	buffer_load_dword v147, off, s[0:3], 0 offset:344
	;; [unrolled: 1-line block ×8, first 2 shown]
	s_waitcnt vmcnt(24) lgkmcnt(0)
	v_fma_f64 v[125:126], v[149:150], v[129:130], v[125:126]
	s_waitcnt vmcnt(19)
	v_fma_f64 v[133:134], v[133:134], v[131:132], v[125:126]
	ds_read2_b64 v[125:128], v124 offset0:95 offset1:96
	ds_read2_b64 v[129:132], v124 offset0:97 offset1:98
	s_waitcnt vmcnt(18) lgkmcnt(1)
	v_fma_f64 v[125:126], v[157:158], v[125:126], v[133:134]
	s_waitcnt vmcnt(17)
	v_fma_f64 v[125:126], v[155:156], v[127:128], v[125:126]
	buffer_load_dword v134, off, s[0:3], 0 offset:356
	buffer_load_dword v149, off, s[0:3], 0 offset:376
	;; [unrolled: 1-line block ×7, first 2 shown]
	s_waitcnt vmcnt(23) lgkmcnt(0)
	v_fma_f64 v[125:126], v[135:136], v[129:130], v[125:126]
	s_waitcnt vmcnt(18)
	v_fma_f64 v[135:136], v[137:138], v[131:132], v[125:126]
	ds_read2_b64 v[125:128], v124 offset0:99 offset1:100
	ds_read2_b64 v[129:132], v124 offset0:101 offset1:102
	buffer_load_dword v150, off, s[0:3], 0 offset:380
	s_waitcnt vmcnt(18) lgkmcnt(1)
	v_fma_f64 v[125:126], v[143:144], v[125:126], v[135:136]
	s_waitcnt vmcnt(17)
	v_fma_f64 v[125:126], v[141:142], v[127:128], v[125:126]
	buffer_load_dword v136, off, s[0:3], 0 offset:388
	buffer_load_dword v137, off, s[0:3], 0 offset:408
	;; [unrolled: 1-line block ×7, first 2 shown]
	s_waitcnt vmcnt(23) lgkmcnt(0)
	v_fma_f64 v[125:126], v[139:140], v[129:130], v[125:126]
	s_waitcnt vmcnt(18)
	v_fma_f64 v[138:139], v[145:146], v[131:132], v[125:126]
	ds_read2_b64 v[125:128], v124 offset0:103 offset1:104
	ds_read2_b64 v[129:132], v124 offset0:105 offset1:106
	s_waitcnt vmcnt(17) lgkmcnt(1)
	v_fma_f64 v[125:126], v[153:154], v[125:126], v[138:139]
	buffer_load_dword v138, off, s[0:3], 0 offset:412
	s_waitcnt vmcnt(17)
	v_fma_f64 v[125:126], v[151:152], v[127:128], v[125:126]
	buffer_load_dword v140, off, s[0:3], 0 offset:420
	buffer_load_dword v145, off, s[0:3], 0 offset:440
	;; [unrolled: 1-line block ×8, first 2 shown]
	s_waitcnt vmcnt(24) lgkmcnt(0)
	v_fma_f64 v[125:126], v[147:148], v[129:130], v[125:126]
	s_waitcnt vmcnt(19)
	v_fma_f64 v[133:134], v[133:134], v[131:132], v[125:126]
	ds_read2_b64 v[125:128], v124 offset0:107 offset1:108
	ds_read2_b64 v[129:132], v124 offset0:109 offset1:110
	s_waitcnt vmcnt(18) lgkmcnt(1)
	v_fma_f64 v[125:126], v[157:158], v[125:126], v[133:134]
	s_waitcnt vmcnt(17)
	v_fma_f64 v[125:126], v[155:156], v[127:128], v[125:126]
	buffer_load_dword v134, off, s[0:3], 0 offset:452
	buffer_load_dword v147, off, s[0:3], 0 offset:472
	;; [unrolled: 1-line block ×8, first 2 shown]
	s_waitcnt vmcnt(24) lgkmcnt(0)
	v_fma_f64 v[125:126], v[149:150], v[129:130], v[125:126]
	s_waitcnt vmcnt(19)
	v_fma_f64 v[135:136], v[135:136], v[131:132], v[125:126]
	ds_read2_b64 v[125:128], v124 offset0:111 offset1:112
	ds_read2_b64 v[129:132], v124 offset0:113 offset1:114
	s_waitcnt vmcnt(18) lgkmcnt(1)
	v_fma_f64 v[125:126], v[143:144], v[125:126], v[135:136]
	buffer_load_dword v136, off, s[0:3], 0 offset:484
	buffer_load_dword v135, off, s[0:3], 0 offset:480
	s_waitcnt vmcnt(19)
	v_fma_f64 v[125:126], v[141:142], v[127:128], v[125:126]
	buffer_load_dword v141, off, s[0:3], 0 offset:160
	buffer_load_dword v142, off, s[0:3], 0 offset:164
	s_waitcnt vmcnt(20) lgkmcnt(0)
	v_fma_f64 v[125:126], v[137:138], v[129:130], v[125:126]
	s_waitcnt vmcnt(15)
	v_fma_f64 v[137:138], v[139:140], v[131:132], v[125:126]
	ds_read2_b64 v[125:128], v124 offset0:115 offset1:116
	ds_read2_b64 v[129:132], v124 offset0:117 offset1:118
	s_waitcnt vmcnt(14) lgkmcnt(1)
	v_fma_f64 v[125:126], v[153:154], v[125:126], v[137:138]
	s_waitcnt vmcnt(13)
	v_fma_f64 v[125:126], v[151:152], v[127:128], v[125:126]
	s_waitcnt vmcnt(12) lgkmcnt(0)
	v_fma_f64 v[125:126], v[145:146], v[129:130], v[125:126]
	s_waitcnt vmcnt(7)
	v_fma_f64 v[133:134], v[133:134], v[131:132], v[125:126]
	ds_read2_b64 v[125:128], v124 offset0:119 offset1:120
	ds_read2_b64 v[129:132], v124 offset0:121 offset1:122
	s_waitcnt vmcnt(6) lgkmcnt(1)
	v_fma_f64 v[124:125], v[157:158], v[125:126], v[133:134]
	s_waitcnt vmcnt(5)
	v_fma_f64 v[124:125], v[155:156], v[127:128], v[124:125]
	s_waitcnt vmcnt(4) lgkmcnt(0)
	v_fma_f64 v[124:125], v[147:148], v[129:130], v[124:125]
	s_waitcnt vmcnt(2)
	v_fma_f64 v[124:125], v[135:136], v[131:132], v[124:125]
	s_waitcnt vmcnt(0)
	v_add_f64 v[124:125], v[141:142], -v[124:125]
	buffer_store_dword v125, off, s[0:3], 0 offset:164
	buffer_store_dword v124, off, s[0:3], 0 offset:160
	s_and_saveexec_b64 s[4:5], vcc
	s_cbranch_execz .LBB124_335
; %bb.334:
	buffer_load_dword v124, off, s[0:3], 0 offset:152
	buffer_load_dword v125, off, s[0:3], 0 offset:156
	v_mov_b32_e32 v126, 0
	buffer_store_dword v126, off, s[0:3], 0 offset:152
	buffer_store_dword v126, off, s[0:3], 0 offset:156
	s_waitcnt vmcnt(2)
	ds_write_b64 v123, v[124:125]
.LBB124_335:
	s_or_b64 exec, exec, s[4:5]
	s_waitcnt lgkmcnt(0)
	; wave barrier
	buffer_load_dword v133, off, s[0:3], 0 offset:160
	buffer_load_dword v134, off, s[0:3], 0 offset:164
	;; [unrolled: 1-line block ×22, first 2 shown]
	v_mov_b32_e32 v124, 0
	ds_read_b128 v[125:128], v124 offset:656
	ds_read_b128 v[129:132], v124 offset:672
	v_cmp_lt_u32_e32 vcc, 18, v0
	s_waitcnt vmcnt(20) lgkmcnt(1)
	v_fma_f64 v[125:126], v[133:134], v[125:126], 0
	s_waitcnt vmcnt(18)
	v_fma_f64 v[125:126], v[135:136], v[127:128], v[125:126]
	buffer_load_dword v134, off, s[0:3], 0 offset:252
	buffer_load_dword v135, off, s[0:3], 0 offset:272
	;; [unrolled: 1-line block ×7, first 2 shown]
	s_waitcnt vmcnt(23) lgkmcnt(0)
	v_fma_f64 v[125:126], v[137:138], v[129:130], v[125:126]
	s_waitcnt vmcnt(21)
	v_fma_f64 v[136:137], v[139:140], v[131:132], v[125:126]
	ds_read_b128 v[125:128], v124 offset:688
	ds_read_b128 v[129:132], v124 offset:704
	s_waitcnt vmcnt(19) lgkmcnt(1)
	v_fma_f64 v[125:126], v[141:142], v[125:126], v[136:137]
	buffer_load_dword v136, off, s[0:3], 0 offset:276
	s_waitcnt vmcnt(18)
	v_fma_f64 v[125:126], v[143:144], v[127:128], v[125:126]
	buffer_load_dword v138, off, s[0:3], 0 offset:284
	buffer_load_dword v139, off, s[0:3], 0 offset:304
	;; [unrolled: 1-line block ×7, first 2 shown]
	s_waitcnt vmcnt(23) lgkmcnt(0)
	v_fma_f64 v[125:126], v[145:146], v[129:130], v[125:126]
	s_waitcnt vmcnt(18)
	v_fma_f64 v[145:146], v[147:148], v[131:132], v[125:126]
	ds_read_b128 v[125:128], v124 offset:720
	ds_read_b128 v[129:132], v124 offset:736
	buffer_load_dword v140, off, s[0:3], 0 offset:308
	s_waitcnt vmcnt(18) lgkmcnt(1)
	v_fma_f64 v[125:126], v[153:154], v[125:126], v[145:146]
	s_waitcnt vmcnt(17)
	v_fma_f64 v[125:126], v[151:152], v[127:128], v[125:126]
	buffer_load_dword v146, off, s[0:3], 0 offset:316
	buffer_load_dword v147, off, s[0:3], 0 offset:336
	;; [unrolled: 1-line block ×8, first 2 shown]
	s_waitcnt vmcnt(24) lgkmcnt(0)
	v_fma_f64 v[125:126], v[149:150], v[129:130], v[125:126]
	s_waitcnt vmcnt(19)
	v_fma_f64 v[133:134], v[133:134], v[131:132], v[125:126]
	ds_read_b128 v[125:128], v124 offset:752
	ds_read_b128 v[129:132], v124 offset:768
	s_waitcnt vmcnt(18) lgkmcnt(1)
	v_fma_f64 v[125:126], v[157:158], v[125:126], v[133:134]
	s_waitcnt vmcnt(17)
	v_fma_f64 v[125:126], v[155:156], v[127:128], v[125:126]
	buffer_load_dword v134, off, s[0:3], 0 offset:348
	buffer_load_dword v149, off, s[0:3], 0 offset:368
	;; [unrolled: 1-line block ×7, first 2 shown]
	s_waitcnt vmcnt(23) lgkmcnt(0)
	v_fma_f64 v[125:126], v[135:136], v[129:130], v[125:126]
	s_waitcnt vmcnt(18)
	v_fma_f64 v[135:136], v[137:138], v[131:132], v[125:126]
	ds_read_b128 v[125:128], v124 offset:784
	ds_read_b128 v[129:132], v124 offset:800
	buffer_load_dword v150, off, s[0:3], 0 offset:372
	s_waitcnt vmcnt(18) lgkmcnt(1)
	v_fma_f64 v[125:126], v[143:144], v[125:126], v[135:136]
	s_waitcnt vmcnt(17)
	v_fma_f64 v[125:126], v[141:142], v[127:128], v[125:126]
	buffer_load_dword v136, off, s[0:3], 0 offset:380
	buffer_load_dword v137, off, s[0:3], 0 offset:400
	;; [unrolled: 1-line block ×7, first 2 shown]
	s_waitcnt vmcnt(23) lgkmcnt(0)
	v_fma_f64 v[125:126], v[139:140], v[129:130], v[125:126]
	s_waitcnt vmcnt(18)
	v_fma_f64 v[138:139], v[145:146], v[131:132], v[125:126]
	ds_read_b128 v[125:128], v124 offset:816
	ds_read_b128 v[129:132], v124 offset:832
	s_waitcnt vmcnt(17) lgkmcnt(1)
	v_fma_f64 v[125:126], v[153:154], v[125:126], v[138:139]
	buffer_load_dword v138, off, s[0:3], 0 offset:404
	s_waitcnt vmcnt(17)
	v_fma_f64 v[125:126], v[151:152], v[127:128], v[125:126]
	buffer_load_dword v140, off, s[0:3], 0 offset:412
	buffer_load_dword v145, off, s[0:3], 0 offset:432
	;; [unrolled: 1-line block ×8, first 2 shown]
	s_waitcnt vmcnt(24) lgkmcnt(0)
	v_fma_f64 v[125:126], v[147:148], v[129:130], v[125:126]
	s_waitcnt vmcnt(19)
	v_fma_f64 v[133:134], v[133:134], v[131:132], v[125:126]
	ds_read_b128 v[125:128], v124 offset:848
	ds_read_b128 v[129:132], v124 offset:864
	s_waitcnt vmcnt(18) lgkmcnt(1)
	v_fma_f64 v[125:126], v[157:158], v[125:126], v[133:134]
	s_waitcnt vmcnt(17)
	v_fma_f64 v[125:126], v[155:156], v[127:128], v[125:126]
	buffer_load_dword v134, off, s[0:3], 0 offset:444
	buffer_load_dword v147, off, s[0:3], 0 offset:464
	;; [unrolled: 1-line block ×7, first 2 shown]
	s_waitcnt vmcnt(23) lgkmcnt(0)
	v_fma_f64 v[125:126], v[149:150], v[129:130], v[125:126]
	s_waitcnt vmcnt(18)
	v_fma_f64 v[135:136], v[135:136], v[131:132], v[125:126]
	ds_read_b128 v[125:128], v124 offset:880
	ds_read_b128 v[129:132], v124 offset:896
	buffer_load_dword v148, off, s[0:3], 0 offset:468
	s_waitcnt vmcnt(18) lgkmcnt(1)
	v_fma_f64 v[125:126], v[143:144], v[125:126], v[135:136]
	s_waitcnt vmcnt(17)
	v_fma_f64 v[125:126], v[141:142], v[127:128], v[125:126]
	buffer_load_dword v136, off, s[0:3], 0 offset:476
	buffer_load_dword v141, off, s[0:3], 0 offset:480
	;; [unrolled: 1-line block ×4, first 2 shown]
	s_waitcnt vmcnt(20) lgkmcnt(0)
	v_fma_f64 v[125:126], v[137:138], v[129:130], v[125:126]
	buffer_load_dword v137, off, s[0:3], 0 offset:152
	buffer_load_dword v138, off, s[0:3], 0 offset:156
	s_waitcnt vmcnt(17)
	v_fma_f64 v[139:140], v[139:140], v[131:132], v[125:126]
	ds_read_b128 v[125:128], v124 offset:912
	ds_read_b128 v[129:132], v124 offset:928
	s_waitcnt vmcnt(16) lgkmcnt(1)
	v_fma_f64 v[125:126], v[153:154], v[125:126], v[139:140]
	s_waitcnt vmcnt(15)
	v_fma_f64 v[125:126], v[151:152], v[127:128], v[125:126]
	s_waitcnt vmcnt(14) lgkmcnt(0)
	v_fma_f64 v[125:126], v[145:146], v[129:130], v[125:126]
	s_waitcnt vmcnt(9)
	v_fma_f64 v[133:134], v[133:134], v[131:132], v[125:126]
	ds_read_b128 v[125:128], v124 offset:944
	ds_read_b128 v[129:132], v124 offset:960
	s_waitcnt vmcnt(8) lgkmcnt(1)
	v_fma_f64 v[125:126], v[157:158], v[125:126], v[133:134]
	s_waitcnt vmcnt(7)
	v_fma_f64 v[125:126], v[155:156], v[127:128], v[125:126]
	ds_read_b64 v[127:128], v124 offset:976
	s_waitcnt vmcnt(6) lgkmcnt(1)
	v_fma_f64 v[125:126], v[147:148], v[129:130], v[125:126]
	s_waitcnt vmcnt(3)
	v_fma_f64 v[125:126], v[135:136], v[131:132], v[125:126]
	s_waitcnt vmcnt(2) lgkmcnt(0)
	v_fma_f64 v[125:126], v[141:142], v[127:128], v[125:126]
	s_waitcnt vmcnt(0)
	v_add_f64 v[125:126], v[137:138], -v[125:126]
	buffer_store_dword v126, off, s[0:3], 0 offset:156
	buffer_store_dword v125, off, s[0:3], 0 offset:152
	s_and_saveexec_b64 s[4:5], vcc
	s_cbranch_execz .LBB124_337
; %bb.336:
	buffer_load_dword v125, off, s[0:3], 0 offset:144
	buffer_load_dword v126, off, s[0:3], 0 offset:148
	s_waitcnt vmcnt(0)
	ds_write_b64 v123, v[125:126]
	buffer_store_dword v124, off, s[0:3], 0 offset:144
	buffer_store_dword v124, off, s[0:3], 0 offset:148
.LBB124_337:
	s_or_b64 exec, exec, s[4:5]
	s_waitcnt lgkmcnt(0)
	; wave barrier
	buffer_load_dword v133, off, s[0:3], 0 offset:152
	buffer_load_dword v134, off, s[0:3], 0 offset:156
	;; [unrolled: 1-line block ×22, first 2 shown]
	ds_read2_b64 v[125:128], v124 offset0:81 offset1:82
	ds_read2_b64 v[129:132], v124 offset0:83 offset1:84
	v_cmp_lt_u32_e32 vcc, 17, v0
	s_waitcnt vmcnt(20) lgkmcnt(1)
	v_fma_f64 v[125:126], v[133:134], v[125:126], 0
	s_waitcnt vmcnt(18)
	v_fma_f64 v[125:126], v[135:136], v[127:128], v[125:126]
	buffer_load_dword v134, off, s[0:3], 0 offset:244
	buffer_load_dword v135, off, s[0:3], 0 offset:264
	;; [unrolled: 1-line block ×7, first 2 shown]
	s_waitcnt vmcnt(23) lgkmcnt(0)
	v_fma_f64 v[125:126], v[137:138], v[129:130], v[125:126]
	s_waitcnt vmcnt(21)
	v_fma_f64 v[136:137], v[139:140], v[131:132], v[125:126]
	ds_read2_b64 v[125:128], v124 offset0:85 offset1:86
	ds_read2_b64 v[129:132], v124 offset0:87 offset1:88
	s_waitcnt vmcnt(19) lgkmcnt(1)
	v_fma_f64 v[125:126], v[141:142], v[125:126], v[136:137]
	buffer_load_dword v136, off, s[0:3], 0 offset:268
	s_waitcnt vmcnt(18)
	v_fma_f64 v[125:126], v[143:144], v[127:128], v[125:126]
	buffer_load_dword v138, off, s[0:3], 0 offset:276
	buffer_load_dword v139, off, s[0:3], 0 offset:296
	buffer_load_dword v141, off, s[0:3], 0 offset:288
	buffer_load_dword v143, off, s[0:3], 0 offset:280
	buffer_load_dword v137, off, s[0:3], 0 offset:272
	buffer_load_dword v144, off, s[0:3], 0 offset:284
	buffer_load_dword v142, off, s[0:3], 0 offset:292
	s_waitcnt vmcnt(23) lgkmcnt(0)
	v_fma_f64 v[125:126], v[145:146], v[129:130], v[125:126]
	s_waitcnt vmcnt(18)
	v_fma_f64 v[145:146], v[147:148], v[131:132], v[125:126]
	ds_read2_b64 v[125:128], v124 offset0:89 offset1:90
	ds_read2_b64 v[129:132], v124 offset0:91 offset1:92
	buffer_load_dword v140, off, s[0:3], 0 offset:300
	s_waitcnt vmcnt(18) lgkmcnt(1)
	v_fma_f64 v[125:126], v[153:154], v[125:126], v[145:146]
	s_waitcnt vmcnt(17)
	v_fma_f64 v[125:126], v[151:152], v[127:128], v[125:126]
	buffer_load_dword v146, off, s[0:3], 0 offset:308
	buffer_load_dword v147, off, s[0:3], 0 offset:328
	;; [unrolled: 1-line block ×8, first 2 shown]
	s_waitcnt vmcnt(24) lgkmcnt(0)
	v_fma_f64 v[125:126], v[149:150], v[129:130], v[125:126]
	s_waitcnt vmcnt(19)
	v_fma_f64 v[133:134], v[133:134], v[131:132], v[125:126]
	ds_read2_b64 v[125:128], v124 offset0:93 offset1:94
	ds_read2_b64 v[129:132], v124 offset0:95 offset1:96
	s_waitcnt vmcnt(18) lgkmcnt(1)
	v_fma_f64 v[125:126], v[157:158], v[125:126], v[133:134]
	s_waitcnt vmcnt(17)
	v_fma_f64 v[125:126], v[155:156], v[127:128], v[125:126]
	buffer_load_dword v134, off, s[0:3], 0 offset:340
	buffer_load_dword v149, off, s[0:3], 0 offset:360
	buffer_load_dword v155, off, s[0:3], 0 offset:352
	buffer_load_dword v157, off, s[0:3], 0 offset:344
	buffer_load_dword v133, off, s[0:3], 0 offset:336
	buffer_load_dword v158, off, s[0:3], 0 offset:348
	buffer_load_dword v156, off, s[0:3], 0 offset:356
	buffer_load_dword v150, off, s[0:3], 0 offset:364
	s_waitcnt vmcnt(24) lgkmcnt(0)
	v_fma_f64 v[125:126], v[135:136], v[129:130], v[125:126]
	s_waitcnt vmcnt(19)
	v_fma_f64 v[135:136], v[137:138], v[131:132], v[125:126]
	ds_read2_b64 v[125:128], v124 offset0:97 offset1:98
	ds_read2_b64 v[129:132], v124 offset0:99 offset1:100
	s_waitcnt vmcnt(18) lgkmcnt(1)
	v_fma_f64 v[125:126], v[143:144], v[125:126], v[135:136]
	s_waitcnt vmcnt(17)
	v_fma_f64 v[125:126], v[141:142], v[127:128], v[125:126]
	buffer_load_dword v136, off, s[0:3], 0 offset:372
	buffer_load_dword v137, off, s[0:3], 0 offset:392
	;; [unrolled: 1-line block ×7, first 2 shown]
	s_waitcnt vmcnt(23) lgkmcnt(0)
	v_fma_f64 v[125:126], v[139:140], v[129:130], v[125:126]
	s_waitcnt vmcnt(18)
	v_fma_f64 v[138:139], v[145:146], v[131:132], v[125:126]
	ds_read2_b64 v[125:128], v124 offset0:101 offset1:102
	ds_read2_b64 v[129:132], v124 offset0:103 offset1:104
	s_waitcnt vmcnt(17) lgkmcnt(1)
	v_fma_f64 v[125:126], v[153:154], v[125:126], v[138:139]
	buffer_load_dword v138, off, s[0:3], 0 offset:396
	s_waitcnt vmcnt(17)
	v_fma_f64 v[125:126], v[151:152], v[127:128], v[125:126]
	buffer_load_dword v140, off, s[0:3], 0 offset:404
	buffer_load_dword v145, off, s[0:3], 0 offset:424
	;; [unrolled: 1-line block ×8, first 2 shown]
	s_waitcnt vmcnt(24) lgkmcnt(0)
	v_fma_f64 v[125:126], v[147:148], v[129:130], v[125:126]
	s_waitcnt vmcnt(19)
	v_fma_f64 v[133:134], v[133:134], v[131:132], v[125:126]
	ds_read2_b64 v[125:128], v124 offset0:105 offset1:106
	ds_read2_b64 v[129:132], v124 offset0:107 offset1:108
	s_waitcnt vmcnt(18) lgkmcnt(1)
	v_fma_f64 v[125:126], v[157:158], v[125:126], v[133:134]
	s_waitcnt vmcnt(17)
	v_fma_f64 v[125:126], v[155:156], v[127:128], v[125:126]
	buffer_load_dword v134, off, s[0:3], 0 offset:436
	buffer_load_dword v147, off, s[0:3], 0 offset:456
	;; [unrolled: 1-line block ×8, first 2 shown]
	s_waitcnt vmcnt(24) lgkmcnt(0)
	v_fma_f64 v[125:126], v[149:150], v[129:130], v[125:126]
	s_waitcnt vmcnt(19)
	v_fma_f64 v[135:136], v[135:136], v[131:132], v[125:126]
	ds_read2_b64 v[125:128], v124 offset0:109 offset1:110
	ds_read2_b64 v[129:132], v124 offset0:111 offset1:112
	s_waitcnt vmcnt(18) lgkmcnt(1)
	v_fma_f64 v[125:126], v[143:144], v[125:126], v[135:136]
	s_waitcnt vmcnt(17)
	v_fma_f64 v[125:126], v[141:142], v[127:128], v[125:126]
	buffer_load_dword v136, off, s[0:3], 0 offset:468
	buffer_load_dword v141, off, s[0:3], 0 offset:480
	;; [unrolled: 1-line block ×6, first 2 shown]
	s_waitcnt vmcnt(22) lgkmcnt(0)
	v_fma_f64 v[125:126], v[137:138], v[129:130], v[125:126]
	s_waitcnt vmcnt(17)
	v_fma_f64 v[137:138], v[139:140], v[131:132], v[125:126]
	ds_read2_b64 v[125:128], v124 offset0:113 offset1:114
	buffer_load_dword v139, off, s[0:3], 0 offset:144
	buffer_load_dword v140, off, s[0:3], 0 offset:148
	ds_read2_b64 v[129:132], v124 offset0:115 offset1:116
	s_waitcnt vmcnt(18) lgkmcnt(1)
	v_fma_f64 v[125:126], v[153:154], v[125:126], v[137:138]
	s_waitcnt vmcnt(17)
	v_fma_f64 v[125:126], v[151:152], v[127:128], v[125:126]
	s_waitcnt vmcnt(16) lgkmcnt(0)
	v_fma_f64 v[125:126], v[145:146], v[129:130], v[125:126]
	s_waitcnt vmcnt(11)
	v_fma_f64 v[133:134], v[133:134], v[131:132], v[125:126]
	ds_read2_b64 v[125:128], v124 offset0:117 offset1:118
	ds_read2_b64 v[129:132], v124 offset0:119 offset1:120
	s_waitcnt vmcnt(10) lgkmcnt(1)
	v_fma_f64 v[125:126], v[157:158], v[125:126], v[133:134]
	s_waitcnt vmcnt(9)
	v_fma_f64 v[125:126], v[155:156], v[127:128], v[125:126]
	s_waitcnt vmcnt(8) lgkmcnt(0)
	v_fma_f64 v[125:126], v[147:148], v[129:130], v[125:126]
	s_waitcnt vmcnt(4)
	v_fma_f64 v[128:129], v[135:136], v[131:132], v[125:126]
	ds_read2_b64 v[124:127], v124 offset0:121 offset1:122
	s_waitcnt vmcnt(3) lgkmcnt(0)
	v_fma_f64 v[124:125], v[143:144], v[124:125], v[128:129]
	s_waitcnt vmcnt(2)
	v_fma_f64 v[124:125], v[141:142], v[126:127], v[124:125]
	s_waitcnt vmcnt(0)
	v_add_f64 v[124:125], v[139:140], -v[124:125]
	buffer_store_dword v125, off, s[0:3], 0 offset:148
	buffer_store_dword v124, off, s[0:3], 0 offset:144
	s_and_saveexec_b64 s[4:5], vcc
	s_cbranch_execz .LBB124_339
; %bb.338:
	buffer_load_dword v124, off, s[0:3], 0 offset:136
	buffer_load_dword v125, off, s[0:3], 0 offset:140
	v_mov_b32_e32 v126, 0
	buffer_store_dword v126, off, s[0:3], 0 offset:136
	buffer_store_dword v126, off, s[0:3], 0 offset:140
	s_waitcnt vmcnt(2)
	ds_write_b64 v123, v[124:125]
.LBB124_339:
	s_or_b64 exec, exec, s[4:5]
	s_waitcnt lgkmcnt(0)
	; wave barrier
	buffer_load_dword v133, off, s[0:3], 0 offset:144
	buffer_load_dword v134, off, s[0:3], 0 offset:148
	buffer_load_dword v135, off, s[0:3], 0 offset:152
	buffer_load_dword v136, off, s[0:3], 0 offset:156
	buffer_load_dword v137, off, s[0:3], 0 offset:160
	buffer_load_dword v138, off, s[0:3], 0 offset:164
	buffer_load_dword v139, off, s[0:3], 0 offset:168
	buffer_load_dword v140, off, s[0:3], 0 offset:172
	buffer_load_dword v141, off, s[0:3], 0 offset:176
	buffer_load_dword v142, off, s[0:3], 0 offset:180
	buffer_load_dword v143, off, s[0:3], 0 offset:184
	buffer_load_dword v144, off, s[0:3], 0 offset:188
	buffer_load_dword v145, off, s[0:3], 0 offset:192
	buffer_load_dword v146, off, s[0:3], 0 offset:196
	buffer_load_dword v148, off, s[0:3], 0 offset:204
	buffer_load_dword v149, off, s[0:3], 0 offset:224
	buffer_load_dword v151, off, s[0:3], 0 offset:216
	buffer_load_dword v153, off, s[0:3], 0 offset:208
	buffer_load_dword v147, off, s[0:3], 0 offset:200
	buffer_load_dword v154, off, s[0:3], 0 offset:212
	buffer_load_dword v152, off, s[0:3], 0 offset:220
	buffer_load_dword v150, off, s[0:3], 0 offset:228
	v_mov_b32_e32 v124, 0
	ds_read_b128 v[125:128], v124 offset:640
	ds_read_b128 v[129:132], v124 offset:656
	v_cmp_lt_u32_e32 vcc, 16, v0
	s_waitcnt vmcnt(20) lgkmcnt(1)
	v_fma_f64 v[125:126], v[133:134], v[125:126], 0
	s_waitcnt vmcnt(18)
	v_fma_f64 v[125:126], v[135:136], v[127:128], v[125:126]
	buffer_load_dword v134, off, s[0:3], 0 offset:236
	buffer_load_dword v135, off, s[0:3], 0 offset:256
	;; [unrolled: 1-line block ×7, first 2 shown]
	s_waitcnt vmcnt(23) lgkmcnt(0)
	v_fma_f64 v[125:126], v[137:138], v[129:130], v[125:126]
	s_waitcnt vmcnt(21)
	v_fma_f64 v[136:137], v[139:140], v[131:132], v[125:126]
	ds_read_b128 v[125:128], v124 offset:672
	ds_read_b128 v[129:132], v124 offset:688
	s_waitcnt vmcnt(19) lgkmcnt(1)
	v_fma_f64 v[125:126], v[141:142], v[125:126], v[136:137]
	buffer_load_dword v136, off, s[0:3], 0 offset:260
	s_waitcnt vmcnt(18)
	v_fma_f64 v[125:126], v[143:144], v[127:128], v[125:126]
	buffer_load_dword v138, off, s[0:3], 0 offset:268
	buffer_load_dword v139, off, s[0:3], 0 offset:288
	;; [unrolled: 1-line block ×7, first 2 shown]
	s_waitcnt vmcnt(23) lgkmcnt(0)
	v_fma_f64 v[125:126], v[145:146], v[129:130], v[125:126]
	s_waitcnt vmcnt(18)
	v_fma_f64 v[145:146], v[147:148], v[131:132], v[125:126]
	ds_read_b128 v[125:128], v124 offset:704
	ds_read_b128 v[129:132], v124 offset:720
	buffer_load_dword v140, off, s[0:3], 0 offset:292
	s_waitcnt vmcnt(18) lgkmcnt(1)
	v_fma_f64 v[125:126], v[153:154], v[125:126], v[145:146]
	s_waitcnt vmcnt(17)
	v_fma_f64 v[125:126], v[151:152], v[127:128], v[125:126]
	buffer_load_dword v146, off, s[0:3], 0 offset:300
	buffer_load_dword v147, off, s[0:3], 0 offset:320
	;; [unrolled: 1-line block ×8, first 2 shown]
	s_waitcnt vmcnt(24) lgkmcnt(0)
	v_fma_f64 v[125:126], v[149:150], v[129:130], v[125:126]
	s_waitcnt vmcnt(19)
	v_fma_f64 v[133:134], v[133:134], v[131:132], v[125:126]
	ds_read_b128 v[125:128], v124 offset:736
	ds_read_b128 v[129:132], v124 offset:752
	s_waitcnt vmcnt(18) lgkmcnt(1)
	v_fma_f64 v[125:126], v[157:158], v[125:126], v[133:134]
	s_waitcnt vmcnt(17)
	v_fma_f64 v[125:126], v[155:156], v[127:128], v[125:126]
	buffer_load_dword v134, off, s[0:3], 0 offset:332
	buffer_load_dword v149, off, s[0:3], 0 offset:352
	;; [unrolled: 1-line block ×8, first 2 shown]
	s_waitcnt vmcnt(24) lgkmcnt(0)
	v_fma_f64 v[125:126], v[135:136], v[129:130], v[125:126]
	s_waitcnt vmcnt(19)
	v_fma_f64 v[135:136], v[137:138], v[131:132], v[125:126]
	ds_read_b128 v[125:128], v124 offset:768
	ds_read_b128 v[129:132], v124 offset:784
	s_waitcnt vmcnt(18) lgkmcnt(1)
	v_fma_f64 v[125:126], v[143:144], v[125:126], v[135:136]
	s_waitcnt vmcnt(17)
	v_fma_f64 v[125:126], v[141:142], v[127:128], v[125:126]
	buffer_load_dword v136, off, s[0:3], 0 offset:364
	buffer_load_dword v137, off, s[0:3], 0 offset:384
	;; [unrolled: 1-line block ×7, first 2 shown]
	s_waitcnt vmcnt(23) lgkmcnt(0)
	v_fma_f64 v[125:126], v[139:140], v[129:130], v[125:126]
	s_waitcnt vmcnt(18)
	v_fma_f64 v[138:139], v[145:146], v[131:132], v[125:126]
	ds_read_b128 v[125:128], v124 offset:800
	ds_read_b128 v[129:132], v124 offset:816
	s_waitcnt vmcnt(17) lgkmcnt(1)
	v_fma_f64 v[125:126], v[153:154], v[125:126], v[138:139]
	buffer_load_dword v138, off, s[0:3], 0 offset:388
	s_waitcnt vmcnt(17)
	v_fma_f64 v[125:126], v[151:152], v[127:128], v[125:126]
	buffer_load_dword v140, off, s[0:3], 0 offset:396
	buffer_load_dword v145, off, s[0:3], 0 offset:416
	buffer_load_dword v151, off, s[0:3], 0 offset:408
	buffer_load_dword v153, off, s[0:3], 0 offset:400
	buffer_load_dword v139, off, s[0:3], 0 offset:392
	buffer_load_dword v154, off, s[0:3], 0 offset:404
	buffer_load_dword v152, off, s[0:3], 0 offset:412
	buffer_load_dword v146, off, s[0:3], 0 offset:420
	s_waitcnt vmcnt(24) lgkmcnt(0)
	v_fma_f64 v[125:126], v[147:148], v[129:130], v[125:126]
	s_waitcnt vmcnt(19)
	v_fma_f64 v[133:134], v[133:134], v[131:132], v[125:126]
	ds_read_b128 v[125:128], v124 offset:832
	ds_read_b128 v[129:132], v124 offset:848
	s_waitcnt vmcnt(18) lgkmcnt(1)
	v_fma_f64 v[125:126], v[157:158], v[125:126], v[133:134]
	s_waitcnt vmcnt(17)
	v_fma_f64 v[125:126], v[155:156], v[127:128], v[125:126]
	buffer_load_dword v134, off, s[0:3], 0 offset:428
	buffer_load_dword v147, off, s[0:3], 0 offset:448
	buffer_load_dword v155, off, s[0:3], 0 offset:440
	buffer_load_dword v157, off, s[0:3], 0 offset:432
	buffer_load_dword v133, off, s[0:3], 0 offset:424
	buffer_load_dword v158, off, s[0:3], 0 offset:436
	buffer_load_dword v156, off, s[0:3], 0 offset:444
	buffer_load_dword v148, off, s[0:3], 0 offset:452
	s_waitcnt vmcnt(24) lgkmcnt(0)
	v_fma_f64 v[125:126], v[149:150], v[129:130], v[125:126]
	s_waitcnt vmcnt(19)
	v_fma_f64 v[135:136], v[135:136], v[131:132], v[125:126]
	ds_read_b128 v[125:128], v124 offset:864
	ds_read_b128 v[129:132], v124 offset:880
	s_waitcnt vmcnt(18) lgkmcnt(1)
	v_fma_f64 v[125:126], v[143:144], v[125:126], v[135:136]
	;; [unrolled: 18-line block ×3, first 2 shown]
	buffer_load_dword v137, off, s[0:3], 0 offset:136
	buffer_load_dword v138, off, s[0:3], 0 offset:140
	s_waitcnt vmcnt(19)
	v_fma_f64 v[125:126], v[151:152], v[127:128], v[125:126]
	s_waitcnt vmcnt(18) lgkmcnt(0)
	v_fma_f64 v[125:126], v[145:146], v[129:130], v[125:126]
	s_waitcnt vmcnt(13)
	v_fma_f64 v[133:134], v[133:134], v[131:132], v[125:126]
	ds_read_b128 v[125:128], v124 offset:928
	ds_read_b128 v[129:132], v124 offset:944
	s_waitcnt vmcnt(12) lgkmcnt(1)
	v_fma_f64 v[125:126], v[157:158], v[125:126], v[133:134]
	s_waitcnt vmcnt(11)
	v_fma_f64 v[125:126], v[155:156], v[127:128], v[125:126]
	s_waitcnt vmcnt(10) lgkmcnt(0)
	v_fma_f64 v[125:126], v[147:148], v[129:130], v[125:126]
	s_waitcnt vmcnt(5)
	v_fma_f64 v[129:130], v[135:136], v[131:132], v[125:126]
	ds_read_b128 v[125:128], v124 offset:960
	ds_read_b64 v[131:132], v124 offset:976
	s_waitcnt vmcnt(4) lgkmcnt(1)
	v_fma_f64 v[125:126], v[149:150], v[125:126], v[129:130]
	s_waitcnt vmcnt(3)
	v_fma_f64 v[125:126], v[143:144], v[127:128], v[125:126]
	s_waitcnt vmcnt(2) lgkmcnt(0)
	v_fma_f64 v[125:126], v[141:142], v[131:132], v[125:126]
	s_waitcnt vmcnt(0)
	v_add_f64 v[125:126], v[137:138], -v[125:126]
	buffer_store_dword v126, off, s[0:3], 0 offset:140
	buffer_store_dword v125, off, s[0:3], 0 offset:136
	s_and_saveexec_b64 s[4:5], vcc
	s_cbranch_execz .LBB124_341
; %bb.340:
	buffer_load_dword v125, off, s[0:3], 0 offset:128
	buffer_load_dword v126, off, s[0:3], 0 offset:132
	s_waitcnt vmcnt(0)
	ds_write_b64 v123, v[125:126]
	buffer_store_dword v124, off, s[0:3], 0 offset:128
	buffer_store_dword v124, off, s[0:3], 0 offset:132
.LBB124_341:
	s_or_b64 exec, exec, s[4:5]
	s_waitcnt lgkmcnt(0)
	; wave barrier
	buffer_load_dword v133, off, s[0:3], 0 offset:136
	buffer_load_dword v134, off, s[0:3], 0 offset:140
	;; [unrolled: 1-line block ×22, first 2 shown]
	ds_read2_b64 v[125:128], v124 offset0:79 offset1:80
	ds_read2_b64 v[129:132], v124 offset0:81 offset1:82
	v_cmp_lt_u32_e32 vcc, 15, v0
	s_waitcnt vmcnt(20) lgkmcnt(1)
	v_fma_f64 v[125:126], v[133:134], v[125:126], 0
	s_waitcnt vmcnt(18)
	v_fma_f64 v[125:126], v[135:136], v[127:128], v[125:126]
	buffer_load_dword v134, off, s[0:3], 0 offset:228
	buffer_load_dword v135, off, s[0:3], 0 offset:248
	;; [unrolled: 1-line block ×7, first 2 shown]
	s_waitcnt vmcnt(23) lgkmcnt(0)
	v_fma_f64 v[125:126], v[137:138], v[129:130], v[125:126]
	s_waitcnt vmcnt(21)
	v_fma_f64 v[136:137], v[139:140], v[131:132], v[125:126]
	ds_read2_b64 v[125:128], v124 offset0:83 offset1:84
	ds_read2_b64 v[129:132], v124 offset0:85 offset1:86
	s_waitcnt vmcnt(19) lgkmcnt(1)
	v_fma_f64 v[125:126], v[141:142], v[125:126], v[136:137]
	buffer_load_dword v136, off, s[0:3], 0 offset:252
	s_waitcnt vmcnt(18)
	v_fma_f64 v[125:126], v[143:144], v[127:128], v[125:126]
	buffer_load_dword v138, off, s[0:3], 0 offset:260
	buffer_load_dword v139, off, s[0:3], 0 offset:280
	;; [unrolled: 1-line block ×7, first 2 shown]
	s_waitcnt vmcnt(23) lgkmcnt(0)
	v_fma_f64 v[125:126], v[145:146], v[129:130], v[125:126]
	s_waitcnt vmcnt(18)
	v_fma_f64 v[145:146], v[147:148], v[131:132], v[125:126]
	ds_read2_b64 v[125:128], v124 offset0:87 offset1:88
	ds_read2_b64 v[129:132], v124 offset0:89 offset1:90
	buffer_load_dword v140, off, s[0:3], 0 offset:284
	s_waitcnt vmcnt(18) lgkmcnt(1)
	v_fma_f64 v[125:126], v[153:154], v[125:126], v[145:146]
	s_waitcnt vmcnt(17)
	v_fma_f64 v[125:126], v[151:152], v[127:128], v[125:126]
	buffer_load_dword v146, off, s[0:3], 0 offset:292
	buffer_load_dword v147, off, s[0:3], 0 offset:312
	;; [unrolled: 1-line block ×8, first 2 shown]
	s_waitcnt vmcnt(24) lgkmcnt(0)
	v_fma_f64 v[125:126], v[149:150], v[129:130], v[125:126]
	s_waitcnt vmcnt(19)
	v_fma_f64 v[133:134], v[133:134], v[131:132], v[125:126]
	ds_read2_b64 v[125:128], v124 offset0:91 offset1:92
	ds_read2_b64 v[129:132], v124 offset0:93 offset1:94
	s_waitcnt vmcnt(18) lgkmcnt(1)
	v_fma_f64 v[125:126], v[157:158], v[125:126], v[133:134]
	s_waitcnt vmcnt(17)
	v_fma_f64 v[125:126], v[155:156], v[127:128], v[125:126]
	buffer_load_dword v134, off, s[0:3], 0 offset:324
	buffer_load_dword v149, off, s[0:3], 0 offset:344
	;; [unrolled: 1-line block ×8, first 2 shown]
	s_waitcnt vmcnt(24) lgkmcnt(0)
	v_fma_f64 v[125:126], v[135:136], v[129:130], v[125:126]
	s_waitcnt vmcnt(19)
	v_fma_f64 v[135:136], v[137:138], v[131:132], v[125:126]
	ds_read2_b64 v[125:128], v124 offset0:95 offset1:96
	ds_read2_b64 v[129:132], v124 offset0:97 offset1:98
	s_waitcnt vmcnt(18) lgkmcnt(1)
	v_fma_f64 v[125:126], v[143:144], v[125:126], v[135:136]
	s_waitcnt vmcnt(17)
	v_fma_f64 v[125:126], v[141:142], v[127:128], v[125:126]
	buffer_load_dword v136, off, s[0:3], 0 offset:356
	buffer_load_dword v137, off, s[0:3], 0 offset:376
	;; [unrolled: 1-line block ×7, first 2 shown]
	s_waitcnt vmcnt(23) lgkmcnt(0)
	v_fma_f64 v[125:126], v[139:140], v[129:130], v[125:126]
	s_waitcnt vmcnt(18)
	v_fma_f64 v[138:139], v[145:146], v[131:132], v[125:126]
	ds_read2_b64 v[125:128], v124 offset0:99 offset1:100
	ds_read2_b64 v[129:132], v124 offset0:101 offset1:102
	s_waitcnt vmcnt(17) lgkmcnt(1)
	v_fma_f64 v[125:126], v[153:154], v[125:126], v[138:139]
	buffer_load_dword v138, off, s[0:3], 0 offset:380
	s_waitcnt vmcnt(17)
	v_fma_f64 v[125:126], v[151:152], v[127:128], v[125:126]
	buffer_load_dword v140, off, s[0:3], 0 offset:388
	buffer_load_dword v145, off, s[0:3], 0 offset:408
	buffer_load_dword v151, off, s[0:3], 0 offset:400
	buffer_load_dword v153, off, s[0:3], 0 offset:392
	buffer_load_dword v139, off, s[0:3], 0 offset:384
	buffer_load_dword v154, off, s[0:3], 0 offset:396
	buffer_load_dword v152, off, s[0:3], 0 offset:404
	buffer_load_dword v146, off, s[0:3], 0 offset:412
	s_waitcnt vmcnt(24) lgkmcnt(0)
	v_fma_f64 v[125:126], v[147:148], v[129:130], v[125:126]
	s_waitcnt vmcnt(19)
	v_fma_f64 v[133:134], v[133:134], v[131:132], v[125:126]
	ds_read2_b64 v[125:128], v124 offset0:103 offset1:104
	ds_read2_b64 v[129:132], v124 offset0:105 offset1:106
	s_waitcnt vmcnt(18) lgkmcnt(1)
	v_fma_f64 v[125:126], v[157:158], v[125:126], v[133:134]
	s_waitcnt vmcnt(17)
	v_fma_f64 v[125:126], v[155:156], v[127:128], v[125:126]
	buffer_load_dword v134, off, s[0:3], 0 offset:420
	buffer_load_dword v147, off, s[0:3], 0 offset:440
	buffer_load_dword v155, off, s[0:3], 0 offset:432
	buffer_load_dword v157, off, s[0:3], 0 offset:424
	buffer_load_dword v133, off, s[0:3], 0 offset:416
	buffer_load_dword v158, off, s[0:3], 0 offset:428
	buffer_load_dword v156, off, s[0:3], 0 offset:436
	buffer_load_dword v148, off, s[0:3], 0 offset:444
	s_waitcnt vmcnt(24) lgkmcnt(0)
	v_fma_f64 v[125:126], v[149:150], v[129:130], v[125:126]
	s_waitcnt vmcnt(19)
	v_fma_f64 v[135:136], v[135:136], v[131:132], v[125:126]
	ds_read2_b64 v[125:128], v124 offset0:107 offset1:108
	ds_read2_b64 v[129:132], v124 offset0:109 offset1:110
	s_waitcnt vmcnt(18) lgkmcnt(1)
	v_fma_f64 v[125:126], v[143:144], v[125:126], v[135:136]
	;; [unrolled: 18-line block ×3, first 2 shown]
	buffer_load_dword v138, off, s[0:3], 0 offset:484
	buffer_load_dword v137, off, s[0:3], 0 offset:480
	;; [unrolled: 1-line block ×4, first 2 shown]
	s_waitcnt vmcnt(21)
	v_fma_f64 v[125:126], v[151:152], v[127:128], v[125:126]
	s_waitcnt vmcnt(20) lgkmcnt(0)
	v_fma_f64 v[125:126], v[145:146], v[129:130], v[125:126]
	s_waitcnt vmcnt(15)
	v_fma_f64 v[133:134], v[133:134], v[131:132], v[125:126]
	ds_read2_b64 v[125:128], v124 offset0:115 offset1:116
	ds_read2_b64 v[129:132], v124 offset0:117 offset1:118
	s_waitcnt vmcnt(14) lgkmcnt(1)
	v_fma_f64 v[125:126], v[157:158], v[125:126], v[133:134]
	s_waitcnt vmcnt(13)
	v_fma_f64 v[125:126], v[155:156], v[127:128], v[125:126]
	s_waitcnt vmcnt(12) lgkmcnt(0)
	v_fma_f64 v[125:126], v[147:148], v[129:130], v[125:126]
	s_waitcnt vmcnt(7)
	v_fma_f64 v[133:134], v[135:136], v[131:132], v[125:126]
	ds_read2_b64 v[125:128], v124 offset0:119 offset1:120
	ds_read2_b64 v[129:132], v124 offset0:121 offset1:122
	s_waitcnt vmcnt(6) lgkmcnt(1)
	v_fma_f64 v[124:125], v[149:150], v[125:126], v[133:134]
	s_waitcnt vmcnt(5)
	v_fma_f64 v[124:125], v[143:144], v[127:128], v[124:125]
	s_waitcnt vmcnt(4) lgkmcnt(0)
	v_fma_f64 v[124:125], v[141:142], v[129:130], v[124:125]
	s_waitcnt vmcnt(2)
	v_fma_f64 v[124:125], v[137:138], v[131:132], v[124:125]
	s_waitcnt vmcnt(0)
	v_add_f64 v[124:125], v[139:140], -v[124:125]
	buffer_store_dword v125, off, s[0:3], 0 offset:132
	buffer_store_dword v124, off, s[0:3], 0 offset:128
	s_and_saveexec_b64 s[4:5], vcc
	s_cbranch_execz .LBB124_343
; %bb.342:
	buffer_load_dword v124, off, s[0:3], 0 offset:120
	buffer_load_dword v125, off, s[0:3], 0 offset:124
	v_mov_b32_e32 v126, 0
	buffer_store_dword v126, off, s[0:3], 0 offset:120
	buffer_store_dword v126, off, s[0:3], 0 offset:124
	s_waitcnt vmcnt(2)
	ds_write_b64 v123, v[124:125]
.LBB124_343:
	s_or_b64 exec, exec, s[4:5]
	s_waitcnt lgkmcnt(0)
	; wave barrier
	buffer_load_dword v133, off, s[0:3], 0 offset:128
	buffer_load_dword v134, off, s[0:3], 0 offset:132
	;; [unrolled: 1-line block ×21, first 2 shown]
	v_mov_b32_e32 v124, 0
	ds_read_b128 v[125:128], v124 offset:624
	ds_read_b128 v[129:132], v124 offset:640
	buffer_load_dword v150, off, s[0:3], 0 offset:212
	v_cmp_lt_u32_e32 vcc, 14, v0
	s_waitcnt vmcnt(20) lgkmcnt(1)
	v_fma_f64 v[125:126], v[133:134], v[125:126], 0
	s_waitcnt vmcnt(18)
	v_fma_f64 v[125:126], v[135:136], v[127:128], v[125:126]
	buffer_load_dword v134, off, s[0:3], 0 offset:220
	buffer_load_dword v135, off, s[0:3], 0 offset:240
	;; [unrolled: 1-line block ×7, first 2 shown]
	s_waitcnt vmcnt(23) lgkmcnt(0)
	v_fma_f64 v[125:126], v[137:138], v[129:130], v[125:126]
	s_waitcnt vmcnt(21)
	v_fma_f64 v[136:137], v[139:140], v[131:132], v[125:126]
	ds_read_b128 v[125:128], v124 offset:656
	ds_read_b128 v[129:132], v124 offset:672
	s_waitcnt vmcnt(19) lgkmcnt(1)
	v_fma_f64 v[125:126], v[141:142], v[125:126], v[136:137]
	buffer_load_dword v136, off, s[0:3], 0 offset:244
	s_waitcnt vmcnt(18)
	v_fma_f64 v[125:126], v[143:144], v[127:128], v[125:126]
	buffer_load_dword v138, off, s[0:3], 0 offset:252
	buffer_load_dword v139, off, s[0:3], 0 offset:272
	;; [unrolled: 1-line block ×7, first 2 shown]
	s_waitcnt vmcnt(23) lgkmcnt(0)
	v_fma_f64 v[125:126], v[145:146], v[129:130], v[125:126]
	s_waitcnt vmcnt(18)
	v_fma_f64 v[145:146], v[147:148], v[131:132], v[125:126]
	ds_read_b128 v[125:128], v124 offset:688
	ds_read_b128 v[129:132], v124 offset:704
	buffer_load_dword v140, off, s[0:3], 0 offset:276
	s_waitcnt vmcnt(18) lgkmcnt(1)
	v_fma_f64 v[125:126], v[153:154], v[125:126], v[145:146]
	s_waitcnt vmcnt(17)
	v_fma_f64 v[125:126], v[151:152], v[127:128], v[125:126]
	buffer_load_dword v146, off, s[0:3], 0 offset:284
	buffer_load_dword v147, off, s[0:3], 0 offset:304
	;; [unrolled: 1-line block ×7, first 2 shown]
	s_waitcnt vmcnt(23) lgkmcnt(0)
	v_fma_f64 v[125:126], v[149:150], v[129:130], v[125:126]
	s_waitcnt vmcnt(18)
	v_fma_f64 v[133:134], v[133:134], v[131:132], v[125:126]
	ds_read_b128 v[125:128], v124 offset:720
	ds_read_b128 v[129:132], v124 offset:736
	buffer_load_dword v148, off, s[0:3], 0 offset:308
	s_waitcnt vmcnt(18) lgkmcnt(1)
	v_fma_f64 v[125:126], v[157:158], v[125:126], v[133:134]
	s_waitcnt vmcnt(17)
	v_fma_f64 v[125:126], v[155:156], v[127:128], v[125:126]
	buffer_load_dword v134, off, s[0:3], 0 offset:316
	buffer_load_dword v149, off, s[0:3], 0 offset:336
	;; [unrolled: 1-line block ×8, first 2 shown]
	s_waitcnt vmcnt(24) lgkmcnt(0)
	v_fma_f64 v[125:126], v[135:136], v[129:130], v[125:126]
	s_waitcnt vmcnt(19)
	v_fma_f64 v[135:136], v[137:138], v[131:132], v[125:126]
	ds_read_b128 v[125:128], v124 offset:752
	ds_read_b128 v[129:132], v124 offset:768
	s_waitcnt vmcnt(18) lgkmcnt(1)
	v_fma_f64 v[125:126], v[143:144], v[125:126], v[135:136]
	s_waitcnt vmcnt(17)
	v_fma_f64 v[125:126], v[141:142], v[127:128], v[125:126]
	buffer_load_dword v136, off, s[0:3], 0 offset:348
	buffer_load_dword v137, off, s[0:3], 0 offset:368
	;; [unrolled: 1-line block ×7, first 2 shown]
	s_waitcnt vmcnt(23) lgkmcnt(0)
	v_fma_f64 v[125:126], v[139:140], v[129:130], v[125:126]
	s_waitcnt vmcnt(18)
	v_fma_f64 v[138:139], v[145:146], v[131:132], v[125:126]
	ds_read_b128 v[125:128], v124 offset:784
	ds_read_b128 v[129:132], v124 offset:800
	s_waitcnt vmcnt(17) lgkmcnt(1)
	v_fma_f64 v[125:126], v[153:154], v[125:126], v[138:139]
	buffer_load_dword v138, off, s[0:3], 0 offset:372
	s_waitcnt vmcnt(17)
	v_fma_f64 v[125:126], v[151:152], v[127:128], v[125:126]
	buffer_load_dword v140, off, s[0:3], 0 offset:380
	buffer_load_dword v145, off, s[0:3], 0 offset:400
	buffer_load_dword v151, off, s[0:3], 0 offset:392
	buffer_load_dword v153, off, s[0:3], 0 offset:384
	buffer_load_dword v139, off, s[0:3], 0 offset:376
	buffer_load_dword v154, off, s[0:3], 0 offset:388
	buffer_load_dword v152, off, s[0:3], 0 offset:396
	s_waitcnt vmcnt(23) lgkmcnt(0)
	v_fma_f64 v[125:126], v[147:148], v[129:130], v[125:126]
	s_waitcnt vmcnt(18)
	v_fma_f64 v[133:134], v[133:134], v[131:132], v[125:126]
	ds_read_b128 v[125:128], v124 offset:816
	ds_read_b128 v[129:132], v124 offset:832
	buffer_load_dword v146, off, s[0:3], 0 offset:404
	s_waitcnt vmcnt(18) lgkmcnt(1)
	v_fma_f64 v[125:126], v[157:158], v[125:126], v[133:134]
	s_waitcnt vmcnt(17)
	v_fma_f64 v[125:126], v[155:156], v[127:128], v[125:126]
	buffer_load_dword v134, off, s[0:3], 0 offset:412
	buffer_load_dword v147, off, s[0:3], 0 offset:432
	;; [unrolled: 1-line block ×8, first 2 shown]
	s_waitcnt vmcnt(24) lgkmcnt(0)
	v_fma_f64 v[125:126], v[149:150], v[129:130], v[125:126]
	s_waitcnt vmcnt(19)
	v_fma_f64 v[135:136], v[135:136], v[131:132], v[125:126]
	ds_read_b128 v[125:128], v124 offset:848
	ds_read_b128 v[129:132], v124 offset:864
	s_waitcnt vmcnt(18) lgkmcnt(1)
	v_fma_f64 v[125:126], v[143:144], v[125:126], v[135:136]
	s_waitcnt vmcnt(17)
	v_fma_f64 v[125:126], v[141:142], v[127:128], v[125:126]
	buffer_load_dword v136, off, s[0:3], 0 offset:444
	buffer_load_dword v141, off, s[0:3], 0 offset:464
	;; [unrolled: 1-line block ×7, first 2 shown]
	s_waitcnt vmcnt(23) lgkmcnt(0)
	v_fma_f64 v[125:126], v[137:138], v[129:130], v[125:126]
	s_waitcnt vmcnt(18)
	v_fma_f64 v[137:138], v[139:140], v[131:132], v[125:126]
	ds_read_b128 v[125:128], v124 offset:880
	ds_read_b128 v[129:132], v124 offset:896
	buffer_load_dword v142, off, s[0:3], 0 offset:468
	s_waitcnt vmcnt(18) lgkmcnt(1)
	v_fma_f64 v[125:126], v[153:154], v[125:126], v[137:138]
	buffer_load_dword v138, off, s[0:3], 0 offset:476
	buffer_load_dword v139, off, s[0:3], 0 offset:480
	;; [unrolled: 1-line block ×4, first 2 shown]
	s_waitcnt vmcnt(21)
	v_fma_f64 v[125:126], v[151:152], v[127:128], v[125:126]
	s_waitcnt vmcnt(20) lgkmcnt(0)
	v_fma_f64 v[125:126], v[145:146], v[129:130], v[125:126]
	buffer_load_dword v145, off, s[0:3], 0 offset:120
	buffer_load_dword v146, off, s[0:3], 0 offset:124
	s_waitcnt vmcnt(17)
	v_fma_f64 v[133:134], v[133:134], v[131:132], v[125:126]
	ds_read_b128 v[125:128], v124 offset:912
	ds_read_b128 v[129:132], v124 offset:928
	s_waitcnt vmcnt(16) lgkmcnt(1)
	v_fma_f64 v[125:126], v[157:158], v[125:126], v[133:134]
	s_waitcnt vmcnt(15)
	v_fma_f64 v[125:126], v[155:156], v[127:128], v[125:126]
	s_waitcnt vmcnt(14) lgkmcnt(0)
	v_fma_f64 v[125:126], v[147:148], v[129:130], v[125:126]
	s_waitcnt vmcnt(9)
	v_fma_f64 v[133:134], v[135:136], v[131:132], v[125:126]
	ds_read_b128 v[125:128], v124 offset:944
	ds_read_b128 v[129:132], v124 offset:960
	s_waitcnt vmcnt(8) lgkmcnt(1)
	v_fma_f64 v[125:126], v[149:150], v[125:126], v[133:134]
	s_waitcnt vmcnt(7)
	v_fma_f64 v[125:126], v[143:144], v[127:128], v[125:126]
	ds_read_b64 v[127:128], v124 offset:976
	s_waitcnt vmcnt(6) lgkmcnt(1)
	v_fma_f64 v[125:126], v[141:142], v[129:130], v[125:126]
	s_waitcnt vmcnt(3)
	v_fma_f64 v[125:126], v[137:138], v[131:132], v[125:126]
	s_waitcnt vmcnt(2) lgkmcnt(0)
	v_fma_f64 v[125:126], v[139:140], v[127:128], v[125:126]
	s_waitcnt vmcnt(0)
	v_add_f64 v[125:126], v[145:146], -v[125:126]
	buffer_store_dword v126, off, s[0:3], 0 offset:124
	buffer_store_dword v125, off, s[0:3], 0 offset:120
	s_and_saveexec_b64 s[4:5], vcc
	s_cbranch_execz .LBB124_345
; %bb.344:
	buffer_load_dword v125, off, s[0:3], 0 offset:112
	buffer_load_dword v126, off, s[0:3], 0 offset:116
	s_waitcnt vmcnt(0)
	ds_write_b64 v123, v[125:126]
	buffer_store_dword v124, off, s[0:3], 0 offset:112
	buffer_store_dword v124, off, s[0:3], 0 offset:116
.LBB124_345:
	s_or_b64 exec, exec, s[4:5]
	s_waitcnt lgkmcnt(0)
	; wave barrier
	buffer_load_dword v133, off, s[0:3], 0 offset:120
	buffer_load_dword v134, off, s[0:3], 0 offset:124
	;; [unrolled: 1-line block ×21, first 2 shown]
	ds_read2_b64 v[125:128], v124 offset0:77 offset1:78
	ds_read2_b64 v[129:132], v124 offset0:79 offset1:80
	buffer_load_dword v150, off, s[0:3], 0 offset:204
	v_cmp_lt_u32_e32 vcc, 13, v0
	s_waitcnt vmcnt(20) lgkmcnt(1)
	v_fma_f64 v[125:126], v[133:134], v[125:126], 0
	s_waitcnt vmcnt(18)
	v_fma_f64 v[125:126], v[135:136], v[127:128], v[125:126]
	buffer_load_dword v134, off, s[0:3], 0 offset:212
	buffer_load_dword v135, off, s[0:3], 0 offset:232
	;; [unrolled: 1-line block ×7, first 2 shown]
	s_waitcnt vmcnt(23) lgkmcnt(0)
	v_fma_f64 v[125:126], v[137:138], v[129:130], v[125:126]
	s_waitcnt vmcnt(21)
	v_fma_f64 v[136:137], v[139:140], v[131:132], v[125:126]
	ds_read2_b64 v[125:128], v124 offset0:81 offset1:82
	ds_read2_b64 v[129:132], v124 offset0:83 offset1:84
	s_waitcnt vmcnt(19) lgkmcnt(1)
	v_fma_f64 v[125:126], v[141:142], v[125:126], v[136:137]
	buffer_load_dword v136, off, s[0:3], 0 offset:236
	s_waitcnt vmcnt(18)
	v_fma_f64 v[125:126], v[143:144], v[127:128], v[125:126]
	buffer_load_dword v138, off, s[0:3], 0 offset:244
	buffer_load_dword v139, off, s[0:3], 0 offset:264
	;; [unrolled: 1-line block ×8, first 2 shown]
	s_waitcnt vmcnt(24) lgkmcnt(0)
	v_fma_f64 v[125:126], v[145:146], v[129:130], v[125:126]
	s_waitcnt vmcnt(19)
	v_fma_f64 v[145:146], v[147:148], v[131:132], v[125:126]
	ds_read2_b64 v[125:128], v124 offset0:85 offset1:86
	ds_read2_b64 v[129:132], v124 offset0:87 offset1:88
	s_waitcnt vmcnt(18) lgkmcnt(1)
	v_fma_f64 v[125:126], v[153:154], v[125:126], v[145:146]
	s_waitcnt vmcnt(17)
	v_fma_f64 v[125:126], v[151:152], v[127:128], v[125:126]
	buffer_load_dword v146, off, s[0:3], 0 offset:276
	buffer_load_dword v147, off, s[0:3], 0 offset:296
	;; [unrolled: 1-line block ×7, first 2 shown]
	s_waitcnt vmcnt(23) lgkmcnt(0)
	v_fma_f64 v[125:126], v[149:150], v[129:130], v[125:126]
	s_waitcnt vmcnt(18)
	v_fma_f64 v[133:134], v[133:134], v[131:132], v[125:126]
	ds_read2_b64 v[125:128], v124 offset0:89 offset1:90
	ds_read2_b64 v[129:132], v124 offset0:91 offset1:92
	buffer_load_dword v148, off, s[0:3], 0 offset:300
	s_waitcnt vmcnt(18) lgkmcnt(1)
	v_fma_f64 v[125:126], v[157:158], v[125:126], v[133:134]
	s_waitcnt vmcnt(17)
	v_fma_f64 v[125:126], v[155:156], v[127:128], v[125:126]
	buffer_load_dword v134, off, s[0:3], 0 offset:308
	buffer_load_dword v149, off, s[0:3], 0 offset:328
	;; [unrolled: 1-line block ×8, first 2 shown]
	s_waitcnt vmcnt(24) lgkmcnt(0)
	v_fma_f64 v[125:126], v[135:136], v[129:130], v[125:126]
	s_waitcnt vmcnt(19)
	v_fma_f64 v[135:136], v[137:138], v[131:132], v[125:126]
	ds_read2_b64 v[125:128], v124 offset0:93 offset1:94
	ds_read2_b64 v[129:132], v124 offset0:95 offset1:96
	s_waitcnt vmcnt(18) lgkmcnt(1)
	v_fma_f64 v[125:126], v[143:144], v[125:126], v[135:136]
	s_waitcnt vmcnt(17)
	v_fma_f64 v[125:126], v[141:142], v[127:128], v[125:126]
	buffer_load_dword v136, off, s[0:3], 0 offset:340
	buffer_load_dword v137, off, s[0:3], 0 offset:360
	;; [unrolled: 1-line block ×7, first 2 shown]
	s_waitcnt vmcnt(23) lgkmcnt(0)
	v_fma_f64 v[125:126], v[139:140], v[129:130], v[125:126]
	s_waitcnt vmcnt(18)
	v_fma_f64 v[138:139], v[145:146], v[131:132], v[125:126]
	ds_read2_b64 v[125:128], v124 offset0:97 offset1:98
	ds_read2_b64 v[129:132], v124 offset0:99 offset1:100
	s_waitcnt vmcnt(17) lgkmcnt(1)
	v_fma_f64 v[125:126], v[153:154], v[125:126], v[138:139]
	buffer_load_dword v138, off, s[0:3], 0 offset:364
	s_waitcnt vmcnt(17)
	v_fma_f64 v[125:126], v[151:152], v[127:128], v[125:126]
	buffer_load_dword v140, off, s[0:3], 0 offset:372
	buffer_load_dword v145, off, s[0:3], 0 offset:392
	;; [unrolled: 1-line block ×7, first 2 shown]
	s_waitcnt vmcnt(23) lgkmcnt(0)
	v_fma_f64 v[125:126], v[147:148], v[129:130], v[125:126]
	s_waitcnt vmcnt(18)
	v_fma_f64 v[133:134], v[133:134], v[131:132], v[125:126]
	ds_read2_b64 v[125:128], v124 offset0:101 offset1:102
	ds_read2_b64 v[129:132], v124 offset0:103 offset1:104
	buffer_load_dword v146, off, s[0:3], 0 offset:396
	s_waitcnt vmcnt(18) lgkmcnt(1)
	v_fma_f64 v[125:126], v[157:158], v[125:126], v[133:134]
	s_waitcnt vmcnt(17)
	v_fma_f64 v[125:126], v[155:156], v[127:128], v[125:126]
	buffer_load_dword v134, off, s[0:3], 0 offset:404
	buffer_load_dword v147, off, s[0:3], 0 offset:424
	;; [unrolled: 1-line block ×8, first 2 shown]
	s_waitcnt vmcnt(24) lgkmcnt(0)
	v_fma_f64 v[125:126], v[149:150], v[129:130], v[125:126]
	s_waitcnt vmcnt(19)
	v_fma_f64 v[135:136], v[135:136], v[131:132], v[125:126]
	ds_read2_b64 v[125:128], v124 offset0:105 offset1:106
	ds_read2_b64 v[129:132], v124 offset0:107 offset1:108
	s_waitcnt vmcnt(18) lgkmcnt(1)
	v_fma_f64 v[125:126], v[143:144], v[125:126], v[135:136]
	s_waitcnt vmcnt(17)
	v_fma_f64 v[125:126], v[141:142], v[127:128], v[125:126]
	buffer_load_dword v136, off, s[0:3], 0 offset:436
	buffer_load_dword v141, off, s[0:3], 0 offset:456
	;; [unrolled: 1-line block ×8, first 2 shown]
	s_waitcnt vmcnt(24) lgkmcnt(0)
	v_fma_f64 v[125:126], v[137:138], v[129:130], v[125:126]
	s_waitcnt vmcnt(19)
	v_fma_f64 v[137:138], v[139:140], v[131:132], v[125:126]
	ds_read2_b64 v[125:128], v124 offset0:109 offset1:110
	ds_read2_b64 v[129:132], v124 offset0:111 offset1:112
	s_waitcnt vmcnt(18) lgkmcnt(1)
	v_fma_f64 v[125:126], v[153:154], v[125:126], v[137:138]
	s_waitcnt vmcnt(17)
	v_fma_f64 v[125:126], v[151:152], v[127:128], v[125:126]
	buffer_load_dword v138, off, s[0:3], 0 offset:468
	buffer_load_dword v139, off, s[0:3], 0 offset:480
	;; [unrolled: 1-line block ×6, first 2 shown]
	s_waitcnt vmcnt(22) lgkmcnt(0)
	v_fma_f64 v[125:126], v[145:146], v[129:130], v[125:126]
	s_waitcnt vmcnt(17)
	v_fma_f64 v[133:134], v[133:134], v[131:132], v[125:126]
	ds_read2_b64 v[125:128], v124 offset0:113 offset1:114
	buffer_load_dword v145, off, s[0:3], 0 offset:112
	buffer_load_dword v146, off, s[0:3], 0 offset:116
	ds_read2_b64 v[129:132], v124 offset0:115 offset1:116
	s_waitcnt vmcnt(18) lgkmcnt(1)
	v_fma_f64 v[125:126], v[157:158], v[125:126], v[133:134]
	s_waitcnt vmcnt(17)
	v_fma_f64 v[125:126], v[155:156], v[127:128], v[125:126]
	s_waitcnt vmcnt(16) lgkmcnt(0)
	v_fma_f64 v[125:126], v[147:148], v[129:130], v[125:126]
	s_waitcnt vmcnt(11)
	v_fma_f64 v[133:134], v[135:136], v[131:132], v[125:126]
	ds_read2_b64 v[125:128], v124 offset0:117 offset1:118
	ds_read2_b64 v[129:132], v124 offset0:119 offset1:120
	s_waitcnt vmcnt(10) lgkmcnt(1)
	v_fma_f64 v[125:126], v[149:150], v[125:126], v[133:134]
	s_waitcnt vmcnt(9)
	v_fma_f64 v[125:126], v[143:144], v[127:128], v[125:126]
	s_waitcnt vmcnt(8) lgkmcnt(0)
	v_fma_f64 v[125:126], v[141:142], v[129:130], v[125:126]
	s_waitcnt vmcnt(4)
	v_fma_f64 v[128:129], v[137:138], v[131:132], v[125:126]
	ds_read2_b64 v[124:127], v124 offset0:121 offset1:122
	s_waitcnt vmcnt(3) lgkmcnt(0)
	v_fma_f64 v[124:125], v[151:152], v[124:125], v[128:129]
	s_waitcnt vmcnt(2)
	v_fma_f64 v[124:125], v[139:140], v[126:127], v[124:125]
	s_waitcnt vmcnt(0)
	v_add_f64 v[124:125], v[145:146], -v[124:125]
	buffer_store_dword v125, off, s[0:3], 0 offset:116
	buffer_store_dword v124, off, s[0:3], 0 offset:112
	s_and_saveexec_b64 s[4:5], vcc
	s_cbranch_execz .LBB124_347
; %bb.346:
	buffer_load_dword v124, off, s[0:3], 0 offset:104
	buffer_load_dword v125, off, s[0:3], 0 offset:108
	v_mov_b32_e32 v126, 0
	buffer_store_dword v126, off, s[0:3], 0 offset:104
	buffer_store_dword v126, off, s[0:3], 0 offset:108
	s_waitcnt vmcnt(2)
	ds_write_b64 v123, v[124:125]
.LBB124_347:
	s_or_b64 exec, exec, s[4:5]
	s_waitcnt lgkmcnt(0)
	; wave barrier
	buffer_load_dword v133, off, s[0:3], 0 offset:112
	buffer_load_dword v134, off, s[0:3], 0 offset:116
	;; [unrolled: 1-line block ×21, first 2 shown]
	v_mov_b32_e32 v124, 0
	ds_read_b128 v[125:128], v124 offset:608
	ds_read_b128 v[129:132], v124 offset:624
	buffer_load_dword v150, off, s[0:3], 0 offset:196
	v_cmp_lt_u32_e32 vcc, 12, v0
	s_waitcnt vmcnt(20) lgkmcnt(1)
	v_fma_f64 v[125:126], v[133:134], v[125:126], 0
	s_waitcnt vmcnt(18)
	v_fma_f64 v[125:126], v[135:136], v[127:128], v[125:126]
	buffer_load_dword v134, off, s[0:3], 0 offset:204
	buffer_load_dword v135, off, s[0:3], 0 offset:224
	;; [unrolled: 1-line block ×7, first 2 shown]
	s_waitcnt vmcnt(23) lgkmcnt(0)
	v_fma_f64 v[125:126], v[137:138], v[129:130], v[125:126]
	s_waitcnt vmcnt(21)
	v_fma_f64 v[136:137], v[139:140], v[131:132], v[125:126]
	ds_read_b128 v[125:128], v124 offset:640
	ds_read_b128 v[129:132], v124 offset:656
	s_waitcnt vmcnt(19) lgkmcnt(1)
	v_fma_f64 v[125:126], v[141:142], v[125:126], v[136:137]
	buffer_load_dword v136, off, s[0:3], 0 offset:228
	s_waitcnt vmcnt(18)
	v_fma_f64 v[125:126], v[143:144], v[127:128], v[125:126]
	buffer_load_dword v138, off, s[0:3], 0 offset:236
	buffer_load_dword v139, off, s[0:3], 0 offset:256
	;; [unrolled: 1-line block ×8, first 2 shown]
	s_waitcnt vmcnt(24) lgkmcnt(0)
	v_fma_f64 v[125:126], v[145:146], v[129:130], v[125:126]
	s_waitcnt vmcnt(19)
	v_fma_f64 v[145:146], v[147:148], v[131:132], v[125:126]
	ds_read_b128 v[125:128], v124 offset:672
	ds_read_b128 v[129:132], v124 offset:688
	s_waitcnt vmcnt(18) lgkmcnt(1)
	v_fma_f64 v[125:126], v[153:154], v[125:126], v[145:146]
	s_waitcnt vmcnt(17)
	v_fma_f64 v[125:126], v[151:152], v[127:128], v[125:126]
	buffer_load_dword v146, off, s[0:3], 0 offset:268
	buffer_load_dword v147, off, s[0:3], 0 offset:288
	buffer_load_dword v151, off, s[0:3], 0 offset:280
	buffer_load_dword v153, off, s[0:3], 0 offset:272
	buffer_load_dword v145, off, s[0:3], 0 offset:264
	buffer_load_dword v154, off, s[0:3], 0 offset:276
	buffer_load_dword v152, off, s[0:3], 0 offset:284
	s_waitcnt vmcnt(23) lgkmcnt(0)
	v_fma_f64 v[125:126], v[149:150], v[129:130], v[125:126]
	s_waitcnt vmcnt(18)
	v_fma_f64 v[133:134], v[133:134], v[131:132], v[125:126]
	ds_read_b128 v[125:128], v124 offset:704
	ds_read_b128 v[129:132], v124 offset:720
	buffer_load_dword v148, off, s[0:3], 0 offset:292
	s_waitcnt vmcnt(18) lgkmcnt(1)
	v_fma_f64 v[125:126], v[157:158], v[125:126], v[133:134]
	s_waitcnt vmcnt(17)
	v_fma_f64 v[125:126], v[155:156], v[127:128], v[125:126]
	buffer_load_dword v134, off, s[0:3], 0 offset:300
	buffer_load_dword v149, off, s[0:3], 0 offset:320
	;; [unrolled: 1-line block ×8, first 2 shown]
	s_waitcnt vmcnt(24) lgkmcnt(0)
	v_fma_f64 v[125:126], v[135:136], v[129:130], v[125:126]
	s_waitcnt vmcnt(19)
	v_fma_f64 v[135:136], v[137:138], v[131:132], v[125:126]
	ds_read_b128 v[125:128], v124 offset:736
	ds_read_b128 v[129:132], v124 offset:752
	s_waitcnt vmcnt(18) lgkmcnt(1)
	v_fma_f64 v[125:126], v[143:144], v[125:126], v[135:136]
	s_waitcnt vmcnt(17)
	v_fma_f64 v[125:126], v[141:142], v[127:128], v[125:126]
	buffer_load_dword v136, off, s[0:3], 0 offset:332
	buffer_load_dword v137, off, s[0:3], 0 offset:352
	;; [unrolled: 1-line block ×7, first 2 shown]
	s_waitcnt vmcnt(23) lgkmcnt(0)
	v_fma_f64 v[125:126], v[139:140], v[129:130], v[125:126]
	s_waitcnt vmcnt(18)
	v_fma_f64 v[138:139], v[145:146], v[131:132], v[125:126]
	ds_read_b128 v[125:128], v124 offset:768
	ds_read_b128 v[129:132], v124 offset:784
	s_waitcnt vmcnt(17) lgkmcnt(1)
	v_fma_f64 v[125:126], v[153:154], v[125:126], v[138:139]
	buffer_load_dword v138, off, s[0:3], 0 offset:356
	s_waitcnt vmcnt(17)
	v_fma_f64 v[125:126], v[151:152], v[127:128], v[125:126]
	buffer_load_dword v140, off, s[0:3], 0 offset:364
	buffer_load_dword v145, off, s[0:3], 0 offset:384
	;; [unrolled: 1-line block ×7, first 2 shown]
	s_waitcnt vmcnt(23) lgkmcnt(0)
	v_fma_f64 v[125:126], v[147:148], v[129:130], v[125:126]
	s_waitcnt vmcnt(18)
	v_fma_f64 v[133:134], v[133:134], v[131:132], v[125:126]
	ds_read_b128 v[125:128], v124 offset:800
	ds_read_b128 v[129:132], v124 offset:816
	buffer_load_dword v146, off, s[0:3], 0 offset:388
	s_waitcnt vmcnt(18) lgkmcnt(1)
	v_fma_f64 v[125:126], v[157:158], v[125:126], v[133:134]
	s_waitcnt vmcnt(17)
	v_fma_f64 v[125:126], v[155:156], v[127:128], v[125:126]
	buffer_load_dword v134, off, s[0:3], 0 offset:396
	buffer_load_dword v147, off, s[0:3], 0 offset:416
	buffer_load_dword v155, off, s[0:3], 0 offset:408
	buffer_load_dword v157, off, s[0:3], 0 offset:400
	buffer_load_dword v133, off, s[0:3], 0 offset:392
	buffer_load_dword v158, off, s[0:3], 0 offset:404
	buffer_load_dword v156, off, s[0:3], 0 offset:412
	buffer_load_dword v148, off, s[0:3], 0 offset:420
	s_waitcnt vmcnt(24) lgkmcnt(0)
	v_fma_f64 v[125:126], v[149:150], v[129:130], v[125:126]
	s_waitcnt vmcnt(19)
	v_fma_f64 v[135:136], v[135:136], v[131:132], v[125:126]
	ds_read_b128 v[125:128], v124 offset:832
	ds_read_b128 v[129:132], v124 offset:848
	s_waitcnt vmcnt(18) lgkmcnt(1)
	v_fma_f64 v[125:126], v[143:144], v[125:126], v[135:136]
	s_waitcnt vmcnt(17)
	v_fma_f64 v[125:126], v[141:142], v[127:128], v[125:126]
	buffer_load_dword v136, off, s[0:3], 0 offset:428
	buffer_load_dword v141, off, s[0:3], 0 offset:448
	buffer_load_dword v143, off, s[0:3], 0 offset:440
	buffer_load_dword v149, off, s[0:3], 0 offset:432
	buffer_load_dword v135, off, s[0:3], 0 offset:424
	buffer_load_dword v150, off, s[0:3], 0 offset:436
	buffer_load_dword v144, off, s[0:3], 0 offset:444
	buffer_load_dword v142, off, s[0:3], 0 offset:452
	s_waitcnt vmcnt(24) lgkmcnt(0)
	v_fma_f64 v[125:126], v[137:138], v[129:130], v[125:126]
	s_waitcnt vmcnt(19)
	v_fma_f64 v[137:138], v[139:140], v[131:132], v[125:126]
	ds_read_b128 v[125:128], v124 offset:864
	ds_read_b128 v[129:132], v124 offset:880
	;; [unrolled: 18-line block ×3, first 2 shown]
	s_waitcnt vmcnt(18) lgkmcnt(1)
	v_fma_f64 v[125:126], v[157:158], v[125:126], v[133:134]
	buffer_load_dword v133, off, s[0:3], 0 offset:104
	buffer_load_dword v134, off, s[0:3], 0 offset:108
	s_waitcnt vmcnt(19)
	v_fma_f64 v[125:126], v[155:156], v[127:128], v[125:126]
	s_waitcnt vmcnt(18) lgkmcnt(0)
	v_fma_f64 v[125:126], v[147:148], v[129:130], v[125:126]
	s_waitcnt vmcnt(13)
	v_fma_f64 v[135:136], v[135:136], v[131:132], v[125:126]
	ds_read_b128 v[125:128], v124 offset:928
	ds_read_b128 v[129:132], v124 offset:944
	s_waitcnt vmcnt(12) lgkmcnt(1)
	v_fma_f64 v[125:126], v[149:150], v[125:126], v[135:136]
	s_waitcnt vmcnt(11)
	v_fma_f64 v[125:126], v[143:144], v[127:128], v[125:126]
	s_waitcnt vmcnt(10) lgkmcnt(0)
	v_fma_f64 v[125:126], v[141:142], v[129:130], v[125:126]
	s_waitcnt vmcnt(5)
	v_fma_f64 v[129:130], v[137:138], v[131:132], v[125:126]
	ds_read_b128 v[125:128], v124 offset:960
	ds_read_b64 v[131:132], v124 offset:976
	s_waitcnt vmcnt(4) lgkmcnt(1)
	v_fma_f64 v[125:126], v[153:154], v[125:126], v[129:130]
	s_waitcnt vmcnt(3)
	v_fma_f64 v[125:126], v[151:152], v[127:128], v[125:126]
	s_waitcnt vmcnt(2) lgkmcnt(0)
	v_fma_f64 v[125:126], v[139:140], v[131:132], v[125:126]
	s_waitcnt vmcnt(0)
	v_add_f64 v[125:126], v[133:134], -v[125:126]
	buffer_store_dword v126, off, s[0:3], 0 offset:108
	buffer_store_dword v125, off, s[0:3], 0 offset:104
	s_and_saveexec_b64 s[4:5], vcc
	s_cbranch_execz .LBB124_349
; %bb.348:
	buffer_load_dword v125, off, s[0:3], 0 offset:96
	buffer_load_dword v126, off, s[0:3], 0 offset:100
	s_waitcnt vmcnt(0)
	ds_write_b64 v123, v[125:126]
	buffer_store_dword v124, off, s[0:3], 0 offset:96
	buffer_store_dword v124, off, s[0:3], 0 offset:100
.LBB124_349:
	s_or_b64 exec, exec, s[4:5]
	s_waitcnt lgkmcnt(0)
	; wave barrier
	buffer_load_dword v133, off, s[0:3], 0 offset:104
	buffer_load_dword v134, off, s[0:3], 0 offset:108
	buffer_load_dword v135, off, s[0:3], 0 offset:112
	buffer_load_dword v136, off, s[0:3], 0 offset:116
	buffer_load_dword v137, off, s[0:3], 0 offset:120
	buffer_load_dword v138, off, s[0:3], 0 offset:124
	buffer_load_dword v139, off, s[0:3], 0 offset:128
	buffer_load_dword v140, off, s[0:3], 0 offset:132
	buffer_load_dword v141, off, s[0:3], 0 offset:136
	buffer_load_dword v142, off, s[0:3], 0 offset:140
	buffer_load_dword v143, off, s[0:3], 0 offset:144
	buffer_load_dword v144, off, s[0:3], 0 offset:148
	buffer_load_dword v145, off, s[0:3], 0 offset:152
	buffer_load_dword v146, off, s[0:3], 0 offset:156
	buffer_load_dword v148, off, s[0:3], 0 offset:164
	buffer_load_dword v149, off, s[0:3], 0 offset:184
	buffer_load_dword v151, off, s[0:3], 0 offset:176
	buffer_load_dword v153, off, s[0:3], 0 offset:168
	buffer_load_dword v147, off, s[0:3], 0 offset:160
	buffer_load_dword v154, off, s[0:3], 0 offset:172
	buffer_load_dword v152, off, s[0:3], 0 offset:180
	ds_read2_b64 v[125:128], v124 offset0:75 offset1:76
	ds_read2_b64 v[129:132], v124 offset0:77 offset1:78
	buffer_load_dword v150, off, s[0:3], 0 offset:188
	v_cmp_lt_u32_e32 vcc, 11, v0
	s_waitcnt vmcnt(20) lgkmcnt(1)
	v_fma_f64 v[125:126], v[133:134], v[125:126], 0
	s_waitcnt vmcnt(18)
	v_fma_f64 v[125:126], v[135:136], v[127:128], v[125:126]
	buffer_load_dword v134, off, s[0:3], 0 offset:196
	buffer_load_dword v135, off, s[0:3], 0 offset:216
	;; [unrolled: 1-line block ×7, first 2 shown]
	s_waitcnt vmcnt(23) lgkmcnt(0)
	v_fma_f64 v[125:126], v[137:138], v[129:130], v[125:126]
	s_waitcnt vmcnt(21)
	v_fma_f64 v[136:137], v[139:140], v[131:132], v[125:126]
	ds_read2_b64 v[125:128], v124 offset0:79 offset1:80
	ds_read2_b64 v[129:132], v124 offset0:81 offset1:82
	s_waitcnt vmcnt(19) lgkmcnt(1)
	v_fma_f64 v[125:126], v[141:142], v[125:126], v[136:137]
	buffer_load_dword v136, off, s[0:3], 0 offset:220
	s_waitcnt vmcnt(18)
	v_fma_f64 v[125:126], v[143:144], v[127:128], v[125:126]
	buffer_load_dword v138, off, s[0:3], 0 offset:228
	buffer_load_dword v139, off, s[0:3], 0 offset:248
	;; [unrolled: 1-line block ×8, first 2 shown]
	s_waitcnt vmcnt(24) lgkmcnt(0)
	v_fma_f64 v[125:126], v[145:146], v[129:130], v[125:126]
	s_waitcnt vmcnt(19)
	v_fma_f64 v[145:146], v[147:148], v[131:132], v[125:126]
	ds_read2_b64 v[125:128], v124 offset0:83 offset1:84
	ds_read2_b64 v[129:132], v124 offset0:85 offset1:86
	s_waitcnt vmcnt(18) lgkmcnt(1)
	v_fma_f64 v[125:126], v[153:154], v[125:126], v[145:146]
	s_waitcnt vmcnt(17)
	v_fma_f64 v[125:126], v[151:152], v[127:128], v[125:126]
	buffer_load_dword v146, off, s[0:3], 0 offset:260
	buffer_load_dword v147, off, s[0:3], 0 offset:280
	buffer_load_dword v151, off, s[0:3], 0 offset:272
	buffer_load_dword v153, off, s[0:3], 0 offset:264
	buffer_load_dword v145, off, s[0:3], 0 offset:256
	buffer_load_dword v154, off, s[0:3], 0 offset:268
	buffer_load_dword v152, off, s[0:3], 0 offset:276
	s_waitcnt vmcnt(23) lgkmcnt(0)
	v_fma_f64 v[125:126], v[149:150], v[129:130], v[125:126]
	s_waitcnt vmcnt(18)
	v_fma_f64 v[133:134], v[133:134], v[131:132], v[125:126]
	ds_read2_b64 v[125:128], v124 offset0:87 offset1:88
	ds_read2_b64 v[129:132], v124 offset0:89 offset1:90
	buffer_load_dword v148, off, s[0:3], 0 offset:284
	s_waitcnt vmcnt(18) lgkmcnt(1)
	v_fma_f64 v[125:126], v[157:158], v[125:126], v[133:134]
	s_waitcnt vmcnt(17)
	v_fma_f64 v[125:126], v[155:156], v[127:128], v[125:126]
	buffer_load_dword v134, off, s[0:3], 0 offset:292
	buffer_load_dword v149, off, s[0:3], 0 offset:312
	;; [unrolled: 1-line block ×8, first 2 shown]
	s_waitcnt vmcnt(24) lgkmcnt(0)
	v_fma_f64 v[125:126], v[135:136], v[129:130], v[125:126]
	s_waitcnt vmcnt(19)
	v_fma_f64 v[135:136], v[137:138], v[131:132], v[125:126]
	ds_read2_b64 v[125:128], v124 offset0:91 offset1:92
	ds_read2_b64 v[129:132], v124 offset0:93 offset1:94
	s_waitcnt vmcnt(18) lgkmcnt(1)
	v_fma_f64 v[125:126], v[143:144], v[125:126], v[135:136]
	s_waitcnt vmcnt(17)
	v_fma_f64 v[125:126], v[141:142], v[127:128], v[125:126]
	buffer_load_dword v136, off, s[0:3], 0 offset:324
	buffer_load_dword v137, off, s[0:3], 0 offset:344
	;; [unrolled: 1-line block ×7, first 2 shown]
	s_waitcnt vmcnt(23) lgkmcnt(0)
	v_fma_f64 v[125:126], v[139:140], v[129:130], v[125:126]
	s_waitcnt vmcnt(18)
	v_fma_f64 v[138:139], v[145:146], v[131:132], v[125:126]
	ds_read2_b64 v[125:128], v124 offset0:95 offset1:96
	ds_read2_b64 v[129:132], v124 offset0:97 offset1:98
	s_waitcnt vmcnt(17) lgkmcnt(1)
	v_fma_f64 v[125:126], v[153:154], v[125:126], v[138:139]
	buffer_load_dword v138, off, s[0:3], 0 offset:348
	s_waitcnt vmcnt(17)
	v_fma_f64 v[125:126], v[151:152], v[127:128], v[125:126]
	buffer_load_dword v140, off, s[0:3], 0 offset:356
	buffer_load_dword v145, off, s[0:3], 0 offset:376
	;; [unrolled: 1-line block ×7, first 2 shown]
	s_waitcnt vmcnt(23) lgkmcnt(0)
	v_fma_f64 v[125:126], v[147:148], v[129:130], v[125:126]
	s_waitcnt vmcnt(18)
	v_fma_f64 v[133:134], v[133:134], v[131:132], v[125:126]
	ds_read2_b64 v[125:128], v124 offset0:99 offset1:100
	ds_read2_b64 v[129:132], v124 offset0:101 offset1:102
	buffer_load_dword v146, off, s[0:3], 0 offset:380
	s_waitcnt vmcnt(18) lgkmcnt(1)
	v_fma_f64 v[125:126], v[157:158], v[125:126], v[133:134]
	s_waitcnt vmcnt(17)
	v_fma_f64 v[125:126], v[155:156], v[127:128], v[125:126]
	buffer_load_dword v134, off, s[0:3], 0 offset:388
	buffer_load_dword v147, off, s[0:3], 0 offset:408
	buffer_load_dword v155, off, s[0:3], 0 offset:400
	buffer_load_dword v157, off, s[0:3], 0 offset:392
	buffer_load_dword v133, off, s[0:3], 0 offset:384
	buffer_load_dword v158, off, s[0:3], 0 offset:396
	buffer_load_dword v156, off, s[0:3], 0 offset:404
	buffer_load_dword v148, off, s[0:3], 0 offset:412
	s_waitcnt vmcnt(24) lgkmcnt(0)
	v_fma_f64 v[125:126], v[149:150], v[129:130], v[125:126]
	s_waitcnt vmcnt(19)
	v_fma_f64 v[135:136], v[135:136], v[131:132], v[125:126]
	ds_read2_b64 v[125:128], v124 offset0:103 offset1:104
	ds_read2_b64 v[129:132], v124 offset0:105 offset1:106
	s_waitcnt vmcnt(18) lgkmcnt(1)
	v_fma_f64 v[125:126], v[143:144], v[125:126], v[135:136]
	s_waitcnt vmcnt(17)
	v_fma_f64 v[125:126], v[141:142], v[127:128], v[125:126]
	buffer_load_dword v136, off, s[0:3], 0 offset:420
	buffer_load_dword v141, off, s[0:3], 0 offset:440
	buffer_load_dword v143, off, s[0:3], 0 offset:432
	buffer_load_dword v149, off, s[0:3], 0 offset:424
	buffer_load_dword v135, off, s[0:3], 0 offset:416
	buffer_load_dword v150, off, s[0:3], 0 offset:428
	buffer_load_dword v144, off, s[0:3], 0 offset:436
	buffer_load_dword v142, off, s[0:3], 0 offset:444
	s_waitcnt vmcnt(24) lgkmcnt(0)
	v_fma_f64 v[125:126], v[137:138], v[129:130], v[125:126]
	s_waitcnt vmcnt(19)
	v_fma_f64 v[137:138], v[139:140], v[131:132], v[125:126]
	ds_read2_b64 v[125:128], v124 offset0:107 offset1:108
	ds_read2_b64 v[129:132], v124 offset0:109 offset1:110
	;; [unrolled: 18-line block ×3, first 2 shown]
	s_waitcnt vmcnt(18) lgkmcnt(1)
	v_fma_f64 v[125:126], v[157:158], v[125:126], v[133:134]
	buffer_load_dword v134, off, s[0:3], 0 offset:484
	buffer_load_dword v133, off, s[0:3], 0 offset:480
	;; [unrolled: 1-line block ×4, first 2 shown]
	s_waitcnt vmcnt(21)
	v_fma_f64 v[125:126], v[155:156], v[127:128], v[125:126]
	s_waitcnt vmcnt(20) lgkmcnt(0)
	v_fma_f64 v[125:126], v[147:148], v[129:130], v[125:126]
	s_waitcnt vmcnt(15)
	v_fma_f64 v[135:136], v[135:136], v[131:132], v[125:126]
	ds_read2_b64 v[125:128], v124 offset0:115 offset1:116
	ds_read2_b64 v[129:132], v124 offset0:117 offset1:118
	s_waitcnt vmcnt(14) lgkmcnt(1)
	v_fma_f64 v[125:126], v[149:150], v[125:126], v[135:136]
	s_waitcnt vmcnt(13)
	v_fma_f64 v[125:126], v[143:144], v[127:128], v[125:126]
	s_waitcnt vmcnt(12) lgkmcnt(0)
	v_fma_f64 v[125:126], v[141:142], v[129:130], v[125:126]
	s_waitcnt vmcnt(7)
	v_fma_f64 v[135:136], v[137:138], v[131:132], v[125:126]
	ds_read2_b64 v[125:128], v124 offset0:119 offset1:120
	ds_read2_b64 v[129:132], v124 offset0:121 offset1:122
	s_waitcnt vmcnt(6) lgkmcnt(1)
	v_fma_f64 v[124:125], v[153:154], v[125:126], v[135:136]
	s_waitcnt vmcnt(5)
	v_fma_f64 v[124:125], v[151:152], v[127:128], v[124:125]
	s_waitcnt vmcnt(4) lgkmcnt(0)
	v_fma_f64 v[124:125], v[139:140], v[129:130], v[124:125]
	s_waitcnt vmcnt(2)
	v_fma_f64 v[124:125], v[133:134], v[131:132], v[124:125]
	s_waitcnt vmcnt(0)
	v_add_f64 v[124:125], v[145:146], -v[124:125]
	buffer_store_dword v125, off, s[0:3], 0 offset:100
	buffer_store_dword v124, off, s[0:3], 0 offset:96
	s_and_saveexec_b64 s[4:5], vcc
	s_cbranch_execz .LBB124_351
; %bb.350:
	buffer_load_dword v124, off, s[0:3], 0 offset:88
	buffer_load_dword v125, off, s[0:3], 0 offset:92
	v_mov_b32_e32 v126, 0
	buffer_store_dword v126, off, s[0:3], 0 offset:88
	buffer_store_dword v126, off, s[0:3], 0 offset:92
	s_waitcnt vmcnt(2)
	ds_write_b64 v123, v[124:125]
.LBB124_351:
	s_or_b64 exec, exec, s[4:5]
	s_waitcnt lgkmcnt(0)
	; wave barrier
	buffer_load_dword v133, off, s[0:3], 0 offset:96
	buffer_load_dword v134, off, s[0:3], 0 offset:100
	;; [unrolled: 1-line block ×21, first 2 shown]
	v_mov_b32_e32 v124, 0
	ds_read_b128 v[125:128], v124 offset:592
	ds_read_b128 v[129:132], v124 offset:608
	buffer_load_dword v150, off, s[0:3], 0 offset:180
	v_cmp_lt_u32_e32 vcc, 10, v0
	s_waitcnt vmcnt(20) lgkmcnt(1)
	v_fma_f64 v[125:126], v[133:134], v[125:126], 0
	s_waitcnt vmcnt(18)
	v_fma_f64 v[125:126], v[135:136], v[127:128], v[125:126]
	buffer_load_dword v134, off, s[0:3], 0 offset:188
	buffer_load_dword v135, off, s[0:3], 0 offset:208
	;; [unrolled: 1-line block ×7, first 2 shown]
	s_waitcnt vmcnt(23) lgkmcnt(0)
	v_fma_f64 v[125:126], v[137:138], v[129:130], v[125:126]
	s_waitcnt vmcnt(21)
	v_fma_f64 v[136:137], v[139:140], v[131:132], v[125:126]
	ds_read_b128 v[125:128], v124 offset:624
	ds_read_b128 v[129:132], v124 offset:640
	s_waitcnt vmcnt(19) lgkmcnt(1)
	v_fma_f64 v[125:126], v[141:142], v[125:126], v[136:137]
	buffer_load_dword v136, off, s[0:3], 0 offset:212
	s_waitcnt vmcnt(18)
	v_fma_f64 v[125:126], v[143:144], v[127:128], v[125:126]
	buffer_load_dword v138, off, s[0:3], 0 offset:220
	buffer_load_dword v139, off, s[0:3], 0 offset:240
	;; [unrolled: 1-line block ×8, first 2 shown]
	s_waitcnt vmcnt(24) lgkmcnt(0)
	v_fma_f64 v[125:126], v[145:146], v[129:130], v[125:126]
	s_waitcnt vmcnt(19)
	v_fma_f64 v[145:146], v[147:148], v[131:132], v[125:126]
	ds_read_b128 v[125:128], v124 offset:656
	ds_read_b128 v[129:132], v124 offset:672
	s_waitcnt vmcnt(18) lgkmcnt(1)
	v_fma_f64 v[125:126], v[153:154], v[125:126], v[145:146]
	s_waitcnt vmcnt(17)
	v_fma_f64 v[125:126], v[151:152], v[127:128], v[125:126]
	buffer_load_dword v146, off, s[0:3], 0 offset:252
	buffer_load_dword v147, off, s[0:3], 0 offset:272
	;; [unrolled: 1-line block ×7, first 2 shown]
	s_waitcnt vmcnt(23) lgkmcnt(0)
	v_fma_f64 v[125:126], v[149:150], v[129:130], v[125:126]
	s_waitcnt vmcnt(18)
	v_fma_f64 v[133:134], v[133:134], v[131:132], v[125:126]
	ds_read_b128 v[125:128], v124 offset:688
	ds_read_b128 v[129:132], v124 offset:704
	buffer_load_dword v148, off, s[0:3], 0 offset:276
	s_waitcnt vmcnt(18) lgkmcnt(1)
	v_fma_f64 v[125:126], v[157:158], v[125:126], v[133:134]
	s_waitcnt vmcnt(17)
	v_fma_f64 v[125:126], v[155:156], v[127:128], v[125:126]
	buffer_load_dword v134, off, s[0:3], 0 offset:284
	buffer_load_dword v149, off, s[0:3], 0 offset:304
	buffer_load_dword v155, off, s[0:3], 0 offset:296
	buffer_load_dword v157, off, s[0:3], 0 offset:288
	buffer_load_dword v133, off, s[0:3], 0 offset:280
	buffer_load_dword v158, off, s[0:3], 0 offset:292
	buffer_load_dword v156, off, s[0:3], 0 offset:300
	s_waitcnt vmcnt(23) lgkmcnt(0)
	v_fma_f64 v[125:126], v[135:136], v[129:130], v[125:126]
	s_waitcnt vmcnt(18)
	v_fma_f64 v[135:136], v[137:138], v[131:132], v[125:126]
	ds_read_b128 v[125:128], v124 offset:720
	ds_read_b128 v[129:132], v124 offset:736
	buffer_load_dword v150, off, s[0:3], 0 offset:308
	s_waitcnt vmcnt(18) lgkmcnt(1)
	v_fma_f64 v[125:126], v[143:144], v[125:126], v[135:136]
	s_waitcnt vmcnt(17)
	v_fma_f64 v[125:126], v[141:142], v[127:128], v[125:126]
	buffer_load_dword v136, off, s[0:3], 0 offset:316
	buffer_load_dword v137, off, s[0:3], 0 offset:336
	buffer_load_dword v141, off, s[0:3], 0 offset:328
	buffer_load_dword v143, off, s[0:3], 0 offset:320
	buffer_load_dword v135, off, s[0:3], 0 offset:312
	buffer_load_dword v144, off, s[0:3], 0 offset:324
	buffer_load_dword v142, off, s[0:3], 0 offset:332
	s_waitcnt vmcnt(23) lgkmcnt(0)
	v_fma_f64 v[125:126], v[139:140], v[129:130], v[125:126]
	s_waitcnt vmcnt(18)
	v_fma_f64 v[138:139], v[145:146], v[131:132], v[125:126]
	ds_read_b128 v[125:128], v124 offset:752
	ds_read_b128 v[129:132], v124 offset:768
	s_waitcnt vmcnt(17) lgkmcnt(1)
	v_fma_f64 v[125:126], v[153:154], v[125:126], v[138:139]
	buffer_load_dword v138, off, s[0:3], 0 offset:340
	s_waitcnt vmcnt(17)
	v_fma_f64 v[125:126], v[151:152], v[127:128], v[125:126]
	buffer_load_dword v140, off, s[0:3], 0 offset:348
	buffer_load_dword v145, off, s[0:3], 0 offset:368
	;; [unrolled: 1-line block ×7, first 2 shown]
	s_waitcnt vmcnt(23) lgkmcnt(0)
	v_fma_f64 v[125:126], v[147:148], v[129:130], v[125:126]
	s_waitcnt vmcnt(18)
	v_fma_f64 v[133:134], v[133:134], v[131:132], v[125:126]
	ds_read_b128 v[125:128], v124 offset:784
	ds_read_b128 v[129:132], v124 offset:800
	buffer_load_dword v146, off, s[0:3], 0 offset:372
	s_waitcnt vmcnt(18) lgkmcnt(1)
	v_fma_f64 v[125:126], v[157:158], v[125:126], v[133:134]
	s_waitcnt vmcnt(17)
	v_fma_f64 v[125:126], v[155:156], v[127:128], v[125:126]
	buffer_load_dword v134, off, s[0:3], 0 offset:380
	buffer_load_dword v147, off, s[0:3], 0 offset:400
	;; [unrolled: 1-line block ×7, first 2 shown]
	s_waitcnt vmcnt(23) lgkmcnt(0)
	v_fma_f64 v[125:126], v[149:150], v[129:130], v[125:126]
	s_waitcnt vmcnt(18)
	v_fma_f64 v[135:136], v[135:136], v[131:132], v[125:126]
	ds_read_b128 v[125:128], v124 offset:816
	ds_read_b128 v[129:132], v124 offset:832
	buffer_load_dword v148, off, s[0:3], 0 offset:404
	s_waitcnt vmcnt(18) lgkmcnt(1)
	v_fma_f64 v[125:126], v[143:144], v[125:126], v[135:136]
	s_waitcnt vmcnt(17)
	v_fma_f64 v[125:126], v[141:142], v[127:128], v[125:126]
	buffer_load_dword v136, off, s[0:3], 0 offset:412
	buffer_load_dword v141, off, s[0:3], 0 offset:432
	;; [unrolled: 1-line block ×8, first 2 shown]
	s_waitcnt vmcnt(24) lgkmcnt(0)
	v_fma_f64 v[125:126], v[137:138], v[129:130], v[125:126]
	s_waitcnt vmcnt(19)
	v_fma_f64 v[137:138], v[139:140], v[131:132], v[125:126]
	ds_read_b128 v[125:128], v124 offset:848
	ds_read_b128 v[129:132], v124 offset:864
	s_waitcnt vmcnt(18) lgkmcnt(1)
	v_fma_f64 v[125:126], v[153:154], v[125:126], v[137:138]
	s_waitcnt vmcnt(17)
	v_fma_f64 v[125:126], v[151:152], v[127:128], v[125:126]
	buffer_load_dword v138, off, s[0:3], 0 offset:444
	buffer_load_dword v139, off, s[0:3], 0 offset:464
	;; [unrolled: 1-line block ×7, first 2 shown]
	s_waitcnt vmcnt(23) lgkmcnt(0)
	v_fma_f64 v[125:126], v[145:146], v[129:130], v[125:126]
	s_waitcnt vmcnt(18)
	v_fma_f64 v[133:134], v[133:134], v[131:132], v[125:126]
	ds_read_b128 v[125:128], v124 offset:880
	ds_read_b128 v[129:132], v124 offset:896
	buffer_load_dword v140, off, s[0:3], 0 offset:468
	s_waitcnt vmcnt(18) lgkmcnt(1)
	v_fma_f64 v[125:126], v[157:158], v[125:126], v[133:134]
	buffer_load_dword v134, off, s[0:3], 0 offset:476
	buffer_load_dword v145, off, s[0:3], 0 offset:480
	;; [unrolled: 1-line block ×4, first 2 shown]
	s_waitcnt vmcnt(21)
	v_fma_f64 v[125:126], v[155:156], v[127:128], v[125:126]
	s_waitcnt vmcnt(20) lgkmcnt(0)
	v_fma_f64 v[125:126], v[147:148], v[129:130], v[125:126]
	buffer_load_dword v147, off, s[0:3], 0 offset:88
	buffer_load_dword v148, off, s[0:3], 0 offset:92
	s_waitcnt vmcnt(17)
	v_fma_f64 v[135:136], v[135:136], v[131:132], v[125:126]
	ds_read_b128 v[125:128], v124 offset:912
	ds_read_b128 v[129:132], v124 offset:928
	s_waitcnt vmcnt(16) lgkmcnt(1)
	v_fma_f64 v[125:126], v[149:150], v[125:126], v[135:136]
	s_waitcnt vmcnt(15)
	v_fma_f64 v[125:126], v[143:144], v[127:128], v[125:126]
	s_waitcnt vmcnt(14) lgkmcnt(0)
	v_fma_f64 v[125:126], v[141:142], v[129:130], v[125:126]
	s_waitcnt vmcnt(9)
	v_fma_f64 v[135:136], v[137:138], v[131:132], v[125:126]
	ds_read_b128 v[125:128], v124 offset:944
	ds_read_b128 v[129:132], v124 offset:960
	s_waitcnt vmcnt(8) lgkmcnt(1)
	v_fma_f64 v[125:126], v[153:154], v[125:126], v[135:136]
	s_waitcnt vmcnt(7)
	v_fma_f64 v[125:126], v[151:152], v[127:128], v[125:126]
	ds_read_b64 v[127:128], v124 offset:976
	s_waitcnt vmcnt(6) lgkmcnt(1)
	v_fma_f64 v[125:126], v[139:140], v[129:130], v[125:126]
	s_waitcnt vmcnt(3)
	v_fma_f64 v[125:126], v[133:134], v[131:132], v[125:126]
	s_waitcnt vmcnt(2) lgkmcnt(0)
	v_fma_f64 v[125:126], v[145:146], v[127:128], v[125:126]
	s_waitcnt vmcnt(0)
	v_add_f64 v[125:126], v[147:148], -v[125:126]
	buffer_store_dword v126, off, s[0:3], 0 offset:92
	buffer_store_dword v125, off, s[0:3], 0 offset:88
	s_and_saveexec_b64 s[4:5], vcc
	s_cbranch_execz .LBB124_353
; %bb.352:
	buffer_load_dword v125, off, s[0:3], 0 offset:80
	buffer_load_dword v126, off, s[0:3], 0 offset:84
	s_waitcnt vmcnt(0)
	ds_write_b64 v123, v[125:126]
	buffer_store_dword v124, off, s[0:3], 0 offset:80
	buffer_store_dword v124, off, s[0:3], 0 offset:84
.LBB124_353:
	s_or_b64 exec, exec, s[4:5]
	s_waitcnt lgkmcnt(0)
	; wave barrier
	buffer_load_dword v133, off, s[0:3], 0 offset:88
	buffer_load_dword v134, off, s[0:3], 0 offset:92
	;; [unrolled: 1-line block ×22, first 2 shown]
	ds_read2_b64 v[125:128], v124 offset0:73 offset1:74
	ds_read2_b64 v[129:132], v124 offset0:75 offset1:76
	v_cmp_lt_u32_e32 vcc, 9, v0
	s_waitcnt vmcnt(20) lgkmcnt(1)
	v_fma_f64 v[125:126], v[133:134], v[125:126], 0
	s_waitcnt vmcnt(18)
	v_fma_f64 v[125:126], v[135:136], v[127:128], v[125:126]
	buffer_load_dword v134, off, s[0:3], 0 offset:180
	buffer_load_dword v135, off, s[0:3], 0 offset:200
	;; [unrolled: 1-line block ×7, first 2 shown]
	s_waitcnt vmcnt(23) lgkmcnt(0)
	v_fma_f64 v[125:126], v[137:138], v[129:130], v[125:126]
	s_waitcnt vmcnt(21)
	v_fma_f64 v[136:137], v[139:140], v[131:132], v[125:126]
	ds_read2_b64 v[125:128], v124 offset0:77 offset1:78
	ds_read2_b64 v[129:132], v124 offset0:79 offset1:80
	s_waitcnt vmcnt(19) lgkmcnt(1)
	v_fma_f64 v[125:126], v[141:142], v[125:126], v[136:137]
	buffer_load_dword v136, off, s[0:3], 0 offset:204
	s_waitcnt vmcnt(18)
	v_fma_f64 v[125:126], v[143:144], v[127:128], v[125:126]
	buffer_load_dword v138, off, s[0:3], 0 offset:212
	buffer_load_dword v139, off, s[0:3], 0 offset:232
	;; [unrolled: 1-line block ×8, first 2 shown]
	s_waitcnt vmcnt(24) lgkmcnt(0)
	v_fma_f64 v[125:126], v[145:146], v[129:130], v[125:126]
	s_waitcnt vmcnt(19)
	v_fma_f64 v[145:146], v[147:148], v[131:132], v[125:126]
	ds_read2_b64 v[125:128], v124 offset0:81 offset1:82
	ds_read2_b64 v[129:132], v124 offset0:83 offset1:84
	s_waitcnt vmcnt(18) lgkmcnt(1)
	v_fma_f64 v[125:126], v[153:154], v[125:126], v[145:146]
	s_waitcnt vmcnt(17)
	v_fma_f64 v[125:126], v[151:152], v[127:128], v[125:126]
	buffer_load_dword v146, off, s[0:3], 0 offset:244
	buffer_load_dword v147, off, s[0:3], 0 offset:264
	;; [unrolled: 1-line block ×8, first 2 shown]
	s_waitcnt vmcnt(24) lgkmcnt(0)
	v_fma_f64 v[125:126], v[149:150], v[129:130], v[125:126]
	s_waitcnt vmcnt(19)
	v_fma_f64 v[133:134], v[133:134], v[131:132], v[125:126]
	ds_read2_b64 v[125:128], v124 offset0:85 offset1:86
	ds_read2_b64 v[129:132], v124 offset0:87 offset1:88
	s_waitcnt vmcnt(18) lgkmcnt(1)
	v_fma_f64 v[125:126], v[157:158], v[125:126], v[133:134]
	s_waitcnt vmcnt(17)
	v_fma_f64 v[125:126], v[155:156], v[127:128], v[125:126]
	buffer_load_dword v134, off, s[0:3], 0 offset:276
	buffer_load_dword v149, off, s[0:3], 0 offset:296
	;; [unrolled: 1-line block ×7, first 2 shown]
	s_waitcnt vmcnt(23) lgkmcnt(0)
	v_fma_f64 v[125:126], v[135:136], v[129:130], v[125:126]
	s_waitcnt vmcnt(18)
	v_fma_f64 v[135:136], v[137:138], v[131:132], v[125:126]
	ds_read2_b64 v[125:128], v124 offset0:89 offset1:90
	ds_read2_b64 v[129:132], v124 offset0:91 offset1:92
	buffer_load_dword v150, off, s[0:3], 0 offset:300
	s_waitcnt vmcnt(18) lgkmcnt(1)
	v_fma_f64 v[125:126], v[143:144], v[125:126], v[135:136]
	s_waitcnt vmcnt(17)
	v_fma_f64 v[125:126], v[141:142], v[127:128], v[125:126]
	buffer_load_dword v136, off, s[0:3], 0 offset:308
	buffer_load_dword v137, off, s[0:3], 0 offset:328
	;; [unrolled: 1-line block ×7, first 2 shown]
	s_waitcnt vmcnt(23) lgkmcnt(0)
	v_fma_f64 v[125:126], v[139:140], v[129:130], v[125:126]
	s_waitcnt vmcnt(18)
	v_fma_f64 v[138:139], v[145:146], v[131:132], v[125:126]
	ds_read2_b64 v[125:128], v124 offset0:93 offset1:94
	ds_read2_b64 v[129:132], v124 offset0:95 offset1:96
	s_waitcnt vmcnt(17) lgkmcnt(1)
	v_fma_f64 v[125:126], v[153:154], v[125:126], v[138:139]
	buffer_load_dword v138, off, s[0:3], 0 offset:332
	s_waitcnt vmcnt(17)
	v_fma_f64 v[125:126], v[151:152], v[127:128], v[125:126]
	buffer_load_dword v140, off, s[0:3], 0 offset:340
	buffer_load_dword v145, off, s[0:3], 0 offset:360
	;; [unrolled: 1-line block ×8, first 2 shown]
	s_waitcnt vmcnt(24) lgkmcnt(0)
	v_fma_f64 v[125:126], v[147:148], v[129:130], v[125:126]
	s_waitcnt vmcnt(19)
	v_fma_f64 v[133:134], v[133:134], v[131:132], v[125:126]
	ds_read2_b64 v[125:128], v124 offset0:97 offset1:98
	ds_read2_b64 v[129:132], v124 offset0:99 offset1:100
	s_waitcnt vmcnt(18) lgkmcnt(1)
	v_fma_f64 v[125:126], v[157:158], v[125:126], v[133:134]
	s_waitcnt vmcnt(17)
	v_fma_f64 v[125:126], v[155:156], v[127:128], v[125:126]
	buffer_load_dword v134, off, s[0:3], 0 offset:372
	buffer_load_dword v147, off, s[0:3], 0 offset:392
	;; [unrolled: 1-line block ×7, first 2 shown]
	s_waitcnt vmcnt(23) lgkmcnt(0)
	v_fma_f64 v[125:126], v[149:150], v[129:130], v[125:126]
	s_waitcnt vmcnt(18)
	v_fma_f64 v[135:136], v[135:136], v[131:132], v[125:126]
	ds_read2_b64 v[125:128], v124 offset0:101 offset1:102
	ds_read2_b64 v[129:132], v124 offset0:103 offset1:104
	buffer_load_dword v148, off, s[0:3], 0 offset:396
	s_waitcnt vmcnt(18) lgkmcnt(1)
	v_fma_f64 v[125:126], v[143:144], v[125:126], v[135:136]
	s_waitcnt vmcnt(17)
	v_fma_f64 v[125:126], v[141:142], v[127:128], v[125:126]
	buffer_load_dword v136, off, s[0:3], 0 offset:404
	buffer_load_dword v141, off, s[0:3], 0 offset:424
	;; [unrolled: 1-line block ×8, first 2 shown]
	s_waitcnt vmcnt(24) lgkmcnt(0)
	v_fma_f64 v[125:126], v[137:138], v[129:130], v[125:126]
	s_waitcnt vmcnt(19)
	v_fma_f64 v[137:138], v[139:140], v[131:132], v[125:126]
	ds_read2_b64 v[125:128], v124 offset0:105 offset1:106
	ds_read2_b64 v[129:132], v124 offset0:107 offset1:108
	s_waitcnt vmcnt(18) lgkmcnt(1)
	v_fma_f64 v[125:126], v[153:154], v[125:126], v[137:138]
	s_waitcnt vmcnt(17)
	v_fma_f64 v[125:126], v[151:152], v[127:128], v[125:126]
	buffer_load_dword v138, off, s[0:3], 0 offset:436
	buffer_load_dword v139, off, s[0:3], 0 offset:456
	;; [unrolled: 1-line block ×8, first 2 shown]
	s_waitcnt vmcnt(24) lgkmcnt(0)
	v_fma_f64 v[125:126], v[145:146], v[129:130], v[125:126]
	s_waitcnt vmcnt(19)
	v_fma_f64 v[133:134], v[133:134], v[131:132], v[125:126]
	ds_read2_b64 v[125:128], v124 offset0:109 offset1:110
	ds_read2_b64 v[129:132], v124 offset0:111 offset1:112
	s_waitcnt vmcnt(18) lgkmcnt(1)
	v_fma_f64 v[125:126], v[157:158], v[125:126], v[133:134]
	s_waitcnt vmcnt(17)
	v_fma_f64 v[125:126], v[155:156], v[127:128], v[125:126]
	buffer_load_dword v134, off, s[0:3], 0 offset:468
	buffer_load_dword v145, off, s[0:3], 0 offset:480
	;; [unrolled: 1-line block ×6, first 2 shown]
	s_waitcnt vmcnt(22) lgkmcnt(0)
	v_fma_f64 v[125:126], v[147:148], v[129:130], v[125:126]
	s_waitcnt vmcnt(17)
	v_fma_f64 v[135:136], v[135:136], v[131:132], v[125:126]
	ds_read2_b64 v[125:128], v124 offset0:113 offset1:114
	buffer_load_dword v147, off, s[0:3], 0 offset:80
	buffer_load_dword v148, off, s[0:3], 0 offset:84
	ds_read2_b64 v[129:132], v124 offset0:115 offset1:116
	s_waitcnt vmcnt(18) lgkmcnt(1)
	v_fma_f64 v[125:126], v[149:150], v[125:126], v[135:136]
	s_waitcnt vmcnt(17)
	v_fma_f64 v[125:126], v[143:144], v[127:128], v[125:126]
	s_waitcnt vmcnt(16) lgkmcnt(0)
	v_fma_f64 v[125:126], v[141:142], v[129:130], v[125:126]
	s_waitcnt vmcnt(11)
	v_fma_f64 v[135:136], v[137:138], v[131:132], v[125:126]
	ds_read2_b64 v[125:128], v124 offset0:117 offset1:118
	ds_read2_b64 v[129:132], v124 offset0:119 offset1:120
	s_waitcnt vmcnt(10) lgkmcnt(1)
	v_fma_f64 v[125:126], v[153:154], v[125:126], v[135:136]
	s_waitcnt vmcnt(9)
	v_fma_f64 v[125:126], v[151:152], v[127:128], v[125:126]
	s_waitcnt vmcnt(8) lgkmcnt(0)
	v_fma_f64 v[125:126], v[139:140], v[129:130], v[125:126]
	s_waitcnt vmcnt(4)
	v_fma_f64 v[128:129], v[133:134], v[131:132], v[125:126]
	ds_read2_b64 v[124:127], v124 offset0:121 offset1:122
	s_waitcnt vmcnt(3) lgkmcnt(0)
	v_fma_f64 v[124:125], v[155:156], v[124:125], v[128:129]
	s_waitcnt vmcnt(2)
	v_fma_f64 v[124:125], v[145:146], v[126:127], v[124:125]
	s_waitcnt vmcnt(0)
	v_add_f64 v[124:125], v[147:148], -v[124:125]
	buffer_store_dword v125, off, s[0:3], 0 offset:84
	buffer_store_dword v124, off, s[0:3], 0 offset:80
	s_and_saveexec_b64 s[4:5], vcc
	s_cbranch_execz .LBB124_355
; %bb.354:
	buffer_load_dword v124, off, s[0:3], 0 offset:72
	buffer_load_dword v125, off, s[0:3], 0 offset:76
	v_mov_b32_e32 v126, 0
	buffer_store_dword v126, off, s[0:3], 0 offset:72
	buffer_store_dword v126, off, s[0:3], 0 offset:76
	s_waitcnt vmcnt(2)
	ds_write_b64 v123, v[124:125]
.LBB124_355:
	s_or_b64 exec, exec, s[4:5]
	s_waitcnt lgkmcnt(0)
	; wave barrier
	buffer_load_dword v133, off, s[0:3], 0 offset:80
	buffer_load_dword v134, off, s[0:3], 0 offset:84
	;; [unrolled: 1-line block ×22, first 2 shown]
	v_mov_b32_e32 v124, 0
	ds_read_b128 v[125:128], v124 offset:576
	ds_read_b128 v[129:132], v124 offset:592
	v_cmp_lt_u32_e32 vcc, 8, v0
	s_waitcnt vmcnt(20) lgkmcnt(1)
	v_fma_f64 v[125:126], v[133:134], v[125:126], 0
	s_waitcnt vmcnt(18)
	v_fma_f64 v[125:126], v[135:136], v[127:128], v[125:126]
	buffer_load_dword v134, off, s[0:3], 0 offset:172
	buffer_load_dword v135, off, s[0:3], 0 offset:192
	buffer_load_dword v155, off, s[0:3], 0 offset:184
	buffer_load_dword v157, off, s[0:3], 0 offset:176
	buffer_load_dword v133, off, s[0:3], 0 offset:168
	buffer_load_dword v158, off, s[0:3], 0 offset:180
	buffer_load_dword v156, off, s[0:3], 0 offset:188
	s_waitcnt vmcnt(23) lgkmcnt(0)
	v_fma_f64 v[125:126], v[137:138], v[129:130], v[125:126]
	s_waitcnt vmcnt(21)
	v_fma_f64 v[136:137], v[139:140], v[131:132], v[125:126]
	ds_read_b128 v[125:128], v124 offset:608
	ds_read_b128 v[129:132], v124 offset:624
	s_waitcnt vmcnt(19) lgkmcnt(1)
	v_fma_f64 v[125:126], v[141:142], v[125:126], v[136:137]
	buffer_load_dword v136, off, s[0:3], 0 offset:196
	s_waitcnt vmcnt(18)
	v_fma_f64 v[125:126], v[143:144], v[127:128], v[125:126]
	buffer_load_dword v138, off, s[0:3], 0 offset:204
	buffer_load_dword v139, off, s[0:3], 0 offset:224
	buffer_load_dword v141, off, s[0:3], 0 offset:216
	buffer_load_dword v143, off, s[0:3], 0 offset:208
	buffer_load_dword v137, off, s[0:3], 0 offset:200
	buffer_load_dword v144, off, s[0:3], 0 offset:212
	buffer_load_dword v142, off, s[0:3], 0 offset:220
	buffer_load_dword v140, off, s[0:3], 0 offset:228
	s_waitcnt vmcnt(24) lgkmcnt(0)
	v_fma_f64 v[125:126], v[145:146], v[129:130], v[125:126]
	s_waitcnt vmcnt(19)
	v_fma_f64 v[145:146], v[147:148], v[131:132], v[125:126]
	ds_read_b128 v[125:128], v124 offset:640
	ds_read_b128 v[129:132], v124 offset:656
	s_waitcnt vmcnt(18) lgkmcnt(1)
	v_fma_f64 v[125:126], v[153:154], v[125:126], v[145:146]
	s_waitcnt vmcnt(17)
	v_fma_f64 v[125:126], v[151:152], v[127:128], v[125:126]
	buffer_load_dword v146, off, s[0:3], 0 offset:236
	buffer_load_dword v147, off, s[0:3], 0 offset:256
	;; [unrolled: 1-line block ×8, first 2 shown]
	s_waitcnt vmcnt(24) lgkmcnt(0)
	v_fma_f64 v[125:126], v[149:150], v[129:130], v[125:126]
	s_waitcnt vmcnt(19)
	v_fma_f64 v[133:134], v[133:134], v[131:132], v[125:126]
	ds_read_b128 v[125:128], v124 offset:672
	ds_read_b128 v[129:132], v124 offset:688
	s_waitcnt vmcnt(18) lgkmcnt(1)
	v_fma_f64 v[125:126], v[157:158], v[125:126], v[133:134]
	s_waitcnt vmcnt(17)
	v_fma_f64 v[125:126], v[155:156], v[127:128], v[125:126]
	buffer_load_dword v134, off, s[0:3], 0 offset:268
	buffer_load_dword v149, off, s[0:3], 0 offset:288
	;; [unrolled: 1-line block ×7, first 2 shown]
	s_waitcnt vmcnt(23) lgkmcnt(0)
	v_fma_f64 v[125:126], v[135:136], v[129:130], v[125:126]
	s_waitcnt vmcnt(18)
	v_fma_f64 v[135:136], v[137:138], v[131:132], v[125:126]
	ds_read_b128 v[125:128], v124 offset:704
	ds_read_b128 v[129:132], v124 offset:720
	buffer_load_dword v150, off, s[0:3], 0 offset:292
	s_waitcnt vmcnt(18) lgkmcnt(1)
	v_fma_f64 v[125:126], v[143:144], v[125:126], v[135:136]
	s_waitcnt vmcnt(17)
	v_fma_f64 v[125:126], v[141:142], v[127:128], v[125:126]
	buffer_load_dword v136, off, s[0:3], 0 offset:300
	buffer_load_dword v137, off, s[0:3], 0 offset:320
	;; [unrolled: 1-line block ×7, first 2 shown]
	s_waitcnt vmcnt(23) lgkmcnt(0)
	v_fma_f64 v[125:126], v[139:140], v[129:130], v[125:126]
	s_waitcnt vmcnt(18)
	v_fma_f64 v[138:139], v[145:146], v[131:132], v[125:126]
	ds_read_b128 v[125:128], v124 offset:736
	ds_read_b128 v[129:132], v124 offset:752
	s_waitcnt vmcnt(17) lgkmcnt(1)
	v_fma_f64 v[125:126], v[153:154], v[125:126], v[138:139]
	buffer_load_dword v138, off, s[0:3], 0 offset:324
	s_waitcnt vmcnt(17)
	v_fma_f64 v[125:126], v[151:152], v[127:128], v[125:126]
	buffer_load_dword v140, off, s[0:3], 0 offset:332
	buffer_load_dword v145, off, s[0:3], 0 offset:352
	;; [unrolled: 1-line block ×8, first 2 shown]
	s_waitcnt vmcnt(24) lgkmcnt(0)
	v_fma_f64 v[125:126], v[147:148], v[129:130], v[125:126]
	s_waitcnt vmcnt(19)
	v_fma_f64 v[133:134], v[133:134], v[131:132], v[125:126]
	ds_read_b128 v[125:128], v124 offset:768
	ds_read_b128 v[129:132], v124 offset:784
	s_waitcnt vmcnt(18) lgkmcnt(1)
	v_fma_f64 v[125:126], v[157:158], v[125:126], v[133:134]
	s_waitcnt vmcnt(17)
	v_fma_f64 v[125:126], v[155:156], v[127:128], v[125:126]
	buffer_load_dword v134, off, s[0:3], 0 offset:364
	buffer_load_dword v147, off, s[0:3], 0 offset:384
	;; [unrolled: 1-line block ×7, first 2 shown]
	s_waitcnt vmcnt(23) lgkmcnt(0)
	v_fma_f64 v[125:126], v[149:150], v[129:130], v[125:126]
	s_waitcnt vmcnt(18)
	v_fma_f64 v[135:136], v[135:136], v[131:132], v[125:126]
	ds_read_b128 v[125:128], v124 offset:800
	ds_read_b128 v[129:132], v124 offset:816
	buffer_load_dword v148, off, s[0:3], 0 offset:388
	s_waitcnt vmcnt(18) lgkmcnt(1)
	v_fma_f64 v[125:126], v[143:144], v[125:126], v[135:136]
	s_waitcnt vmcnt(17)
	v_fma_f64 v[125:126], v[141:142], v[127:128], v[125:126]
	buffer_load_dword v136, off, s[0:3], 0 offset:396
	buffer_load_dword v141, off, s[0:3], 0 offset:416
	buffer_load_dword v143, off, s[0:3], 0 offset:408
	buffer_load_dword v149, off, s[0:3], 0 offset:400
	buffer_load_dword v135, off, s[0:3], 0 offset:392
	buffer_load_dword v150, off, s[0:3], 0 offset:404
	buffer_load_dword v144, off, s[0:3], 0 offset:412
	buffer_load_dword v142, off, s[0:3], 0 offset:420
	s_waitcnt vmcnt(24) lgkmcnt(0)
	v_fma_f64 v[125:126], v[137:138], v[129:130], v[125:126]
	s_waitcnt vmcnt(19)
	v_fma_f64 v[137:138], v[139:140], v[131:132], v[125:126]
	ds_read_b128 v[125:128], v124 offset:832
	ds_read_b128 v[129:132], v124 offset:848
	s_waitcnt vmcnt(18) lgkmcnt(1)
	v_fma_f64 v[125:126], v[153:154], v[125:126], v[137:138]
	s_waitcnt vmcnt(17)
	v_fma_f64 v[125:126], v[151:152], v[127:128], v[125:126]
	buffer_load_dword v138, off, s[0:3], 0 offset:428
	buffer_load_dword v139, off, s[0:3], 0 offset:448
	buffer_load_dword v151, off, s[0:3], 0 offset:440
	buffer_load_dword v153, off, s[0:3], 0 offset:432
	buffer_load_dword v137, off, s[0:3], 0 offset:424
	buffer_load_dword v154, off, s[0:3], 0 offset:436
	buffer_load_dword v152, off, s[0:3], 0 offset:444
	buffer_load_dword v140, off, s[0:3], 0 offset:452
	s_waitcnt vmcnt(24) lgkmcnt(0)
	v_fma_f64 v[125:126], v[145:146], v[129:130], v[125:126]
	s_waitcnt vmcnt(19)
	v_fma_f64 v[133:134], v[133:134], v[131:132], v[125:126]
	ds_read_b128 v[125:128], v124 offset:864
	ds_read_b128 v[129:132], v124 offset:880
	;; [unrolled: 18-line block ×3, first 2 shown]
	s_waitcnt vmcnt(18) lgkmcnt(1)
	v_fma_f64 v[125:126], v[149:150], v[125:126], v[135:136]
	buffer_load_dword v135, off, s[0:3], 0 offset:72
	buffer_load_dword v136, off, s[0:3], 0 offset:76
	s_waitcnt vmcnt(19)
	v_fma_f64 v[125:126], v[143:144], v[127:128], v[125:126]
	s_waitcnt vmcnt(18) lgkmcnt(0)
	v_fma_f64 v[125:126], v[141:142], v[129:130], v[125:126]
	s_waitcnt vmcnt(13)
	v_fma_f64 v[137:138], v[137:138], v[131:132], v[125:126]
	ds_read_b128 v[125:128], v124 offset:928
	ds_read_b128 v[129:132], v124 offset:944
	s_waitcnt vmcnt(12) lgkmcnt(1)
	v_fma_f64 v[125:126], v[153:154], v[125:126], v[137:138]
	s_waitcnt vmcnt(11)
	v_fma_f64 v[125:126], v[151:152], v[127:128], v[125:126]
	s_waitcnt vmcnt(10) lgkmcnt(0)
	v_fma_f64 v[125:126], v[139:140], v[129:130], v[125:126]
	s_waitcnt vmcnt(5)
	v_fma_f64 v[129:130], v[133:134], v[131:132], v[125:126]
	ds_read_b128 v[125:128], v124 offset:960
	ds_read_b64 v[131:132], v124 offset:976
	s_waitcnt vmcnt(4) lgkmcnt(1)
	v_fma_f64 v[125:126], v[157:158], v[125:126], v[129:130]
	s_waitcnt vmcnt(3)
	v_fma_f64 v[125:126], v[155:156], v[127:128], v[125:126]
	s_waitcnt vmcnt(2) lgkmcnt(0)
	v_fma_f64 v[125:126], v[145:146], v[131:132], v[125:126]
	s_waitcnt vmcnt(0)
	v_add_f64 v[125:126], v[135:136], -v[125:126]
	buffer_store_dword v126, off, s[0:3], 0 offset:76
	buffer_store_dword v125, off, s[0:3], 0 offset:72
	s_and_saveexec_b64 s[4:5], vcc
	s_cbranch_execz .LBB124_357
; %bb.356:
	buffer_load_dword v125, off, s[0:3], 0 offset:64
	buffer_load_dword v126, off, s[0:3], 0 offset:68
	s_waitcnt vmcnt(0)
	ds_write_b64 v123, v[125:126]
	buffer_store_dword v124, off, s[0:3], 0 offset:64
	buffer_store_dword v124, off, s[0:3], 0 offset:68
.LBB124_357:
	s_or_b64 exec, exec, s[4:5]
	s_waitcnt lgkmcnt(0)
	; wave barrier
	buffer_load_dword v133, off, s[0:3], 0 offset:72
	buffer_load_dword v134, off, s[0:3], 0 offset:76
	;; [unrolled: 1-line block ×22, first 2 shown]
	ds_read2_b64 v[125:128], v124 offset0:71 offset1:72
	ds_read2_b64 v[129:132], v124 offset0:73 offset1:74
	v_cmp_lt_u32_e32 vcc, 7, v0
	s_waitcnt vmcnt(20) lgkmcnt(1)
	v_fma_f64 v[125:126], v[133:134], v[125:126], 0
	s_waitcnt vmcnt(18)
	v_fma_f64 v[125:126], v[135:136], v[127:128], v[125:126]
	buffer_load_dword v134, off, s[0:3], 0 offset:164
	buffer_load_dword v135, off, s[0:3], 0 offset:184
	;; [unrolled: 1-line block ×7, first 2 shown]
	s_waitcnt vmcnt(23) lgkmcnt(0)
	v_fma_f64 v[125:126], v[137:138], v[129:130], v[125:126]
	s_waitcnt vmcnt(21)
	v_fma_f64 v[136:137], v[139:140], v[131:132], v[125:126]
	ds_read2_b64 v[125:128], v124 offset0:75 offset1:76
	ds_read2_b64 v[129:132], v124 offset0:77 offset1:78
	s_waitcnt vmcnt(19) lgkmcnt(1)
	v_fma_f64 v[125:126], v[141:142], v[125:126], v[136:137]
	buffer_load_dword v136, off, s[0:3], 0 offset:188
	s_waitcnt vmcnt(18)
	v_fma_f64 v[125:126], v[143:144], v[127:128], v[125:126]
	buffer_load_dword v138, off, s[0:3], 0 offset:196
	buffer_load_dword v139, off, s[0:3], 0 offset:216
	;; [unrolled: 1-line block ×8, first 2 shown]
	s_waitcnt vmcnt(24) lgkmcnt(0)
	v_fma_f64 v[125:126], v[145:146], v[129:130], v[125:126]
	s_waitcnt vmcnt(19)
	v_fma_f64 v[145:146], v[147:148], v[131:132], v[125:126]
	ds_read2_b64 v[125:128], v124 offset0:79 offset1:80
	ds_read2_b64 v[129:132], v124 offset0:81 offset1:82
	s_waitcnt vmcnt(18) lgkmcnt(1)
	v_fma_f64 v[125:126], v[153:154], v[125:126], v[145:146]
	s_waitcnt vmcnt(17)
	v_fma_f64 v[125:126], v[151:152], v[127:128], v[125:126]
	buffer_load_dword v146, off, s[0:3], 0 offset:228
	buffer_load_dword v147, off, s[0:3], 0 offset:248
	;; [unrolled: 1-line block ×8, first 2 shown]
	s_waitcnt vmcnt(24) lgkmcnt(0)
	v_fma_f64 v[125:126], v[149:150], v[129:130], v[125:126]
	s_waitcnt vmcnt(19)
	v_fma_f64 v[133:134], v[133:134], v[131:132], v[125:126]
	ds_read2_b64 v[125:128], v124 offset0:83 offset1:84
	ds_read2_b64 v[129:132], v124 offset0:85 offset1:86
	s_waitcnt vmcnt(18) lgkmcnt(1)
	v_fma_f64 v[125:126], v[157:158], v[125:126], v[133:134]
	s_waitcnt vmcnt(17)
	v_fma_f64 v[125:126], v[155:156], v[127:128], v[125:126]
	buffer_load_dword v134, off, s[0:3], 0 offset:260
	buffer_load_dword v149, off, s[0:3], 0 offset:280
	;; [unrolled: 1-line block ×7, first 2 shown]
	s_waitcnt vmcnt(23) lgkmcnt(0)
	v_fma_f64 v[125:126], v[135:136], v[129:130], v[125:126]
	s_waitcnt vmcnt(18)
	v_fma_f64 v[135:136], v[137:138], v[131:132], v[125:126]
	ds_read2_b64 v[125:128], v124 offset0:87 offset1:88
	ds_read2_b64 v[129:132], v124 offset0:89 offset1:90
	buffer_load_dword v150, off, s[0:3], 0 offset:284
	s_waitcnt vmcnt(18) lgkmcnt(1)
	v_fma_f64 v[125:126], v[143:144], v[125:126], v[135:136]
	s_waitcnt vmcnt(17)
	v_fma_f64 v[125:126], v[141:142], v[127:128], v[125:126]
	buffer_load_dword v136, off, s[0:3], 0 offset:292
	buffer_load_dword v137, off, s[0:3], 0 offset:312
	buffer_load_dword v141, off, s[0:3], 0 offset:304
	buffer_load_dword v143, off, s[0:3], 0 offset:296
	buffer_load_dword v135, off, s[0:3], 0 offset:288
	buffer_load_dword v144, off, s[0:3], 0 offset:300
	buffer_load_dword v142, off, s[0:3], 0 offset:308
	s_waitcnt vmcnt(23) lgkmcnt(0)
	v_fma_f64 v[125:126], v[139:140], v[129:130], v[125:126]
	s_waitcnt vmcnt(18)
	v_fma_f64 v[138:139], v[145:146], v[131:132], v[125:126]
	ds_read2_b64 v[125:128], v124 offset0:91 offset1:92
	ds_read2_b64 v[129:132], v124 offset0:93 offset1:94
	s_waitcnt vmcnt(17) lgkmcnt(1)
	v_fma_f64 v[125:126], v[153:154], v[125:126], v[138:139]
	buffer_load_dword v138, off, s[0:3], 0 offset:316
	s_waitcnt vmcnt(17)
	v_fma_f64 v[125:126], v[151:152], v[127:128], v[125:126]
	buffer_load_dword v140, off, s[0:3], 0 offset:324
	buffer_load_dword v145, off, s[0:3], 0 offset:344
	;; [unrolled: 1-line block ×8, first 2 shown]
	s_waitcnt vmcnt(24) lgkmcnt(0)
	v_fma_f64 v[125:126], v[147:148], v[129:130], v[125:126]
	s_waitcnt vmcnt(19)
	v_fma_f64 v[133:134], v[133:134], v[131:132], v[125:126]
	ds_read2_b64 v[125:128], v124 offset0:95 offset1:96
	ds_read2_b64 v[129:132], v124 offset0:97 offset1:98
	s_waitcnt vmcnt(18) lgkmcnt(1)
	v_fma_f64 v[125:126], v[157:158], v[125:126], v[133:134]
	s_waitcnt vmcnt(17)
	v_fma_f64 v[125:126], v[155:156], v[127:128], v[125:126]
	buffer_load_dword v134, off, s[0:3], 0 offset:356
	buffer_load_dword v147, off, s[0:3], 0 offset:376
	;; [unrolled: 1-line block ×7, first 2 shown]
	s_waitcnt vmcnt(23) lgkmcnt(0)
	v_fma_f64 v[125:126], v[149:150], v[129:130], v[125:126]
	s_waitcnt vmcnt(18)
	v_fma_f64 v[135:136], v[135:136], v[131:132], v[125:126]
	ds_read2_b64 v[125:128], v124 offset0:99 offset1:100
	ds_read2_b64 v[129:132], v124 offset0:101 offset1:102
	buffer_load_dword v148, off, s[0:3], 0 offset:380
	s_waitcnt vmcnt(18) lgkmcnt(1)
	v_fma_f64 v[125:126], v[143:144], v[125:126], v[135:136]
	s_waitcnt vmcnt(17)
	v_fma_f64 v[125:126], v[141:142], v[127:128], v[125:126]
	buffer_load_dword v136, off, s[0:3], 0 offset:388
	buffer_load_dword v141, off, s[0:3], 0 offset:408
	buffer_load_dword v143, off, s[0:3], 0 offset:400
	buffer_load_dword v149, off, s[0:3], 0 offset:392
	buffer_load_dword v135, off, s[0:3], 0 offset:384
	buffer_load_dword v150, off, s[0:3], 0 offset:396
	buffer_load_dword v144, off, s[0:3], 0 offset:404
	buffer_load_dword v142, off, s[0:3], 0 offset:412
	s_waitcnt vmcnt(24) lgkmcnt(0)
	v_fma_f64 v[125:126], v[137:138], v[129:130], v[125:126]
	s_waitcnt vmcnt(19)
	v_fma_f64 v[137:138], v[139:140], v[131:132], v[125:126]
	ds_read2_b64 v[125:128], v124 offset0:103 offset1:104
	ds_read2_b64 v[129:132], v124 offset0:105 offset1:106
	s_waitcnt vmcnt(18) lgkmcnt(1)
	v_fma_f64 v[125:126], v[153:154], v[125:126], v[137:138]
	s_waitcnt vmcnt(17)
	v_fma_f64 v[125:126], v[151:152], v[127:128], v[125:126]
	buffer_load_dword v138, off, s[0:3], 0 offset:420
	buffer_load_dword v139, off, s[0:3], 0 offset:440
	buffer_load_dword v151, off, s[0:3], 0 offset:432
	buffer_load_dword v153, off, s[0:3], 0 offset:424
	buffer_load_dword v137, off, s[0:3], 0 offset:416
	buffer_load_dword v154, off, s[0:3], 0 offset:428
	buffer_load_dword v152, off, s[0:3], 0 offset:436
	buffer_load_dword v140, off, s[0:3], 0 offset:444
	s_waitcnt vmcnt(24) lgkmcnt(0)
	v_fma_f64 v[125:126], v[145:146], v[129:130], v[125:126]
	s_waitcnt vmcnt(19)
	v_fma_f64 v[133:134], v[133:134], v[131:132], v[125:126]
	ds_read2_b64 v[125:128], v124 offset0:107 offset1:108
	ds_read2_b64 v[129:132], v124 offset0:109 offset1:110
	;; [unrolled: 18-line block ×3, first 2 shown]
	s_waitcnt vmcnt(18) lgkmcnt(1)
	v_fma_f64 v[125:126], v[149:150], v[125:126], v[135:136]
	buffer_load_dword v136, off, s[0:3], 0 offset:484
	buffer_load_dword v135, off, s[0:3], 0 offset:480
	s_waitcnt vmcnt(19)
	v_fma_f64 v[125:126], v[143:144], v[127:128], v[125:126]
	buffer_load_dword v143, off, s[0:3], 0 offset:64
	buffer_load_dword v144, off, s[0:3], 0 offset:68
	s_waitcnt vmcnt(20) lgkmcnt(0)
	v_fma_f64 v[125:126], v[141:142], v[129:130], v[125:126]
	s_waitcnt vmcnt(15)
	v_fma_f64 v[137:138], v[137:138], v[131:132], v[125:126]
	ds_read2_b64 v[125:128], v124 offset0:115 offset1:116
	ds_read2_b64 v[129:132], v124 offset0:117 offset1:118
	s_waitcnt vmcnt(14) lgkmcnt(1)
	v_fma_f64 v[125:126], v[153:154], v[125:126], v[137:138]
	s_waitcnt vmcnt(13)
	v_fma_f64 v[125:126], v[151:152], v[127:128], v[125:126]
	s_waitcnt vmcnt(12) lgkmcnt(0)
	v_fma_f64 v[125:126], v[139:140], v[129:130], v[125:126]
	s_waitcnt vmcnt(7)
	v_fma_f64 v[133:134], v[133:134], v[131:132], v[125:126]
	ds_read2_b64 v[125:128], v124 offset0:119 offset1:120
	ds_read2_b64 v[129:132], v124 offset0:121 offset1:122
	s_waitcnt vmcnt(6) lgkmcnt(1)
	v_fma_f64 v[124:125], v[157:158], v[125:126], v[133:134]
	s_waitcnt vmcnt(5)
	v_fma_f64 v[124:125], v[155:156], v[127:128], v[124:125]
	s_waitcnt vmcnt(4) lgkmcnt(0)
	v_fma_f64 v[124:125], v[145:146], v[129:130], v[124:125]
	s_waitcnt vmcnt(2)
	v_fma_f64 v[124:125], v[135:136], v[131:132], v[124:125]
	s_waitcnt vmcnt(0)
	v_add_f64 v[124:125], v[143:144], -v[124:125]
	buffer_store_dword v125, off, s[0:3], 0 offset:68
	buffer_store_dword v124, off, s[0:3], 0 offset:64
	s_and_saveexec_b64 s[4:5], vcc
	s_cbranch_execz .LBB124_359
; %bb.358:
	buffer_load_dword v124, off, s[0:3], 0 offset:56
	buffer_load_dword v125, off, s[0:3], 0 offset:60
	v_mov_b32_e32 v126, 0
	buffer_store_dword v126, off, s[0:3], 0 offset:56
	buffer_store_dword v126, off, s[0:3], 0 offset:60
	s_waitcnt vmcnt(2)
	ds_write_b64 v123, v[124:125]
.LBB124_359:
	s_or_b64 exec, exec, s[4:5]
	s_waitcnt lgkmcnt(0)
	; wave barrier
	buffer_load_dword v133, off, s[0:3], 0 offset:64
	buffer_load_dword v134, off, s[0:3], 0 offset:68
	;; [unrolled: 1-line block ×22, first 2 shown]
	v_mov_b32_e32 v124, 0
	ds_read_b128 v[125:128], v124 offset:560
	ds_read_b128 v[129:132], v124 offset:576
	v_cmp_lt_u32_e32 vcc, 6, v0
	s_waitcnt vmcnt(20) lgkmcnt(1)
	v_fma_f64 v[125:126], v[133:134], v[125:126], 0
	s_waitcnt vmcnt(18)
	v_fma_f64 v[125:126], v[135:136], v[127:128], v[125:126]
	buffer_load_dword v134, off, s[0:3], 0 offset:156
	buffer_load_dword v135, off, s[0:3], 0 offset:176
	;; [unrolled: 1-line block ×7, first 2 shown]
	s_waitcnt vmcnt(23) lgkmcnt(0)
	v_fma_f64 v[125:126], v[137:138], v[129:130], v[125:126]
	s_waitcnt vmcnt(21)
	v_fma_f64 v[136:137], v[139:140], v[131:132], v[125:126]
	ds_read_b128 v[125:128], v124 offset:592
	ds_read_b128 v[129:132], v124 offset:608
	s_waitcnt vmcnt(19) lgkmcnt(1)
	v_fma_f64 v[125:126], v[141:142], v[125:126], v[136:137]
	buffer_load_dword v136, off, s[0:3], 0 offset:180
	s_waitcnt vmcnt(18)
	v_fma_f64 v[125:126], v[143:144], v[127:128], v[125:126]
	buffer_load_dword v138, off, s[0:3], 0 offset:188
	buffer_load_dword v139, off, s[0:3], 0 offset:208
	;; [unrolled: 1-line block ×7, first 2 shown]
	s_waitcnt vmcnt(23) lgkmcnt(0)
	v_fma_f64 v[125:126], v[145:146], v[129:130], v[125:126]
	s_waitcnt vmcnt(18)
	v_fma_f64 v[145:146], v[147:148], v[131:132], v[125:126]
	ds_read_b128 v[125:128], v124 offset:624
	ds_read_b128 v[129:132], v124 offset:640
	buffer_load_dword v140, off, s[0:3], 0 offset:212
	s_waitcnt vmcnt(18) lgkmcnt(1)
	v_fma_f64 v[125:126], v[153:154], v[125:126], v[145:146]
	s_waitcnt vmcnt(17)
	v_fma_f64 v[125:126], v[151:152], v[127:128], v[125:126]
	buffer_load_dword v146, off, s[0:3], 0 offset:220
	buffer_load_dword v147, off, s[0:3], 0 offset:240
	;; [unrolled: 1-line block ×8, first 2 shown]
	s_waitcnt vmcnt(24) lgkmcnt(0)
	v_fma_f64 v[125:126], v[149:150], v[129:130], v[125:126]
	s_waitcnt vmcnt(19)
	v_fma_f64 v[133:134], v[133:134], v[131:132], v[125:126]
	ds_read_b128 v[125:128], v124 offset:656
	ds_read_b128 v[129:132], v124 offset:672
	s_waitcnt vmcnt(18) lgkmcnt(1)
	v_fma_f64 v[125:126], v[157:158], v[125:126], v[133:134]
	s_waitcnt vmcnt(17)
	v_fma_f64 v[125:126], v[155:156], v[127:128], v[125:126]
	buffer_load_dword v134, off, s[0:3], 0 offset:252
	buffer_load_dword v149, off, s[0:3], 0 offset:272
	;; [unrolled: 1-line block ×7, first 2 shown]
	s_waitcnt vmcnt(23) lgkmcnt(0)
	v_fma_f64 v[125:126], v[135:136], v[129:130], v[125:126]
	s_waitcnt vmcnt(18)
	v_fma_f64 v[135:136], v[137:138], v[131:132], v[125:126]
	ds_read_b128 v[125:128], v124 offset:688
	ds_read_b128 v[129:132], v124 offset:704
	buffer_load_dword v150, off, s[0:3], 0 offset:276
	s_waitcnt vmcnt(18) lgkmcnt(1)
	v_fma_f64 v[125:126], v[143:144], v[125:126], v[135:136]
	s_waitcnt vmcnt(17)
	v_fma_f64 v[125:126], v[141:142], v[127:128], v[125:126]
	buffer_load_dword v136, off, s[0:3], 0 offset:284
	buffer_load_dword v137, off, s[0:3], 0 offset:304
	;; [unrolled: 1-line block ×7, first 2 shown]
	s_waitcnt vmcnt(23) lgkmcnt(0)
	v_fma_f64 v[125:126], v[139:140], v[129:130], v[125:126]
	s_waitcnt vmcnt(18)
	v_fma_f64 v[138:139], v[145:146], v[131:132], v[125:126]
	ds_read_b128 v[125:128], v124 offset:720
	ds_read_b128 v[129:132], v124 offset:736
	s_waitcnt vmcnt(17) lgkmcnt(1)
	v_fma_f64 v[125:126], v[153:154], v[125:126], v[138:139]
	buffer_load_dword v138, off, s[0:3], 0 offset:308
	s_waitcnt vmcnt(17)
	v_fma_f64 v[125:126], v[151:152], v[127:128], v[125:126]
	buffer_load_dword v140, off, s[0:3], 0 offset:316
	buffer_load_dword v145, off, s[0:3], 0 offset:336
	buffer_load_dword v151, off, s[0:3], 0 offset:328
	buffer_load_dword v153, off, s[0:3], 0 offset:320
	buffer_load_dword v139, off, s[0:3], 0 offset:312
	buffer_load_dword v154, off, s[0:3], 0 offset:324
	buffer_load_dword v152, off, s[0:3], 0 offset:332
	buffer_load_dword v146, off, s[0:3], 0 offset:340
	s_waitcnt vmcnt(24) lgkmcnt(0)
	v_fma_f64 v[125:126], v[147:148], v[129:130], v[125:126]
	s_waitcnt vmcnt(19)
	v_fma_f64 v[133:134], v[133:134], v[131:132], v[125:126]
	ds_read_b128 v[125:128], v124 offset:752
	ds_read_b128 v[129:132], v124 offset:768
	s_waitcnt vmcnt(18) lgkmcnt(1)
	v_fma_f64 v[125:126], v[157:158], v[125:126], v[133:134]
	s_waitcnt vmcnt(17)
	v_fma_f64 v[125:126], v[155:156], v[127:128], v[125:126]
	buffer_load_dword v134, off, s[0:3], 0 offset:348
	buffer_load_dword v147, off, s[0:3], 0 offset:368
	;; [unrolled: 1-line block ×7, first 2 shown]
	s_waitcnt vmcnt(23) lgkmcnt(0)
	v_fma_f64 v[125:126], v[149:150], v[129:130], v[125:126]
	s_waitcnt vmcnt(18)
	v_fma_f64 v[135:136], v[135:136], v[131:132], v[125:126]
	ds_read_b128 v[125:128], v124 offset:784
	ds_read_b128 v[129:132], v124 offset:800
	buffer_load_dword v148, off, s[0:3], 0 offset:372
	s_waitcnt vmcnt(18) lgkmcnt(1)
	v_fma_f64 v[125:126], v[143:144], v[125:126], v[135:136]
	s_waitcnt vmcnt(17)
	v_fma_f64 v[125:126], v[141:142], v[127:128], v[125:126]
	buffer_load_dword v136, off, s[0:3], 0 offset:380
	buffer_load_dword v141, off, s[0:3], 0 offset:400
	buffer_load_dword v143, off, s[0:3], 0 offset:392
	buffer_load_dword v149, off, s[0:3], 0 offset:384
	buffer_load_dword v135, off, s[0:3], 0 offset:376
	buffer_load_dword v150, off, s[0:3], 0 offset:388
	buffer_load_dword v144, off, s[0:3], 0 offset:396
	s_waitcnt vmcnt(23) lgkmcnt(0)
	v_fma_f64 v[125:126], v[137:138], v[129:130], v[125:126]
	s_waitcnt vmcnt(18)
	v_fma_f64 v[137:138], v[139:140], v[131:132], v[125:126]
	ds_read_b128 v[125:128], v124 offset:816
	ds_read_b128 v[129:132], v124 offset:832
	buffer_load_dword v142, off, s[0:3], 0 offset:404
	s_waitcnt vmcnt(18) lgkmcnt(1)
	v_fma_f64 v[125:126], v[153:154], v[125:126], v[137:138]
	s_waitcnt vmcnt(17)
	v_fma_f64 v[125:126], v[151:152], v[127:128], v[125:126]
	buffer_load_dword v138, off, s[0:3], 0 offset:412
	buffer_load_dword v139, off, s[0:3], 0 offset:432
	;; [unrolled: 1-line block ×8, first 2 shown]
	s_waitcnt vmcnt(24) lgkmcnt(0)
	v_fma_f64 v[125:126], v[145:146], v[129:130], v[125:126]
	s_waitcnt vmcnt(19)
	v_fma_f64 v[133:134], v[133:134], v[131:132], v[125:126]
	ds_read_b128 v[125:128], v124 offset:848
	ds_read_b128 v[129:132], v124 offset:864
	s_waitcnt vmcnt(18) lgkmcnt(1)
	v_fma_f64 v[125:126], v[157:158], v[125:126], v[133:134]
	s_waitcnt vmcnt(17)
	v_fma_f64 v[125:126], v[155:156], v[127:128], v[125:126]
	buffer_load_dword v134, off, s[0:3], 0 offset:444
	buffer_load_dword v145, off, s[0:3], 0 offset:464
	;; [unrolled: 1-line block ×7, first 2 shown]
	s_waitcnt vmcnt(23) lgkmcnt(0)
	v_fma_f64 v[125:126], v[147:148], v[129:130], v[125:126]
	s_waitcnt vmcnt(18)
	v_fma_f64 v[135:136], v[135:136], v[131:132], v[125:126]
	ds_read_b128 v[125:128], v124 offset:880
	ds_read_b128 v[129:132], v124 offset:896
	buffer_load_dword v146, off, s[0:3], 0 offset:468
	s_waitcnt vmcnt(18) lgkmcnt(1)
	v_fma_f64 v[125:126], v[149:150], v[125:126], v[135:136]
	s_waitcnt vmcnt(17)
	v_fma_f64 v[125:126], v[143:144], v[127:128], v[125:126]
	buffer_load_dword v136, off, s[0:3], 0 offset:476
	buffer_load_dword v143, off, s[0:3], 0 offset:480
	;; [unrolled: 1-line block ×4, first 2 shown]
	s_waitcnt vmcnt(20) lgkmcnt(0)
	v_fma_f64 v[125:126], v[141:142], v[129:130], v[125:126]
	buffer_load_dword v141, off, s[0:3], 0 offset:56
	buffer_load_dword v142, off, s[0:3], 0 offset:60
	s_waitcnt vmcnt(17)
	v_fma_f64 v[137:138], v[137:138], v[131:132], v[125:126]
	ds_read_b128 v[125:128], v124 offset:912
	ds_read_b128 v[129:132], v124 offset:928
	s_waitcnt vmcnt(16) lgkmcnt(1)
	v_fma_f64 v[125:126], v[153:154], v[125:126], v[137:138]
	s_waitcnt vmcnt(15)
	v_fma_f64 v[125:126], v[151:152], v[127:128], v[125:126]
	s_waitcnt vmcnt(14) lgkmcnt(0)
	v_fma_f64 v[125:126], v[139:140], v[129:130], v[125:126]
	s_waitcnt vmcnt(9)
	v_fma_f64 v[133:134], v[133:134], v[131:132], v[125:126]
	ds_read_b128 v[125:128], v124 offset:944
	ds_read_b128 v[129:132], v124 offset:960
	s_waitcnt vmcnt(8) lgkmcnt(1)
	v_fma_f64 v[125:126], v[157:158], v[125:126], v[133:134]
	s_waitcnt vmcnt(7)
	v_fma_f64 v[125:126], v[155:156], v[127:128], v[125:126]
	ds_read_b64 v[127:128], v124 offset:976
	s_waitcnt vmcnt(6) lgkmcnt(1)
	v_fma_f64 v[125:126], v[145:146], v[129:130], v[125:126]
	s_waitcnt vmcnt(3)
	v_fma_f64 v[125:126], v[135:136], v[131:132], v[125:126]
	s_waitcnt vmcnt(2) lgkmcnt(0)
	v_fma_f64 v[125:126], v[143:144], v[127:128], v[125:126]
	s_waitcnt vmcnt(0)
	v_add_f64 v[125:126], v[141:142], -v[125:126]
	buffer_store_dword v126, off, s[0:3], 0 offset:60
	buffer_store_dword v125, off, s[0:3], 0 offset:56
	s_and_saveexec_b64 s[4:5], vcc
	s_cbranch_execz .LBB124_361
; %bb.360:
	buffer_load_dword v125, off, s[0:3], 0 offset:48
	buffer_load_dword v126, off, s[0:3], 0 offset:52
	s_waitcnt vmcnt(0)
	ds_write_b64 v123, v[125:126]
	buffer_store_dword v124, off, s[0:3], 0 offset:48
	buffer_store_dword v124, off, s[0:3], 0 offset:52
.LBB124_361:
	s_or_b64 exec, exec, s[4:5]
	s_waitcnt lgkmcnt(0)
	; wave barrier
	buffer_load_dword v133, off, s[0:3], 0 offset:56
	buffer_load_dword v134, off, s[0:3], 0 offset:60
	;; [unrolled: 1-line block ×22, first 2 shown]
	ds_read2_b64 v[125:128], v124 offset0:69 offset1:70
	ds_read2_b64 v[129:132], v124 offset0:71 offset1:72
	v_cmp_lt_u32_e32 vcc, 5, v0
	s_waitcnt vmcnt(20) lgkmcnt(1)
	v_fma_f64 v[125:126], v[133:134], v[125:126], 0
	s_waitcnt vmcnt(18)
	v_fma_f64 v[125:126], v[135:136], v[127:128], v[125:126]
	buffer_load_dword v134, off, s[0:3], 0 offset:148
	buffer_load_dword v135, off, s[0:3], 0 offset:168
	;; [unrolled: 1-line block ×7, first 2 shown]
	s_waitcnt vmcnt(23) lgkmcnt(0)
	v_fma_f64 v[125:126], v[137:138], v[129:130], v[125:126]
	s_waitcnt vmcnt(21)
	v_fma_f64 v[136:137], v[139:140], v[131:132], v[125:126]
	ds_read2_b64 v[125:128], v124 offset0:73 offset1:74
	ds_read2_b64 v[129:132], v124 offset0:75 offset1:76
	s_waitcnt vmcnt(19) lgkmcnt(1)
	v_fma_f64 v[125:126], v[141:142], v[125:126], v[136:137]
	buffer_load_dword v136, off, s[0:3], 0 offset:172
	s_waitcnt vmcnt(18)
	v_fma_f64 v[125:126], v[143:144], v[127:128], v[125:126]
	buffer_load_dword v138, off, s[0:3], 0 offset:180
	buffer_load_dword v139, off, s[0:3], 0 offset:200
	;; [unrolled: 1-line block ×7, first 2 shown]
	s_waitcnt vmcnt(23) lgkmcnt(0)
	v_fma_f64 v[125:126], v[145:146], v[129:130], v[125:126]
	s_waitcnt vmcnt(18)
	v_fma_f64 v[145:146], v[147:148], v[131:132], v[125:126]
	ds_read2_b64 v[125:128], v124 offset0:77 offset1:78
	ds_read2_b64 v[129:132], v124 offset0:79 offset1:80
	buffer_load_dword v140, off, s[0:3], 0 offset:204
	s_waitcnt vmcnt(18) lgkmcnt(1)
	v_fma_f64 v[125:126], v[153:154], v[125:126], v[145:146]
	s_waitcnt vmcnt(17)
	v_fma_f64 v[125:126], v[151:152], v[127:128], v[125:126]
	buffer_load_dword v146, off, s[0:3], 0 offset:212
	buffer_load_dword v147, off, s[0:3], 0 offset:232
	;; [unrolled: 1-line block ×8, first 2 shown]
	s_waitcnt vmcnt(24) lgkmcnt(0)
	v_fma_f64 v[125:126], v[149:150], v[129:130], v[125:126]
	s_waitcnt vmcnt(19)
	v_fma_f64 v[133:134], v[133:134], v[131:132], v[125:126]
	ds_read2_b64 v[125:128], v124 offset0:81 offset1:82
	ds_read2_b64 v[129:132], v124 offset0:83 offset1:84
	s_waitcnt vmcnt(18) lgkmcnt(1)
	v_fma_f64 v[125:126], v[157:158], v[125:126], v[133:134]
	s_waitcnt vmcnt(17)
	v_fma_f64 v[125:126], v[155:156], v[127:128], v[125:126]
	buffer_load_dword v134, off, s[0:3], 0 offset:244
	buffer_load_dword v149, off, s[0:3], 0 offset:264
	;; [unrolled: 1-line block ×8, first 2 shown]
	s_waitcnt vmcnt(24) lgkmcnt(0)
	v_fma_f64 v[125:126], v[135:136], v[129:130], v[125:126]
	s_waitcnt vmcnt(19)
	v_fma_f64 v[135:136], v[137:138], v[131:132], v[125:126]
	ds_read2_b64 v[125:128], v124 offset0:85 offset1:86
	ds_read2_b64 v[129:132], v124 offset0:87 offset1:88
	s_waitcnt vmcnt(18) lgkmcnt(1)
	v_fma_f64 v[125:126], v[143:144], v[125:126], v[135:136]
	s_waitcnt vmcnt(17)
	v_fma_f64 v[125:126], v[141:142], v[127:128], v[125:126]
	buffer_load_dword v136, off, s[0:3], 0 offset:276
	buffer_load_dword v137, off, s[0:3], 0 offset:296
	;; [unrolled: 1-line block ×7, first 2 shown]
	s_waitcnt vmcnt(23) lgkmcnt(0)
	v_fma_f64 v[125:126], v[139:140], v[129:130], v[125:126]
	s_waitcnt vmcnt(18)
	v_fma_f64 v[138:139], v[145:146], v[131:132], v[125:126]
	ds_read2_b64 v[125:128], v124 offset0:89 offset1:90
	ds_read2_b64 v[129:132], v124 offset0:91 offset1:92
	s_waitcnt vmcnt(17) lgkmcnt(1)
	v_fma_f64 v[125:126], v[153:154], v[125:126], v[138:139]
	buffer_load_dword v138, off, s[0:3], 0 offset:300
	s_waitcnt vmcnt(17)
	v_fma_f64 v[125:126], v[151:152], v[127:128], v[125:126]
	buffer_load_dword v140, off, s[0:3], 0 offset:308
	buffer_load_dword v145, off, s[0:3], 0 offset:328
	;; [unrolled: 1-line block ×8, first 2 shown]
	s_waitcnt vmcnt(24) lgkmcnt(0)
	v_fma_f64 v[125:126], v[147:148], v[129:130], v[125:126]
	s_waitcnt vmcnt(19)
	v_fma_f64 v[133:134], v[133:134], v[131:132], v[125:126]
	ds_read2_b64 v[125:128], v124 offset0:93 offset1:94
	ds_read2_b64 v[129:132], v124 offset0:95 offset1:96
	s_waitcnt vmcnt(18) lgkmcnt(1)
	v_fma_f64 v[125:126], v[157:158], v[125:126], v[133:134]
	s_waitcnt vmcnt(17)
	v_fma_f64 v[125:126], v[155:156], v[127:128], v[125:126]
	buffer_load_dword v134, off, s[0:3], 0 offset:340
	buffer_load_dword v147, off, s[0:3], 0 offset:360
	;; [unrolled: 1-line block ×8, first 2 shown]
	s_waitcnt vmcnt(24) lgkmcnt(0)
	v_fma_f64 v[125:126], v[149:150], v[129:130], v[125:126]
	s_waitcnt vmcnt(19)
	v_fma_f64 v[135:136], v[135:136], v[131:132], v[125:126]
	ds_read2_b64 v[125:128], v124 offset0:97 offset1:98
	ds_read2_b64 v[129:132], v124 offset0:99 offset1:100
	s_waitcnt vmcnt(18) lgkmcnt(1)
	v_fma_f64 v[125:126], v[143:144], v[125:126], v[135:136]
	s_waitcnt vmcnt(17)
	v_fma_f64 v[125:126], v[141:142], v[127:128], v[125:126]
	buffer_load_dword v136, off, s[0:3], 0 offset:372
	buffer_load_dword v141, off, s[0:3], 0 offset:392
	;; [unrolled: 1-line block ×7, first 2 shown]
	s_waitcnt vmcnt(23) lgkmcnt(0)
	v_fma_f64 v[125:126], v[137:138], v[129:130], v[125:126]
	s_waitcnt vmcnt(18)
	v_fma_f64 v[137:138], v[139:140], v[131:132], v[125:126]
	ds_read2_b64 v[125:128], v124 offset0:101 offset1:102
	ds_read2_b64 v[129:132], v124 offset0:103 offset1:104
	buffer_load_dword v142, off, s[0:3], 0 offset:396
	s_waitcnt vmcnt(18) lgkmcnt(1)
	v_fma_f64 v[125:126], v[153:154], v[125:126], v[137:138]
	s_waitcnt vmcnt(17)
	v_fma_f64 v[125:126], v[151:152], v[127:128], v[125:126]
	buffer_load_dword v138, off, s[0:3], 0 offset:404
	buffer_load_dword v139, off, s[0:3], 0 offset:424
	;; [unrolled: 1-line block ×8, first 2 shown]
	s_waitcnt vmcnt(24) lgkmcnt(0)
	v_fma_f64 v[125:126], v[145:146], v[129:130], v[125:126]
	s_waitcnt vmcnt(19)
	v_fma_f64 v[133:134], v[133:134], v[131:132], v[125:126]
	ds_read2_b64 v[125:128], v124 offset0:105 offset1:106
	ds_read2_b64 v[129:132], v124 offset0:107 offset1:108
	s_waitcnt vmcnt(18) lgkmcnt(1)
	v_fma_f64 v[125:126], v[157:158], v[125:126], v[133:134]
	s_waitcnt vmcnt(17)
	v_fma_f64 v[125:126], v[155:156], v[127:128], v[125:126]
	buffer_load_dword v134, off, s[0:3], 0 offset:436
	buffer_load_dword v145, off, s[0:3], 0 offset:456
	;; [unrolled: 1-line block ×8, first 2 shown]
	s_waitcnt vmcnt(24) lgkmcnt(0)
	v_fma_f64 v[125:126], v[147:148], v[129:130], v[125:126]
	s_waitcnt vmcnt(19)
	v_fma_f64 v[135:136], v[135:136], v[131:132], v[125:126]
	ds_read2_b64 v[125:128], v124 offset0:109 offset1:110
	ds_read2_b64 v[129:132], v124 offset0:111 offset1:112
	s_waitcnt vmcnt(18) lgkmcnt(1)
	v_fma_f64 v[125:126], v[149:150], v[125:126], v[135:136]
	s_waitcnt vmcnt(17)
	v_fma_f64 v[125:126], v[143:144], v[127:128], v[125:126]
	buffer_load_dword v136, off, s[0:3], 0 offset:468
	buffer_load_dword v143, off, s[0:3], 0 offset:480
	;; [unrolled: 1-line block ×6, first 2 shown]
	s_waitcnt vmcnt(22) lgkmcnt(0)
	v_fma_f64 v[125:126], v[141:142], v[129:130], v[125:126]
	s_waitcnt vmcnt(17)
	v_fma_f64 v[137:138], v[137:138], v[131:132], v[125:126]
	ds_read2_b64 v[125:128], v124 offset0:113 offset1:114
	buffer_load_dword v141, off, s[0:3], 0 offset:48
	buffer_load_dword v142, off, s[0:3], 0 offset:52
	ds_read2_b64 v[129:132], v124 offset0:115 offset1:116
	s_waitcnt vmcnt(18) lgkmcnt(1)
	v_fma_f64 v[125:126], v[153:154], v[125:126], v[137:138]
	s_waitcnt vmcnt(17)
	v_fma_f64 v[125:126], v[151:152], v[127:128], v[125:126]
	s_waitcnt vmcnt(16) lgkmcnt(0)
	v_fma_f64 v[125:126], v[139:140], v[129:130], v[125:126]
	s_waitcnt vmcnt(11)
	v_fma_f64 v[133:134], v[133:134], v[131:132], v[125:126]
	ds_read2_b64 v[125:128], v124 offset0:117 offset1:118
	ds_read2_b64 v[129:132], v124 offset0:119 offset1:120
	s_waitcnt vmcnt(10) lgkmcnt(1)
	v_fma_f64 v[125:126], v[157:158], v[125:126], v[133:134]
	s_waitcnt vmcnt(9)
	v_fma_f64 v[125:126], v[155:156], v[127:128], v[125:126]
	s_waitcnt vmcnt(8) lgkmcnt(0)
	v_fma_f64 v[125:126], v[145:146], v[129:130], v[125:126]
	s_waitcnt vmcnt(4)
	v_fma_f64 v[128:129], v[135:136], v[131:132], v[125:126]
	ds_read2_b64 v[124:127], v124 offset0:121 offset1:122
	s_waitcnt vmcnt(3) lgkmcnt(0)
	v_fma_f64 v[124:125], v[147:148], v[124:125], v[128:129]
	s_waitcnt vmcnt(2)
	v_fma_f64 v[124:125], v[143:144], v[126:127], v[124:125]
	s_waitcnt vmcnt(0)
	v_add_f64 v[124:125], v[141:142], -v[124:125]
	buffer_store_dword v125, off, s[0:3], 0 offset:52
	buffer_store_dword v124, off, s[0:3], 0 offset:48
	s_and_saveexec_b64 s[4:5], vcc
	s_cbranch_execz .LBB124_363
; %bb.362:
	buffer_load_dword v124, off, s[0:3], 0 offset:40
	buffer_load_dword v125, off, s[0:3], 0 offset:44
	v_mov_b32_e32 v126, 0
	buffer_store_dword v126, off, s[0:3], 0 offset:40
	buffer_store_dword v126, off, s[0:3], 0 offset:44
	s_waitcnt vmcnt(2)
	ds_write_b64 v123, v[124:125]
.LBB124_363:
	s_or_b64 exec, exec, s[4:5]
	s_waitcnt lgkmcnt(0)
	; wave barrier
	buffer_load_dword v133, off, s[0:3], 0 offset:48
	buffer_load_dword v134, off, s[0:3], 0 offset:52
	;; [unrolled: 1-line block ×22, first 2 shown]
	v_mov_b32_e32 v124, 0
	ds_read_b128 v[125:128], v124 offset:544
	ds_read_b128 v[129:132], v124 offset:560
	v_cmp_lt_u32_e32 vcc, 4, v0
	s_waitcnt vmcnt(20) lgkmcnt(1)
	v_fma_f64 v[125:126], v[133:134], v[125:126], 0
	s_waitcnt vmcnt(18)
	v_fma_f64 v[125:126], v[135:136], v[127:128], v[125:126]
	buffer_load_dword v134, off, s[0:3], 0 offset:140
	buffer_load_dword v135, off, s[0:3], 0 offset:160
	;; [unrolled: 1-line block ×7, first 2 shown]
	s_waitcnt vmcnt(23) lgkmcnt(0)
	v_fma_f64 v[125:126], v[137:138], v[129:130], v[125:126]
	s_waitcnt vmcnt(21)
	v_fma_f64 v[136:137], v[139:140], v[131:132], v[125:126]
	ds_read_b128 v[125:128], v124 offset:576
	ds_read_b128 v[129:132], v124 offset:592
	s_waitcnt vmcnt(19) lgkmcnt(1)
	v_fma_f64 v[125:126], v[141:142], v[125:126], v[136:137]
	buffer_load_dword v136, off, s[0:3], 0 offset:164
	s_waitcnt vmcnt(18)
	v_fma_f64 v[125:126], v[143:144], v[127:128], v[125:126]
	buffer_load_dword v138, off, s[0:3], 0 offset:172
	buffer_load_dword v139, off, s[0:3], 0 offset:192
	;; [unrolled: 1-line block ×7, first 2 shown]
	s_waitcnt vmcnt(23) lgkmcnt(0)
	v_fma_f64 v[125:126], v[145:146], v[129:130], v[125:126]
	s_waitcnt vmcnt(18)
	v_fma_f64 v[145:146], v[147:148], v[131:132], v[125:126]
	ds_read_b128 v[125:128], v124 offset:608
	ds_read_b128 v[129:132], v124 offset:624
	buffer_load_dword v140, off, s[0:3], 0 offset:196
	s_waitcnt vmcnt(18) lgkmcnt(1)
	v_fma_f64 v[125:126], v[153:154], v[125:126], v[145:146]
	s_waitcnt vmcnt(17)
	v_fma_f64 v[125:126], v[151:152], v[127:128], v[125:126]
	buffer_load_dword v146, off, s[0:3], 0 offset:204
	buffer_load_dword v147, off, s[0:3], 0 offset:224
	buffer_load_dword v151, off, s[0:3], 0 offset:216
	buffer_load_dword v153, off, s[0:3], 0 offset:208
	buffer_load_dword v145, off, s[0:3], 0 offset:200
	buffer_load_dword v154, off, s[0:3], 0 offset:212
	buffer_load_dword v152, off, s[0:3], 0 offset:220
	buffer_load_dword v148, off, s[0:3], 0 offset:228
	s_waitcnt vmcnt(24) lgkmcnt(0)
	v_fma_f64 v[125:126], v[149:150], v[129:130], v[125:126]
	s_waitcnt vmcnt(19)
	v_fma_f64 v[133:134], v[133:134], v[131:132], v[125:126]
	ds_read_b128 v[125:128], v124 offset:640
	ds_read_b128 v[129:132], v124 offset:656
	s_waitcnt vmcnt(18) lgkmcnt(1)
	v_fma_f64 v[125:126], v[157:158], v[125:126], v[133:134]
	s_waitcnt vmcnt(17)
	v_fma_f64 v[125:126], v[155:156], v[127:128], v[125:126]
	buffer_load_dword v134, off, s[0:3], 0 offset:236
	buffer_load_dword v149, off, s[0:3], 0 offset:256
	;; [unrolled: 1-line block ×8, first 2 shown]
	s_waitcnt vmcnt(24) lgkmcnt(0)
	v_fma_f64 v[125:126], v[135:136], v[129:130], v[125:126]
	s_waitcnt vmcnt(19)
	v_fma_f64 v[135:136], v[137:138], v[131:132], v[125:126]
	ds_read_b128 v[125:128], v124 offset:672
	ds_read_b128 v[129:132], v124 offset:688
	s_waitcnt vmcnt(18) lgkmcnt(1)
	v_fma_f64 v[125:126], v[143:144], v[125:126], v[135:136]
	s_waitcnt vmcnt(17)
	v_fma_f64 v[125:126], v[141:142], v[127:128], v[125:126]
	buffer_load_dword v136, off, s[0:3], 0 offset:268
	buffer_load_dword v137, off, s[0:3], 0 offset:288
	;; [unrolled: 1-line block ×7, first 2 shown]
	s_waitcnt vmcnt(23) lgkmcnt(0)
	v_fma_f64 v[125:126], v[139:140], v[129:130], v[125:126]
	s_waitcnt vmcnt(18)
	v_fma_f64 v[138:139], v[145:146], v[131:132], v[125:126]
	ds_read_b128 v[125:128], v124 offset:704
	ds_read_b128 v[129:132], v124 offset:720
	s_waitcnt vmcnt(17) lgkmcnt(1)
	v_fma_f64 v[125:126], v[153:154], v[125:126], v[138:139]
	buffer_load_dword v138, off, s[0:3], 0 offset:292
	s_waitcnt vmcnt(17)
	v_fma_f64 v[125:126], v[151:152], v[127:128], v[125:126]
	buffer_load_dword v140, off, s[0:3], 0 offset:300
	buffer_load_dword v145, off, s[0:3], 0 offset:320
	;; [unrolled: 1-line block ×8, first 2 shown]
	s_waitcnt vmcnt(24) lgkmcnt(0)
	v_fma_f64 v[125:126], v[147:148], v[129:130], v[125:126]
	s_waitcnt vmcnt(19)
	v_fma_f64 v[133:134], v[133:134], v[131:132], v[125:126]
	ds_read_b128 v[125:128], v124 offset:736
	ds_read_b128 v[129:132], v124 offset:752
	s_waitcnt vmcnt(18) lgkmcnt(1)
	v_fma_f64 v[125:126], v[157:158], v[125:126], v[133:134]
	s_waitcnt vmcnt(17)
	v_fma_f64 v[125:126], v[155:156], v[127:128], v[125:126]
	buffer_load_dword v134, off, s[0:3], 0 offset:332
	buffer_load_dword v147, off, s[0:3], 0 offset:352
	;; [unrolled: 1-line block ×8, first 2 shown]
	s_waitcnt vmcnt(24) lgkmcnt(0)
	v_fma_f64 v[125:126], v[149:150], v[129:130], v[125:126]
	s_waitcnt vmcnt(19)
	v_fma_f64 v[135:136], v[135:136], v[131:132], v[125:126]
	ds_read_b128 v[125:128], v124 offset:768
	ds_read_b128 v[129:132], v124 offset:784
	s_waitcnt vmcnt(18) lgkmcnt(1)
	v_fma_f64 v[125:126], v[143:144], v[125:126], v[135:136]
	s_waitcnt vmcnt(17)
	v_fma_f64 v[125:126], v[141:142], v[127:128], v[125:126]
	buffer_load_dword v136, off, s[0:3], 0 offset:364
	buffer_load_dword v141, off, s[0:3], 0 offset:384
	buffer_load_dword v143, off, s[0:3], 0 offset:376
	buffer_load_dword v149, off, s[0:3], 0 offset:368
	buffer_load_dword v135, off, s[0:3], 0 offset:360
	buffer_load_dword v150, off, s[0:3], 0 offset:372
	buffer_load_dword v144, off, s[0:3], 0 offset:380
	s_waitcnt vmcnt(23) lgkmcnt(0)
	v_fma_f64 v[125:126], v[137:138], v[129:130], v[125:126]
	s_waitcnt vmcnt(18)
	v_fma_f64 v[137:138], v[139:140], v[131:132], v[125:126]
	ds_read_b128 v[125:128], v124 offset:800
	ds_read_b128 v[129:132], v124 offset:816
	buffer_load_dword v142, off, s[0:3], 0 offset:388
	s_waitcnt vmcnt(18) lgkmcnt(1)
	v_fma_f64 v[125:126], v[153:154], v[125:126], v[137:138]
	s_waitcnt vmcnt(17)
	v_fma_f64 v[125:126], v[151:152], v[127:128], v[125:126]
	buffer_load_dword v138, off, s[0:3], 0 offset:396
	buffer_load_dword v139, off, s[0:3], 0 offset:416
	buffer_load_dword v151, off, s[0:3], 0 offset:408
	buffer_load_dword v153, off, s[0:3], 0 offset:400
	buffer_load_dword v137, off, s[0:3], 0 offset:392
	buffer_load_dword v154, off, s[0:3], 0 offset:404
	buffer_load_dword v152, off, s[0:3], 0 offset:412
	buffer_load_dword v140, off, s[0:3], 0 offset:420
	s_waitcnt vmcnt(24) lgkmcnt(0)
	v_fma_f64 v[125:126], v[145:146], v[129:130], v[125:126]
	s_waitcnt vmcnt(19)
	v_fma_f64 v[133:134], v[133:134], v[131:132], v[125:126]
	ds_read_b128 v[125:128], v124 offset:832
	ds_read_b128 v[129:132], v124 offset:848
	s_waitcnt vmcnt(18) lgkmcnt(1)
	v_fma_f64 v[125:126], v[157:158], v[125:126], v[133:134]
	s_waitcnt vmcnt(17)
	v_fma_f64 v[125:126], v[155:156], v[127:128], v[125:126]
	buffer_load_dword v134, off, s[0:3], 0 offset:428
	buffer_load_dword v145, off, s[0:3], 0 offset:448
	buffer_load_dword v155, off, s[0:3], 0 offset:440
	buffer_load_dword v157, off, s[0:3], 0 offset:432
	buffer_load_dword v133, off, s[0:3], 0 offset:424
	buffer_load_dword v158, off, s[0:3], 0 offset:436
	buffer_load_dword v156, off, s[0:3], 0 offset:444
	buffer_load_dword v146, off, s[0:3], 0 offset:452
	s_waitcnt vmcnt(24) lgkmcnt(0)
	v_fma_f64 v[125:126], v[147:148], v[129:130], v[125:126]
	s_waitcnt vmcnt(19)
	v_fma_f64 v[135:136], v[135:136], v[131:132], v[125:126]
	ds_read_b128 v[125:128], v124 offset:864
	ds_read_b128 v[129:132], v124 offset:880
	;; [unrolled: 18-line block ×3, first 2 shown]
	s_waitcnt vmcnt(18) lgkmcnt(1)
	v_fma_f64 v[125:126], v[153:154], v[125:126], v[137:138]
	buffer_load_dword v137, off, s[0:3], 0 offset:40
	buffer_load_dword v138, off, s[0:3], 0 offset:44
	s_waitcnt vmcnt(19)
	v_fma_f64 v[125:126], v[151:152], v[127:128], v[125:126]
	s_waitcnt vmcnt(18) lgkmcnt(0)
	v_fma_f64 v[125:126], v[139:140], v[129:130], v[125:126]
	s_waitcnt vmcnt(13)
	v_fma_f64 v[133:134], v[133:134], v[131:132], v[125:126]
	ds_read_b128 v[125:128], v124 offset:928
	ds_read_b128 v[129:132], v124 offset:944
	s_waitcnt vmcnt(12) lgkmcnt(1)
	v_fma_f64 v[125:126], v[157:158], v[125:126], v[133:134]
	s_waitcnt vmcnt(11)
	v_fma_f64 v[125:126], v[155:156], v[127:128], v[125:126]
	s_waitcnt vmcnt(10) lgkmcnt(0)
	v_fma_f64 v[125:126], v[145:146], v[129:130], v[125:126]
	s_waitcnt vmcnt(5)
	v_fma_f64 v[129:130], v[135:136], v[131:132], v[125:126]
	ds_read_b128 v[125:128], v124 offset:960
	ds_read_b64 v[131:132], v124 offset:976
	s_waitcnt vmcnt(4) lgkmcnt(1)
	v_fma_f64 v[125:126], v[149:150], v[125:126], v[129:130]
	s_waitcnt vmcnt(3)
	v_fma_f64 v[125:126], v[147:148], v[127:128], v[125:126]
	s_waitcnt vmcnt(2) lgkmcnt(0)
	v_fma_f64 v[125:126], v[143:144], v[131:132], v[125:126]
	s_waitcnt vmcnt(0)
	v_add_f64 v[125:126], v[137:138], -v[125:126]
	buffer_store_dword v126, off, s[0:3], 0 offset:44
	buffer_store_dword v125, off, s[0:3], 0 offset:40
	s_and_saveexec_b64 s[4:5], vcc
	s_cbranch_execz .LBB124_365
; %bb.364:
	buffer_load_dword v125, off, s[0:3], 0 offset:32
	buffer_load_dword v126, off, s[0:3], 0 offset:36
	s_waitcnt vmcnt(0)
	ds_write_b64 v123, v[125:126]
	buffer_store_dword v124, off, s[0:3], 0 offset:32
	buffer_store_dword v124, off, s[0:3], 0 offset:36
.LBB124_365:
	s_or_b64 exec, exec, s[4:5]
	s_waitcnt lgkmcnt(0)
	; wave barrier
	buffer_load_dword v133, off, s[0:3], 0 offset:40
	buffer_load_dword v134, off, s[0:3], 0 offset:44
	;; [unrolled: 1-line block ×22, first 2 shown]
	ds_read2_b64 v[125:128], v124 offset0:67 offset1:68
	ds_read2_b64 v[129:132], v124 offset0:69 offset1:70
	v_cmp_lt_u32_e32 vcc, 3, v0
	s_waitcnt vmcnt(20) lgkmcnt(1)
	v_fma_f64 v[125:126], v[133:134], v[125:126], 0
	s_waitcnt vmcnt(18)
	v_fma_f64 v[125:126], v[135:136], v[127:128], v[125:126]
	buffer_load_dword v134, off, s[0:3], 0 offset:132
	buffer_load_dword v135, off, s[0:3], 0 offset:152
	;; [unrolled: 1-line block ×7, first 2 shown]
	s_waitcnt vmcnt(23) lgkmcnt(0)
	v_fma_f64 v[125:126], v[137:138], v[129:130], v[125:126]
	s_waitcnt vmcnt(21)
	v_fma_f64 v[136:137], v[139:140], v[131:132], v[125:126]
	ds_read2_b64 v[125:128], v124 offset0:71 offset1:72
	ds_read2_b64 v[129:132], v124 offset0:73 offset1:74
	s_waitcnt vmcnt(19) lgkmcnt(1)
	v_fma_f64 v[125:126], v[141:142], v[125:126], v[136:137]
	buffer_load_dword v136, off, s[0:3], 0 offset:156
	s_waitcnt vmcnt(18)
	v_fma_f64 v[125:126], v[143:144], v[127:128], v[125:126]
	buffer_load_dword v138, off, s[0:3], 0 offset:164
	buffer_load_dword v139, off, s[0:3], 0 offset:184
	;; [unrolled: 1-line block ×7, first 2 shown]
	s_waitcnt vmcnt(23) lgkmcnt(0)
	v_fma_f64 v[125:126], v[145:146], v[129:130], v[125:126]
	s_waitcnt vmcnt(18)
	v_fma_f64 v[145:146], v[147:148], v[131:132], v[125:126]
	ds_read2_b64 v[125:128], v124 offset0:75 offset1:76
	ds_read2_b64 v[129:132], v124 offset0:77 offset1:78
	buffer_load_dword v140, off, s[0:3], 0 offset:188
	s_waitcnt vmcnt(18) lgkmcnt(1)
	v_fma_f64 v[125:126], v[153:154], v[125:126], v[145:146]
	s_waitcnt vmcnt(17)
	v_fma_f64 v[125:126], v[151:152], v[127:128], v[125:126]
	buffer_load_dword v146, off, s[0:3], 0 offset:196
	buffer_load_dword v147, off, s[0:3], 0 offset:216
	;; [unrolled: 1-line block ×8, first 2 shown]
	s_waitcnt vmcnt(24) lgkmcnt(0)
	v_fma_f64 v[125:126], v[149:150], v[129:130], v[125:126]
	s_waitcnt vmcnt(19)
	v_fma_f64 v[133:134], v[133:134], v[131:132], v[125:126]
	ds_read2_b64 v[125:128], v124 offset0:79 offset1:80
	ds_read2_b64 v[129:132], v124 offset0:81 offset1:82
	s_waitcnt vmcnt(18) lgkmcnt(1)
	v_fma_f64 v[125:126], v[157:158], v[125:126], v[133:134]
	s_waitcnt vmcnt(17)
	v_fma_f64 v[125:126], v[155:156], v[127:128], v[125:126]
	buffer_load_dword v134, off, s[0:3], 0 offset:228
	buffer_load_dword v149, off, s[0:3], 0 offset:248
	;; [unrolled: 1-line block ×8, first 2 shown]
	s_waitcnt vmcnt(24) lgkmcnt(0)
	v_fma_f64 v[125:126], v[135:136], v[129:130], v[125:126]
	s_waitcnt vmcnt(19)
	v_fma_f64 v[135:136], v[137:138], v[131:132], v[125:126]
	ds_read2_b64 v[125:128], v124 offset0:83 offset1:84
	ds_read2_b64 v[129:132], v124 offset0:85 offset1:86
	s_waitcnt vmcnt(18) lgkmcnt(1)
	v_fma_f64 v[125:126], v[143:144], v[125:126], v[135:136]
	s_waitcnt vmcnt(17)
	v_fma_f64 v[125:126], v[141:142], v[127:128], v[125:126]
	buffer_load_dword v136, off, s[0:3], 0 offset:260
	buffer_load_dword v137, off, s[0:3], 0 offset:280
	;; [unrolled: 1-line block ×7, first 2 shown]
	s_waitcnt vmcnt(23) lgkmcnt(0)
	v_fma_f64 v[125:126], v[139:140], v[129:130], v[125:126]
	s_waitcnt vmcnt(18)
	v_fma_f64 v[138:139], v[145:146], v[131:132], v[125:126]
	ds_read2_b64 v[125:128], v124 offset0:87 offset1:88
	ds_read2_b64 v[129:132], v124 offset0:89 offset1:90
	s_waitcnt vmcnt(17) lgkmcnt(1)
	v_fma_f64 v[125:126], v[153:154], v[125:126], v[138:139]
	buffer_load_dword v138, off, s[0:3], 0 offset:284
	s_waitcnt vmcnt(17)
	v_fma_f64 v[125:126], v[151:152], v[127:128], v[125:126]
	buffer_load_dword v140, off, s[0:3], 0 offset:292
	buffer_load_dword v145, off, s[0:3], 0 offset:312
	;; [unrolled: 1-line block ×8, first 2 shown]
	s_waitcnt vmcnt(24) lgkmcnt(0)
	v_fma_f64 v[125:126], v[147:148], v[129:130], v[125:126]
	s_waitcnt vmcnt(19)
	v_fma_f64 v[133:134], v[133:134], v[131:132], v[125:126]
	ds_read2_b64 v[125:128], v124 offset0:91 offset1:92
	ds_read2_b64 v[129:132], v124 offset0:93 offset1:94
	s_waitcnt vmcnt(18) lgkmcnt(1)
	v_fma_f64 v[125:126], v[157:158], v[125:126], v[133:134]
	s_waitcnt vmcnt(17)
	v_fma_f64 v[125:126], v[155:156], v[127:128], v[125:126]
	buffer_load_dword v134, off, s[0:3], 0 offset:324
	buffer_load_dword v147, off, s[0:3], 0 offset:344
	;; [unrolled: 1-line block ×8, first 2 shown]
	s_waitcnt vmcnt(24) lgkmcnt(0)
	v_fma_f64 v[125:126], v[149:150], v[129:130], v[125:126]
	s_waitcnt vmcnt(19)
	v_fma_f64 v[135:136], v[135:136], v[131:132], v[125:126]
	ds_read2_b64 v[125:128], v124 offset0:95 offset1:96
	ds_read2_b64 v[129:132], v124 offset0:97 offset1:98
	s_waitcnt vmcnt(18) lgkmcnt(1)
	v_fma_f64 v[125:126], v[143:144], v[125:126], v[135:136]
	s_waitcnt vmcnt(17)
	v_fma_f64 v[125:126], v[141:142], v[127:128], v[125:126]
	buffer_load_dword v136, off, s[0:3], 0 offset:356
	buffer_load_dword v141, off, s[0:3], 0 offset:376
	;; [unrolled: 1-line block ×7, first 2 shown]
	s_waitcnt vmcnt(23) lgkmcnt(0)
	v_fma_f64 v[125:126], v[137:138], v[129:130], v[125:126]
	s_waitcnt vmcnt(18)
	v_fma_f64 v[137:138], v[139:140], v[131:132], v[125:126]
	ds_read2_b64 v[125:128], v124 offset0:99 offset1:100
	ds_read2_b64 v[129:132], v124 offset0:101 offset1:102
	buffer_load_dword v142, off, s[0:3], 0 offset:380
	s_waitcnt vmcnt(18) lgkmcnt(1)
	v_fma_f64 v[125:126], v[153:154], v[125:126], v[137:138]
	s_waitcnt vmcnt(17)
	v_fma_f64 v[125:126], v[151:152], v[127:128], v[125:126]
	buffer_load_dword v138, off, s[0:3], 0 offset:388
	buffer_load_dword v139, off, s[0:3], 0 offset:408
	buffer_load_dword v151, off, s[0:3], 0 offset:400
	buffer_load_dword v153, off, s[0:3], 0 offset:392
	buffer_load_dword v137, off, s[0:3], 0 offset:384
	buffer_load_dword v154, off, s[0:3], 0 offset:396
	buffer_load_dword v152, off, s[0:3], 0 offset:404
	buffer_load_dword v140, off, s[0:3], 0 offset:412
	s_waitcnt vmcnt(24) lgkmcnt(0)
	v_fma_f64 v[125:126], v[145:146], v[129:130], v[125:126]
	s_waitcnt vmcnt(19)
	v_fma_f64 v[133:134], v[133:134], v[131:132], v[125:126]
	ds_read2_b64 v[125:128], v124 offset0:103 offset1:104
	ds_read2_b64 v[129:132], v124 offset0:105 offset1:106
	s_waitcnt vmcnt(18) lgkmcnt(1)
	v_fma_f64 v[125:126], v[157:158], v[125:126], v[133:134]
	s_waitcnt vmcnt(17)
	v_fma_f64 v[125:126], v[155:156], v[127:128], v[125:126]
	buffer_load_dword v134, off, s[0:3], 0 offset:420
	buffer_load_dword v145, off, s[0:3], 0 offset:440
	buffer_load_dword v155, off, s[0:3], 0 offset:432
	buffer_load_dword v157, off, s[0:3], 0 offset:424
	buffer_load_dword v133, off, s[0:3], 0 offset:416
	buffer_load_dword v158, off, s[0:3], 0 offset:428
	buffer_load_dword v156, off, s[0:3], 0 offset:436
	buffer_load_dword v146, off, s[0:3], 0 offset:444
	s_waitcnt vmcnt(24) lgkmcnt(0)
	v_fma_f64 v[125:126], v[147:148], v[129:130], v[125:126]
	s_waitcnt vmcnt(19)
	v_fma_f64 v[135:136], v[135:136], v[131:132], v[125:126]
	ds_read2_b64 v[125:128], v124 offset0:107 offset1:108
	ds_read2_b64 v[129:132], v124 offset0:109 offset1:110
	;; [unrolled: 18-line block ×3, first 2 shown]
	s_waitcnt vmcnt(18) lgkmcnt(1)
	v_fma_f64 v[125:126], v[153:154], v[125:126], v[137:138]
	buffer_load_dword v138, off, s[0:3], 0 offset:484
	buffer_load_dword v137, off, s[0:3], 0 offset:480
	;; [unrolled: 1-line block ×4, first 2 shown]
	s_waitcnt vmcnt(21)
	v_fma_f64 v[125:126], v[151:152], v[127:128], v[125:126]
	s_waitcnt vmcnt(20) lgkmcnt(0)
	v_fma_f64 v[125:126], v[139:140], v[129:130], v[125:126]
	s_waitcnt vmcnt(15)
	v_fma_f64 v[133:134], v[133:134], v[131:132], v[125:126]
	ds_read2_b64 v[125:128], v124 offset0:115 offset1:116
	ds_read2_b64 v[129:132], v124 offset0:117 offset1:118
	s_waitcnt vmcnt(14) lgkmcnt(1)
	v_fma_f64 v[125:126], v[157:158], v[125:126], v[133:134]
	s_waitcnt vmcnt(13)
	v_fma_f64 v[125:126], v[155:156], v[127:128], v[125:126]
	s_waitcnt vmcnt(12) lgkmcnt(0)
	v_fma_f64 v[125:126], v[145:146], v[129:130], v[125:126]
	s_waitcnt vmcnt(7)
	v_fma_f64 v[133:134], v[135:136], v[131:132], v[125:126]
	ds_read2_b64 v[125:128], v124 offset0:119 offset1:120
	ds_read2_b64 v[129:132], v124 offset0:121 offset1:122
	s_waitcnt vmcnt(6) lgkmcnt(1)
	v_fma_f64 v[124:125], v[149:150], v[125:126], v[133:134]
	s_waitcnt vmcnt(5)
	v_fma_f64 v[124:125], v[147:148], v[127:128], v[124:125]
	s_waitcnt vmcnt(4) lgkmcnt(0)
	v_fma_f64 v[124:125], v[143:144], v[129:130], v[124:125]
	s_waitcnt vmcnt(2)
	v_fma_f64 v[124:125], v[137:138], v[131:132], v[124:125]
	s_waitcnt vmcnt(0)
	v_add_f64 v[124:125], v[141:142], -v[124:125]
	buffer_store_dword v125, off, s[0:3], 0 offset:36
	buffer_store_dword v124, off, s[0:3], 0 offset:32
	s_and_saveexec_b64 s[4:5], vcc
	s_cbranch_execz .LBB124_367
; %bb.366:
	buffer_load_dword v124, off, s[0:3], 0 offset:24
	buffer_load_dword v125, off, s[0:3], 0 offset:28
	v_mov_b32_e32 v126, 0
	buffer_store_dword v126, off, s[0:3], 0 offset:24
	buffer_store_dword v126, off, s[0:3], 0 offset:28
	s_waitcnt vmcnt(2)
	ds_write_b64 v123, v[124:125]
.LBB124_367:
	s_or_b64 exec, exec, s[4:5]
	s_waitcnt lgkmcnt(0)
	; wave barrier
	buffer_load_dword v133, off, s[0:3], 0 offset:32
	buffer_load_dword v134, off, s[0:3], 0 offset:36
	;; [unrolled: 1-line block ×21, first 2 shown]
	v_mov_b32_e32 v124, 0
	ds_read_b128 v[125:128], v124 offset:528
	ds_read_b128 v[129:132], v124 offset:544
	buffer_load_dword v150, off, s[0:3], 0 offset:116
	v_cmp_lt_u32_e32 vcc, 2, v0
	s_waitcnt vmcnt(20) lgkmcnt(1)
	v_fma_f64 v[125:126], v[133:134], v[125:126], 0
	s_waitcnt vmcnt(18)
	v_fma_f64 v[125:126], v[135:136], v[127:128], v[125:126]
	buffer_load_dword v134, off, s[0:3], 0 offset:124
	buffer_load_dword v135, off, s[0:3], 0 offset:144
	;; [unrolled: 1-line block ×7, first 2 shown]
	s_waitcnt vmcnt(23) lgkmcnt(0)
	v_fma_f64 v[125:126], v[137:138], v[129:130], v[125:126]
	s_waitcnt vmcnt(21)
	v_fma_f64 v[136:137], v[139:140], v[131:132], v[125:126]
	ds_read_b128 v[125:128], v124 offset:560
	ds_read_b128 v[129:132], v124 offset:576
	s_waitcnt vmcnt(19) lgkmcnt(1)
	v_fma_f64 v[125:126], v[141:142], v[125:126], v[136:137]
	buffer_load_dword v136, off, s[0:3], 0 offset:148
	s_waitcnt vmcnt(18)
	v_fma_f64 v[125:126], v[143:144], v[127:128], v[125:126]
	buffer_load_dword v138, off, s[0:3], 0 offset:156
	buffer_load_dword v139, off, s[0:3], 0 offset:176
	;; [unrolled: 1-line block ×7, first 2 shown]
	s_waitcnt vmcnt(23) lgkmcnt(0)
	v_fma_f64 v[125:126], v[145:146], v[129:130], v[125:126]
	s_waitcnt vmcnt(18)
	v_fma_f64 v[145:146], v[147:148], v[131:132], v[125:126]
	ds_read_b128 v[125:128], v124 offset:592
	ds_read_b128 v[129:132], v124 offset:608
	buffer_load_dword v140, off, s[0:3], 0 offset:180
	s_waitcnt vmcnt(18) lgkmcnt(1)
	v_fma_f64 v[125:126], v[153:154], v[125:126], v[145:146]
	s_waitcnt vmcnt(17)
	v_fma_f64 v[125:126], v[151:152], v[127:128], v[125:126]
	buffer_load_dword v146, off, s[0:3], 0 offset:188
	buffer_load_dword v147, off, s[0:3], 0 offset:208
	;; [unrolled: 1-line block ×7, first 2 shown]
	s_waitcnt vmcnt(23) lgkmcnt(0)
	v_fma_f64 v[125:126], v[149:150], v[129:130], v[125:126]
	s_waitcnt vmcnt(18)
	v_fma_f64 v[133:134], v[133:134], v[131:132], v[125:126]
	ds_read_b128 v[125:128], v124 offset:624
	ds_read_b128 v[129:132], v124 offset:640
	buffer_load_dword v148, off, s[0:3], 0 offset:212
	s_waitcnt vmcnt(18) lgkmcnt(1)
	v_fma_f64 v[125:126], v[157:158], v[125:126], v[133:134]
	s_waitcnt vmcnt(17)
	v_fma_f64 v[125:126], v[155:156], v[127:128], v[125:126]
	buffer_load_dword v134, off, s[0:3], 0 offset:220
	buffer_load_dword v149, off, s[0:3], 0 offset:240
	;; [unrolled: 1-line block ×8, first 2 shown]
	s_waitcnt vmcnt(24) lgkmcnt(0)
	v_fma_f64 v[125:126], v[135:136], v[129:130], v[125:126]
	s_waitcnt vmcnt(19)
	v_fma_f64 v[135:136], v[137:138], v[131:132], v[125:126]
	ds_read_b128 v[125:128], v124 offset:656
	ds_read_b128 v[129:132], v124 offset:672
	s_waitcnt vmcnt(18) lgkmcnt(1)
	v_fma_f64 v[125:126], v[143:144], v[125:126], v[135:136]
	s_waitcnt vmcnt(17)
	v_fma_f64 v[125:126], v[141:142], v[127:128], v[125:126]
	buffer_load_dword v136, off, s[0:3], 0 offset:252
	buffer_load_dword v137, off, s[0:3], 0 offset:272
	;; [unrolled: 1-line block ×7, first 2 shown]
	s_waitcnt vmcnt(23) lgkmcnt(0)
	v_fma_f64 v[125:126], v[139:140], v[129:130], v[125:126]
	s_waitcnt vmcnt(18)
	v_fma_f64 v[138:139], v[145:146], v[131:132], v[125:126]
	ds_read_b128 v[125:128], v124 offset:688
	ds_read_b128 v[129:132], v124 offset:704
	s_waitcnt vmcnt(17) lgkmcnt(1)
	v_fma_f64 v[125:126], v[153:154], v[125:126], v[138:139]
	buffer_load_dword v138, off, s[0:3], 0 offset:276
	s_waitcnt vmcnt(17)
	v_fma_f64 v[125:126], v[151:152], v[127:128], v[125:126]
	buffer_load_dword v140, off, s[0:3], 0 offset:284
	buffer_load_dword v145, off, s[0:3], 0 offset:304
	;; [unrolled: 1-line block ×7, first 2 shown]
	s_waitcnt vmcnt(23) lgkmcnt(0)
	v_fma_f64 v[125:126], v[147:148], v[129:130], v[125:126]
	s_waitcnt vmcnt(18)
	v_fma_f64 v[133:134], v[133:134], v[131:132], v[125:126]
	ds_read_b128 v[125:128], v124 offset:720
	ds_read_b128 v[129:132], v124 offset:736
	buffer_load_dword v146, off, s[0:3], 0 offset:308
	s_waitcnt vmcnt(18) lgkmcnt(1)
	v_fma_f64 v[125:126], v[157:158], v[125:126], v[133:134]
	s_waitcnt vmcnt(17)
	v_fma_f64 v[125:126], v[155:156], v[127:128], v[125:126]
	buffer_load_dword v134, off, s[0:3], 0 offset:316
	buffer_load_dword v147, off, s[0:3], 0 offset:336
	;; [unrolled: 1-line block ×8, first 2 shown]
	s_waitcnt vmcnt(24) lgkmcnt(0)
	v_fma_f64 v[125:126], v[149:150], v[129:130], v[125:126]
	s_waitcnt vmcnt(19)
	v_fma_f64 v[135:136], v[135:136], v[131:132], v[125:126]
	ds_read_b128 v[125:128], v124 offset:752
	ds_read_b128 v[129:132], v124 offset:768
	s_waitcnt vmcnt(18) lgkmcnt(1)
	v_fma_f64 v[125:126], v[143:144], v[125:126], v[135:136]
	s_waitcnt vmcnt(17)
	v_fma_f64 v[125:126], v[141:142], v[127:128], v[125:126]
	buffer_load_dword v136, off, s[0:3], 0 offset:348
	buffer_load_dword v141, off, s[0:3], 0 offset:368
	buffer_load_dword v143, off, s[0:3], 0 offset:360
	buffer_load_dword v149, off, s[0:3], 0 offset:352
	buffer_load_dword v135, off, s[0:3], 0 offset:344
	buffer_load_dword v150, off, s[0:3], 0 offset:356
	buffer_load_dword v144, off, s[0:3], 0 offset:364
	s_waitcnt vmcnt(23) lgkmcnt(0)
	v_fma_f64 v[125:126], v[137:138], v[129:130], v[125:126]
	s_waitcnt vmcnt(18)
	v_fma_f64 v[137:138], v[139:140], v[131:132], v[125:126]
	ds_read_b128 v[125:128], v124 offset:784
	ds_read_b128 v[129:132], v124 offset:800
	buffer_load_dword v142, off, s[0:3], 0 offset:372
	s_waitcnt vmcnt(18) lgkmcnt(1)
	v_fma_f64 v[125:126], v[153:154], v[125:126], v[137:138]
	s_waitcnt vmcnt(17)
	v_fma_f64 v[125:126], v[151:152], v[127:128], v[125:126]
	buffer_load_dword v138, off, s[0:3], 0 offset:380
	buffer_load_dword v139, off, s[0:3], 0 offset:400
	;; [unrolled: 1-line block ×7, first 2 shown]
	s_waitcnt vmcnt(23) lgkmcnt(0)
	v_fma_f64 v[125:126], v[145:146], v[129:130], v[125:126]
	s_waitcnt vmcnt(18)
	v_fma_f64 v[133:134], v[133:134], v[131:132], v[125:126]
	ds_read_b128 v[125:128], v124 offset:816
	ds_read_b128 v[129:132], v124 offset:832
	buffer_load_dword v140, off, s[0:3], 0 offset:404
	s_waitcnt vmcnt(18) lgkmcnt(1)
	v_fma_f64 v[125:126], v[157:158], v[125:126], v[133:134]
	s_waitcnt vmcnt(17)
	v_fma_f64 v[125:126], v[155:156], v[127:128], v[125:126]
	buffer_load_dword v134, off, s[0:3], 0 offset:412
	buffer_load_dword v145, off, s[0:3], 0 offset:432
	;; [unrolled: 1-line block ×8, first 2 shown]
	s_waitcnt vmcnt(24) lgkmcnt(0)
	v_fma_f64 v[125:126], v[147:148], v[129:130], v[125:126]
	s_waitcnt vmcnt(19)
	v_fma_f64 v[135:136], v[135:136], v[131:132], v[125:126]
	ds_read_b128 v[125:128], v124 offset:848
	ds_read_b128 v[129:132], v124 offset:864
	s_waitcnt vmcnt(18) lgkmcnt(1)
	v_fma_f64 v[125:126], v[149:150], v[125:126], v[135:136]
	s_waitcnt vmcnt(17)
	v_fma_f64 v[125:126], v[143:144], v[127:128], v[125:126]
	buffer_load_dword v136, off, s[0:3], 0 offset:444
	buffer_load_dword v143, off, s[0:3], 0 offset:464
	;; [unrolled: 1-line block ×7, first 2 shown]
	s_waitcnt vmcnt(23) lgkmcnt(0)
	v_fma_f64 v[125:126], v[141:142], v[129:130], v[125:126]
	s_waitcnt vmcnt(18)
	v_fma_f64 v[137:138], v[137:138], v[131:132], v[125:126]
	ds_read_b128 v[125:128], v124 offset:880
	ds_read_b128 v[129:132], v124 offset:896
	buffer_load_dword v144, off, s[0:3], 0 offset:468
	s_waitcnt vmcnt(18) lgkmcnt(1)
	v_fma_f64 v[125:126], v[153:154], v[125:126], v[137:138]
	buffer_load_dword v138, off, s[0:3], 0 offset:476
	buffer_load_dword v141, off, s[0:3], 0 offset:480
	;; [unrolled: 1-line block ×4, first 2 shown]
	s_waitcnt vmcnt(21)
	v_fma_f64 v[125:126], v[151:152], v[127:128], v[125:126]
	s_waitcnt vmcnt(20) lgkmcnt(0)
	v_fma_f64 v[125:126], v[139:140], v[129:130], v[125:126]
	buffer_load_dword v139, off, s[0:3], 0 offset:24
	buffer_load_dword v140, off, s[0:3], 0 offset:28
	s_waitcnt vmcnt(17)
	v_fma_f64 v[133:134], v[133:134], v[131:132], v[125:126]
	ds_read_b128 v[125:128], v124 offset:912
	ds_read_b128 v[129:132], v124 offset:928
	s_waitcnt vmcnt(16) lgkmcnt(1)
	v_fma_f64 v[125:126], v[157:158], v[125:126], v[133:134]
	s_waitcnt vmcnt(15)
	v_fma_f64 v[125:126], v[155:156], v[127:128], v[125:126]
	s_waitcnt vmcnt(14) lgkmcnt(0)
	v_fma_f64 v[125:126], v[145:146], v[129:130], v[125:126]
	s_waitcnt vmcnt(9)
	v_fma_f64 v[133:134], v[135:136], v[131:132], v[125:126]
	ds_read_b128 v[125:128], v124 offset:944
	ds_read_b128 v[129:132], v124 offset:960
	s_waitcnt vmcnt(8) lgkmcnt(1)
	v_fma_f64 v[125:126], v[149:150], v[125:126], v[133:134]
	s_waitcnt vmcnt(7)
	v_fma_f64 v[125:126], v[147:148], v[127:128], v[125:126]
	ds_read_b64 v[127:128], v124 offset:976
	s_waitcnt vmcnt(6) lgkmcnt(1)
	v_fma_f64 v[125:126], v[143:144], v[129:130], v[125:126]
	s_waitcnt vmcnt(3)
	v_fma_f64 v[125:126], v[137:138], v[131:132], v[125:126]
	s_waitcnt vmcnt(2) lgkmcnt(0)
	v_fma_f64 v[125:126], v[141:142], v[127:128], v[125:126]
	s_waitcnt vmcnt(0)
	v_add_f64 v[125:126], v[139:140], -v[125:126]
	buffer_store_dword v126, off, s[0:3], 0 offset:28
	buffer_store_dword v125, off, s[0:3], 0 offset:24
	s_and_saveexec_b64 s[4:5], vcc
	s_cbranch_execz .LBB124_369
; %bb.368:
	buffer_load_dword v125, off, s[0:3], 0 offset:16
	buffer_load_dword v126, off, s[0:3], 0 offset:20
	s_waitcnt vmcnt(0)
	ds_write_b64 v123, v[125:126]
	buffer_store_dword v124, off, s[0:3], 0 offset:16
	buffer_store_dword v124, off, s[0:3], 0 offset:20
.LBB124_369:
	s_or_b64 exec, exec, s[4:5]
	s_waitcnt lgkmcnt(0)
	; wave barrier
	buffer_load_dword v133, off, s[0:3], 0 offset:24
	buffer_load_dword v134, off, s[0:3], 0 offset:28
	;; [unrolled: 1-line block ×21, first 2 shown]
	ds_read2_b64 v[125:128], v124 offset0:65 offset1:66
	ds_read2_b64 v[129:132], v124 offset0:67 offset1:68
	buffer_load_dword v150, off, s[0:3], 0 offset:108
	v_cmp_lt_u32_e32 vcc, 1, v0
	s_waitcnt vmcnt(20) lgkmcnt(1)
	v_fma_f64 v[125:126], v[133:134], v[125:126], 0
	s_waitcnt vmcnt(18)
	v_fma_f64 v[125:126], v[135:136], v[127:128], v[125:126]
	buffer_load_dword v134, off, s[0:3], 0 offset:116
	buffer_load_dword v135, off, s[0:3], 0 offset:136
	;; [unrolled: 1-line block ×7, first 2 shown]
	s_waitcnt vmcnt(23) lgkmcnt(0)
	v_fma_f64 v[125:126], v[137:138], v[129:130], v[125:126]
	s_waitcnt vmcnt(21)
	v_fma_f64 v[136:137], v[139:140], v[131:132], v[125:126]
	ds_read2_b64 v[125:128], v124 offset0:69 offset1:70
	ds_read2_b64 v[129:132], v124 offset0:71 offset1:72
	s_waitcnt vmcnt(19) lgkmcnt(1)
	v_fma_f64 v[125:126], v[141:142], v[125:126], v[136:137]
	buffer_load_dword v136, off, s[0:3], 0 offset:140
	s_waitcnt vmcnt(18)
	v_fma_f64 v[125:126], v[143:144], v[127:128], v[125:126]
	buffer_load_dword v138, off, s[0:3], 0 offset:148
	buffer_load_dword v139, off, s[0:3], 0 offset:168
	;; [unrolled: 1-line block ×8, first 2 shown]
	s_waitcnt vmcnt(24) lgkmcnt(0)
	v_fma_f64 v[125:126], v[145:146], v[129:130], v[125:126]
	s_waitcnt vmcnt(19)
	v_fma_f64 v[145:146], v[147:148], v[131:132], v[125:126]
	ds_read2_b64 v[125:128], v124 offset0:73 offset1:74
	ds_read2_b64 v[129:132], v124 offset0:75 offset1:76
	s_waitcnt vmcnt(18) lgkmcnt(1)
	v_fma_f64 v[125:126], v[153:154], v[125:126], v[145:146]
	s_waitcnt vmcnt(17)
	v_fma_f64 v[125:126], v[151:152], v[127:128], v[125:126]
	buffer_load_dword v146, off, s[0:3], 0 offset:180
	buffer_load_dword v147, off, s[0:3], 0 offset:200
	;; [unrolled: 1-line block ×7, first 2 shown]
	s_waitcnt vmcnt(23) lgkmcnt(0)
	v_fma_f64 v[125:126], v[149:150], v[129:130], v[125:126]
	s_waitcnt vmcnt(18)
	v_fma_f64 v[133:134], v[133:134], v[131:132], v[125:126]
	ds_read2_b64 v[125:128], v124 offset0:77 offset1:78
	ds_read2_b64 v[129:132], v124 offset0:79 offset1:80
	buffer_load_dword v148, off, s[0:3], 0 offset:204
	s_waitcnt vmcnt(18) lgkmcnt(1)
	v_fma_f64 v[125:126], v[157:158], v[125:126], v[133:134]
	s_waitcnt vmcnt(17)
	v_fma_f64 v[125:126], v[155:156], v[127:128], v[125:126]
	buffer_load_dword v134, off, s[0:3], 0 offset:212
	buffer_load_dword v149, off, s[0:3], 0 offset:232
	;; [unrolled: 1-line block ×8, first 2 shown]
	s_waitcnt vmcnt(24) lgkmcnt(0)
	v_fma_f64 v[125:126], v[135:136], v[129:130], v[125:126]
	s_waitcnt vmcnt(19)
	v_fma_f64 v[135:136], v[137:138], v[131:132], v[125:126]
	ds_read2_b64 v[125:128], v124 offset0:81 offset1:82
	ds_read2_b64 v[129:132], v124 offset0:83 offset1:84
	s_waitcnt vmcnt(18) lgkmcnt(1)
	v_fma_f64 v[125:126], v[143:144], v[125:126], v[135:136]
	s_waitcnt vmcnt(17)
	v_fma_f64 v[125:126], v[141:142], v[127:128], v[125:126]
	buffer_load_dword v136, off, s[0:3], 0 offset:244
	buffer_load_dword v137, off, s[0:3], 0 offset:264
	;; [unrolled: 1-line block ×7, first 2 shown]
	s_waitcnt vmcnt(23) lgkmcnt(0)
	v_fma_f64 v[125:126], v[139:140], v[129:130], v[125:126]
	s_waitcnt vmcnt(18)
	v_fma_f64 v[138:139], v[145:146], v[131:132], v[125:126]
	ds_read2_b64 v[125:128], v124 offset0:85 offset1:86
	ds_read2_b64 v[129:132], v124 offset0:87 offset1:88
	s_waitcnt vmcnt(17) lgkmcnt(1)
	v_fma_f64 v[125:126], v[153:154], v[125:126], v[138:139]
	buffer_load_dword v138, off, s[0:3], 0 offset:268
	s_waitcnt vmcnt(17)
	v_fma_f64 v[125:126], v[151:152], v[127:128], v[125:126]
	buffer_load_dword v140, off, s[0:3], 0 offset:276
	buffer_load_dword v145, off, s[0:3], 0 offset:296
	;; [unrolled: 1-line block ×7, first 2 shown]
	s_waitcnt vmcnt(23) lgkmcnt(0)
	v_fma_f64 v[125:126], v[147:148], v[129:130], v[125:126]
	s_waitcnt vmcnt(18)
	v_fma_f64 v[133:134], v[133:134], v[131:132], v[125:126]
	ds_read2_b64 v[125:128], v124 offset0:89 offset1:90
	ds_read2_b64 v[129:132], v124 offset0:91 offset1:92
	buffer_load_dword v146, off, s[0:3], 0 offset:300
	s_waitcnt vmcnt(18) lgkmcnt(1)
	v_fma_f64 v[125:126], v[157:158], v[125:126], v[133:134]
	s_waitcnt vmcnt(17)
	v_fma_f64 v[125:126], v[155:156], v[127:128], v[125:126]
	buffer_load_dword v134, off, s[0:3], 0 offset:308
	buffer_load_dword v147, off, s[0:3], 0 offset:328
	;; [unrolled: 1-line block ×8, first 2 shown]
	s_waitcnt vmcnt(24) lgkmcnt(0)
	v_fma_f64 v[125:126], v[149:150], v[129:130], v[125:126]
	s_waitcnt vmcnt(19)
	v_fma_f64 v[135:136], v[135:136], v[131:132], v[125:126]
	ds_read2_b64 v[125:128], v124 offset0:93 offset1:94
	ds_read2_b64 v[129:132], v124 offset0:95 offset1:96
	s_waitcnt vmcnt(18) lgkmcnt(1)
	v_fma_f64 v[125:126], v[143:144], v[125:126], v[135:136]
	s_waitcnt vmcnt(17)
	v_fma_f64 v[125:126], v[141:142], v[127:128], v[125:126]
	buffer_load_dword v136, off, s[0:3], 0 offset:340
	buffer_load_dword v141, off, s[0:3], 0 offset:360
	;; [unrolled: 1-line block ×8, first 2 shown]
	s_waitcnt vmcnt(24) lgkmcnt(0)
	v_fma_f64 v[125:126], v[137:138], v[129:130], v[125:126]
	s_waitcnt vmcnt(19)
	v_fma_f64 v[137:138], v[139:140], v[131:132], v[125:126]
	ds_read2_b64 v[125:128], v124 offset0:97 offset1:98
	ds_read2_b64 v[129:132], v124 offset0:99 offset1:100
	s_waitcnt vmcnt(18) lgkmcnt(1)
	v_fma_f64 v[125:126], v[153:154], v[125:126], v[137:138]
	s_waitcnt vmcnt(17)
	v_fma_f64 v[125:126], v[151:152], v[127:128], v[125:126]
	buffer_load_dword v138, off, s[0:3], 0 offset:372
	buffer_load_dword v139, off, s[0:3], 0 offset:392
	;; [unrolled: 1-line block ×7, first 2 shown]
	s_waitcnt vmcnt(23) lgkmcnt(0)
	v_fma_f64 v[125:126], v[145:146], v[129:130], v[125:126]
	s_waitcnt vmcnt(18)
	v_fma_f64 v[133:134], v[133:134], v[131:132], v[125:126]
	ds_read2_b64 v[125:128], v124 offset0:101 offset1:102
	ds_read2_b64 v[129:132], v124 offset0:103 offset1:104
	buffer_load_dword v140, off, s[0:3], 0 offset:396
	s_waitcnt vmcnt(18) lgkmcnt(1)
	v_fma_f64 v[125:126], v[157:158], v[125:126], v[133:134]
	s_waitcnt vmcnt(17)
	v_fma_f64 v[125:126], v[155:156], v[127:128], v[125:126]
	buffer_load_dword v134, off, s[0:3], 0 offset:404
	buffer_load_dword v145, off, s[0:3], 0 offset:424
	;; [unrolled: 1-line block ×8, first 2 shown]
	s_waitcnt vmcnt(24) lgkmcnt(0)
	v_fma_f64 v[125:126], v[147:148], v[129:130], v[125:126]
	s_waitcnt vmcnt(19)
	v_fma_f64 v[135:136], v[135:136], v[131:132], v[125:126]
	ds_read2_b64 v[125:128], v124 offset0:105 offset1:106
	ds_read2_b64 v[129:132], v124 offset0:107 offset1:108
	s_waitcnt vmcnt(18) lgkmcnt(1)
	v_fma_f64 v[125:126], v[149:150], v[125:126], v[135:136]
	s_waitcnt vmcnt(17)
	v_fma_f64 v[125:126], v[143:144], v[127:128], v[125:126]
	buffer_load_dword v136, off, s[0:3], 0 offset:436
	buffer_load_dword v143, off, s[0:3], 0 offset:456
	;; [unrolled: 1-line block ×8, first 2 shown]
	s_waitcnt vmcnt(24) lgkmcnt(0)
	v_fma_f64 v[125:126], v[141:142], v[129:130], v[125:126]
	s_waitcnt vmcnt(19)
	v_fma_f64 v[137:138], v[137:138], v[131:132], v[125:126]
	ds_read2_b64 v[125:128], v124 offset0:109 offset1:110
	ds_read2_b64 v[129:132], v124 offset0:111 offset1:112
	s_waitcnt vmcnt(18) lgkmcnt(1)
	v_fma_f64 v[125:126], v[153:154], v[125:126], v[137:138]
	s_waitcnt vmcnt(17)
	v_fma_f64 v[125:126], v[151:152], v[127:128], v[125:126]
	buffer_load_dword v138, off, s[0:3], 0 offset:468
	buffer_load_dword v141, off, s[0:3], 0 offset:480
	;; [unrolled: 1-line block ×6, first 2 shown]
	s_waitcnt vmcnt(22) lgkmcnt(0)
	v_fma_f64 v[125:126], v[139:140], v[129:130], v[125:126]
	s_waitcnt vmcnt(17)
	v_fma_f64 v[133:134], v[133:134], v[131:132], v[125:126]
	ds_read2_b64 v[125:128], v124 offset0:113 offset1:114
	buffer_load_dword v139, off, s[0:3], 0 offset:16
	buffer_load_dword v140, off, s[0:3], 0 offset:20
	ds_read2_b64 v[129:132], v124 offset0:115 offset1:116
	s_waitcnt vmcnt(18) lgkmcnt(1)
	v_fma_f64 v[125:126], v[157:158], v[125:126], v[133:134]
	s_waitcnt vmcnt(17)
	v_fma_f64 v[125:126], v[155:156], v[127:128], v[125:126]
	s_waitcnt vmcnt(16) lgkmcnt(0)
	v_fma_f64 v[125:126], v[145:146], v[129:130], v[125:126]
	s_waitcnt vmcnt(11)
	v_fma_f64 v[133:134], v[135:136], v[131:132], v[125:126]
	ds_read2_b64 v[125:128], v124 offset0:117 offset1:118
	ds_read2_b64 v[129:132], v124 offset0:119 offset1:120
	s_waitcnt vmcnt(10) lgkmcnt(1)
	v_fma_f64 v[125:126], v[149:150], v[125:126], v[133:134]
	s_waitcnt vmcnt(9)
	v_fma_f64 v[125:126], v[147:148], v[127:128], v[125:126]
	s_waitcnt vmcnt(8) lgkmcnt(0)
	v_fma_f64 v[125:126], v[143:144], v[129:130], v[125:126]
	s_waitcnt vmcnt(4)
	v_fma_f64 v[128:129], v[137:138], v[131:132], v[125:126]
	ds_read2_b64 v[124:127], v124 offset0:121 offset1:122
	s_waitcnt vmcnt(3) lgkmcnt(0)
	v_fma_f64 v[124:125], v[151:152], v[124:125], v[128:129]
	s_waitcnt vmcnt(2)
	v_fma_f64 v[124:125], v[141:142], v[126:127], v[124:125]
	s_waitcnt vmcnt(0)
	v_add_f64 v[124:125], v[139:140], -v[124:125]
	buffer_store_dword v125, off, s[0:3], 0 offset:20
	buffer_store_dword v124, off, s[0:3], 0 offset:16
	s_and_saveexec_b64 s[4:5], vcc
	s_cbranch_execz .LBB124_371
; %bb.370:
	buffer_load_dword v124, off, s[0:3], 0 offset:8
	buffer_load_dword v125, off, s[0:3], 0 offset:12
	v_mov_b32_e32 v126, 0
	buffer_store_dword v126, off, s[0:3], 0 offset:8
	buffer_store_dword v126, off, s[0:3], 0 offset:12
	s_waitcnt vmcnt(2)
	ds_write_b64 v123, v[124:125]
.LBB124_371:
	s_or_b64 exec, exec, s[4:5]
	s_waitcnt lgkmcnt(0)
	; wave barrier
	buffer_load_dword v134, off, s[0:3], 0 offset:16
	buffer_load_dword v135, off, s[0:3], 0 offset:20
	;; [unrolled: 1-line block ×21, first 2 shown]
	v_mov_b32_e32 v125, 0
	ds_read_b128 v[126:129], v125 offset:512
	ds_read_b128 v[130:133], v125 offset:528
	buffer_load_dword v151, off, s[0:3], 0 offset:100
	v_cmp_ne_u32_e32 vcc, 0, v0
	s_waitcnt vmcnt(20) lgkmcnt(1)
	v_fma_f64 v[126:127], v[134:135], v[126:127], 0
	s_waitcnt vmcnt(18)
	v_fma_f64 v[126:127], v[136:137], v[128:129], v[126:127]
	buffer_load_dword v135, off, s[0:3], 0 offset:108
	buffer_load_dword v136, off, s[0:3], 0 offset:128
	;; [unrolled: 1-line block ×7, first 2 shown]
	s_waitcnt vmcnt(23) lgkmcnt(0)
	v_fma_f64 v[126:127], v[138:139], v[130:131], v[126:127]
	s_waitcnt vmcnt(21)
	v_fma_f64 v[137:138], v[140:141], v[132:133], v[126:127]
	ds_read_b128 v[126:129], v125 offset:544
	ds_read_b128 v[130:133], v125 offset:560
	s_waitcnt vmcnt(19) lgkmcnt(1)
	v_fma_f64 v[126:127], v[142:143], v[126:127], v[137:138]
	buffer_load_dword v137, off, s[0:3], 0 offset:132
	s_waitcnt vmcnt(18)
	v_fma_f64 v[126:127], v[144:145], v[128:129], v[126:127]
	buffer_load_dword v139, off, s[0:3], 0 offset:140
	buffer_load_dword v140, off, s[0:3], 0 offset:160
	;; [unrolled: 1-line block ×8, first 2 shown]
	s_waitcnt vmcnt(24) lgkmcnt(0)
	v_fma_f64 v[126:127], v[146:147], v[130:131], v[126:127]
	s_waitcnt vmcnt(19)
	v_fma_f64 v[146:147], v[148:149], v[132:133], v[126:127]
	ds_read_b128 v[126:129], v125 offset:576
	ds_read_b128 v[130:133], v125 offset:592
	s_waitcnt vmcnt(18) lgkmcnt(1)
	v_fma_f64 v[126:127], v[154:155], v[126:127], v[146:147]
	s_waitcnt vmcnt(17)
	v_fma_f64 v[126:127], v[152:153], v[128:129], v[126:127]
	buffer_load_dword v147, off, s[0:3], 0 offset:172
	buffer_load_dword v148, off, s[0:3], 0 offset:192
	;; [unrolled: 1-line block ×7, first 2 shown]
	s_waitcnt vmcnt(23) lgkmcnt(0)
	v_fma_f64 v[126:127], v[150:151], v[130:131], v[126:127]
	s_waitcnt vmcnt(18)
	v_fma_f64 v[134:135], v[134:135], v[132:133], v[126:127]
	ds_read_b128 v[126:129], v125 offset:608
	ds_read_b128 v[130:133], v125 offset:624
	buffer_load_dword v149, off, s[0:3], 0 offset:196
	s_waitcnt vmcnt(18) lgkmcnt(1)
	v_fma_f64 v[126:127], v[158:159], v[126:127], v[134:135]
	s_waitcnt vmcnt(17)
	v_fma_f64 v[126:127], v[156:157], v[128:129], v[126:127]
	buffer_load_dword v135, off, s[0:3], 0 offset:204
	buffer_load_dword v150, off, s[0:3], 0 offset:224
	;; [unrolled: 1-line block ×8, first 2 shown]
	s_waitcnt vmcnt(24) lgkmcnt(0)
	v_fma_f64 v[126:127], v[136:137], v[130:131], v[126:127]
	s_waitcnt vmcnt(19)
	v_fma_f64 v[136:137], v[138:139], v[132:133], v[126:127]
	ds_read_b128 v[126:129], v125 offset:640
	ds_read_b128 v[130:133], v125 offset:656
	s_waitcnt vmcnt(18) lgkmcnt(1)
	v_fma_f64 v[126:127], v[144:145], v[126:127], v[136:137]
	s_waitcnt vmcnt(17)
	v_fma_f64 v[126:127], v[142:143], v[128:129], v[126:127]
	buffer_load_dword v137, off, s[0:3], 0 offset:236
	buffer_load_dword v138, off, s[0:3], 0 offset:256
	;; [unrolled: 1-line block ×7, first 2 shown]
	s_waitcnt vmcnt(23) lgkmcnt(0)
	v_fma_f64 v[126:127], v[140:141], v[130:131], v[126:127]
	s_waitcnt vmcnt(18)
	v_fma_f64 v[139:140], v[146:147], v[132:133], v[126:127]
	ds_read_b128 v[126:129], v125 offset:672
	ds_read_b128 v[130:133], v125 offset:688
	s_waitcnt vmcnt(17) lgkmcnt(1)
	v_fma_f64 v[126:127], v[154:155], v[126:127], v[139:140]
	buffer_load_dword v139, off, s[0:3], 0 offset:260
	s_waitcnt vmcnt(17)
	v_fma_f64 v[126:127], v[152:153], v[128:129], v[126:127]
	buffer_load_dword v141, off, s[0:3], 0 offset:268
	buffer_load_dword v146, off, s[0:3], 0 offset:288
	buffer_load_dword v152, off, s[0:3], 0 offset:280
	buffer_load_dword v154, off, s[0:3], 0 offset:272
	buffer_load_dword v140, off, s[0:3], 0 offset:264
	buffer_load_dword v155, off, s[0:3], 0 offset:276
	buffer_load_dword v153, off, s[0:3], 0 offset:284
	s_waitcnt vmcnt(23) lgkmcnt(0)
	v_fma_f64 v[126:127], v[148:149], v[130:131], v[126:127]
	s_waitcnt vmcnt(18)
	v_fma_f64 v[134:135], v[134:135], v[132:133], v[126:127]
	ds_read_b128 v[126:129], v125 offset:704
	ds_read_b128 v[130:133], v125 offset:720
	buffer_load_dword v147, off, s[0:3], 0 offset:292
	s_waitcnt vmcnt(18) lgkmcnt(1)
	v_fma_f64 v[126:127], v[158:159], v[126:127], v[134:135]
	s_waitcnt vmcnt(17)
	v_fma_f64 v[126:127], v[156:157], v[128:129], v[126:127]
	buffer_load_dword v135, off, s[0:3], 0 offset:300
	buffer_load_dword v148, off, s[0:3], 0 offset:320
	;; [unrolled: 1-line block ×8, first 2 shown]
	s_waitcnt vmcnt(24) lgkmcnt(0)
	v_fma_f64 v[126:127], v[150:151], v[130:131], v[126:127]
	s_waitcnt vmcnt(19)
	v_fma_f64 v[136:137], v[136:137], v[132:133], v[126:127]
	ds_read_b128 v[126:129], v125 offset:736
	ds_read_b128 v[130:133], v125 offset:752
	s_waitcnt vmcnt(18) lgkmcnt(1)
	v_fma_f64 v[126:127], v[144:145], v[126:127], v[136:137]
	s_waitcnt vmcnt(17)
	v_fma_f64 v[126:127], v[142:143], v[128:129], v[126:127]
	buffer_load_dword v137, off, s[0:3], 0 offset:332
	buffer_load_dword v142, off, s[0:3], 0 offset:352
	;; [unrolled: 1-line block ×8, first 2 shown]
	s_waitcnt vmcnt(24) lgkmcnt(0)
	v_fma_f64 v[126:127], v[138:139], v[130:131], v[126:127]
	s_waitcnt vmcnt(19)
	v_fma_f64 v[138:139], v[140:141], v[132:133], v[126:127]
	ds_read_b128 v[126:129], v125 offset:768
	ds_read_b128 v[130:133], v125 offset:784
	s_waitcnt vmcnt(18) lgkmcnt(1)
	v_fma_f64 v[126:127], v[154:155], v[126:127], v[138:139]
	s_waitcnt vmcnt(17)
	v_fma_f64 v[126:127], v[152:153], v[128:129], v[126:127]
	buffer_load_dword v139, off, s[0:3], 0 offset:364
	buffer_load_dword v140, off, s[0:3], 0 offset:384
	;; [unrolled: 1-line block ×7, first 2 shown]
	s_waitcnt vmcnt(23) lgkmcnt(0)
	v_fma_f64 v[126:127], v[146:147], v[130:131], v[126:127]
	s_waitcnt vmcnt(18)
	v_fma_f64 v[134:135], v[134:135], v[132:133], v[126:127]
	ds_read_b128 v[126:129], v125 offset:800
	ds_read_b128 v[130:133], v125 offset:816
	buffer_load_dword v141, off, s[0:3], 0 offset:388
	s_waitcnt vmcnt(18) lgkmcnt(1)
	v_fma_f64 v[126:127], v[158:159], v[126:127], v[134:135]
	s_waitcnt vmcnt(17)
	v_fma_f64 v[126:127], v[156:157], v[128:129], v[126:127]
	buffer_load_dword v135, off, s[0:3], 0 offset:396
	buffer_load_dword v146, off, s[0:3], 0 offset:416
	buffer_load_dword v156, off, s[0:3], 0 offset:408
	buffer_load_dword v158, off, s[0:3], 0 offset:400
	buffer_load_dword v134, off, s[0:3], 0 offset:392
	buffer_load_dword v159, off, s[0:3], 0 offset:404
	buffer_load_dword v157, off, s[0:3], 0 offset:412
	buffer_load_dword v147, off, s[0:3], 0 offset:420
	s_waitcnt vmcnt(24) lgkmcnt(0)
	v_fma_f64 v[126:127], v[148:149], v[130:131], v[126:127]
	s_waitcnt vmcnt(19)
	v_fma_f64 v[136:137], v[136:137], v[132:133], v[126:127]
	ds_read_b128 v[126:129], v125 offset:832
	ds_read_b128 v[130:133], v125 offset:848
	s_waitcnt vmcnt(18) lgkmcnt(1)
	v_fma_f64 v[126:127], v[150:151], v[126:127], v[136:137]
	s_waitcnt vmcnt(17)
	v_fma_f64 v[126:127], v[144:145], v[128:129], v[126:127]
	buffer_load_dword v137, off, s[0:3], 0 offset:428
	buffer_load_dword v144, off, s[0:3], 0 offset:448
	buffer_load_dword v148, off, s[0:3], 0 offset:440
	buffer_load_dword v150, off, s[0:3], 0 offset:432
	buffer_load_dword v136, off, s[0:3], 0 offset:424
	buffer_load_dword v151, off, s[0:3], 0 offset:436
	buffer_load_dword v149, off, s[0:3], 0 offset:444
	buffer_load_dword v145, off, s[0:3], 0 offset:452
	s_waitcnt vmcnt(24) lgkmcnt(0)
	v_fma_f64 v[126:127], v[142:143], v[130:131], v[126:127]
	s_waitcnt vmcnt(19)
	v_fma_f64 v[138:139], v[138:139], v[132:133], v[126:127]
	ds_read_b128 v[126:129], v125 offset:864
	ds_read_b128 v[130:133], v125 offset:880
	;; [unrolled: 18-line block ×3, first 2 shown]
	s_waitcnt vmcnt(18) lgkmcnt(1)
	v_fma_f64 v[126:127], v[158:159], v[126:127], v[134:135]
	buffer_load_dword v134, off, s[0:3], 0 offset:8
	buffer_load_dword v135, off, s[0:3], 0 offset:12
	s_waitcnt vmcnt(19)
	v_fma_f64 v[126:127], v[156:157], v[128:129], v[126:127]
	s_waitcnt vmcnt(18) lgkmcnt(0)
	v_fma_f64 v[126:127], v[146:147], v[130:131], v[126:127]
	s_waitcnt vmcnt(13)
	v_fma_f64 v[136:137], v[136:137], v[132:133], v[126:127]
	ds_read_b128 v[126:129], v125 offset:928
	ds_read_b128 v[130:133], v125 offset:944
	s_waitcnt vmcnt(12) lgkmcnt(1)
	v_fma_f64 v[126:127], v[150:151], v[126:127], v[136:137]
	s_waitcnt vmcnt(11)
	v_fma_f64 v[126:127], v[148:149], v[128:129], v[126:127]
	s_waitcnt vmcnt(10) lgkmcnt(0)
	v_fma_f64 v[126:127], v[144:145], v[130:131], v[126:127]
	s_waitcnt vmcnt(5)
	v_fma_f64 v[130:131], v[138:139], v[132:133], v[126:127]
	ds_read_b128 v[126:129], v125 offset:960
	ds_read_b64 v[132:133], v125 offset:976
	s_waitcnt vmcnt(4) lgkmcnt(1)
	v_fma_f64 v[126:127], v[154:155], v[126:127], v[130:131]
	s_waitcnt vmcnt(3)
	v_fma_f64 v[126:127], v[152:153], v[128:129], v[126:127]
	s_waitcnt vmcnt(2) lgkmcnt(0)
	v_fma_f64 v[126:127], v[142:143], v[132:133], v[126:127]
	s_waitcnt vmcnt(0)
	v_add_f64 v[126:127], v[134:135], -v[126:127]
	buffer_store_dword v127, off, s[0:3], 0 offset:12
	buffer_store_dword v126, off, s[0:3], 0 offset:8
	s_and_saveexec_b64 s[4:5], vcc
	s_cbranch_execz .LBB124_373
; %bb.372:
	buffer_load_dword v126, off, s[0:3], 0
	buffer_load_dword v127, off, s[0:3], 0 offset:4
	s_waitcnt vmcnt(0)
	ds_write_b64 v123, v[126:127]
	buffer_store_dword v125, off, s[0:3], 0
	buffer_store_dword v125, off, s[0:3], 0 offset:4
.LBB124_373:
	s_or_b64 exec, exec, s[4:5]
	s_waitcnt lgkmcnt(0)
	; wave barrier
	buffer_load_dword v123, off, s[0:3], 0 offset:8
	buffer_load_dword v124, off, s[0:3], 0 offset:12
	;; [unrolled: 1-line block ×21, first 2 shown]
	ds_read2_b64 v[126:129], v125 offset0:63 offset1:64
	ds_read2_b64 v[130:133], v125 offset0:65 offset1:66
	buffer_load_dword v149, off, s[0:3], 0 offset:92
	s_and_b64 vcc, exec, s[14:15]
	s_waitcnt vmcnt(20) lgkmcnt(1)
	v_fma_f64 v[123:124], v[123:124], v[126:127], 0
	s_waitcnt vmcnt(18)
	v_fma_f64 v[123:124], v[134:135], v[128:129], v[123:124]
	buffer_load_dword v135, off, s[0:3], 0 offset:100
	buffer_load_dword v154, off, s[0:3], 0 offset:120
	buffer_load_dword v156, off, s[0:3], 0 offset:112
	buffer_load_dword v158, off, s[0:3], 0 offset:104
	buffer_load_dword v134, off, s[0:3], 0 offset:96
	buffer_load_dword v159, off, s[0:3], 0 offset:108
	buffer_load_dword v157, off, s[0:3], 0 offset:116
	buffer_load_dword v155, off, s[0:3], 0 offset:124
	ds_read2_b64 v[126:129], v125 offset0:67 offset1:68
	s_waitcnt vmcnt(24) lgkmcnt(1)
	v_fma_f64 v[123:124], v[136:137], v[130:131], v[123:124]
	s_waitcnt vmcnt(22)
	v_fma_f64 v[123:124], v[138:139], v[132:133], v[123:124]
	ds_read2_b64 v[130:133], v125 offset0:69 offset1:70
	s_waitcnt vmcnt(20) lgkmcnt(1)
	v_fma_f64 v[123:124], v[140:141], v[126:127], v[123:124]
	s_waitcnt vmcnt(18)
	v_fma_f64 v[123:124], v[142:143], v[128:129], v[123:124]
	buffer_load_dword v137, off, s[0:3], 0 offset:132
	buffer_load_dword v138, off, s[0:3], 0 offset:152
	buffer_load_dword v140, off, s[0:3], 0 offset:144
	buffer_load_dword v142, off, s[0:3], 0 offset:136
	buffer_load_dword v136, off, s[0:3], 0 offset:128
	buffer_load_dword v143, off, s[0:3], 0 offset:140
	buffer_load_dword v141, off, s[0:3], 0 offset:148
	buffer_load_dword v139, off, s[0:3], 0 offset:156
	ds_read2_b64 v[126:129], v125 offset0:71 offset1:72
	s_waitcnt vmcnt(24) lgkmcnt(1)
	v_fma_f64 v[123:124], v[144:145], v[130:131], v[123:124]
	s_waitcnt vmcnt(19)
	v_fma_f64 v[123:124], v[146:147], v[132:133], v[123:124]
	ds_read2_b64 v[130:133], v125 offset0:73 offset1:74
	s_waitcnt vmcnt(18) lgkmcnt(1)
	v_fma_f64 v[123:124], v[152:153], v[126:127], v[123:124]
	s_waitcnt vmcnt(17)
	v_fma_f64 v[123:124], v[150:151], v[128:129], v[123:124]
	buffer_load_dword v145, off, s[0:3], 0 offset:164
	buffer_load_dword v146, off, s[0:3], 0 offset:184
	buffer_load_dword v150, off, s[0:3], 0 offset:176
	buffer_load_dword v152, off, s[0:3], 0 offset:168
	buffer_load_dword v144, off, s[0:3], 0 offset:160
	buffer_load_dword v153, off, s[0:3], 0 offset:172
	buffer_load_dword v151, off, s[0:3], 0 offset:180
	s_waitcnt vmcnt(23) lgkmcnt(0)
	v_fma_f64 v[123:124], v[148:149], v[130:131], v[123:124]
	s_waitcnt vmcnt(18)
	v_fma_f64 v[123:124], v[134:135], v[132:133], v[123:124]
	ds_read2_b64 v[126:129], v125 offset0:75 offset1:76
	ds_read2_b64 v[130:133], v125 offset0:77 offset1:78
	buffer_load_dword v147, off, s[0:3], 0 offset:188
	s_waitcnt vmcnt(18) lgkmcnt(1)
	v_fma_f64 v[123:124], v[158:159], v[126:127], v[123:124]
	s_waitcnt vmcnt(17)
	v_fma_f64 v[123:124], v[156:157], v[128:129], v[123:124]
	buffer_load_dword v135, off, s[0:3], 0 offset:196
	buffer_load_dword v148, off, s[0:3], 0 offset:216
	buffer_load_dword v156, off, s[0:3], 0 offset:208
	buffer_load_dword v158, off, s[0:3], 0 offset:200
	buffer_load_dword v134, off, s[0:3], 0 offset:192
	buffer_load_dword v159, off, s[0:3], 0 offset:204
	buffer_load_dword v157, off, s[0:3], 0 offset:212
	buffer_load_dword v149, off, s[0:3], 0 offset:220
	ds_read2_b64 v[126:129], v125 offset0:79 offset1:80
	s_waitcnt vmcnt(24) lgkmcnt(1)
	v_fma_f64 v[123:124], v[154:155], v[130:131], v[123:124]
	s_waitcnt vmcnt(19)
	v_fma_f64 v[123:124], v[136:137], v[132:133], v[123:124]
	ds_read2_b64 v[130:133], v125 offset0:81 offset1:82
	s_waitcnt vmcnt(18) lgkmcnt(1)
	v_fma_f64 v[123:124], v[142:143], v[126:127], v[123:124]
	s_waitcnt vmcnt(17)
	v_fma_f64 v[123:124], v[140:141], v[128:129], v[123:124]
	buffer_load_dword v137, off, s[0:3], 0 offset:228
	buffer_load_dword v140, off, s[0:3], 0 offset:248
	buffer_load_dword v142, off, s[0:3], 0 offset:240
	buffer_load_dword v154, off, s[0:3], 0 offset:232
	buffer_load_dword v136, off, s[0:3], 0 offset:224
	buffer_load_dword v155, off, s[0:3], 0 offset:236
	buffer_load_dword v143, off, s[0:3], 0 offset:244
	buffer_load_dword v141, off, s[0:3], 0 offset:252
	ds_read2_b64 v[126:129], v125 offset0:83 offset1:84
	s_waitcnt vmcnt(24) lgkmcnt(1)
	v_fma_f64 v[123:124], v[138:139], v[130:131], v[123:124]
	s_waitcnt vmcnt(19)
	v_fma_f64 v[123:124], v[144:145], v[132:133], v[123:124]
	ds_read2_b64 v[130:133], v125 offset0:85 offset1:86
	s_waitcnt vmcnt(18) lgkmcnt(1)
	v_fma_f64 v[123:124], v[152:153], v[126:127], v[123:124]
	s_waitcnt vmcnt(17)
	v_fma_f64 v[123:124], v[150:151], v[128:129], v[123:124]
	buffer_load_dword v139, off, s[0:3], 0 offset:260
	buffer_load_dword v144, off, s[0:3], 0 offset:280
	buffer_load_dword v150, off, s[0:3], 0 offset:272
	buffer_load_dword v152, off, s[0:3], 0 offset:264
	buffer_load_dword v138, off, s[0:3], 0 offset:256
	buffer_load_dword v153, off, s[0:3], 0 offset:268
	buffer_load_dword v151, off, s[0:3], 0 offset:276
	s_waitcnt vmcnt(23) lgkmcnt(0)
	v_fma_f64 v[123:124], v[146:147], v[130:131], v[123:124]
	s_waitcnt vmcnt(18)
	v_fma_f64 v[123:124], v[134:135], v[132:133], v[123:124]
	ds_read2_b64 v[126:129], v125 offset0:87 offset1:88
	ds_read2_b64 v[130:133], v125 offset0:89 offset1:90
	buffer_load_dword v145, off, s[0:3], 0 offset:284
	;; [unrolled: 54-line block ×3, first 2 shown]
	s_waitcnt vmcnt(18) lgkmcnt(1)
	v_fma_f64 v[123:124], v[158:159], v[126:127], v[123:124]
	s_waitcnt vmcnt(17)
	v_fma_f64 v[123:124], v[156:157], v[128:129], v[123:124]
	buffer_load_dword v135, off, s[0:3], 0 offset:388
	buffer_load_dword v144, off, s[0:3], 0 offset:408
	;; [unrolled: 1-line block ×8, first 2 shown]
	ds_read2_b64 v[126:129], v125 offset0:103 offset1:104
	s_waitcnt vmcnt(24) lgkmcnt(1)
	v_fma_f64 v[123:124], v[146:147], v[130:131], v[123:124]
	s_waitcnt vmcnt(19)
	v_fma_f64 v[123:124], v[136:137], v[132:133], v[123:124]
	ds_read2_b64 v[130:133], v125 offset0:105 offset1:106
	s_waitcnt vmcnt(18) lgkmcnt(1)
	v_fma_f64 v[123:124], v[154:155], v[126:127], v[123:124]
	s_waitcnt vmcnt(17)
	v_fma_f64 v[123:124], v[148:149], v[128:129], v[123:124]
	buffer_load_dword v137, off, s[0:3], 0 offset:420
	buffer_load_dword v146, off, s[0:3], 0 offset:440
	;; [unrolled: 1-line block ×8, first 2 shown]
	ds_read2_b64 v[126:129], v125 offset0:107 offset1:108
	s_waitcnt vmcnt(24) lgkmcnt(1)
	v_fma_f64 v[123:124], v[142:143], v[130:131], v[123:124]
	s_waitcnt vmcnt(19)
	v_fma_f64 v[123:124], v[138:139], v[132:133], v[123:124]
	ds_read2_b64 v[130:133], v125 offset0:109 offset1:110
	s_waitcnt vmcnt(18) lgkmcnt(1)
	v_fma_f64 v[123:124], v[152:153], v[126:127], v[123:124]
	s_waitcnt vmcnt(17)
	v_fma_f64 v[126:127], v[150:151], v[128:129], v[123:124]
	buffer_load_dword v139, off, s[0:3], 0 offset:452
	buffer_load_dword v123, off, s[0:3], 0 offset:472
	;; [unrolled: 1-line block ×8, first 2 shown]
	s_waitcnt vmcnt(24) lgkmcnt(0)
	v_fma_f64 v[126:127], v[140:141], v[130:131], v[126:127]
	s_waitcnt vmcnt(19)
	v_fma_f64 v[134:135], v[134:135], v[132:133], v[126:127]
	ds_read2_b64 v[126:129], v125 offset0:111 offset1:112
	ds_read2_b64 v[130:133], v125 offset0:113 offset1:114
	s_waitcnt vmcnt(18) lgkmcnt(1)
	v_fma_f64 v[126:127], v[158:159], v[126:127], v[134:135]
	buffer_load_dword v135, off, s[0:3], 0 offset:484
	buffer_load_dword v134, off, s[0:3], 0 offset:480
	buffer_load_dword v140, off, s[0:3], 0
	buffer_load_dword v141, off, s[0:3], 0 offset:4
	s_waitcnt vmcnt(21)
	v_fma_f64 v[126:127], v[156:157], v[128:129], v[126:127]
	s_waitcnt vmcnt(20) lgkmcnt(0)
	v_fma_f64 v[126:127], v[144:145], v[130:131], v[126:127]
	s_waitcnt vmcnt(15)
	v_fma_f64 v[136:137], v[136:137], v[132:133], v[126:127]
	ds_read2_b64 v[126:129], v125 offset0:115 offset1:116
	ds_read2_b64 v[130:133], v125 offset0:117 offset1:118
	s_waitcnt vmcnt(14) lgkmcnt(1)
	v_fma_f64 v[126:127], v[154:155], v[126:127], v[136:137]
	s_waitcnt vmcnt(13)
	v_fma_f64 v[126:127], v[148:149], v[128:129], v[126:127]
	s_waitcnt vmcnt(12) lgkmcnt(0)
	v_fma_f64 v[126:127], v[146:147], v[130:131], v[126:127]
	s_waitcnt vmcnt(7)
	v_fma_f64 v[136:137], v[138:139], v[132:133], v[126:127]
	ds_read2_b64 v[126:129], v125 offset0:119 offset1:120
	ds_read2_b64 v[130:133], v125 offset0:121 offset1:122
	s_waitcnt vmcnt(6) lgkmcnt(1)
	v_fma_f64 v[125:126], v[150:151], v[126:127], v[136:137]
	s_waitcnt vmcnt(5)
	v_fma_f64 v[125:126], v[142:143], v[128:129], v[125:126]
	s_waitcnt vmcnt(4) lgkmcnt(0)
	v_fma_f64 v[125:126], v[123:124], v[130:131], v[125:126]
	s_waitcnt vmcnt(2)
	v_fma_f64 v[125:126], v[134:135], v[132:133], v[125:126]
	s_waitcnt vmcnt(0)
	v_add_f64 v[125:126], v[140:141], -v[125:126]
	buffer_store_dword v126, off, s[0:3], 0 offset:4
	buffer_store_dword v125, off, s[0:3], 0
	s_cbranch_vccz .LBB124_494
; %bb.374:
	v_mov_b32_e32 v0, 0
	global_load_dword v125, v0, s[12:13] offset:236
	s_waitcnt vmcnt(0)
	v_add_u32_e32 v125, -1, v125
	v_cmp_ne_u32_e32 vcc, 59, v125
	s_cbranch_vccz .LBB124_376
; %bb.375:
	v_lshlrev_b32_e32 v125, 3, v125
	buffer_load_dword v126, v125, s[0:3], 0 offen
	buffer_load_dword v127, v125, s[0:3], 0 offen offset:4
	s_waitcnt vmcnt(1)
	buffer_store_dword v126, off, s[0:3], 0 offset:472
	s_waitcnt vmcnt(1)
	buffer_store_dword v127, off, s[0:3], 0 offset:476
	buffer_store_dword v123, v125, s[0:3], 0 offen
	buffer_store_dword v124, v125, s[0:3], 0 offen offset:4
.LBB124_376:
	global_load_dword v0, v0, s[12:13] offset:232
	s_waitcnt vmcnt(0)
	v_add_u32_e32 v0, -1, v0
	v_cmp_eq_u32_e32 vcc, 58, v0
	s_cbranch_vccnz .LBB124_378
; %bb.377:
	v_lshlrev_b32_e32 v0, 3, v0
	buffer_load_dword v123, v0, s[0:3], 0 offen
	buffer_load_dword v124, v0, s[0:3], 0 offen offset:4
	buffer_load_dword v125, off, s[0:3], 0 offset:468
	buffer_load_dword v126, off, s[0:3], 0 offset:464
	s_waitcnt vmcnt(3)
	buffer_store_dword v123, off, s[0:3], 0 offset:464
	s_waitcnt vmcnt(3)
	buffer_store_dword v124, off, s[0:3], 0 offset:468
	s_waitcnt vmcnt(3)
	buffer_store_dword v125, v0, s[0:3], 0 offen offset:4
	s_waitcnt vmcnt(3)
	buffer_store_dword v126, v0, s[0:3], 0 offen
.LBB124_378:
	v_mov_b32_e32 v0, 0
	global_load_dword v123, v0, s[12:13] offset:228
	s_waitcnt vmcnt(0)
	v_add_u32_e32 v123, -1, v123
	v_cmp_eq_u32_e32 vcc, 57, v123
	s_cbranch_vccnz .LBB124_380
; %bb.379:
	v_lshlrev_b32_e32 v123, 3, v123
	buffer_load_dword v124, v123, s[0:3], 0 offen
	buffer_load_dword v125, v123, s[0:3], 0 offen offset:4
	buffer_load_dword v126, off, s[0:3], 0 offset:456
	buffer_load_dword v127, off, s[0:3], 0 offset:460
	s_waitcnt vmcnt(3)
	buffer_store_dword v124, off, s[0:3], 0 offset:456
	s_waitcnt vmcnt(3)
	buffer_store_dword v125, off, s[0:3], 0 offset:460
	s_waitcnt vmcnt(3)
	buffer_store_dword v126, v123, s[0:3], 0 offen
	s_waitcnt vmcnt(3)
	buffer_store_dword v127, v123, s[0:3], 0 offen offset:4
.LBB124_380:
	global_load_dword v0, v0, s[12:13] offset:224
	s_waitcnt vmcnt(0)
	v_add_u32_e32 v0, -1, v0
	v_cmp_eq_u32_e32 vcc, 56, v0
	s_cbranch_vccnz .LBB124_382
; %bb.381:
	v_lshlrev_b32_e32 v0, 3, v0
	buffer_load_dword v123, v0, s[0:3], 0 offen
	buffer_load_dword v124, v0, s[0:3], 0 offen offset:4
	buffer_load_dword v125, off, s[0:3], 0 offset:452
	buffer_load_dword v126, off, s[0:3], 0 offset:448
	s_waitcnt vmcnt(3)
	buffer_store_dword v123, off, s[0:3], 0 offset:448
	s_waitcnt vmcnt(3)
	buffer_store_dword v124, off, s[0:3], 0 offset:452
	s_waitcnt vmcnt(3)
	buffer_store_dword v125, v0, s[0:3], 0 offen offset:4
	s_waitcnt vmcnt(3)
	buffer_store_dword v126, v0, s[0:3], 0 offen
.LBB124_382:
	v_mov_b32_e32 v0, 0
	global_load_dword v123, v0, s[12:13] offset:220
	s_waitcnt vmcnt(0)
	v_add_u32_e32 v123, -1, v123
	v_cmp_eq_u32_e32 vcc, 55, v123
	s_cbranch_vccnz .LBB124_384
; %bb.383:
	v_lshlrev_b32_e32 v123, 3, v123
	buffer_load_dword v124, v123, s[0:3], 0 offen
	buffer_load_dword v125, v123, s[0:3], 0 offen offset:4
	buffer_load_dword v126, off, s[0:3], 0 offset:440
	buffer_load_dword v127, off, s[0:3], 0 offset:444
	s_waitcnt vmcnt(3)
	buffer_store_dword v124, off, s[0:3], 0 offset:440
	s_waitcnt vmcnt(3)
	buffer_store_dword v125, off, s[0:3], 0 offset:444
	s_waitcnt vmcnt(3)
	buffer_store_dword v126, v123, s[0:3], 0 offen
	s_waitcnt vmcnt(3)
	buffer_store_dword v127, v123, s[0:3], 0 offen offset:4
.LBB124_384:
	;; [unrolled: 41-line block ×29, first 2 shown]
	global_load_dword v0, v0, s[12:13]
	s_nop 0
	buffer_load_dword v125, off, s[0:3], 0
	buffer_load_dword v126, off, s[0:3], 0 offset:4
	s_waitcnt vmcnt(2)
	v_add_u32_e32 v0, -1, v0
	v_cmp_eq_u32_e32 vcc, 0, v0
	s_cbranch_vccnz .LBB124_494
; %bb.493:
	v_lshlrev_b32_e32 v0, 3, v0
	buffer_load_dword v123, v0, s[0:3], 0 offen offset:4
	buffer_load_dword v124, v0, s[0:3], 0 offen
	s_waitcnt vmcnt(1)
	buffer_store_dword v123, off, s[0:3], 0 offset:4
	s_waitcnt vmcnt(1)
	buffer_store_dword v124, off, s[0:3], 0
	buffer_store_dword v126, v0, s[0:3], 0 offen offset:4
	buffer_store_dword v125, v0, s[0:3], 0 offen
	buffer_load_dword v125, off, s[0:3], 0
	s_nop 0
	buffer_load_dword v126, off, s[0:3], 0 offset:4
.LBB124_494:
	s_waitcnt vmcnt(0)
	flat_store_dwordx2 v[1:2], v[125:126]
	buffer_load_dword v0, off, s[0:3], 0 offset:8
	s_nop 0
	buffer_load_dword v1, off, s[0:3], 0 offset:12
	s_waitcnt vmcnt(0)
	flat_store_dwordx2 v[3:4], v[0:1]
	buffer_load_dword v0, off, s[0:3], 0 offset:16
	s_nop 0
	buffer_load_dword v1, off, s[0:3], 0 offset:20
	;; [unrolled: 5-line block ×60, first 2 shown]
	s_waitcnt vmcnt(0)
	flat_store_dwordx2 v[121:122], v[0:1]
	s_endpgm
	.section	.rodata,"a",@progbits
	.p2align	6, 0x0
	.amdhsa_kernel _ZN9rocsolver6v33100L18getri_kernel_smallILi61EdPKPdEEvT1_iilPiilS6_bb
		.amdhsa_group_segment_fixed_size 984
		.amdhsa_private_segment_fixed_size 496
		.amdhsa_kernarg_size 60
		.amdhsa_user_sgpr_count 6
		.amdhsa_user_sgpr_private_segment_buffer 1
		.amdhsa_user_sgpr_dispatch_ptr 0
		.amdhsa_user_sgpr_queue_ptr 0
		.amdhsa_user_sgpr_kernarg_segment_ptr 1
		.amdhsa_user_sgpr_dispatch_id 0
		.amdhsa_user_sgpr_flat_scratch_init 0
		.amdhsa_user_sgpr_private_segment_size 0
		.amdhsa_uses_dynamic_stack 0
		.amdhsa_system_sgpr_private_segment_wavefront_offset 1
		.amdhsa_system_sgpr_workgroup_id_x 1
		.amdhsa_system_sgpr_workgroup_id_y 0
		.amdhsa_system_sgpr_workgroup_id_z 0
		.amdhsa_system_sgpr_workgroup_info 0
		.amdhsa_system_vgpr_workitem_id 0
		.amdhsa_next_free_vgpr 160
		.amdhsa_next_free_sgpr 21
		.amdhsa_reserve_vcc 1
		.amdhsa_reserve_flat_scratch 0
		.amdhsa_float_round_mode_32 0
		.amdhsa_float_round_mode_16_64 0
		.amdhsa_float_denorm_mode_32 3
		.amdhsa_float_denorm_mode_16_64 3
		.amdhsa_dx10_clamp 1
		.amdhsa_ieee_mode 1
		.amdhsa_fp16_overflow 0
		.amdhsa_exception_fp_ieee_invalid_op 0
		.amdhsa_exception_fp_denorm_src 0
		.amdhsa_exception_fp_ieee_div_zero 0
		.amdhsa_exception_fp_ieee_overflow 0
		.amdhsa_exception_fp_ieee_underflow 0
		.amdhsa_exception_fp_ieee_inexact 0
		.amdhsa_exception_int_div_zero 0
	.end_amdhsa_kernel
	.section	.text._ZN9rocsolver6v33100L18getri_kernel_smallILi61EdPKPdEEvT1_iilPiilS6_bb,"axG",@progbits,_ZN9rocsolver6v33100L18getri_kernel_smallILi61EdPKPdEEvT1_iilPiilS6_bb,comdat
.Lfunc_end124:
	.size	_ZN9rocsolver6v33100L18getri_kernel_smallILi61EdPKPdEEvT1_iilPiilS6_bb, .Lfunc_end124-_ZN9rocsolver6v33100L18getri_kernel_smallILi61EdPKPdEEvT1_iilPiilS6_bb
                                        ; -- End function
	.set _ZN9rocsolver6v33100L18getri_kernel_smallILi61EdPKPdEEvT1_iilPiilS6_bb.num_vgpr, 160
	.set _ZN9rocsolver6v33100L18getri_kernel_smallILi61EdPKPdEEvT1_iilPiilS6_bb.num_agpr, 0
	.set _ZN9rocsolver6v33100L18getri_kernel_smallILi61EdPKPdEEvT1_iilPiilS6_bb.numbered_sgpr, 21
	.set _ZN9rocsolver6v33100L18getri_kernel_smallILi61EdPKPdEEvT1_iilPiilS6_bb.num_named_barrier, 0
	.set _ZN9rocsolver6v33100L18getri_kernel_smallILi61EdPKPdEEvT1_iilPiilS6_bb.private_seg_size, 496
	.set _ZN9rocsolver6v33100L18getri_kernel_smallILi61EdPKPdEEvT1_iilPiilS6_bb.uses_vcc, 1
	.set _ZN9rocsolver6v33100L18getri_kernel_smallILi61EdPKPdEEvT1_iilPiilS6_bb.uses_flat_scratch, 0
	.set _ZN9rocsolver6v33100L18getri_kernel_smallILi61EdPKPdEEvT1_iilPiilS6_bb.has_dyn_sized_stack, 0
	.set _ZN9rocsolver6v33100L18getri_kernel_smallILi61EdPKPdEEvT1_iilPiilS6_bb.has_recursion, 0
	.set _ZN9rocsolver6v33100L18getri_kernel_smallILi61EdPKPdEEvT1_iilPiilS6_bb.has_indirect_call, 0
	.section	.AMDGPU.csdata,"",@progbits
; Kernel info:
; codeLenInByte = 88964
; TotalNumSgprs: 25
; NumVgprs: 160
; ScratchSize: 496
; MemoryBound: 1
; FloatMode: 240
; IeeeMode: 1
; LDSByteSize: 984 bytes/workgroup (compile time only)
; SGPRBlocks: 3
; VGPRBlocks: 39
; NumSGPRsForWavesPerEU: 25
; NumVGPRsForWavesPerEU: 160
; Occupancy: 1
; WaveLimiterHint : 1
; COMPUTE_PGM_RSRC2:SCRATCH_EN: 1
; COMPUTE_PGM_RSRC2:USER_SGPR: 6
; COMPUTE_PGM_RSRC2:TRAP_HANDLER: 0
; COMPUTE_PGM_RSRC2:TGID_X_EN: 1
; COMPUTE_PGM_RSRC2:TGID_Y_EN: 0
; COMPUTE_PGM_RSRC2:TGID_Z_EN: 0
; COMPUTE_PGM_RSRC2:TIDIG_COMP_CNT: 0
	.section	.text._ZN9rocsolver6v33100L18getri_kernel_smallILi62EdPKPdEEvT1_iilPiilS6_bb,"axG",@progbits,_ZN9rocsolver6v33100L18getri_kernel_smallILi62EdPKPdEEvT1_iilPiilS6_bb,comdat
	.globl	_ZN9rocsolver6v33100L18getri_kernel_smallILi62EdPKPdEEvT1_iilPiilS6_bb ; -- Begin function _ZN9rocsolver6v33100L18getri_kernel_smallILi62EdPKPdEEvT1_iilPiilS6_bb
	.p2align	8
	.type	_ZN9rocsolver6v33100L18getri_kernel_smallILi62EdPKPdEEvT1_iilPiilS6_bb,@function
_ZN9rocsolver6v33100L18getri_kernel_smallILi62EdPKPdEEvT1_iilPiilS6_bb: ; @_ZN9rocsolver6v33100L18getri_kernel_smallILi62EdPKPdEEvT1_iilPiilS6_bb
; %bb.0:
	s_add_u32 s0, s0, s7
	s_addc_u32 s1, s1, 0
	v_cmp_gt_u32_e32 vcc, 62, v0
	s_and_saveexec_b64 s[8:9], vcc
	s_cbranch_execz .LBB125_256
; %bb.1:
	s_load_dword s18, s[4:5], 0x38
	s_load_dwordx2 s[12:13], s[4:5], 0x0
	s_load_dwordx4 s[8:11], s[4:5], 0x28
	s_waitcnt lgkmcnt(0)
	s_bitcmp1_b32 s18, 8
	s_cselect_b64 s[14:15], -1, 0
	s_ashr_i32 s7, s6, 31
	s_lshl_b64 s[16:17], s[6:7], 3
	s_add_u32 s12, s12, s16
	s_addc_u32 s13, s13, s17
	s_load_dwordx2 s[16:17], s[12:13], 0x0
	s_bfe_u32 s12, s18, 0x10008
	s_cmp_eq_u32 s12, 0
                                        ; implicit-def: $sgpr12_sgpr13
	s_cbranch_scc1 .LBB125_3
; %bb.2:
	s_load_dword s12, s[4:5], 0x20
	s_load_dwordx2 s[18:19], s[4:5], 0x18
	s_mul_i32 s13, s8, s7
	s_mul_hi_u32 s20, s8, s6
	s_add_i32 s20, s20, s13
	s_mul_i32 s9, s9, s6
	s_add_i32 s9, s20, s9
	s_mul_i32 s8, s8, s6
	s_waitcnt lgkmcnt(0)
	s_ashr_i32 s13, s12, 31
	s_lshl_b64 s[8:9], s[8:9], 2
	s_add_u32 s18, s18, s8
	s_addc_u32 s19, s19, s9
	s_lshl_b64 s[8:9], s[12:13], 2
	s_add_u32 s12, s18, s8
	s_addc_u32 s13, s19, s9
.LBB125_3:
	s_load_dwordx2 s[8:9], s[4:5], 0x8
	s_load_dword s18, s[4:5], 0x38
	v_lshlrev_b32_e32 v127, 3, v0
	s_waitcnt lgkmcnt(0)
	s_ashr_i32 s5, s8, 31
	s_mov_b32 s4, s8
	s_lshl_b64 s[4:5], s[4:5], 3
	s_add_u32 s4, s16, s4
	s_addc_u32 s5, s17, s5
	v_mov_b32_e32 v2, s5
	v_add_co_u32_e32 v1, vcc, s4, v127
	v_addc_co_u32_e32 v2, vcc, 0, v2, vcc
	flat_load_dwordx2 v[5:6], v[1:2]
	s_mov_b32 s16, s9
	s_ashr_i32 s17, s9, 31
	s_lshl_b64 s[16:17], s[16:17], 3
	v_mov_b32_e32 v4, s17
	v_add_co_u32_e32 v3, vcc, s16, v1
	v_addc_co_u32_e32 v4, vcc, v2, v4, vcc
	s_add_i32 s8, s9, s9
	v_add_u32_e32 v9, s8, v0
	v_ashrrev_i32_e32 v10, 31, v9
	v_mov_b32_e32 v11, s5
	v_add_u32_e32 v12, s9, v9
	v_ashrrev_i32_e32 v13, 31, v12
	v_mov_b32_e32 v14, s5
	v_mov_b32_e32 v15, s5
	;; [unrolled: 1-line block ×58, first 2 shown]
	s_bitcmp0_b32 s18, 0
	s_waitcnt vmcnt(0) lgkmcnt(0)
	buffer_store_dword v6, off, s[0:3], 0 offset:4
	buffer_store_dword v5, off, s[0:3], 0
	flat_load_dwordx2 v[7:8], v[3:4]
	v_lshlrev_b64 v[5:6], 3, v[9:10]
	s_waitcnt vmcnt(0) lgkmcnt(0)
	buffer_store_dword v8, off, s[0:3], 0 offset:12
	buffer_store_dword v7, off, s[0:3], 0 offset:8
	v_add_co_u32_e32 v5, vcc, s4, v5
	v_addc_co_u32_e32 v6, vcc, v11, v6, vcc
	flat_load_dwordx2 v[10:11], v[5:6]
	v_lshlrev_b64 v[7:8], 3, v[12:13]
	s_waitcnt vmcnt(0) lgkmcnt(0)
	buffer_store_dword v11, off, s[0:3], 0 offset:20
	buffer_store_dword v10, off, s[0:3], 0 offset:16
	v_add_co_u32_e32 v7, vcc, s4, v7
	v_addc_co_u32_e32 v8, vcc, v14, v8, vcc
	flat_load_dwordx2 v[13:14], v[7:8]
	v_add_u32_e32 v11, s9, v12
	v_ashrrev_i32_e32 v12, 31, v11
	v_lshlrev_b64 v[9:10], 3, v[11:12]
	s_waitcnt vmcnt(0) lgkmcnt(0)
	buffer_store_dword v14, off, s[0:3], 0 offset:28
	buffer_store_dword v13, off, s[0:3], 0 offset:24
	v_add_co_u32_e32 v9, vcc, s4, v9
	v_addc_co_u32_e32 v10, vcc, v15, v10, vcc
	flat_load_dwordx2 v[13:14], v[9:10]
	v_add_u32_e32 v15, s9, v11
	v_ashrrev_i32_e32 v16, 31, v15
	v_lshlrev_b64 v[11:12], 3, v[15:16]
	v_add_u32_e32 v18, s9, v15
	v_add_co_u32_e32 v11, vcc, s4, v11
	v_addc_co_u32_e32 v12, vcc, v17, v12, vcc
	v_ashrrev_i32_e32 v19, 31, v18
	s_waitcnt vmcnt(0) lgkmcnt(0)
	buffer_store_dword v14, off, s[0:3], 0 offset:36
	buffer_store_dword v13, off, s[0:3], 0 offset:32
	flat_load_dwordx2 v[16:17], v[11:12]
	v_lshlrev_b64 v[13:14], 3, v[18:19]
	s_waitcnt vmcnt(0) lgkmcnt(0)
	buffer_store_dword v17, off, s[0:3], 0 offset:44
	buffer_store_dword v16, off, s[0:3], 0 offset:40
	v_add_co_u32_e32 v13, vcc, s4, v13
	v_addc_co_u32_e32 v14, vcc, v20, v14, vcc
	flat_load_dwordx2 v[19:20], v[13:14]
	v_add_u32_e32 v17, s9, v18
	v_ashrrev_i32_e32 v18, 31, v17
	v_lshlrev_b64 v[15:16], 3, v[17:18]
	s_waitcnt vmcnt(0) lgkmcnt(0)
	buffer_store_dword v20, off, s[0:3], 0 offset:52
	buffer_store_dword v19, off, s[0:3], 0 offset:48
	v_add_co_u32_e32 v15, vcc, s4, v15
	v_addc_co_u32_e32 v16, vcc, v21, v16, vcc
	flat_load_dwordx2 v[19:20], v[15:16]
	v_add_u32_e32 v21, s9, v17
	v_ashrrev_i32_e32 v22, 31, v21
	v_lshlrev_b64 v[17:18], 3, v[21:22]
	v_add_u32_e32 v24, s9, v21
	v_add_co_u32_e32 v17, vcc, s4, v17
	v_addc_co_u32_e32 v18, vcc, v23, v18, vcc
	v_ashrrev_i32_e32 v25, 31, v24
	s_waitcnt vmcnt(0) lgkmcnt(0)
	buffer_store_dword v20, off, s[0:3], 0 offset:60
	buffer_store_dword v19, off, s[0:3], 0 offset:56
	;; [unrolled: 27-line block ×7, first 2 shown]
	flat_load_dwordx2 v[52:53], v[47:48]
	v_lshlrev_b64 v[49:50], 3, v[54:55]
	s_waitcnt vmcnt(0) lgkmcnt(0)
	buffer_store_dword v53, off, s[0:3], 0 offset:188
	buffer_store_dword v52, off, s[0:3], 0 offset:184
	v_add_co_u32_e32 v49, vcc, s4, v49
	v_addc_co_u32_e32 v50, vcc, v56, v50, vcc
	flat_load_dwordx2 v[55:56], v[49:50]
	v_add_u32_e32 v53, s9, v54
	v_ashrrev_i32_e32 v54, 31, v53
	v_lshlrev_b64 v[51:52], 3, v[53:54]
	s_waitcnt vmcnt(0) lgkmcnt(0)
	buffer_store_dword v56, off, s[0:3], 0 offset:196
	buffer_store_dword v55, off, s[0:3], 0 offset:192
	v_add_co_u32_e32 v51, vcc, s4, v51
	v_addc_co_u32_e32 v52, vcc, v57, v52, vcc
	flat_load_dwordx2 v[55:56], v[51:52]
	v_add_u32_e32 v57, s9, v53
	v_ashrrev_i32_e32 v58, 31, v57
	v_lshlrev_b64 v[53:54], 3, v[57:58]
	v_add_u32_e32 v60, s9, v57
	v_add_co_u32_e32 v53, vcc, s4, v53
	v_addc_co_u32_e32 v54, vcc, v59, v54, vcc
	s_waitcnt vmcnt(0) lgkmcnt(0)
	buffer_store_dword v56, off, s[0:3], 0 offset:204
	buffer_store_dword v55, off, s[0:3], 0 offset:200
	flat_load_dwordx2 v[58:59], v[53:54]
	v_ashrrev_i32_e32 v61, 31, v60
	v_lshlrev_b64 v[55:56], 3, v[60:61]
	s_waitcnt vmcnt(0) lgkmcnt(0)
	buffer_store_dword v59, off, s[0:3], 0 offset:212
	buffer_store_dword v58, off, s[0:3], 0 offset:208
	v_add_co_u32_e32 v55, vcc, s4, v55
	v_addc_co_u32_e32 v56, vcc, v62, v56, vcc
	flat_load_dwordx2 v[61:62], v[55:56]
	v_add_u32_e32 v59, s9, v60
	v_ashrrev_i32_e32 v60, 31, v59
	v_lshlrev_b64 v[57:58], 3, v[59:60]
	s_waitcnt vmcnt(0) lgkmcnt(0)
	buffer_store_dword v62, off, s[0:3], 0 offset:220
	buffer_store_dword v61, off, s[0:3], 0 offset:216
	v_add_co_u32_e32 v57, vcc, s4, v57
	v_addc_co_u32_e32 v58, vcc, v63, v58, vcc
	flat_load_dwordx2 v[61:62], v[57:58]
	v_add_u32_e32 v63, s9, v59
	;; [unrolled: 9-line block ×34, first 2 shown]
	v_ashrrev_i32_e32 v124, 31, v123
	v_lshlrev_b64 v[123:124], 3, v[123:124]
	v_mov_b32_e32 v129, s5
	v_add_co_u32_e32 v123, vcc, s4, v123
	v_addc_co_u32_e32 v124, vcc, v129, v124, vcc
	s_waitcnt vmcnt(0) lgkmcnt(0)
	buffer_store_dword v126, off, s[0:3], 0 offset:484
	buffer_store_dword v125, off, s[0:3], 0 offset:480
	flat_load_dwordx2 v[125:126], v[123:124]
	s_mov_b64 s[8:9], -1
	s_waitcnt vmcnt(0) lgkmcnt(0)
	buffer_store_dword v126, off, s[0:3], 0 offset:492
	buffer_store_dword v125, off, s[0:3], 0 offset:488
	s_cbranch_scc1 .LBB125_254
; %bb.4:
	v_cmp_eq_u32_e64 s[4:5], 0, v0
	s_and_saveexec_b64 s[8:9], s[4:5]
; %bb.5:
	v_mov_b32_e32 v125, 0
	ds_write_b32 v125, v125 offset:992
; %bb.6:
	s_or_b64 exec, exec, s[8:9]
	v_mov_b32_e32 v125, 0
	v_lshl_add_u32 v125, v0, 3, v125
	s_waitcnt lgkmcnt(0)
	; wave barrier
	buffer_load_dword v128, v125, s[0:3], 0 offen
	buffer_load_dword v129, v125, s[0:3], 0 offen offset:4
	s_waitcnt vmcnt(0)
	v_cmp_eq_f64_e32 vcc, 0, v[128:129]
	s_and_saveexec_b64 s[16:17], vcc
	s_cbranch_execz .LBB125_10
; %bb.7:
	v_mov_b32_e32 v126, 0
	ds_read_b32 v129, v126 offset:992
	v_add_u32_e32 v128, 1, v0
	s_waitcnt lgkmcnt(0)
	v_readfirstlane_b32 s8, v129
	s_cmp_eq_u32 s8, 0
	s_cselect_b64 s[18:19], -1, 0
	v_cmp_gt_i32_e32 vcc, s8, v128
	s_or_b64 s[18:19], s[18:19], vcc
	s_and_b64 exec, exec, s[18:19]
	s_cbranch_execz .LBB125_10
; %bb.8:
	s_mov_b64 s[18:19], 0
	v_mov_b32_e32 v129, s8
.LBB125_9:                              ; =>This Inner Loop Header: Depth=1
	ds_cmpst_rtn_b32 v129, v126, v129, v128 offset:992
	s_waitcnt lgkmcnt(0)
	v_cmp_ne_u32_e32 vcc, 0, v129
	v_cmp_le_i32_e64 s[8:9], v129, v128
	s_and_b64 s[8:9], vcc, s[8:9]
	s_and_b64 s[8:9], exec, s[8:9]
	s_or_b64 s[18:19], s[8:9], s[18:19]
	s_andn2_b64 exec, exec, s[18:19]
	s_cbranch_execnz .LBB125_9
.LBB125_10:
	s_or_b64 exec, exec, s[16:17]
	v_mov_b32_e32 v128, 0
	; wave barrier
	ds_read_b32 v126, v128 offset:992
	s_and_saveexec_b64 s[8:9], s[4:5]
	s_cbranch_execz .LBB125_12
; %bb.11:
	s_lshl_b64 s[16:17], s[6:7], 2
	s_add_u32 s16, s10, s16
	s_addc_u32 s17, s11, s17
	s_waitcnt lgkmcnt(0)
	global_store_dword v128, v126, s[16:17]
.LBB125_12:
	s_or_b64 exec, exec, s[8:9]
	s_waitcnt lgkmcnt(0)
	v_cmp_ne_u32_e32 vcc, 0, v126
	s_mov_b64 s[8:9], 0
	s_cbranch_vccnz .LBB125_254
; %bb.13:
	buffer_load_dword v128, v125, s[0:3], 0 offen
	buffer_load_dword v129, v125, s[0:3], 0 offen offset:4
	s_waitcnt vmcnt(0)
	v_div_scale_f64 v[130:131], s[8:9], v[128:129], v[128:129], 1.0
	v_rcp_f64_e32 v[132:133], v[130:131]
	v_fma_f64 v[134:135], -v[130:131], v[132:133], 1.0
	v_fma_f64 v[132:133], v[132:133], v[134:135], v[132:133]
	v_div_scale_f64 v[134:135], vcc, 1.0, v[128:129], 1.0
	v_fma_f64 v[136:137], -v[130:131], v[132:133], 1.0
	v_fma_f64 v[132:133], v[132:133], v[136:137], v[132:133]
	v_mul_f64 v[136:137], v[134:135], v[132:133]
	v_fma_f64 v[130:131], -v[130:131], v[136:137], v[134:135]
	v_div_fmas_f64 v[130:131], v[130:131], v[132:133], v[136:137]
	v_div_fixup_f64 v[129:130], v[130:131], v[128:129], 1.0
	v_add_u32_e32 v128, 0x1f0, v127
	buffer_store_dword v130, v125, s[0:3], 0 offen offset:4
	buffer_store_dword v129, v125, s[0:3], 0 offen
	buffer_load_dword v132, off, s[0:3], 0 offset:12
	buffer_load_dword v131, off, s[0:3], 0 offset:8
	v_xor_b32_e32 v130, 0x80000000, v130
	s_waitcnt vmcnt(0)
	ds_write2_b64 v127, v[129:130], v[131:132] offset1:62
	s_waitcnt lgkmcnt(0)
	; wave barrier
	s_and_saveexec_b64 s[8:9], s[4:5]
	s_cbranch_execz .LBB125_15
; %bb.14:
	buffer_load_dword v129, v125, s[0:3], 0 offen
	buffer_load_dword v130, v125, s[0:3], 0 offen offset:4
	ds_read_b64 v[131:132], v128
	v_mov_b32_e32 v126, 0
	ds_read_b64 v[133:134], v126 offset:8
	s_waitcnt vmcnt(0) lgkmcnt(1)
	v_fma_f64 v[129:130], v[129:130], v[131:132], 0
	s_waitcnt lgkmcnt(0)
	v_mul_f64 v[129:130], v[129:130], v[133:134]
	buffer_store_dword v129, off, s[0:3], 0 offset:8
	buffer_store_dword v130, off, s[0:3], 0 offset:12
.LBB125_15:
	s_or_b64 exec, exec, s[8:9]
	; wave barrier
	buffer_load_dword v129, off, s[0:3], 0 offset:16
	buffer_load_dword v130, off, s[0:3], 0 offset:20
	v_cmp_gt_u32_e32 vcc, 2, v0
	s_waitcnt vmcnt(0)
	ds_write_b64 v128, v[129:130]
	s_waitcnt lgkmcnt(0)
	; wave barrier
	s_and_saveexec_b64 s[8:9], vcc
	s_cbranch_execz .LBB125_17
; %bb.16:
	buffer_load_dword v129, v125, s[0:3], 0 offen
	buffer_load_dword v130, v125, s[0:3], 0 offen offset:4
	s_nop 0
	buffer_load_dword v125, off, s[0:3], 0 offset:8
	buffer_load_dword v126, off, s[0:3], 0 offset:12
	ds_read_b64 v[131:132], v128
	s_waitcnt vmcnt(2) lgkmcnt(0)
	v_fma_f64 v[133:134], v[129:130], v[131:132], 0
	v_mov_b32_e32 v129, 0
	ds_read2_b64 v[129:132], v129 offset0:2 offset1:63
	s_waitcnt vmcnt(0) lgkmcnt(0)
	v_fma_f64 v[125:126], v[125:126], v[131:132], v[133:134]
	v_cndmask_b32_e64 v126, v134, v126, s[4:5]
	v_cndmask_b32_e64 v125, v133, v125, s[4:5]
	v_mul_f64 v[125:126], v[125:126], v[129:130]
	buffer_store_dword v126, off, s[0:3], 0 offset:20
	buffer_store_dword v125, off, s[0:3], 0 offset:16
.LBB125_17:
	s_or_b64 exec, exec, s[8:9]
	; wave barrier
	buffer_load_dword v125, off, s[0:3], 0 offset:24
	buffer_load_dword v126, off, s[0:3], 0 offset:28
	v_cmp_gt_u32_e32 vcc, 3, v0
	v_add_u32_e32 v129, -1, v0
	s_waitcnt vmcnt(0)
	ds_write_b64 v128, v[125:126]
	s_waitcnt lgkmcnt(0)
	; wave barrier
	s_and_saveexec_b64 s[4:5], vcc
	s_cbranch_execz .LBB125_21
; %bb.18:
	v_mov_b32_e32 v125, 0
	v_add_u32_e32 v130, -1, v0
	v_add_u32_e32 v131, 0x1f0, v127
	v_mov_b32_e32 v132, v127
	v_mov_b32_e32 v126, 0
	s_mov_b64 s[8:9], 0
.LBB125_19:                             ; =>This Inner Loop Header: Depth=1
	buffer_load_dword v133, v132, s[0:3], 0 offen
	buffer_load_dword v134, v132, s[0:3], 0 offen offset:4
	ds_read_b64 v[135:136], v131
	v_add_u32_e32 v130, 1, v130
	v_cmp_lt_u32_e32 vcc, 1, v130
	v_add_u32_e32 v131, 8, v131
	s_or_b64 s[8:9], vcc, s[8:9]
	v_add_u32_e32 v132, 8, v132
	s_waitcnt vmcnt(0) lgkmcnt(0)
	v_fma_f64 v[125:126], v[133:134], v[135:136], v[125:126]
	s_andn2_b64 exec, exec, s[8:9]
	s_cbranch_execnz .LBB125_19
; %bb.20:
	s_or_b64 exec, exec, s[8:9]
	v_mov_b32_e32 v130, 0
	ds_read_b64 v[130:131], v130 offset:24
	s_waitcnt lgkmcnt(0)
	v_mul_f64 v[125:126], v[125:126], v[130:131]
	buffer_store_dword v126, off, s[0:3], 0 offset:28
	buffer_store_dword v125, off, s[0:3], 0 offset:24
.LBB125_21:
	s_or_b64 exec, exec, s[4:5]
	; wave barrier
	buffer_load_dword v125, off, s[0:3], 0 offset:32
	buffer_load_dword v126, off, s[0:3], 0 offset:36
	v_cmp_gt_u32_e32 vcc, 4, v0
	s_waitcnt vmcnt(0)
	ds_write_b64 v128, v[125:126]
	s_waitcnt lgkmcnt(0)
	; wave barrier
	s_and_saveexec_b64 s[4:5], vcc
	s_cbranch_execz .LBB125_25
; %bb.22:
	v_mov_b32_e32 v125, 0
	v_add_u32_e32 v130, -1, v0
	v_add_u32_e32 v131, 0x1f0, v127
	v_mov_b32_e32 v132, v127
	v_mov_b32_e32 v126, 0
	s_mov_b64 s[8:9], 0
.LBB125_23:                             ; =>This Inner Loop Header: Depth=1
	buffer_load_dword v133, v132, s[0:3], 0 offen
	buffer_load_dword v134, v132, s[0:3], 0 offen offset:4
	ds_read_b64 v[135:136], v131
	v_add_u32_e32 v130, 1, v130
	v_cmp_lt_u32_e32 vcc, 2, v130
	v_add_u32_e32 v131, 8, v131
	s_or_b64 s[8:9], vcc, s[8:9]
	v_add_u32_e32 v132, 8, v132
	s_waitcnt vmcnt(0) lgkmcnt(0)
	v_fma_f64 v[125:126], v[133:134], v[135:136], v[125:126]
	s_andn2_b64 exec, exec, s[8:9]
	s_cbranch_execnz .LBB125_23
; %bb.24:
	s_or_b64 exec, exec, s[8:9]
	v_mov_b32_e32 v130, 0
	ds_read_b64 v[130:131], v130 offset:32
	s_waitcnt lgkmcnt(0)
	v_mul_f64 v[125:126], v[125:126], v[130:131]
	buffer_store_dword v126, off, s[0:3], 0 offset:36
	buffer_store_dword v125, off, s[0:3], 0 offset:32
.LBB125_25:
	s_or_b64 exec, exec, s[4:5]
	; wave barrier
	buffer_load_dword v125, off, s[0:3], 0 offset:40
	buffer_load_dword v126, off, s[0:3], 0 offset:44
	v_cmp_gt_u32_e32 vcc, 5, v0
	;; [unrolled: 40-line block ×21, first 2 shown]
	s_waitcnt vmcnt(0)
	ds_write_b64 v128, v[125:126]
	s_waitcnt lgkmcnt(0)
	; wave barrier
	s_and_saveexec_b64 s[4:5], vcc
	s_cbranch_execz .LBB125_105
; %bb.102:
	v_mov_b32_e32 v125, 0
	v_add_u32_e32 v130, -1, v0
	v_add_u32_e32 v131, 0x1f0, v127
	v_mov_b32_e32 v132, v127
	v_mov_b32_e32 v126, 0
	s_mov_b64 s[8:9], 0
.LBB125_103:                            ; =>This Inner Loop Header: Depth=1
	buffer_load_dword v133, v132, s[0:3], 0 offen
	buffer_load_dword v134, v132, s[0:3], 0 offen offset:4
	ds_read_b64 v[135:136], v131
	v_add_u32_e32 v130, 1, v130
	v_cmp_lt_u32_e32 vcc, 22, v130
	v_add_u32_e32 v131, 8, v131
	s_or_b64 s[8:9], vcc, s[8:9]
	v_add_u32_e32 v132, 8, v132
	s_waitcnt vmcnt(0) lgkmcnt(0)
	v_fma_f64 v[125:126], v[133:134], v[135:136], v[125:126]
	s_andn2_b64 exec, exec, s[8:9]
	s_cbranch_execnz .LBB125_103
; %bb.104:
	s_or_b64 exec, exec, s[8:9]
	v_mov_b32_e32 v130, 0
	ds_read_b64 v[130:131], v130 offset:192
	s_waitcnt lgkmcnt(0)
	v_mul_f64 v[125:126], v[125:126], v[130:131]
	buffer_store_dword v126, off, s[0:3], 0 offset:196
	buffer_store_dword v125, off, s[0:3], 0 offset:192
.LBB125_105:
	s_or_b64 exec, exec, s[4:5]
	; wave barrier
	buffer_load_dword v125, off, s[0:3], 0 offset:200
	buffer_load_dword v126, off, s[0:3], 0 offset:204
	v_cmp_gt_u32_e32 vcc, 25, v0
	s_waitcnt vmcnt(0)
	ds_write_b64 v128, v[125:126]
	s_waitcnt lgkmcnt(0)
	; wave barrier
	s_and_saveexec_b64 s[4:5], vcc
	s_cbranch_execz .LBB125_109
; %bb.106:
	v_mov_b32_e32 v125, 0
	v_add_u32_e32 v130, -1, v0
	v_add_u32_e32 v131, 0x1f0, v127
	v_mov_b32_e32 v132, v127
	v_mov_b32_e32 v126, 0
	s_mov_b64 s[8:9], 0
.LBB125_107:                            ; =>This Inner Loop Header: Depth=1
	buffer_load_dword v133, v132, s[0:3], 0 offen
	buffer_load_dword v134, v132, s[0:3], 0 offen offset:4
	ds_read_b64 v[135:136], v131
	v_add_u32_e32 v130, 1, v130
	v_cmp_lt_u32_e32 vcc, 23, v130
	v_add_u32_e32 v131, 8, v131
	s_or_b64 s[8:9], vcc, s[8:9]
	v_add_u32_e32 v132, 8, v132
	s_waitcnt vmcnt(0) lgkmcnt(0)
	v_fma_f64 v[125:126], v[133:134], v[135:136], v[125:126]
	s_andn2_b64 exec, exec, s[8:9]
	s_cbranch_execnz .LBB125_107
; %bb.108:
	s_or_b64 exec, exec, s[8:9]
	v_mov_b32_e32 v130, 0
	ds_read_b64 v[130:131], v130 offset:200
	s_waitcnt lgkmcnt(0)
	v_mul_f64 v[125:126], v[125:126], v[130:131]
	buffer_store_dword v126, off, s[0:3], 0 offset:204
	buffer_store_dword v125, off, s[0:3], 0 offset:200
.LBB125_109:
	s_or_b64 exec, exec, s[4:5]
	; wave barrier
	buffer_load_dword v125, off, s[0:3], 0 offset:208
	buffer_load_dword v126, off, s[0:3], 0 offset:212
	v_cmp_gt_u32_e32 vcc, 26, v0
	;; [unrolled: 40-line block ×36, first 2 shown]
	s_waitcnt vmcnt(0)
	ds_write_b64 v128, v[125:126]
	s_waitcnt lgkmcnt(0)
	; wave barrier
	s_and_saveexec_b64 s[4:5], vcc
	s_cbranch_execz .LBB125_249
; %bb.246:
	v_mov_b32_e32 v125, 0
	v_add_u32_e32 v130, -1, v0
	v_add_u32_e32 v131, 0x1f0, v127
	v_mov_b32_e32 v132, v127
	v_mov_b32_e32 v126, 0
	s_mov_b64 s[8:9], 0
.LBB125_247:                            ; =>This Inner Loop Header: Depth=1
	buffer_load_dword v133, v132, s[0:3], 0 offen
	buffer_load_dword v134, v132, s[0:3], 0 offen offset:4
	ds_read_b64 v[135:136], v131
	v_add_u32_e32 v130, 1, v130
	v_cmp_lt_u32_e32 vcc, 58, v130
	v_add_u32_e32 v131, 8, v131
	s_or_b64 s[8:9], vcc, s[8:9]
	v_add_u32_e32 v132, 8, v132
	s_waitcnt vmcnt(0) lgkmcnt(0)
	v_fma_f64 v[125:126], v[133:134], v[135:136], v[125:126]
	s_andn2_b64 exec, exec, s[8:9]
	s_cbranch_execnz .LBB125_247
; %bb.248:
	s_or_b64 exec, exec, s[8:9]
	v_mov_b32_e32 v130, 0
	ds_read_b64 v[130:131], v130 offset:480
	s_waitcnt lgkmcnt(0)
	v_mul_f64 v[125:126], v[125:126], v[130:131]
	buffer_store_dword v126, off, s[0:3], 0 offset:484
	buffer_store_dword v125, off, s[0:3], 0 offset:480
.LBB125_249:
	s_or_b64 exec, exec, s[4:5]
	; wave barrier
	buffer_load_dword v125, off, s[0:3], 0 offset:488
	buffer_load_dword v126, off, s[0:3], 0 offset:492
	v_cmp_ne_u32_e32 vcc, 61, v0
	s_waitcnt vmcnt(0)
	ds_write_b64 v128, v[125:126]
	s_waitcnt lgkmcnt(0)
	; wave barrier
	s_and_saveexec_b64 s[4:5], vcc
	s_cbranch_execz .LBB125_253
; %bb.250:
	v_mov_b32_e32 v125, 0
	v_add_u32_e32 v128, 0x1f0, v127
	v_mov_b32_e32 v126, 0
	s_mov_b64 s[8:9], 0
.LBB125_251:                            ; =>This Inner Loop Header: Depth=1
	buffer_load_dword v130, v127, s[0:3], 0 offen
	buffer_load_dword v131, v127, s[0:3], 0 offen offset:4
	ds_read_b64 v[132:133], v128
	v_add_u32_e32 v129, 1, v129
	v_cmp_lt_u32_e32 vcc, 59, v129
	v_add_u32_e32 v128, 8, v128
	s_or_b64 s[8:9], vcc, s[8:9]
	v_add_u32_e32 v127, 8, v127
	s_waitcnt vmcnt(0) lgkmcnt(0)
	v_fma_f64 v[125:126], v[130:131], v[132:133], v[125:126]
	s_andn2_b64 exec, exec, s[8:9]
	s_cbranch_execnz .LBB125_251
; %bb.252:
	s_or_b64 exec, exec, s[8:9]
	v_mov_b32_e32 v127, 0
	ds_read_b64 v[127:128], v127 offset:488
	s_waitcnt lgkmcnt(0)
	v_mul_f64 v[125:126], v[125:126], v[127:128]
	buffer_store_dword v126, off, s[0:3], 0 offset:492
	buffer_store_dword v125, off, s[0:3], 0 offset:488
.LBB125_253:
	s_or_b64 exec, exec, s[4:5]
	s_mov_b64 s[8:9], -1
	; wave barrier
.LBB125_254:
	s_and_b64 vcc, exec, s[8:9]
	s_cbranch_vccz .LBB125_256
; %bb.255:
	s_lshl_b64 s[4:5], s[6:7], 2
	s_add_u32 s4, s10, s4
	s_addc_u32 s5, s11, s5
	v_mov_b32_e32 v125, 0
	global_load_dword v125, v125, s[4:5]
	s_waitcnt vmcnt(0)
	v_cmp_ne_u32_e32 vcc, 0, v125
	s_cbranch_vccz .LBB125_257
.LBB125_256:
	s_endpgm
.LBB125_257:
	v_mov_b32_e32 v125, 0x1f0
	v_lshl_add_u32 v125, v0, 3, v125
	v_cmp_eq_u32_e32 vcc, 61, v0
	s_and_saveexec_b64 s[4:5], vcc
	s_cbranch_execz .LBB125_259
; %bb.258:
	buffer_load_dword v126, off, s[0:3], 0 offset:480
	buffer_load_dword v127, off, s[0:3], 0 offset:484
	v_mov_b32_e32 v128, 0
	buffer_store_dword v128, off, s[0:3], 0 offset:480
	buffer_store_dword v128, off, s[0:3], 0 offset:484
	s_waitcnt vmcnt(2)
	ds_write_b64 v125, v[126:127]
.LBB125_259:
	s_or_b64 exec, exec, s[4:5]
	s_waitcnt lgkmcnt(0)
	; wave barrier
	buffer_load_dword v127, off, s[0:3], 0 offset:488
	buffer_load_dword v128, off, s[0:3], 0 offset:492
	;; [unrolled: 1-line block ×4, first 2 shown]
	v_mov_b32_e32 v126, 0
	ds_read_b64 v[131:132], v126 offset:984
	v_cmp_lt_u32_e32 vcc, 59, v0
	s_waitcnt vmcnt(2) lgkmcnt(0)
	v_fma_f64 v[127:128], v[127:128], v[131:132], 0
	s_waitcnt vmcnt(0)
	v_add_f64 v[127:128], v[129:130], -v[127:128]
	buffer_store_dword v127, off, s[0:3], 0 offset:480
	buffer_store_dword v128, off, s[0:3], 0 offset:484
	s_and_saveexec_b64 s[4:5], vcc
	s_cbranch_execz .LBB125_261
; %bb.260:
	buffer_load_dword v127, off, s[0:3], 0 offset:472
	buffer_load_dword v128, off, s[0:3], 0 offset:476
	s_waitcnt vmcnt(0)
	ds_write_b64 v125, v[127:128]
	buffer_store_dword v126, off, s[0:3], 0 offset:472
	buffer_store_dword v126, off, s[0:3], 0 offset:476
.LBB125_261:
	s_or_b64 exec, exec, s[4:5]
	s_waitcnt lgkmcnt(0)
	; wave barrier
	buffer_load_dword v130, off, s[0:3], 0 offset:480
	buffer_load_dword v131, off, s[0:3], 0 offset:484
	;; [unrolled: 1-line block ×6, first 2 shown]
	ds_read_b128 v[126:129], v126 offset:976
	v_cmp_lt_u32_e32 vcc, 58, v0
	s_waitcnt vmcnt(4) lgkmcnt(0)
	v_fma_f64 v[126:127], v[130:131], v[126:127], 0
	s_waitcnt vmcnt(2)
	v_fma_f64 v[126:127], v[132:133], v[128:129], v[126:127]
	s_waitcnt vmcnt(0)
	v_add_f64 v[126:127], v[134:135], -v[126:127]
	buffer_store_dword v126, off, s[0:3], 0 offset:472
	buffer_store_dword v127, off, s[0:3], 0 offset:476
	s_and_saveexec_b64 s[4:5], vcc
	s_cbranch_execz .LBB125_263
; %bb.262:
	buffer_load_dword v126, off, s[0:3], 0 offset:464
	buffer_load_dword v127, off, s[0:3], 0 offset:468
	v_mov_b32_e32 v128, 0
	buffer_store_dword v128, off, s[0:3], 0 offset:464
	buffer_store_dword v128, off, s[0:3], 0 offset:468
	s_waitcnt vmcnt(2)
	ds_write_b64 v125, v[126:127]
.LBB125_263:
	s_or_b64 exec, exec, s[4:5]
	s_waitcnt lgkmcnt(0)
	; wave barrier
	buffer_load_dword v131, off, s[0:3], 0 offset:472
	buffer_load_dword v132, off, s[0:3], 0 offset:476
	;; [unrolled: 1-line block ×8, first 2 shown]
	v_mov_b32_e32 v126, 0
	ds_read2_b64 v[127:130], v126 offset0:121 offset1:122
	ds_read_b64 v[139:140], v126 offset:984
	v_cmp_lt_u32_e32 vcc, 57, v0
	s_waitcnt vmcnt(6) lgkmcnt(1)
	v_fma_f64 v[127:128], v[131:132], v[127:128], 0
	s_waitcnt vmcnt(4)
	v_fma_f64 v[127:128], v[133:134], v[129:130], v[127:128]
	s_waitcnt vmcnt(2) lgkmcnt(0)
	v_fma_f64 v[127:128], v[135:136], v[139:140], v[127:128]
	s_waitcnt vmcnt(0)
	v_add_f64 v[127:128], v[137:138], -v[127:128]
	buffer_store_dword v127, off, s[0:3], 0 offset:464
	buffer_store_dword v128, off, s[0:3], 0 offset:468
	s_and_saveexec_b64 s[4:5], vcc
	s_cbranch_execz .LBB125_265
; %bb.264:
	buffer_load_dword v127, off, s[0:3], 0 offset:456
	buffer_load_dword v128, off, s[0:3], 0 offset:460
	s_waitcnt vmcnt(0)
	ds_write_b64 v125, v[127:128]
	buffer_store_dword v126, off, s[0:3], 0 offset:456
	buffer_store_dword v126, off, s[0:3], 0 offset:460
.LBB125_265:
	s_or_b64 exec, exec, s[4:5]
	s_waitcnt lgkmcnt(0)
	; wave barrier
	buffer_load_dword v135, off, s[0:3], 0 offset:464
	buffer_load_dword v136, off, s[0:3], 0 offset:468
	;; [unrolled: 1-line block ×10, first 2 shown]
	ds_read_b128 v[127:130], v126 offset:960
	ds_read_b128 v[131:134], v126 offset:976
	v_cmp_lt_u32_e32 vcc, 56, v0
	s_waitcnt vmcnt(8) lgkmcnt(1)
	v_fma_f64 v[126:127], v[135:136], v[127:128], 0
	s_waitcnt vmcnt(6)
	v_fma_f64 v[126:127], v[137:138], v[129:130], v[126:127]
	s_waitcnt vmcnt(4) lgkmcnt(0)
	v_fma_f64 v[126:127], v[139:140], v[131:132], v[126:127]
	s_waitcnt vmcnt(2)
	v_fma_f64 v[126:127], v[141:142], v[133:134], v[126:127]
	s_waitcnt vmcnt(0)
	v_add_f64 v[126:127], v[143:144], -v[126:127]
	buffer_store_dword v126, off, s[0:3], 0 offset:456
	buffer_store_dword v127, off, s[0:3], 0 offset:460
	s_and_saveexec_b64 s[4:5], vcc
	s_cbranch_execz .LBB125_267
; %bb.266:
	buffer_load_dword v126, off, s[0:3], 0 offset:448
	buffer_load_dword v127, off, s[0:3], 0 offset:452
	v_mov_b32_e32 v128, 0
	buffer_store_dword v128, off, s[0:3], 0 offset:448
	buffer_store_dword v128, off, s[0:3], 0 offset:452
	s_waitcnt vmcnt(2)
	ds_write_b64 v125, v[126:127]
.LBB125_267:
	s_or_b64 exec, exec, s[4:5]
	s_waitcnt lgkmcnt(0)
	; wave barrier
	buffer_load_dword v135, off, s[0:3], 0 offset:456
	buffer_load_dword v136, off, s[0:3], 0 offset:460
	;; [unrolled: 1-line block ×12, first 2 shown]
	v_mov_b32_e32 v126, 0
	ds_read2_b64 v[127:130], v126 offset0:119 offset1:120
	ds_read2_b64 v[131:134], v126 offset0:121 offset1:122
	v_cmp_lt_u32_e32 vcc, 55, v0
	s_waitcnt vmcnt(10) lgkmcnt(1)
	v_fma_f64 v[127:128], v[135:136], v[127:128], 0
	s_waitcnt vmcnt(8)
	v_fma_f64 v[127:128], v[137:138], v[129:130], v[127:128]
	ds_read_b64 v[129:130], v126 offset:984
	s_waitcnt vmcnt(6) lgkmcnt(1)
	v_fma_f64 v[127:128], v[139:140], v[131:132], v[127:128]
	s_waitcnt vmcnt(4)
	v_fma_f64 v[127:128], v[141:142], v[133:134], v[127:128]
	s_waitcnt vmcnt(2) lgkmcnt(0)
	v_fma_f64 v[127:128], v[143:144], v[129:130], v[127:128]
	s_waitcnt vmcnt(0)
	v_add_f64 v[127:128], v[145:146], -v[127:128]
	buffer_store_dword v127, off, s[0:3], 0 offset:448
	buffer_store_dword v128, off, s[0:3], 0 offset:452
	s_and_saveexec_b64 s[4:5], vcc
	s_cbranch_execz .LBB125_269
; %bb.268:
	buffer_load_dword v127, off, s[0:3], 0 offset:440
	buffer_load_dword v128, off, s[0:3], 0 offset:444
	s_waitcnt vmcnt(0)
	ds_write_b64 v125, v[127:128]
	buffer_store_dword v126, off, s[0:3], 0 offset:440
	buffer_store_dword v126, off, s[0:3], 0 offset:444
.LBB125_269:
	s_or_b64 exec, exec, s[4:5]
	s_waitcnt lgkmcnt(0)
	; wave barrier
	buffer_load_dword v135, off, s[0:3], 0 offset:448
	buffer_load_dword v136, off, s[0:3], 0 offset:452
	;; [unrolled: 1-line block ×14, first 2 shown]
	ds_read_b128 v[127:130], v126 offset:944
	ds_read_b128 v[131:134], v126 offset:960
	v_cmp_lt_u32_e32 vcc, 54, v0
	s_waitcnt vmcnt(12) lgkmcnt(1)
	v_fma_f64 v[127:128], v[135:136], v[127:128], 0
	s_waitcnt vmcnt(10)
	v_fma_f64 v[127:128], v[137:138], v[129:130], v[127:128]
	s_waitcnt vmcnt(8) lgkmcnt(0)
	v_fma_f64 v[127:128], v[139:140], v[131:132], v[127:128]
	s_waitcnt vmcnt(6)
	v_fma_f64 v[130:131], v[141:142], v[133:134], v[127:128]
	ds_read_b128 v[126:129], v126 offset:976
	s_waitcnt vmcnt(4) lgkmcnt(0)
	v_fma_f64 v[126:127], v[143:144], v[126:127], v[130:131]
	s_waitcnt vmcnt(2)
	v_fma_f64 v[126:127], v[145:146], v[128:129], v[126:127]
	s_waitcnt vmcnt(0)
	v_add_f64 v[126:127], v[147:148], -v[126:127]
	buffer_store_dword v126, off, s[0:3], 0 offset:440
	buffer_store_dword v127, off, s[0:3], 0 offset:444
	s_and_saveexec_b64 s[4:5], vcc
	s_cbranch_execz .LBB125_271
; %bb.270:
	buffer_load_dword v126, off, s[0:3], 0 offset:432
	buffer_load_dword v127, off, s[0:3], 0 offset:436
	v_mov_b32_e32 v128, 0
	buffer_store_dword v128, off, s[0:3], 0 offset:432
	buffer_store_dword v128, off, s[0:3], 0 offset:436
	s_waitcnt vmcnt(2)
	ds_write_b64 v125, v[126:127]
.LBB125_271:
	s_or_b64 exec, exec, s[4:5]
	s_waitcnt lgkmcnt(0)
	; wave barrier
	buffer_load_dword v135, off, s[0:3], 0 offset:440
	buffer_load_dword v136, off, s[0:3], 0 offset:444
	;; [unrolled: 1-line block ×16, first 2 shown]
	v_mov_b32_e32 v126, 0
	ds_read2_b64 v[127:130], v126 offset0:117 offset1:118
	ds_read2_b64 v[131:134], v126 offset0:119 offset1:120
	v_cmp_lt_u32_e32 vcc, 53, v0
	s_waitcnt vmcnt(14) lgkmcnt(1)
	v_fma_f64 v[127:128], v[135:136], v[127:128], 0
	s_waitcnt vmcnt(12)
	v_fma_f64 v[127:128], v[137:138], v[129:130], v[127:128]
	s_waitcnt vmcnt(10) lgkmcnt(0)
	v_fma_f64 v[127:128], v[139:140], v[131:132], v[127:128]
	s_waitcnt vmcnt(8)
	v_fma_f64 v[131:132], v[141:142], v[133:134], v[127:128]
	ds_read2_b64 v[127:130], v126 offset0:121 offset1:122
	ds_read_b64 v[133:134], v126 offset:984
	s_waitcnt vmcnt(6) lgkmcnt(1)
	v_fma_f64 v[127:128], v[143:144], v[127:128], v[131:132]
	s_waitcnt vmcnt(4)
	v_fma_f64 v[127:128], v[145:146], v[129:130], v[127:128]
	s_waitcnt vmcnt(2) lgkmcnt(0)
	v_fma_f64 v[127:128], v[147:148], v[133:134], v[127:128]
	s_waitcnt vmcnt(0)
	v_add_f64 v[127:128], v[149:150], -v[127:128]
	buffer_store_dword v127, off, s[0:3], 0 offset:432
	buffer_store_dword v128, off, s[0:3], 0 offset:436
	s_and_saveexec_b64 s[4:5], vcc
	s_cbranch_execz .LBB125_273
; %bb.272:
	buffer_load_dword v127, off, s[0:3], 0 offset:424
	buffer_load_dword v128, off, s[0:3], 0 offset:428
	s_waitcnt vmcnt(0)
	ds_write_b64 v125, v[127:128]
	buffer_store_dword v126, off, s[0:3], 0 offset:424
	buffer_store_dword v126, off, s[0:3], 0 offset:428
.LBB125_273:
	s_or_b64 exec, exec, s[4:5]
	s_waitcnt lgkmcnt(0)
	; wave barrier
	buffer_load_dword v135, off, s[0:3], 0 offset:432
	buffer_load_dword v136, off, s[0:3], 0 offset:436
	;; [unrolled: 1-line block ×18, first 2 shown]
	ds_read_b128 v[127:130], v126 offset:928
	ds_read_b128 v[131:134], v126 offset:944
	v_cmp_lt_u32_e32 vcc, 52, v0
	s_waitcnt vmcnt(16) lgkmcnt(1)
	v_fma_f64 v[127:128], v[135:136], v[127:128], 0
	s_waitcnt vmcnt(14)
	v_fma_f64 v[127:128], v[137:138], v[129:130], v[127:128]
	s_waitcnt vmcnt(12) lgkmcnt(0)
	v_fma_f64 v[127:128], v[139:140], v[131:132], v[127:128]
	s_waitcnt vmcnt(10)
	v_fma_f64 v[135:136], v[141:142], v[133:134], v[127:128]
	ds_read_b128 v[127:130], v126 offset:960
	ds_read_b128 v[131:134], v126 offset:976
	s_waitcnt vmcnt(8) lgkmcnt(1)
	v_fma_f64 v[126:127], v[143:144], v[127:128], v[135:136]
	s_waitcnt vmcnt(6)
	v_fma_f64 v[126:127], v[145:146], v[129:130], v[126:127]
	s_waitcnt vmcnt(4) lgkmcnt(0)
	v_fma_f64 v[126:127], v[147:148], v[131:132], v[126:127]
	s_waitcnt vmcnt(2)
	v_fma_f64 v[126:127], v[149:150], v[133:134], v[126:127]
	s_waitcnt vmcnt(0)
	v_add_f64 v[126:127], v[151:152], -v[126:127]
	buffer_store_dword v126, off, s[0:3], 0 offset:424
	buffer_store_dword v127, off, s[0:3], 0 offset:428
	s_and_saveexec_b64 s[4:5], vcc
	s_cbranch_execz .LBB125_275
; %bb.274:
	buffer_load_dword v126, off, s[0:3], 0 offset:416
	buffer_load_dword v127, off, s[0:3], 0 offset:420
	v_mov_b32_e32 v128, 0
	buffer_store_dword v128, off, s[0:3], 0 offset:416
	buffer_store_dword v128, off, s[0:3], 0 offset:420
	s_waitcnt vmcnt(2)
	ds_write_b64 v125, v[126:127]
.LBB125_275:
	s_or_b64 exec, exec, s[4:5]
	s_waitcnt lgkmcnt(0)
	; wave barrier
	buffer_load_dword v135, off, s[0:3], 0 offset:424
	buffer_load_dword v136, off, s[0:3], 0 offset:428
	;; [unrolled: 1-line block ×20, first 2 shown]
	v_mov_b32_e32 v126, 0
	ds_read2_b64 v[127:130], v126 offset0:115 offset1:116
	ds_read2_b64 v[131:134], v126 offset0:117 offset1:118
	v_cmp_lt_u32_e32 vcc, 51, v0
	s_waitcnt vmcnt(18) lgkmcnt(1)
	v_fma_f64 v[127:128], v[135:136], v[127:128], 0
	s_waitcnt vmcnt(16)
	v_fma_f64 v[127:128], v[137:138], v[129:130], v[127:128]
	s_waitcnt vmcnt(14) lgkmcnt(0)
	v_fma_f64 v[127:128], v[139:140], v[131:132], v[127:128]
	s_waitcnt vmcnt(12)
	v_fma_f64 v[135:136], v[141:142], v[133:134], v[127:128]
	ds_read2_b64 v[127:130], v126 offset0:119 offset1:120
	ds_read2_b64 v[131:134], v126 offset0:121 offset1:122
	s_waitcnt vmcnt(10) lgkmcnt(1)
	v_fma_f64 v[127:128], v[143:144], v[127:128], v[135:136]
	s_waitcnt vmcnt(8)
	v_fma_f64 v[127:128], v[145:146], v[129:130], v[127:128]
	ds_read_b64 v[129:130], v126 offset:984
	s_waitcnt vmcnt(6) lgkmcnt(1)
	v_fma_f64 v[127:128], v[147:148], v[131:132], v[127:128]
	s_waitcnt vmcnt(3)
	v_fma_f64 v[127:128], v[149:150], v[133:134], v[127:128]
	s_waitcnt vmcnt(2) lgkmcnt(0)
	v_fma_f64 v[127:128], v[151:152], v[129:130], v[127:128]
	s_waitcnt vmcnt(0)
	v_add_f64 v[127:128], v[153:154], -v[127:128]
	buffer_store_dword v127, off, s[0:3], 0 offset:416
	buffer_store_dword v128, off, s[0:3], 0 offset:420
	s_and_saveexec_b64 s[4:5], vcc
	s_cbranch_execz .LBB125_277
; %bb.276:
	buffer_load_dword v127, off, s[0:3], 0 offset:408
	buffer_load_dword v128, off, s[0:3], 0 offset:412
	s_waitcnt vmcnt(0)
	ds_write_b64 v125, v[127:128]
	buffer_store_dword v126, off, s[0:3], 0 offset:408
	buffer_store_dword v126, off, s[0:3], 0 offset:412
.LBB125_277:
	s_or_b64 exec, exec, s[4:5]
	s_waitcnt lgkmcnt(0)
	; wave barrier
	buffer_load_dword v135, off, s[0:3], 0 offset:416
	buffer_load_dword v136, off, s[0:3], 0 offset:420
	;; [unrolled: 1-line block ×20, first 2 shown]
	ds_read_b128 v[127:130], v126 offset:912
	buffer_load_dword v155, off, s[0:3], 0 offset:408
	buffer_load_dword v156, off, s[0:3], 0 offset:412
	ds_read_b128 v[131:134], v126 offset:928
	v_cmp_lt_u32_e32 vcc, 50, v0
	s_waitcnt vmcnt(20) lgkmcnt(1)
	v_fma_f64 v[127:128], v[135:136], v[127:128], 0
	s_waitcnt vmcnt(18)
	v_fma_f64 v[127:128], v[137:138], v[129:130], v[127:128]
	s_waitcnt vmcnt(16) lgkmcnt(0)
	v_fma_f64 v[127:128], v[139:140], v[131:132], v[127:128]
	s_waitcnt vmcnt(14)
	v_fma_f64 v[135:136], v[141:142], v[133:134], v[127:128]
	ds_read_b128 v[127:130], v126 offset:944
	ds_read_b128 v[131:134], v126 offset:960
	s_waitcnt vmcnt(12) lgkmcnt(1)
	v_fma_f64 v[127:128], v[143:144], v[127:128], v[135:136]
	s_waitcnt vmcnt(10)
	v_fma_f64 v[127:128], v[145:146], v[129:130], v[127:128]
	s_waitcnt vmcnt(8) lgkmcnt(0)
	v_fma_f64 v[127:128], v[147:148], v[131:132], v[127:128]
	s_waitcnt vmcnt(4)
	v_fma_f64 v[130:131], v[149:150], v[133:134], v[127:128]
	ds_read_b128 v[126:129], v126 offset:976
	s_waitcnt vmcnt(3) lgkmcnt(0)
	v_fma_f64 v[126:127], v[153:154], v[126:127], v[130:131]
	s_waitcnt vmcnt(2)
	v_fma_f64 v[126:127], v[151:152], v[128:129], v[126:127]
	s_waitcnt vmcnt(0)
	v_add_f64 v[126:127], v[155:156], -v[126:127]
	buffer_store_dword v126, off, s[0:3], 0 offset:408
	buffer_store_dword v127, off, s[0:3], 0 offset:412
	s_and_saveexec_b64 s[4:5], vcc
	s_cbranch_execz .LBB125_279
; %bb.278:
	buffer_load_dword v126, off, s[0:3], 0 offset:400
	buffer_load_dword v127, off, s[0:3], 0 offset:404
	v_mov_b32_e32 v128, 0
	buffer_store_dword v128, off, s[0:3], 0 offset:400
	buffer_store_dword v128, off, s[0:3], 0 offset:404
	s_waitcnt vmcnt(2)
	ds_write_b64 v125, v[126:127]
.LBB125_279:
	s_or_b64 exec, exec, s[4:5]
	s_waitcnt lgkmcnt(0)
	; wave barrier
	buffer_load_dword v135, off, s[0:3], 0 offset:408
	buffer_load_dword v136, off, s[0:3], 0 offset:412
	;; [unrolled: 1-line block ×21, first 2 shown]
	v_mov_b32_e32 v126, 0
	ds_read2_b64 v[127:130], v126 offset0:113 offset1:114
	ds_read2_b64 v[131:134], v126 offset0:115 offset1:116
	buffer_load_dword v152, off, s[0:3], 0 offset:492
	v_cmp_lt_u32_e32 vcc, 49, v0
	s_waitcnt vmcnt(20) lgkmcnt(1)
	v_fma_f64 v[127:128], v[135:136], v[127:128], 0
	buffer_load_dword v135, off, s[0:3], 0 offset:400
	buffer_load_dword v136, off, s[0:3], 0 offset:404
	s_waitcnt vmcnt(20)
	v_fma_f64 v[127:128], v[137:138], v[129:130], v[127:128]
	s_waitcnt vmcnt(18) lgkmcnt(0)
	v_fma_f64 v[127:128], v[139:140], v[131:132], v[127:128]
	s_waitcnt vmcnt(16)
	v_fma_f64 v[137:138], v[141:142], v[133:134], v[127:128]
	ds_read2_b64 v[127:130], v126 offset0:117 offset1:118
	ds_read2_b64 v[131:134], v126 offset0:119 offset1:120
	s_waitcnt vmcnt(14) lgkmcnt(1)
	v_fma_f64 v[127:128], v[143:144], v[127:128], v[137:138]
	s_waitcnt vmcnt(12)
	v_fma_f64 v[127:128], v[145:146], v[129:130], v[127:128]
	s_waitcnt vmcnt(10) lgkmcnt(0)
	v_fma_f64 v[127:128], v[147:148], v[131:132], v[127:128]
	s_waitcnt vmcnt(5)
	v_fma_f64 v[131:132], v[149:150], v[133:134], v[127:128]
	ds_read2_b64 v[127:130], v126 offset0:121 offset1:122
	ds_read_b64 v[133:134], v126 offset:984
	s_waitcnt vmcnt(4) lgkmcnt(1)
	v_fma_f64 v[127:128], v[155:156], v[127:128], v[131:132]
	s_waitcnt vmcnt(3)
	v_fma_f64 v[127:128], v[153:154], v[129:130], v[127:128]
	s_waitcnt vmcnt(2) lgkmcnt(0)
	v_fma_f64 v[127:128], v[151:152], v[133:134], v[127:128]
	s_waitcnt vmcnt(0)
	v_add_f64 v[127:128], v[135:136], -v[127:128]
	buffer_store_dword v128, off, s[0:3], 0 offset:404
	buffer_store_dword v127, off, s[0:3], 0 offset:400
	s_and_saveexec_b64 s[4:5], vcc
	s_cbranch_execz .LBB125_281
; %bb.280:
	buffer_load_dword v127, off, s[0:3], 0 offset:392
	buffer_load_dword v128, off, s[0:3], 0 offset:396
	s_waitcnt vmcnt(0)
	ds_write_b64 v125, v[127:128]
	buffer_store_dword v126, off, s[0:3], 0 offset:392
	buffer_store_dword v126, off, s[0:3], 0 offset:396
.LBB125_281:
	s_or_b64 exec, exec, s[4:5]
	s_waitcnt lgkmcnt(0)
	; wave barrier
	buffer_load_dword v135, off, s[0:3], 0 offset:400
	buffer_load_dword v136, off, s[0:3], 0 offset:404
	;; [unrolled: 1-line block ×21, first 2 shown]
	ds_read_b128 v[127:130], v126 offset:896
	ds_read_b128 v[131:134], v126 offset:912
	buffer_load_dword v152, off, s[0:3], 0 offset:484
	v_cmp_lt_u32_e32 vcc, 48, v0
	s_waitcnt vmcnt(20) lgkmcnt(1)
	v_fma_f64 v[127:128], v[135:136], v[127:128], 0
	buffer_load_dword v136, off, s[0:3], 0 offset:492
	buffer_load_dword v135, off, s[0:3], 0 offset:488
	s_waitcnt vmcnt(20)
	v_fma_f64 v[127:128], v[137:138], v[129:130], v[127:128]
	buffer_load_dword v137, off, s[0:3], 0 offset:392
	buffer_load_dword v138, off, s[0:3], 0 offset:396
	s_waitcnt vmcnt(20) lgkmcnt(0)
	v_fma_f64 v[127:128], v[139:140], v[131:132], v[127:128]
	s_waitcnt vmcnt(18)
	v_fma_f64 v[139:140], v[141:142], v[133:134], v[127:128]
	ds_read_b128 v[127:130], v126 offset:928
	ds_read_b128 v[131:134], v126 offset:944
	s_waitcnt vmcnt(16) lgkmcnt(1)
	v_fma_f64 v[127:128], v[143:144], v[127:128], v[139:140]
	s_waitcnt vmcnt(14)
	v_fma_f64 v[127:128], v[145:146], v[129:130], v[127:128]
	s_waitcnt vmcnt(12) lgkmcnt(0)
	v_fma_f64 v[127:128], v[147:148], v[131:132], v[127:128]
	s_waitcnt vmcnt(7)
	v_fma_f64 v[139:140], v[149:150], v[133:134], v[127:128]
	ds_read_b128 v[127:130], v126 offset:960
	ds_read_b128 v[131:134], v126 offset:976
	s_waitcnt vmcnt(6) lgkmcnt(1)
	v_fma_f64 v[126:127], v[155:156], v[127:128], v[139:140]
	s_waitcnt vmcnt(5)
	v_fma_f64 v[126:127], v[153:154], v[129:130], v[126:127]
	s_waitcnt vmcnt(4) lgkmcnt(0)
	v_fma_f64 v[126:127], v[151:152], v[131:132], v[126:127]
	s_waitcnt vmcnt(2)
	v_fma_f64 v[126:127], v[135:136], v[133:134], v[126:127]
	s_waitcnt vmcnt(0)
	v_add_f64 v[126:127], v[137:138], -v[126:127]
	buffer_store_dword v127, off, s[0:3], 0 offset:396
	buffer_store_dword v126, off, s[0:3], 0 offset:392
	s_and_saveexec_b64 s[4:5], vcc
	s_cbranch_execz .LBB125_283
; %bb.282:
	buffer_load_dword v126, off, s[0:3], 0 offset:384
	buffer_load_dword v127, off, s[0:3], 0 offset:388
	v_mov_b32_e32 v128, 0
	buffer_store_dword v128, off, s[0:3], 0 offset:384
	buffer_store_dword v128, off, s[0:3], 0 offset:388
	s_waitcnt vmcnt(2)
	ds_write_b64 v125, v[126:127]
.LBB125_283:
	s_or_b64 exec, exec, s[4:5]
	s_waitcnt lgkmcnt(0)
	; wave barrier
	buffer_load_dword v135, off, s[0:3], 0 offset:392
	buffer_load_dword v136, off, s[0:3], 0 offset:396
	;; [unrolled: 1-line block ×21, first 2 shown]
	v_mov_b32_e32 v126, 0
	ds_read2_b64 v[127:130], v126 offset0:111 offset1:112
	ds_read2_b64 v[131:134], v126 offset0:113 offset1:114
	buffer_load_dword v152, off, s[0:3], 0 offset:476
	v_cmp_lt_u32_e32 vcc, 47, v0
	s_waitcnt vmcnt(20) lgkmcnt(1)
	v_fma_f64 v[127:128], v[135:136], v[127:128], 0
	s_waitcnt vmcnt(18)
	v_fma_f64 v[127:128], v[137:138], v[129:130], v[127:128]
	buffer_load_dword v136, off, s[0:3], 0 offset:484
	buffer_load_dword v137, off, s[0:3], 0 offset:488
	;; [unrolled: 1-line block ×4, first 2 shown]
	s_waitcnt vmcnt(20) lgkmcnt(0)
	v_fma_f64 v[127:128], v[139:140], v[131:132], v[127:128]
	buffer_load_dword v139, off, s[0:3], 0 offset:384
	buffer_load_dword v140, off, s[0:3], 0 offset:388
	s_waitcnt vmcnt(20)
	v_fma_f64 v[141:142], v[141:142], v[133:134], v[127:128]
	ds_read2_b64 v[127:130], v126 offset0:115 offset1:116
	ds_read2_b64 v[131:134], v126 offset0:117 offset1:118
	s_waitcnt vmcnt(18) lgkmcnt(1)
	v_fma_f64 v[127:128], v[143:144], v[127:128], v[141:142]
	s_waitcnt vmcnt(16)
	v_fma_f64 v[127:128], v[145:146], v[129:130], v[127:128]
	s_waitcnt vmcnt(14) lgkmcnt(0)
	v_fma_f64 v[127:128], v[147:148], v[131:132], v[127:128]
	s_waitcnt vmcnt(9)
	v_fma_f64 v[141:142], v[149:150], v[133:134], v[127:128]
	ds_read2_b64 v[127:130], v126 offset0:119 offset1:120
	ds_read2_b64 v[131:134], v126 offset0:121 offset1:122
	s_waitcnt vmcnt(8) lgkmcnt(1)
	v_fma_f64 v[127:128], v[155:156], v[127:128], v[141:142]
	s_waitcnt vmcnt(7)
	v_fma_f64 v[127:128], v[153:154], v[129:130], v[127:128]
	ds_read_b64 v[129:130], v126 offset:984
	s_waitcnt vmcnt(6) lgkmcnt(1)
	v_fma_f64 v[127:128], v[151:152], v[131:132], v[127:128]
	s_waitcnt vmcnt(3)
	v_fma_f64 v[127:128], v[135:136], v[133:134], v[127:128]
	s_waitcnt vmcnt(2) lgkmcnt(0)
	v_fma_f64 v[127:128], v[137:138], v[129:130], v[127:128]
	s_waitcnt vmcnt(0)
	v_add_f64 v[127:128], v[139:140], -v[127:128]
	buffer_store_dword v128, off, s[0:3], 0 offset:388
	buffer_store_dword v127, off, s[0:3], 0 offset:384
	s_and_saveexec_b64 s[4:5], vcc
	s_cbranch_execz .LBB125_285
; %bb.284:
	buffer_load_dword v127, off, s[0:3], 0 offset:376
	buffer_load_dword v128, off, s[0:3], 0 offset:380
	s_waitcnt vmcnt(0)
	ds_write_b64 v125, v[127:128]
	buffer_store_dword v126, off, s[0:3], 0 offset:376
	buffer_store_dword v126, off, s[0:3], 0 offset:380
.LBB125_285:
	s_or_b64 exec, exec, s[4:5]
	s_waitcnt lgkmcnt(0)
	; wave barrier
	buffer_load_dword v135, off, s[0:3], 0 offset:384
	buffer_load_dword v136, off, s[0:3], 0 offset:388
	;; [unrolled: 1-line block ×22, first 2 shown]
	ds_read_b128 v[127:130], v126 offset:880
	ds_read_b128 v[131:134], v126 offset:896
	v_cmp_lt_u32_e32 vcc, 46, v0
	s_waitcnt vmcnt(20) lgkmcnt(1)
	v_fma_f64 v[127:128], v[135:136], v[127:128], 0
	s_waitcnt vmcnt(18)
	v_fma_f64 v[127:128], v[137:138], v[129:130], v[127:128]
	buffer_load_dword v136, off, s[0:3], 0 offset:476
	buffer_load_dword v137, off, s[0:3], 0 offset:488
	;; [unrolled: 1-line block ×6, first 2 shown]
	s_waitcnt vmcnt(22) lgkmcnt(0)
	v_fma_f64 v[127:128], v[139:140], v[131:132], v[127:128]
	s_waitcnt vmcnt(20)
	v_fma_f64 v[139:140], v[141:142], v[133:134], v[127:128]
	ds_read_b128 v[127:130], v126 offset:912
	buffer_load_dword v141, off, s[0:3], 0 offset:376
	buffer_load_dword v142, off, s[0:3], 0 offset:380
	ds_read_b128 v[131:134], v126 offset:928
	s_waitcnt vmcnt(20) lgkmcnt(1)
	v_fma_f64 v[127:128], v[143:144], v[127:128], v[139:140]
	s_waitcnt vmcnt(18)
	v_fma_f64 v[127:128], v[145:146], v[129:130], v[127:128]
	s_waitcnt vmcnt(16) lgkmcnt(0)
	v_fma_f64 v[127:128], v[147:148], v[131:132], v[127:128]
	s_waitcnt vmcnt(11)
	v_fma_f64 v[139:140], v[149:150], v[133:134], v[127:128]
	ds_read_b128 v[127:130], v126 offset:944
	ds_read_b128 v[131:134], v126 offset:960
	s_waitcnt vmcnt(10) lgkmcnt(1)
	v_fma_f64 v[127:128], v[155:156], v[127:128], v[139:140]
	s_waitcnt vmcnt(9)
	v_fma_f64 v[127:128], v[153:154], v[129:130], v[127:128]
	s_waitcnt vmcnt(8) lgkmcnt(0)
	v_fma_f64 v[127:128], v[151:152], v[131:132], v[127:128]
	s_waitcnt vmcnt(4)
	v_fma_f64 v[130:131], v[135:136], v[133:134], v[127:128]
	ds_read_b128 v[126:129], v126 offset:976
	s_waitcnt vmcnt(3) lgkmcnt(0)
	v_fma_f64 v[126:127], v[157:158], v[126:127], v[130:131]
	s_waitcnt vmcnt(2)
	v_fma_f64 v[126:127], v[137:138], v[128:129], v[126:127]
	s_waitcnt vmcnt(0)
	v_add_f64 v[126:127], v[141:142], -v[126:127]
	buffer_store_dword v127, off, s[0:3], 0 offset:380
	buffer_store_dword v126, off, s[0:3], 0 offset:376
	s_and_saveexec_b64 s[4:5], vcc
	s_cbranch_execz .LBB125_287
; %bb.286:
	buffer_load_dword v126, off, s[0:3], 0 offset:368
	buffer_load_dword v127, off, s[0:3], 0 offset:372
	v_mov_b32_e32 v128, 0
	buffer_store_dword v128, off, s[0:3], 0 offset:368
	buffer_store_dword v128, off, s[0:3], 0 offset:372
	s_waitcnt vmcnt(2)
	ds_write_b64 v125, v[126:127]
.LBB125_287:
	s_or_b64 exec, exec, s[4:5]
	s_waitcnt lgkmcnt(0)
	; wave barrier
	buffer_load_dword v135, off, s[0:3], 0 offset:376
	buffer_load_dword v136, off, s[0:3], 0 offset:380
	;; [unrolled: 1-line block ×22, first 2 shown]
	v_mov_b32_e32 v126, 0
	ds_read2_b64 v[127:130], v126 offset0:109 offset1:110
	ds_read2_b64 v[131:134], v126 offset0:111 offset1:112
	v_cmp_lt_u32_e32 vcc, 45, v0
	s_waitcnt vmcnt(20) lgkmcnt(1)
	v_fma_f64 v[127:128], v[135:136], v[127:128], 0
	s_waitcnt vmcnt(18)
	v_fma_f64 v[127:128], v[137:138], v[129:130], v[127:128]
	buffer_load_dword v136, off, s[0:3], 0 offset:468
	buffer_load_dword v137, off, s[0:3], 0 offset:488
	;; [unrolled: 1-line block ×8, first 2 shown]
	s_waitcnt vmcnt(24) lgkmcnt(0)
	v_fma_f64 v[127:128], v[139:140], v[131:132], v[127:128]
	s_waitcnt vmcnt(22)
	v_fma_f64 v[139:140], v[141:142], v[133:134], v[127:128]
	ds_read2_b64 v[127:130], v126 offset0:113 offset1:114
	ds_read2_b64 v[131:134], v126 offset0:115 offset1:116
	s_waitcnt vmcnt(20) lgkmcnt(1)
	v_fma_f64 v[127:128], v[143:144], v[127:128], v[139:140]
	buffer_load_dword v139, off, s[0:3], 0 offset:368
	buffer_load_dword v140, off, s[0:3], 0 offset:372
	s_waitcnt vmcnt(20)
	v_fma_f64 v[127:128], v[145:146], v[129:130], v[127:128]
	s_waitcnt vmcnt(18) lgkmcnt(0)
	v_fma_f64 v[127:128], v[147:148], v[131:132], v[127:128]
	s_waitcnt vmcnt(13)
	v_fma_f64 v[141:142], v[149:150], v[133:134], v[127:128]
	ds_read2_b64 v[127:130], v126 offset0:117 offset1:118
	ds_read2_b64 v[131:134], v126 offset0:119 offset1:120
	s_waitcnt vmcnt(12) lgkmcnt(1)
	v_fma_f64 v[127:128], v[155:156], v[127:128], v[141:142]
	s_waitcnt vmcnt(11)
	v_fma_f64 v[127:128], v[153:154], v[129:130], v[127:128]
	s_waitcnt vmcnt(10) lgkmcnt(0)
	v_fma_f64 v[127:128], v[151:152], v[131:132], v[127:128]
	s_waitcnt vmcnt(5)
	v_fma_f64 v[131:132], v[135:136], v[133:134], v[127:128]
	ds_read2_b64 v[127:130], v126 offset0:121 offset1:122
	ds_read_b64 v[133:134], v126 offset:984
	s_waitcnt vmcnt(4) lgkmcnt(1)
	v_fma_f64 v[127:128], v[159:160], v[127:128], v[131:132]
	s_waitcnt vmcnt(3)
	v_fma_f64 v[127:128], v[157:158], v[129:130], v[127:128]
	s_waitcnt vmcnt(2) lgkmcnt(0)
	v_fma_f64 v[127:128], v[137:138], v[133:134], v[127:128]
	s_waitcnt vmcnt(0)
	v_add_f64 v[127:128], v[139:140], -v[127:128]
	buffer_store_dword v128, off, s[0:3], 0 offset:372
	buffer_store_dword v127, off, s[0:3], 0 offset:368
	s_and_saveexec_b64 s[4:5], vcc
	s_cbranch_execz .LBB125_289
; %bb.288:
	buffer_load_dword v127, off, s[0:3], 0 offset:360
	buffer_load_dword v128, off, s[0:3], 0 offset:364
	s_waitcnt vmcnt(0)
	ds_write_b64 v125, v[127:128]
	buffer_store_dword v126, off, s[0:3], 0 offset:360
	buffer_store_dword v126, off, s[0:3], 0 offset:364
.LBB125_289:
	s_or_b64 exec, exec, s[4:5]
	s_waitcnt lgkmcnt(0)
	; wave barrier
	buffer_load_dword v135, off, s[0:3], 0 offset:368
	buffer_load_dword v136, off, s[0:3], 0 offset:372
	;; [unrolled: 1-line block ×22, first 2 shown]
	ds_read_b128 v[127:130], v126 offset:864
	ds_read_b128 v[131:134], v126 offset:880
	v_cmp_lt_u32_e32 vcc, 44, v0
	s_waitcnt vmcnt(20) lgkmcnt(1)
	v_fma_f64 v[127:128], v[135:136], v[127:128], 0
	s_waitcnt vmcnt(18)
	v_fma_f64 v[127:128], v[137:138], v[129:130], v[127:128]
	buffer_load_dword v136, off, s[0:3], 0 offset:460
	buffer_load_dword v137, off, s[0:3], 0 offset:480
	;; [unrolled: 1-line block ×8, first 2 shown]
	s_waitcnt vmcnt(24) lgkmcnt(0)
	v_fma_f64 v[127:128], v[139:140], v[131:132], v[127:128]
	s_waitcnt vmcnt(22)
	v_fma_f64 v[139:140], v[141:142], v[133:134], v[127:128]
	ds_read_b128 v[127:130], v126 offset:896
	ds_read_b128 v[131:134], v126 offset:912
	s_waitcnt vmcnt(20) lgkmcnt(1)
	v_fma_f64 v[127:128], v[143:144], v[127:128], v[139:140]
	buffer_load_dword v140, off, s[0:3], 0 offset:492
	buffer_load_dword v139, off, s[0:3], 0 offset:488
	;; [unrolled: 1-line block ×4, first 2 shown]
	s_waitcnt vmcnt(22)
	v_fma_f64 v[127:128], v[145:146], v[129:130], v[127:128]
	s_waitcnt vmcnt(20) lgkmcnt(0)
	v_fma_f64 v[127:128], v[147:148], v[131:132], v[127:128]
	s_waitcnt vmcnt(15)
	v_fma_f64 v[143:144], v[149:150], v[133:134], v[127:128]
	ds_read_b128 v[127:130], v126 offset:928
	ds_read_b128 v[131:134], v126 offset:944
	s_waitcnt vmcnt(14) lgkmcnt(1)
	v_fma_f64 v[127:128], v[155:156], v[127:128], v[143:144]
	s_waitcnt vmcnt(13)
	v_fma_f64 v[127:128], v[153:154], v[129:130], v[127:128]
	s_waitcnt vmcnt(12) lgkmcnt(0)
	v_fma_f64 v[127:128], v[151:152], v[131:132], v[127:128]
	s_waitcnt vmcnt(7)
	v_fma_f64 v[135:136], v[135:136], v[133:134], v[127:128]
	ds_read_b128 v[127:130], v126 offset:960
	ds_read_b128 v[131:134], v126 offset:976
	s_waitcnt vmcnt(6) lgkmcnt(1)
	v_fma_f64 v[126:127], v[159:160], v[127:128], v[135:136]
	s_waitcnt vmcnt(5)
	v_fma_f64 v[126:127], v[157:158], v[129:130], v[126:127]
	s_waitcnt vmcnt(4) lgkmcnt(0)
	v_fma_f64 v[126:127], v[137:138], v[131:132], v[126:127]
	s_waitcnt vmcnt(2)
	v_fma_f64 v[126:127], v[139:140], v[133:134], v[126:127]
	s_waitcnt vmcnt(0)
	v_add_f64 v[126:127], v[141:142], -v[126:127]
	buffer_store_dword v127, off, s[0:3], 0 offset:364
	buffer_store_dword v126, off, s[0:3], 0 offset:360
	s_and_saveexec_b64 s[4:5], vcc
	s_cbranch_execz .LBB125_291
; %bb.290:
	buffer_load_dword v126, off, s[0:3], 0 offset:352
	buffer_load_dword v127, off, s[0:3], 0 offset:356
	v_mov_b32_e32 v128, 0
	buffer_store_dword v128, off, s[0:3], 0 offset:352
	buffer_store_dword v128, off, s[0:3], 0 offset:356
	s_waitcnt vmcnt(2)
	ds_write_b64 v125, v[126:127]
.LBB125_291:
	s_or_b64 exec, exec, s[4:5]
	s_waitcnt lgkmcnt(0)
	; wave barrier
	buffer_load_dword v135, off, s[0:3], 0 offset:360
	buffer_load_dword v136, off, s[0:3], 0 offset:364
	buffer_load_dword v137, off, s[0:3], 0 offset:368
	buffer_load_dword v138, off, s[0:3], 0 offset:372
	buffer_load_dword v139, off, s[0:3], 0 offset:376
	buffer_load_dword v140, off, s[0:3], 0 offset:380
	buffer_load_dword v141, off, s[0:3], 0 offset:384
	buffer_load_dword v142, off, s[0:3], 0 offset:388
	buffer_load_dword v143, off, s[0:3], 0 offset:392
	buffer_load_dword v144, off, s[0:3], 0 offset:396
	buffer_load_dword v145, off, s[0:3], 0 offset:400
	buffer_load_dword v146, off, s[0:3], 0 offset:404
	buffer_load_dword v147, off, s[0:3], 0 offset:408
	buffer_load_dword v148, off, s[0:3], 0 offset:412
	buffer_load_dword v150, off, s[0:3], 0 offset:420
	buffer_load_dword v151, off, s[0:3], 0 offset:440
	buffer_load_dword v153, off, s[0:3], 0 offset:432
	buffer_load_dword v155, off, s[0:3], 0 offset:424
	buffer_load_dword v149, off, s[0:3], 0 offset:416
	buffer_load_dword v156, off, s[0:3], 0 offset:428
	buffer_load_dword v154, off, s[0:3], 0 offset:436
	buffer_load_dword v152, off, s[0:3], 0 offset:444
	v_mov_b32_e32 v126, 0
	ds_read2_b64 v[127:130], v126 offset0:107 offset1:108
	ds_read2_b64 v[131:134], v126 offset0:109 offset1:110
	v_cmp_lt_u32_e32 vcc, 43, v0
	s_waitcnt vmcnt(20) lgkmcnt(1)
	v_fma_f64 v[127:128], v[135:136], v[127:128], 0
	s_waitcnt vmcnt(18)
	v_fma_f64 v[127:128], v[137:138], v[129:130], v[127:128]
	buffer_load_dword v136, off, s[0:3], 0 offset:452
	buffer_load_dword v137, off, s[0:3], 0 offset:472
	;; [unrolled: 1-line block ×7, first 2 shown]
	s_waitcnt vmcnt(23) lgkmcnt(0)
	v_fma_f64 v[127:128], v[139:140], v[131:132], v[127:128]
	s_waitcnt vmcnt(21)
	v_fma_f64 v[138:139], v[141:142], v[133:134], v[127:128]
	ds_read2_b64 v[127:130], v126 offset0:111 offset1:112
	ds_read2_b64 v[131:134], v126 offset0:113 offset1:114
	s_waitcnt vmcnt(19) lgkmcnt(1)
	v_fma_f64 v[127:128], v[143:144], v[127:128], v[138:139]
	buffer_load_dword v138, off, s[0:3], 0 offset:476
	buffer_load_dword v140, off, s[0:3], 0 offset:484
	;; [unrolled: 1-line block ×7, first 2 shown]
	s_waitcnt vmcnt(24)
	v_fma_f64 v[127:128], v[145:146], v[129:130], v[127:128]
	s_waitcnt vmcnt(22) lgkmcnt(0)
	v_fma_f64 v[127:128], v[147:148], v[131:132], v[127:128]
	s_waitcnt vmcnt(17)
	v_fma_f64 v[145:146], v[149:150], v[133:134], v[127:128]
	ds_read2_b64 v[127:130], v126 offset0:115 offset1:116
	ds_read2_b64 v[131:134], v126 offset0:117 offset1:118
	s_waitcnt vmcnt(16) lgkmcnt(1)
	v_fma_f64 v[127:128], v[155:156], v[127:128], v[145:146]
	s_waitcnt vmcnt(15)
	v_fma_f64 v[127:128], v[153:154], v[129:130], v[127:128]
	s_waitcnt vmcnt(14) lgkmcnt(0)
	v_fma_f64 v[127:128], v[151:152], v[131:132], v[127:128]
	s_waitcnt vmcnt(9)
	v_fma_f64 v[135:136], v[135:136], v[133:134], v[127:128]
	ds_read2_b64 v[127:130], v126 offset0:119 offset1:120
	ds_read2_b64 v[131:134], v126 offset0:121 offset1:122
	s_waitcnt vmcnt(8) lgkmcnt(1)
	v_fma_f64 v[127:128], v[159:160], v[127:128], v[135:136]
	s_waitcnt vmcnt(7)
	v_fma_f64 v[127:128], v[157:158], v[129:130], v[127:128]
	ds_read_b64 v[129:130], v126 offset:984
	s_waitcnt vmcnt(6) lgkmcnt(1)
	v_fma_f64 v[127:128], v[137:138], v[131:132], v[127:128]
	s_waitcnt vmcnt(3)
	v_fma_f64 v[127:128], v[139:140], v[133:134], v[127:128]
	s_waitcnt vmcnt(2) lgkmcnt(0)
	v_fma_f64 v[127:128], v[141:142], v[129:130], v[127:128]
	s_waitcnt vmcnt(0)
	v_add_f64 v[127:128], v[143:144], -v[127:128]
	buffer_store_dword v128, off, s[0:3], 0 offset:356
	buffer_store_dword v127, off, s[0:3], 0 offset:352
	s_and_saveexec_b64 s[4:5], vcc
	s_cbranch_execz .LBB125_293
; %bb.292:
	buffer_load_dword v127, off, s[0:3], 0 offset:344
	buffer_load_dword v128, off, s[0:3], 0 offset:348
	s_waitcnt vmcnt(0)
	ds_write_b64 v125, v[127:128]
	buffer_store_dword v126, off, s[0:3], 0 offset:344
	buffer_store_dword v126, off, s[0:3], 0 offset:348
.LBB125_293:
	s_or_b64 exec, exec, s[4:5]
	s_waitcnt lgkmcnt(0)
	; wave barrier
	buffer_load_dword v135, off, s[0:3], 0 offset:352
	buffer_load_dword v136, off, s[0:3], 0 offset:356
	;; [unrolled: 1-line block ×22, first 2 shown]
	ds_read_b128 v[127:130], v126 offset:848
	ds_read_b128 v[131:134], v126 offset:864
	v_cmp_lt_u32_e32 vcc, 42, v0
	s_waitcnt vmcnt(20) lgkmcnt(1)
	v_fma_f64 v[127:128], v[135:136], v[127:128], 0
	s_waitcnt vmcnt(18)
	v_fma_f64 v[127:128], v[137:138], v[129:130], v[127:128]
	buffer_load_dword v136, off, s[0:3], 0 offset:444
	buffer_load_dword v137, off, s[0:3], 0 offset:464
	;; [unrolled: 1-line block ×7, first 2 shown]
	s_waitcnt vmcnt(23) lgkmcnt(0)
	v_fma_f64 v[127:128], v[139:140], v[131:132], v[127:128]
	s_waitcnt vmcnt(21)
	v_fma_f64 v[138:139], v[141:142], v[133:134], v[127:128]
	ds_read_b128 v[127:130], v126 offset:880
	ds_read_b128 v[131:134], v126 offset:896
	s_waitcnt vmcnt(19) lgkmcnt(1)
	v_fma_f64 v[127:128], v[143:144], v[127:128], v[138:139]
	buffer_load_dword v138, off, s[0:3], 0 offset:468
	buffer_load_dword v140, off, s[0:3], 0 offset:476
	;; [unrolled: 1-line block ×7, first 2 shown]
	s_waitcnt vmcnt(24)
	v_fma_f64 v[127:128], v[145:146], v[129:130], v[127:128]
	s_waitcnt vmcnt(22) lgkmcnt(0)
	v_fma_f64 v[127:128], v[147:148], v[131:132], v[127:128]
	s_waitcnt vmcnt(17)
	v_fma_f64 v[145:146], v[149:150], v[133:134], v[127:128]
	ds_read_b128 v[127:130], v126 offset:912
	buffer_load_dword v147, off, s[0:3], 0 offset:344
	buffer_load_dword v148, off, s[0:3], 0 offset:348
	ds_read_b128 v[131:134], v126 offset:928
	s_waitcnt vmcnt(18) lgkmcnt(1)
	v_fma_f64 v[127:128], v[155:156], v[127:128], v[145:146]
	s_waitcnt vmcnt(17)
	v_fma_f64 v[127:128], v[153:154], v[129:130], v[127:128]
	s_waitcnt vmcnt(16) lgkmcnt(0)
	v_fma_f64 v[127:128], v[151:152], v[131:132], v[127:128]
	s_waitcnt vmcnt(11)
	v_fma_f64 v[135:136], v[135:136], v[133:134], v[127:128]
	ds_read_b128 v[127:130], v126 offset:944
	ds_read_b128 v[131:134], v126 offset:960
	s_waitcnt vmcnt(10) lgkmcnt(1)
	v_fma_f64 v[127:128], v[159:160], v[127:128], v[135:136]
	s_waitcnt vmcnt(9)
	v_fma_f64 v[127:128], v[157:158], v[129:130], v[127:128]
	s_waitcnt vmcnt(8) lgkmcnt(0)
	v_fma_f64 v[127:128], v[137:138], v[131:132], v[127:128]
	s_waitcnt vmcnt(4)
	v_fma_f64 v[130:131], v[139:140], v[133:134], v[127:128]
	ds_read_b128 v[126:129], v126 offset:976
	s_waitcnt vmcnt(3) lgkmcnt(0)
	v_fma_f64 v[126:127], v[143:144], v[126:127], v[130:131]
	s_waitcnt vmcnt(2)
	v_fma_f64 v[126:127], v[141:142], v[128:129], v[126:127]
	s_waitcnt vmcnt(0)
	v_add_f64 v[126:127], v[147:148], -v[126:127]
	buffer_store_dword v127, off, s[0:3], 0 offset:348
	buffer_store_dword v126, off, s[0:3], 0 offset:344
	s_and_saveexec_b64 s[4:5], vcc
	s_cbranch_execz .LBB125_295
; %bb.294:
	buffer_load_dword v126, off, s[0:3], 0 offset:336
	buffer_load_dword v127, off, s[0:3], 0 offset:340
	v_mov_b32_e32 v128, 0
	buffer_store_dword v128, off, s[0:3], 0 offset:336
	buffer_store_dword v128, off, s[0:3], 0 offset:340
	s_waitcnt vmcnt(2)
	ds_write_b64 v125, v[126:127]
.LBB125_295:
	s_or_b64 exec, exec, s[4:5]
	s_waitcnt lgkmcnt(0)
	; wave barrier
	buffer_load_dword v135, off, s[0:3], 0 offset:344
	buffer_load_dword v136, off, s[0:3], 0 offset:348
	;; [unrolled: 1-line block ×22, first 2 shown]
	v_mov_b32_e32 v126, 0
	ds_read2_b64 v[127:130], v126 offset0:105 offset1:106
	ds_read2_b64 v[131:134], v126 offset0:107 offset1:108
	v_cmp_lt_u32_e32 vcc, 41, v0
	s_waitcnt vmcnt(20) lgkmcnt(1)
	v_fma_f64 v[127:128], v[135:136], v[127:128], 0
	s_waitcnt vmcnt(18)
	v_fma_f64 v[127:128], v[137:138], v[129:130], v[127:128]
	buffer_load_dword v136, off, s[0:3], 0 offset:436
	buffer_load_dword v137, off, s[0:3], 0 offset:456
	;; [unrolled: 1-line block ×7, first 2 shown]
	s_waitcnt vmcnt(23) lgkmcnt(0)
	v_fma_f64 v[127:128], v[139:140], v[131:132], v[127:128]
	s_waitcnt vmcnt(21)
	v_fma_f64 v[138:139], v[141:142], v[133:134], v[127:128]
	ds_read2_b64 v[127:130], v126 offset0:109 offset1:110
	ds_read2_b64 v[131:134], v126 offset0:111 offset1:112
	s_waitcnt vmcnt(19) lgkmcnt(1)
	v_fma_f64 v[127:128], v[143:144], v[127:128], v[138:139]
	buffer_load_dword v138, off, s[0:3], 0 offset:460
	s_waitcnt vmcnt(18)
	v_fma_f64 v[127:128], v[145:146], v[129:130], v[127:128]
	buffer_load_dword v140, off, s[0:3], 0 offset:468
	buffer_load_dword v141, off, s[0:3], 0 offset:488
	;; [unrolled: 1-line block ×8, first 2 shown]
	s_waitcnt vmcnt(24) lgkmcnt(0)
	v_fma_f64 v[127:128], v[147:148], v[131:132], v[127:128]
	s_waitcnt vmcnt(19)
	v_fma_f64 v[147:148], v[149:150], v[133:134], v[127:128]
	ds_read2_b64 v[127:130], v126 offset0:113 offset1:114
	ds_read2_b64 v[131:134], v126 offset0:115 offset1:116
	s_waitcnt vmcnt(18) lgkmcnt(1)
	v_fma_f64 v[127:128], v[155:156], v[127:128], v[147:148]
	buffer_load_dword v147, off, s[0:3], 0 offset:336
	buffer_load_dword v148, off, s[0:3], 0 offset:340
	s_waitcnt vmcnt(19)
	v_fma_f64 v[127:128], v[153:154], v[129:130], v[127:128]
	s_waitcnt vmcnt(18) lgkmcnt(0)
	v_fma_f64 v[127:128], v[151:152], v[131:132], v[127:128]
	s_waitcnt vmcnt(13)
	v_fma_f64 v[135:136], v[135:136], v[133:134], v[127:128]
	ds_read2_b64 v[127:130], v126 offset0:117 offset1:118
	ds_read2_b64 v[131:134], v126 offset0:119 offset1:120
	s_waitcnt vmcnt(12) lgkmcnt(1)
	v_fma_f64 v[127:128], v[159:160], v[127:128], v[135:136]
	s_waitcnt vmcnt(11)
	v_fma_f64 v[127:128], v[157:158], v[129:130], v[127:128]
	s_waitcnt vmcnt(10) lgkmcnt(0)
	v_fma_f64 v[127:128], v[137:138], v[131:132], v[127:128]
	s_waitcnt vmcnt(5)
	v_fma_f64 v[131:132], v[139:140], v[133:134], v[127:128]
	ds_read2_b64 v[127:130], v126 offset0:121 offset1:122
	ds_read_b64 v[133:134], v126 offset:984
	s_waitcnt vmcnt(4) lgkmcnt(1)
	v_fma_f64 v[127:128], v[145:146], v[127:128], v[131:132]
	s_waitcnt vmcnt(3)
	v_fma_f64 v[127:128], v[143:144], v[129:130], v[127:128]
	s_waitcnt vmcnt(2) lgkmcnt(0)
	v_fma_f64 v[127:128], v[141:142], v[133:134], v[127:128]
	s_waitcnt vmcnt(0)
	v_add_f64 v[127:128], v[147:148], -v[127:128]
	buffer_store_dword v128, off, s[0:3], 0 offset:340
	buffer_store_dword v127, off, s[0:3], 0 offset:336
	s_and_saveexec_b64 s[4:5], vcc
	s_cbranch_execz .LBB125_297
; %bb.296:
	buffer_load_dword v127, off, s[0:3], 0 offset:328
	buffer_load_dword v128, off, s[0:3], 0 offset:332
	s_waitcnt vmcnt(0)
	ds_write_b64 v125, v[127:128]
	buffer_store_dword v126, off, s[0:3], 0 offset:328
	buffer_store_dword v126, off, s[0:3], 0 offset:332
.LBB125_297:
	s_or_b64 exec, exec, s[4:5]
	s_waitcnt lgkmcnt(0)
	; wave barrier
	buffer_load_dword v135, off, s[0:3], 0 offset:336
	buffer_load_dword v136, off, s[0:3], 0 offset:340
	;; [unrolled: 1-line block ×22, first 2 shown]
	ds_read_b128 v[127:130], v126 offset:832
	ds_read_b128 v[131:134], v126 offset:848
	v_cmp_lt_u32_e32 vcc, 40, v0
	s_waitcnt vmcnt(20) lgkmcnt(1)
	v_fma_f64 v[127:128], v[135:136], v[127:128], 0
	s_waitcnt vmcnt(18)
	v_fma_f64 v[127:128], v[137:138], v[129:130], v[127:128]
	buffer_load_dword v136, off, s[0:3], 0 offset:428
	buffer_load_dword v137, off, s[0:3], 0 offset:448
	;; [unrolled: 1-line block ×7, first 2 shown]
	s_waitcnt vmcnt(23) lgkmcnt(0)
	v_fma_f64 v[127:128], v[139:140], v[131:132], v[127:128]
	s_waitcnt vmcnt(21)
	v_fma_f64 v[138:139], v[141:142], v[133:134], v[127:128]
	ds_read_b128 v[127:130], v126 offset:864
	ds_read_b128 v[131:134], v126 offset:880
	s_waitcnt vmcnt(19) lgkmcnt(1)
	v_fma_f64 v[127:128], v[143:144], v[127:128], v[138:139]
	buffer_load_dword v138, off, s[0:3], 0 offset:452
	s_waitcnt vmcnt(18)
	v_fma_f64 v[127:128], v[145:146], v[129:130], v[127:128]
	buffer_load_dword v140, off, s[0:3], 0 offset:460
	buffer_load_dword v141, off, s[0:3], 0 offset:480
	;; [unrolled: 1-line block ×8, first 2 shown]
	s_waitcnt vmcnt(24) lgkmcnt(0)
	v_fma_f64 v[127:128], v[147:148], v[131:132], v[127:128]
	s_waitcnt vmcnt(19)
	v_fma_f64 v[147:148], v[149:150], v[133:134], v[127:128]
	ds_read_b128 v[127:130], v126 offset:896
	ds_read_b128 v[131:134], v126 offset:912
	s_waitcnt vmcnt(18) lgkmcnt(1)
	v_fma_f64 v[127:128], v[155:156], v[127:128], v[147:148]
	buffer_load_dword v148, off, s[0:3], 0 offset:492
	buffer_load_dword v147, off, s[0:3], 0 offset:488
	;; [unrolled: 1-line block ×4, first 2 shown]
	s_waitcnt vmcnt(21)
	v_fma_f64 v[127:128], v[153:154], v[129:130], v[127:128]
	s_waitcnt vmcnt(20) lgkmcnt(0)
	v_fma_f64 v[127:128], v[151:152], v[131:132], v[127:128]
	s_waitcnt vmcnt(15)
	v_fma_f64 v[135:136], v[135:136], v[133:134], v[127:128]
	ds_read_b128 v[127:130], v126 offset:928
	ds_read_b128 v[131:134], v126 offset:944
	s_waitcnt vmcnt(14) lgkmcnt(1)
	v_fma_f64 v[127:128], v[159:160], v[127:128], v[135:136]
	s_waitcnt vmcnt(13)
	v_fma_f64 v[127:128], v[157:158], v[129:130], v[127:128]
	s_waitcnt vmcnt(12) lgkmcnt(0)
	v_fma_f64 v[127:128], v[137:138], v[131:132], v[127:128]
	s_waitcnt vmcnt(7)
	v_fma_f64 v[135:136], v[139:140], v[133:134], v[127:128]
	ds_read_b128 v[127:130], v126 offset:960
	ds_read_b128 v[131:134], v126 offset:976
	s_waitcnt vmcnt(6) lgkmcnt(1)
	v_fma_f64 v[126:127], v[145:146], v[127:128], v[135:136]
	s_waitcnt vmcnt(5)
	v_fma_f64 v[126:127], v[143:144], v[129:130], v[126:127]
	s_waitcnt vmcnt(4) lgkmcnt(0)
	v_fma_f64 v[126:127], v[141:142], v[131:132], v[126:127]
	s_waitcnt vmcnt(2)
	v_fma_f64 v[126:127], v[147:148], v[133:134], v[126:127]
	s_waitcnt vmcnt(0)
	v_add_f64 v[126:127], v[149:150], -v[126:127]
	buffer_store_dword v127, off, s[0:3], 0 offset:332
	buffer_store_dword v126, off, s[0:3], 0 offset:328
	s_and_saveexec_b64 s[4:5], vcc
	s_cbranch_execz .LBB125_299
; %bb.298:
	buffer_load_dword v126, off, s[0:3], 0 offset:320
	buffer_load_dword v127, off, s[0:3], 0 offset:324
	v_mov_b32_e32 v128, 0
	buffer_store_dword v128, off, s[0:3], 0 offset:320
	buffer_store_dword v128, off, s[0:3], 0 offset:324
	s_waitcnt vmcnt(2)
	ds_write_b64 v125, v[126:127]
.LBB125_299:
	s_or_b64 exec, exec, s[4:5]
	s_waitcnt lgkmcnt(0)
	; wave barrier
	buffer_load_dword v135, off, s[0:3], 0 offset:328
	buffer_load_dword v136, off, s[0:3], 0 offset:332
	;; [unrolled: 1-line block ×21, first 2 shown]
	v_mov_b32_e32 v126, 0
	ds_read2_b64 v[127:130], v126 offset0:103 offset1:104
	ds_read2_b64 v[131:134], v126 offset0:105 offset1:106
	buffer_load_dword v152, off, s[0:3], 0 offset:412
	v_cmp_lt_u32_e32 vcc, 39, v0
	s_waitcnt vmcnt(20) lgkmcnt(1)
	v_fma_f64 v[127:128], v[135:136], v[127:128], 0
	s_waitcnt vmcnt(18)
	v_fma_f64 v[127:128], v[137:138], v[129:130], v[127:128]
	buffer_load_dword v136, off, s[0:3], 0 offset:420
	buffer_load_dword v137, off, s[0:3], 0 offset:440
	;; [unrolled: 1-line block ×7, first 2 shown]
	s_waitcnt vmcnt(23) lgkmcnt(0)
	v_fma_f64 v[127:128], v[139:140], v[131:132], v[127:128]
	s_waitcnt vmcnt(21)
	v_fma_f64 v[138:139], v[141:142], v[133:134], v[127:128]
	ds_read2_b64 v[127:130], v126 offset0:107 offset1:108
	ds_read2_b64 v[131:134], v126 offset0:109 offset1:110
	s_waitcnt vmcnt(19) lgkmcnt(1)
	v_fma_f64 v[127:128], v[143:144], v[127:128], v[138:139]
	buffer_load_dword v138, off, s[0:3], 0 offset:444
	s_waitcnt vmcnt(18)
	v_fma_f64 v[127:128], v[145:146], v[129:130], v[127:128]
	buffer_load_dword v140, off, s[0:3], 0 offset:452
	buffer_load_dword v141, off, s[0:3], 0 offset:472
	;; [unrolled: 1-line block ×7, first 2 shown]
	s_waitcnt vmcnt(23) lgkmcnt(0)
	v_fma_f64 v[127:128], v[147:148], v[131:132], v[127:128]
	s_waitcnt vmcnt(18)
	v_fma_f64 v[147:148], v[149:150], v[133:134], v[127:128]
	ds_read2_b64 v[127:130], v126 offset0:111 offset1:112
	ds_read2_b64 v[131:134], v126 offset0:113 offset1:114
	buffer_load_dword v142, off, s[0:3], 0 offset:476
	s_waitcnt vmcnt(18) lgkmcnt(1)
	v_fma_f64 v[127:128], v[155:156], v[127:128], v[147:148]
	buffer_load_dword v148, off, s[0:3], 0 offset:484
	buffer_load_dword v149, off, s[0:3], 0 offset:488
	;; [unrolled: 1-line block ×4, first 2 shown]
	s_waitcnt vmcnt(21)
	v_fma_f64 v[127:128], v[153:154], v[129:130], v[127:128]
	s_waitcnt vmcnt(20) lgkmcnt(0)
	v_fma_f64 v[127:128], v[151:152], v[131:132], v[127:128]
	buffer_load_dword v151, off, s[0:3], 0 offset:320
	buffer_load_dword v152, off, s[0:3], 0 offset:324
	s_waitcnt vmcnt(17)
	v_fma_f64 v[135:136], v[135:136], v[133:134], v[127:128]
	ds_read2_b64 v[127:130], v126 offset0:115 offset1:116
	ds_read2_b64 v[131:134], v126 offset0:117 offset1:118
	s_waitcnt vmcnt(16) lgkmcnt(1)
	v_fma_f64 v[127:128], v[159:160], v[127:128], v[135:136]
	s_waitcnt vmcnt(15)
	v_fma_f64 v[127:128], v[157:158], v[129:130], v[127:128]
	s_waitcnt vmcnt(14) lgkmcnt(0)
	v_fma_f64 v[127:128], v[137:138], v[131:132], v[127:128]
	s_waitcnt vmcnt(9)
	v_fma_f64 v[135:136], v[139:140], v[133:134], v[127:128]
	ds_read2_b64 v[127:130], v126 offset0:119 offset1:120
	ds_read2_b64 v[131:134], v126 offset0:121 offset1:122
	s_waitcnt vmcnt(8) lgkmcnt(1)
	v_fma_f64 v[127:128], v[145:146], v[127:128], v[135:136]
	s_waitcnt vmcnt(7)
	v_fma_f64 v[127:128], v[143:144], v[129:130], v[127:128]
	ds_read_b64 v[129:130], v126 offset:984
	s_waitcnt vmcnt(6) lgkmcnt(1)
	v_fma_f64 v[127:128], v[141:142], v[131:132], v[127:128]
	s_waitcnt vmcnt(3)
	v_fma_f64 v[127:128], v[147:148], v[133:134], v[127:128]
	s_waitcnt vmcnt(2) lgkmcnt(0)
	v_fma_f64 v[127:128], v[149:150], v[129:130], v[127:128]
	s_waitcnt vmcnt(0)
	v_add_f64 v[127:128], v[151:152], -v[127:128]
	buffer_store_dword v128, off, s[0:3], 0 offset:324
	buffer_store_dword v127, off, s[0:3], 0 offset:320
	s_and_saveexec_b64 s[4:5], vcc
	s_cbranch_execz .LBB125_301
; %bb.300:
	buffer_load_dword v127, off, s[0:3], 0 offset:312
	buffer_load_dword v128, off, s[0:3], 0 offset:316
	s_waitcnt vmcnt(0)
	ds_write_b64 v125, v[127:128]
	buffer_store_dword v126, off, s[0:3], 0 offset:312
	buffer_store_dword v126, off, s[0:3], 0 offset:316
.LBB125_301:
	s_or_b64 exec, exec, s[4:5]
	s_waitcnt lgkmcnt(0)
	; wave barrier
	buffer_load_dword v135, off, s[0:3], 0 offset:320
	buffer_load_dword v136, off, s[0:3], 0 offset:324
	;; [unrolled: 1-line block ×21, first 2 shown]
	ds_read_b128 v[127:130], v126 offset:816
	ds_read_b128 v[131:134], v126 offset:832
	buffer_load_dword v152, off, s[0:3], 0 offset:404
	v_cmp_lt_u32_e32 vcc, 38, v0
	s_waitcnt vmcnt(20) lgkmcnt(1)
	v_fma_f64 v[127:128], v[135:136], v[127:128], 0
	s_waitcnt vmcnt(18)
	v_fma_f64 v[127:128], v[137:138], v[129:130], v[127:128]
	buffer_load_dword v136, off, s[0:3], 0 offset:412
	buffer_load_dword v137, off, s[0:3], 0 offset:432
	;; [unrolled: 1-line block ×7, first 2 shown]
	s_waitcnt vmcnt(23) lgkmcnt(0)
	v_fma_f64 v[127:128], v[139:140], v[131:132], v[127:128]
	s_waitcnt vmcnt(21)
	v_fma_f64 v[138:139], v[141:142], v[133:134], v[127:128]
	ds_read_b128 v[127:130], v126 offset:848
	ds_read_b128 v[131:134], v126 offset:864
	s_waitcnt vmcnt(19) lgkmcnt(1)
	v_fma_f64 v[127:128], v[143:144], v[127:128], v[138:139]
	buffer_load_dword v138, off, s[0:3], 0 offset:436
	s_waitcnt vmcnt(18)
	v_fma_f64 v[127:128], v[145:146], v[129:130], v[127:128]
	buffer_load_dword v140, off, s[0:3], 0 offset:444
	buffer_load_dword v141, off, s[0:3], 0 offset:464
	;; [unrolled: 1-line block ×8, first 2 shown]
	s_waitcnt vmcnt(24) lgkmcnt(0)
	v_fma_f64 v[127:128], v[147:148], v[131:132], v[127:128]
	s_waitcnt vmcnt(19)
	v_fma_f64 v[147:148], v[149:150], v[133:134], v[127:128]
	ds_read_b128 v[127:130], v126 offset:880
	ds_read_b128 v[131:134], v126 offset:896
	s_waitcnt vmcnt(18) lgkmcnt(1)
	v_fma_f64 v[127:128], v[155:156], v[127:128], v[147:148]
	s_waitcnt vmcnt(17)
	v_fma_f64 v[127:128], v[153:154], v[129:130], v[127:128]
	buffer_load_dword v148, off, s[0:3], 0 offset:476
	buffer_load_dword v149, off, s[0:3], 0 offset:488
	;; [unrolled: 1-line block ×6, first 2 shown]
	s_waitcnt vmcnt(22) lgkmcnt(0)
	v_fma_f64 v[127:128], v[151:152], v[131:132], v[127:128]
	s_waitcnt vmcnt(17)
	v_fma_f64 v[135:136], v[135:136], v[133:134], v[127:128]
	ds_read_b128 v[127:130], v126 offset:912
	buffer_load_dword v151, off, s[0:3], 0 offset:312
	buffer_load_dword v152, off, s[0:3], 0 offset:316
	ds_read_b128 v[131:134], v126 offset:928
	s_waitcnt vmcnt(18) lgkmcnt(1)
	v_fma_f64 v[127:128], v[159:160], v[127:128], v[135:136]
	s_waitcnt vmcnt(17)
	v_fma_f64 v[127:128], v[157:158], v[129:130], v[127:128]
	s_waitcnt vmcnt(16) lgkmcnt(0)
	v_fma_f64 v[127:128], v[137:138], v[131:132], v[127:128]
	s_waitcnt vmcnt(11)
	v_fma_f64 v[135:136], v[139:140], v[133:134], v[127:128]
	ds_read_b128 v[127:130], v126 offset:944
	ds_read_b128 v[131:134], v126 offset:960
	s_waitcnt vmcnt(10) lgkmcnt(1)
	v_fma_f64 v[127:128], v[145:146], v[127:128], v[135:136]
	s_waitcnt vmcnt(9)
	v_fma_f64 v[127:128], v[143:144], v[129:130], v[127:128]
	s_waitcnt vmcnt(8) lgkmcnt(0)
	v_fma_f64 v[127:128], v[141:142], v[131:132], v[127:128]
	s_waitcnt vmcnt(4)
	v_fma_f64 v[130:131], v[147:148], v[133:134], v[127:128]
	ds_read_b128 v[126:129], v126 offset:976
	s_waitcnt vmcnt(3) lgkmcnt(0)
	v_fma_f64 v[126:127], v[153:154], v[126:127], v[130:131]
	s_waitcnt vmcnt(2)
	v_fma_f64 v[126:127], v[149:150], v[128:129], v[126:127]
	s_waitcnt vmcnt(0)
	v_add_f64 v[126:127], v[151:152], -v[126:127]
	buffer_store_dword v127, off, s[0:3], 0 offset:316
	buffer_store_dword v126, off, s[0:3], 0 offset:312
	s_and_saveexec_b64 s[4:5], vcc
	s_cbranch_execz .LBB125_303
; %bb.302:
	buffer_load_dword v126, off, s[0:3], 0 offset:304
	buffer_load_dword v127, off, s[0:3], 0 offset:308
	v_mov_b32_e32 v128, 0
	buffer_store_dword v128, off, s[0:3], 0 offset:304
	buffer_store_dword v128, off, s[0:3], 0 offset:308
	s_waitcnt vmcnt(2)
	ds_write_b64 v125, v[126:127]
.LBB125_303:
	s_or_b64 exec, exec, s[4:5]
	s_waitcnt lgkmcnt(0)
	; wave barrier
	buffer_load_dword v135, off, s[0:3], 0 offset:312
	buffer_load_dword v136, off, s[0:3], 0 offset:316
	;; [unrolled: 1-line block ×21, first 2 shown]
	v_mov_b32_e32 v126, 0
	ds_read2_b64 v[127:130], v126 offset0:101 offset1:102
	ds_read2_b64 v[131:134], v126 offset0:103 offset1:104
	buffer_load_dword v152, off, s[0:3], 0 offset:396
	v_cmp_lt_u32_e32 vcc, 37, v0
	s_waitcnt vmcnt(20) lgkmcnt(1)
	v_fma_f64 v[127:128], v[135:136], v[127:128], 0
	s_waitcnt vmcnt(18)
	v_fma_f64 v[127:128], v[137:138], v[129:130], v[127:128]
	buffer_load_dword v136, off, s[0:3], 0 offset:404
	buffer_load_dword v137, off, s[0:3], 0 offset:424
	buffer_load_dword v157, off, s[0:3], 0 offset:416
	buffer_load_dword v159, off, s[0:3], 0 offset:408
	buffer_load_dword v135, off, s[0:3], 0 offset:400
	buffer_load_dword v160, off, s[0:3], 0 offset:412
	buffer_load_dword v158, off, s[0:3], 0 offset:420
	s_waitcnt vmcnt(23) lgkmcnt(0)
	v_fma_f64 v[127:128], v[139:140], v[131:132], v[127:128]
	s_waitcnt vmcnt(21)
	v_fma_f64 v[138:139], v[141:142], v[133:134], v[127:128]
	ds_read2_b64 v[127:130], v126 offset0:105 offset1:106
	ds_read2_b64 v[131:134], v126 offset0:107 offset1:108
	s_waitcnt vmcnt(19) lgkmcnt(1)
	v_fma_f64 v[127:128], v[143:144], v[127:128], v[138:139]
	buffer_load_dword v138, off, s[0:3], 0 offset:428
	s_waitcnt vmcnt(18)
	v_fma_f64 v[127:128], v[145:146], v[129:130], v[127:128]
	buffer_load_dword v140, off, s[0:3], 0 offset:436
	buffer_load_dword v141, off, s[0:3], 0 offset:456
	;; [unrolled: 1-line block ×8, first 2 shown]
	s_waitcnt vmcnt(24) lgkmcnt(0)
	v_fma_f64 v[127:128], v[147:148], v[131:132], v[127:128]
	s_waitcnt vmcnt(19)
	v_fma_f64 v[147:148], v[149:150], v[133:134], v[127:128]
	ds_read2_b64 v[127:130], v126 offset0:109 offset1:110
	ds_read2_b64 v[131:134], v126 offset0:111 offset1:112
	s_waitcnt vmcnt(18) lgkmcnt(1)
	v_fma_f64 v[127:128], v[155:156], v[127:128], v[147:148]
	s_waitcnt vmcnt(17)
	v_fma_f64 v[127:128], v[153:154], v[129:130], v[127:128]
	buffer_load_dword v148, off, s[0:3], 0 offset:468
	buffer_load_dword v149, off, s[0:3], 0 offset:488
	;; [unrolled: 1-line block ×8, first 2 shown]
	s_waitcnt vmcnt(24) lgkmcnt(0)
	v_fma_f64 v[127:128], v[151:152], v[131:132], v[127:128]
	s_waitcnt vmcnt(19)
	v_fma_f64 v[135:136], v[135:136], v[133:134], v[127:128]
	ds_read2_b64 v[127:130], v126 offset0:113 offset1:114
	ds_read2_b64 v[131:134], v126 offset0:115 offset1:116
	s_waitcnt vmcnt(18) lgkmcnt(1)
	v_fma_f64 v[127:128], v[159:160], v[127:128], v[135:136]
	buffer_load_dword v135, off, s[0:3], 0 offset:304
	buffer_load_dword v136, off, s[0:3], 0 offset:308
	s_waitcnt vmcnt(19)
	v_fma_f64 v[127:128], v[157:158], v[129:130], v[127:128]
	s_waitcnt vmcnt(18) lgkmcnt(0)
	v_fma_f64 v[127:128], v[137:138], v[131:132], v[127:128]
	s_waitcnt vmcnt(13)
	v_fma_f64 v[137:138], v[139:140], v[133:134], v[127:128]
	ds_read2_b64 v[127:130], v126 offset0:117 offset1:118
	ds_read2_b64 v[131:134], v126 offset0:119 offset1:120
	s_waitcnt vmcnt(12) lgkmcnt(1)
	v_fma_f64 v[127:128], v[145:146], v[127:128], v[137:138]
	s_waitcnt vmcnt(11)
	v_fma_f64 v[127:128], v[143:144], v[129:130], v[127:128]
	s_waitcnt vmcnt(10) lgkmcnt(0)
	v_fma_f64 v[127:128], v[141:142], v[131:132], v[127:128]
	s_waitcnt vmcnt(5)
	v_fma_f64 v[131:132], v[147:148], v[133:134], v[127:128]
	ds_read2_b64 v[127:130], v126 offset0:121 offset1:122
	ds_read_b64 v[133:134], v126 offset:984
	s_waitcnt vmcnt(4) lgkmcnt(1)
	v_fma_f64 v[127:128], v[155:156], v[127:128], v[131:132]
	s_waitcnt vmcnt(3)
	v_fma_f64 v[127:128], v[153:154], v[129:130], v[127:128]
	s_waitcnt vmcnt(2) lgkmcnt(0)
	v_fma_f64 v[127:128], v[149:150], v[133:134], v[127:128]
	s_waitcnt vmcnt(0)
	v_add_f64 v[127:128], v[135:136], -v[127:128]
	buffer_store_dword v128, off, s[0:3], 0 offset:308
	buffer_store_dword v127, off, s[0:3], 0 offset:304
	s_and_saveexec_b64 s[4:5], vcc
	s_cbranch_execz .LBB125_305
; %bb.304:
	buffer_load_dword v127, off, s[0:3], 0 offset:296
	buffer_load_dword v128, off, s[0:3], 0 offset:300
	s_waitcnt vmcnt(0)
	ds_write_b64 v125, v[127:128]
	buffer_store_dword v126, off, s[0:3], 0 offset:296
	buffer_store_dword v126, off, s[0:3], 0 offset:300
.LBB125_305:
	s_or_b64 exec, exec, s[4:5]
	s_waitcnt lgkmcnt(0)
	; wave barrier
	buffer_load_dword v135, off, s[0:3], 0 offset:304
	buffer_load_dword v136, off, s[0:3], 0 offset:308
	;; [unrolled: 1-line block ×21, first 2 shown]
	ds_read_b128 v[127:130], v126 offset:800
	ds_read_b128 v[131:134], v126 offset:816
	buffer_load_dword v152, off, s[0:3], 0 offset:388
	v_cmp_lt_u32_e32 vcc, 36, v0
	s_waitcnt vmcnt(20) lgkmcnt(1)
	v_fma_f64 v[127:128], v[135:136], v[127:128], 0
	s_waitcnt vmcnt(18)
	v_fma_f64 v[127:128], v[137:138], v[129:130], v[127:128]
	buffer_load_dword v136, off, s[0:3], 0 offset:396
	buffer_load_dword v137, off, s[0:3], 0 offset:416
	;; [unrolled: 1-line block ×7, first 2 shown]
	s_waitcnt vmcnt(23) lgkmcnt(0)
	v_fma_f64 v[127:128], v[139:140], v[131:132], v[127:128]
	s_waitcnt vmcnt(21)
	v_fma_f64 v[138:139], v[141:142], v[133:134], v[127:128]
	ds_read_b128 v[127:130], v126 offset:832
	ds_read_b128 v[131:134], v126 offset:848
	s_waitcnt vmcnt(19) lgkmcnt(1)
	v_fma_f64 v[127:128], v[143:144], v[127:128], v[138:139]
	buffer_load_dword v138, off, s[0:3], 0 offset:420
	s_waitcnt vmcnt(18)
	v_fma_f64 v[127:128], v[145:146], v[129:130], v[127:128]
	buffer_load_dword v140, off, s[0:3], 0 offset:428
	buffer_load_dword v141, off, s[0:3], 0 offset:448
	;; [unrolled: 1-line block ×8, first 2 shown]
	s_waitcnt vmcnt(24) lgkmcnt(0)
	v_fma_f64 v[127:128], v[147:148], v[131:132], v[127:128]
	s_waitcnt vmcnt(19)
	v_fma_f64 v[147:148], v[149:150], v[133:134], v[127:128]
	ds_read_b128 v[127:130], v126 offset:864
	ds_read_b128 v[131:134], v126 offset:880
	s_waitcnt vmcnt(18) lgkmcnt(1)
	v_fma_f64 v[127:128], v[155:156], v[127:128], v[147:148]
	s_waitcnt vmcnt(17)
	v_fma_f64 v[127:128], v[153:154], v[129:130], v[127:128]
	buffer_load_dword v148, off, s[0:3], 0 offset:460
	buffer_load_dword v149, off, s[0:3], 0 offset:480
	buffer_load_dword v153, off, s[0:3], 0 offset:472
	buffer_load_dword v155, off, s[0:3], 0 offset:464
	buffer_load_dword v147, off, s[0:3], 0 offset:456
	buffer_load_dword v156, off, s[0:3], 0 offset:468
	buffer_load_dword v154, off, s[0:3], 0 offset:476
	buffer_load_dword v150, off, s[0:3], 0 offset:484
	s_waitcnt vmcnt(24) lgkmcnt(0)
	v_fma_f64 v[127:128], v[151:152], v[131:132], v[127:128]
	s_waitcnt vmcnt(19)
	v_fma_f64 v[135:136], v[135:136], v[133:134], v[127:128]
	ds_read_b128 v[127:130], v126 offset:896
	ds_read_b128 v[131:134], v126 offset:912
	s_waitcnt vmcnt(18) lgkmcnt(1)
	v_fma_f64 v[127:128], v[159:160], v[127:128], v[135:136]
	buffer_load_dword v136, off, s[0:3], 0 offset:492
	buffer_load_dword v135, off, s[0:3], 0 offset:488
	;; [unrolled: 1-line block ×4, first 2 shown]
	s_waitcnt vmcnt(21)
	v_fma_f64 v[127:128], v[157:158], v[129:130], v[127:128]
	s_waitcnt vmcnt(20) lgkmcnt(0)
	v_fma_f64 v[127:128], v[137:138], v[131:132], v[127:128]
	s_waitcnt vmcnt(15)
	v_fma_f64 v[137:138], v[139:140], v[133:134], v[127:128]
	ds_read_b128 v[127:130], v126 offset:928
	ds_read_b128 v[131:134], v126 offset:944
	s_waitcnt vmcnt(14) lgkmcnt(1)
	v_fma_f64 v[127:128], v[145:146], v[127:128], v[137:138]
	s_waitcnt vmcnt(13)
	v_fma_f64 v[127:128], v[143:144], v[129:130], v[127:128]
	s_waitcnt vmcnt(12) lgkmcnt(0)
	v_fma_f64 v[127:128], v[141:142], v[131:132], v[127:128]
	s_waitcnt vmcnt(7)
	v_fma_f64 v[137:138], v[147:148], v[133:134], v[127:128]
	ds_read_b128 v[127:130], v126 offset:960
	ds_read_b128 v[131:134], v126 offset:976
	s_waitcnt vmcnt(6) lgkmcnt(1)
	v_fma_f64 v[126:127], v[155:156], v[127:128], v[137:138]
	s_waitcnt vmcnt(5)
	v_fma_f64 v[126:127], v[153:154], v[129:130], v[126:127]
	s_waitcnt vmcnt(4) lgkmcnt(0)
	v_fma_f64 v[126:127], v[149:150], v[131:132], v[126:127]
	s_waitcnt vmcnt(2)
	v_fma_f64 v[126:127], v[135:136], v[133:134], v[126:127]
	s_waitcnt vmcnt(0)
	v_add_f64 v[126:127], v[151:152], -v[126:127]
	buffer_store_dword v127, off, s[0:3], 0 offset:300
	buffer_store_dword v126, off, s[0:3], 0 offset:296
	s_and_saveexec_b64 s[4:5], vcc
	s_cbranch_execz .LBB125_307
; %bb.306:
	buffer_load_dword v126, off, s[0:3], 0 offset:288
	buffer_load_dword v127, off, s[0:3], 0 offset:292
	v_mov_b32_e32 v128, 0
	buffer_store_dword v128, off, s[0:3], 0 offset:288
	buffer_store_dword v128, off, s[0:3], 0 offset:292
	s_waitcnt vmcnt(2)
	ds_write_b64 v125, v[126:127]
.LBB125_307:
	s_or_b64 exec, exec, s[4:5]
	s_waitcnt lgkmcnt(0)
	; wave barrier
	buffer_load_dword v135, off, s[0:3], 0 offset:296
	buffer_load_dword v136, off, s[0:3], 0 offset:300
	;; [unrolled: 1-line block ×21, first 2 shown]
	v_mov_b32_e32 v126, 0
	ds_read2_b64 v[127:130], v126 offset0:99 offset1:100
	ds_read2_b64 v[131:134], v126 offset0:101 offset1:102
	buffer_load_dword v152, off, s[0:3], 0 offset:380
	v_cmp_lt_u32_e32 vcc, 35, v0
	s_waitcnt vmcnt(20) lgkmcnt(1)
	v_fma_f64 v[127:128], v[135:136], v[127:128], 0
	s_waitcnt vmcnt(18)
	v_fma_f64 v[127:128], v[137:138], v[129:130], v[127:128]
	buffer_load_dword v136, off, s[0:3], 0 offset:388
	buffer_load_dword v137, off, s[0:3], 0 offset:408
	;; [unrolled: 1-line block ×7, first 2 shown]
	s_waitcnt vmcnt(23) lgkmcnt(0)
	v_fma_f64 v[127:128], v[139:140], v[131:132], v[127:128]
	s_waitcnt vmcnt(21)
	v_fma_f64 v[138:139], v[141:142], v[133:134], v[127:128]
	ds_read2_b64 v[127:130], v126 offset0:103 offset1:104
	ds_read2_b64 v[131:134], v126 offset0:105 offset1:106
	s_waitcnt vmcnt(19) lgkmcnt(1)
	v_fma_f64 v[127:128], v[143:144], v[127:128], v[138:139]
	buffer_load_dword v138, off, s[0:3], 0 offset:412
	s_waitcnt vmcnt(18)
	v_fma_f64 v[127:128], v[145:146], v[129:130], v[127:128]
	buffer_load_dword v140, off, s[0:3], 0 offset:420
	buffer_load_dword v141, off, s[0:3], 0 offset:440
	;; [unrolled: 1-line block ×8, first 2 shown]
	s_waitcnt vmcnt(24) lgkmcnt(0)
	v_fma_f64 v[127:128], v[147:148], v[131:132], v[127:128]
	s_waitcnt vmcnt(19)
	v_fma_f64 v[147:148], v[149:150], v[133:134], v[127:128]
	ds_read2_b64 v[127:130], v126 offset0:107 offset1:108
	ds_read2_b64 v[131:134], v126 offset0:109 offset1:110
	s_waitcnt vmcnt(18) lgkmcnt(1)
	v_fma_f64 v[127:128], v[155:156], v[127:128], v[147:148]
	s_waitcnt vmcnt(17)
	v_fma_f64 v[127:128], v[153:154], v[129:130], v[127:128]
	buffer_load_dword v148, off, s[0:3], 0 offset:452
	buffer_load_dword v149, off, s[0:3], 0 offset:472
	;; [unrolled: 1-line block ×7, first 2 shown]
	s_waitcnt vmcnt(23) lgkmcnt(0)
	v_fma_f64 v[127:128], v[151:152], v[131:132], v[127:128]
	s_waitcnt vmcnt(18)
	v_fma_f64 v[135:136], v[135:136], v[133:134], v[127:128]
	ds_read2_b64 v[127:130], v126 offset0:111 offset1:112
	ds_read2_b64 v[131:134], v126 offset0:113 offset1:114
	buffer_load_dword v150, off, s[0:3], 0 offset:476
	s_waitcnt vmcnt(18) lgkmcnt(1)
	v_fma_f64 v[127:128], v[159:160], v[127:128], v[135:136]
	buffer_load_dword v136, off, s[0:3], 0 offset:484
	buffer_load_dword v151, off, s[0:3], 0 offset:488
	;; [unrolled: 1-line block ×4, first 2 shown]
	s_waitcnt vmcnt(21)
	v_fma_f64 v[127:128], v[157:158], v[129:130], v[127:128]
	s_waitcnt vmcnt(20) lgkmcnt(0)
	v_fma_f64 v[127:128], v[137:138], v[131:132], v[127:128]
	buffer_load_dword v137, off, s[0:3], 0 offset:288
	buffer_load_dword v138, off, s[0:3], 0 offset:292
	s_waitcnt vmcnt(17)
	v_fma_f64 v[139:140], v[139:140], v[133:134], v[127:128]
	ds_read2_b64 v[127:130], v126 offset0:115 offset1:116
	ds_read2_b64 v[131:134], v126 offset0:117 offset1:118
	s_waitcnt vmcnt(16) lgkmcnt(1)
	v_fma_f64 v[127:128], v[145:146], v[127:128], v[139:140]
	s_waitcnt vmcnt(15)
	v_fma_f64 v[127:128], v[143:144], v[129:130], v[127:128]
	s_waitcnt vmcnt(14) lgkmcnt(0)
	v_fma_f64 v[127:128], v[141:142], v[131:132], v[127:128]
	s_waitcnt vmcnt(9)
	v_fma_f64 v[139:140], v[147:148], v[133:134], v[127:128]
	ds_read2_b64 v[127:130], v126 offset0:119 offset1:120
	ds_read2_b64 v[131:134], v126 offset0:121 offset1:122
	s_waitcnt vmcnt(8) lgkmcnt(1)
	v_fma_f64 v[127:128], v[155:156], v[127:128], v[139:140]
	s_waitcnt vmcnt(7)
	v_fma_f64 v[127:128], v[153:154], v[129:130], v[127:128]
	ds_read_b64 v[129:130], v126 offset:984
	s_waitcnt vmcnt(6) lgkmcnt(1)
	v_fma_f64 v[127:128], v[149:150], v[131:132], v[127:128]
	s_waitcnt vmcnt(3)
	v_fma_f64 v[127:128], v[135:136], v[133:134], v[127:128]
	s_waitcnt vmcnt(2) lgkmcnt(0)
	v_fma_f64 v[127:128], v[151:152], v[129:130], v[127:128]
	s_waitcnt vmcnt(0)
	v_add_f64 v[127:128], v[137:138], -v[127:128]
	buffer_store_dword v128, off, s[0:3], 0 offset:292
	buffer_store_dword v127, off, s[0:3], 0 offset:288
	s_and_saveexec_b64 s[4:5], vcc
	s_cbranch_execz .LBB125_309
; %bb.308:
	buffer_load_dword v127, off, s[0:3], 0 offset:280
	buffer_load_dword v128, off, s[0:3], 0 offset:284
	s_waitcnt vmcnt(0)
	ds_write_b64 v125, v[127:128]
	buffer_store_dword v126, off, s[0:3], 0 offset:280
	buffer_store_dword v126, off, s[0:3], 0 offset:284
.LBB125_309:
	s_or_b64 exec, exec, s[4:5]
	s_waitcnt lgkmcnt(0)
	; wave barrier
	buffer_load_dword v135, off, s[0:3], 0 offset:288
	buffer_load_dword v136, off, s[0:3], 0 offset:292
	;; [unrolled: 1-line block ×22, first 2 shown]
	ds_read_b128 v[127:130], v126 offset:784
	ds_read_b128 v[131:134], v126 offset:800
	v_cmp_lt_u32_e32 vcc, 34, v0
	s_waitcnt vmcnt(20) lgkmcnt(1)
	v_fma_f64 v[127:128], v[135:136], v[127:128], 0
	s_waitcnt vmcnt(18)
	v_fma_f64 v[127:128], v[137:138], v[129:130], v[127:128]
	buffer_load_dword v136, off, s[0:3], 0 offset:380
	buffer_load_dword v137, off, s[0:3], 0 offset:400
	;; [unrolled: 1-line block ×7, first 2 shown]
	s_waitcnt vmcnt(23) lgkmcnt(0)
	v_fma_f64 v[127:128], v[139:140], v[131:132], v[127:128]
	s_waitcnt vmcnt(21)
	v_fma_f64 v[138:139], v[141:142], v[133:134], v[127:128]
	ds_read_b128 v[127:130], v126 offset:816
	ds_read_b128 v[131:134], v126 offset:832
	s_waitcnt vmcnt(19) lgkmcnt(1)
	v_fma_f64 v[127:128], v[143:144], v[127:128], v[138:139]
	buffer_load_dword v138, off, s[0:3], 0 offset:404
	s_waitcnt vmcnt(18)
	v_fma_f64 v[127:128], v[145:146], v[129:130], v[127:128]
	buffer_load_dword v140, off, s[0:3], 0 offset:412
	buffer_load_dword v141, off, s[0:3], 0 offset:432
	;; [unrolled: 1-line block ×8, first 2 shown]
	s_waitcnt vmcnt(24) lgkmcnt(0)
	v_fma_f64 v[127:128], v[147:148], v[131:132], v[127:128]
	s_waitcnt vmcnt(19)
	v_fma_f64 v[147:148], v[149:150], v[133:134], v[127:128]
	ds_read_b128 v[127:130], v126 offset:848
	ds_read_b128 v[131:134], v126 offset:864
	s_waitcnt vmcnt(18) lgkmcnt(1)
	v_fma_f64 v[127:128], v[155:156], v[127:128], v[147:148]
	s_waitcnt vmcnt(17)
	v_fma_f64 v[127:128], v[153:154], v[129:130], v[127:128]
	buffer_load_dword v148, off, s[0:3], 0 offset:444
	buffer_load_dword v149, off, s[0:3], 0 offset:464
	;; [unrolled: 1-line block ×8, first 2 shown]
	s_waitcnt vmcnt(24) lgkmcnt(0)
	v_fma_f64 v[127:128], v[151:152], v[131:132], v[127:128]
	s_waitcnt vmcnt(19)
	v_fma_f64 v[135:136], v[135:136], v[133:134], v[127:128]
	ds_read_b128 v[127:130], v126 offset:880
	ds_read_b128 v[131:134], v126 offset:896
	s_waitcnt vmcnt(18) lgkmcnt(1)
	v_fma_f64 v[127:128], v[159:160], v[127:128], v[135:136]
	s_waitcnt vmcnt(17)
	v_fma_f64 v[127:128], v[157:158], v[129:130], v[127:128]
	buffer_load_dword v136, off, s[0:3], 0 offset:476
	buffer_load_dword v151, off, s[0:3], 0 offset:488
	;; [unrolled: 1-line block ×6, first 2 shown]
	s_waitcnt vmcnt(22) lgkmcnt(0)
	v_fma_f64 v[127:128], v[137:138], v[131:132], v[127:128]
	s_waitcnt vmcnt(17)
	v_fma_f64 v[137:138], v[139:140], v[133:134], v[127:128]
	ds_read_b128 v[127:130], v126 offset:912
	buffer_load_dword v139, off, s[0:3], 0 offset:280
	buffer_load_dword v140, off, s[0:3], 0 offset:284
	ds_read_b128 v[131:134], v126 offset:928
	s_waitcnt vmcnt(18) lgkmcnt(1)
	v_fma_f64 v[127:128], v[145:146], v[127:128], v[137:138]
	s_waitcnt vmcnt(17)
	v_fma_f64 v[127:128], v[143:144], v[129:130], v[127:128]
	s_waitcnt vmcnt(16) lgkmcnt(0)
	v_fma_f64 v[127:128], v[141:142], v[131:132], v[127:128]
	s_waitcnt vmcnt(11)
	v_fma_f64 v[137:138], v[147:148], v[133:134], v[127:128]
	ds_read_b128 v[127:130], v126 offset:944
	ds_read_b128 v[131:134], v126 offset:960
	s_waitcnt vmcnt(10) lgkmcnt(1)
	v_fma_f64 v[127:128], v[155:156], v[127:128], v[137:138]
	s_waitcnt vmcnt(9)
	v_fma_f64 v[127:128], v[153:154], v[129:130], v[127:128]
	s_waitcnt vmcnt(8) lgkmcnt(0)
	v_fma_f64 v[127:128], v[149:150], v[131:132], v[127:128]
	s_waitcnt vmcnt(4)
	v_fma_f64 v[130:131], v[135:136], v[133:134], v[127:128]
	ds_read_b128 v[126:129], v126 offset:976
	s_waitcnt vmcnt(3) lgkmcnt(0)
	v_fma_f64 v[126:127], v[157:158], v[126:127], v[130:131]
	s_waitcnt vmcnt(2)
	v_fma_f64 v[126:127], v[151:152], v[128:129], v[126:127]
	s_waitcnt vmcnt(0)
	v_add_f64 v[126:127], v[139:140], -v[126:127]
	buffer_store_dword v127, off, s[0:3], 0 offset:284
	buffer_store_dword v126, off, s[0:3], 0 offset:280
	s_and_saveexec_b64 s[4:5], vcc
	s_cbranch_execz .LBB125_311
; %bb.310:
	buffer_load_dword v126, off, s[0:3], 0 offset:272
	buffer_load_dword v127, off, s[0:3], 0 offset:276
	v_mov_b32_e32 v128, 0
	buffer_store_dword v128, off, s[0:3], 0 offset:272
	buffer_store_dword v128, off, s[0:3], 0 offset:276
	s_waitcnt vmcnt(2)
	ds_write_b64 v125, v[126:127]
.LBB125_311:
	s_or_b64 exec, exec, s[4:5]
	s_waitcnt lgkmcnt(0)
	; wave barrier
	buffer_load_dword v135, off, s[0:3], 0 offset:280
	buffer_load_dword v136, off, s[0:3], 0 offset:284
	;; [unrolled: 1-line block ×22, first 2 shown]
	v_mov_b32_e32 v126, 0
	ds_read2_b64 v[127:130], v126 offset0:97 offset1:98
	ds_read2_b64 v[131:134], v126 offset0:99 offset1:100
	v_cmp_lt_u32_e32 vcc, 33, v0
	s_waitcnt vmcnt(20) lgkmcnt(1)
	v_fma_f64 v[127:128], v[135:136], v[127:128], 0
	s_waitcnt vmcnt(18)
	v_fma_f64 v[127:128], v[137:138], v[129:130], v[127:128]
	buffer_load_dword v136, off, s[0:3], 0 offset:372
	buffer_load_dword v137, off, s[0:3], 0 offset:392
	;; [unrolled: 1-line block ×7, first 2 shown]
	s_waitcnt vmcnt(23) lgkmcnt(0)
	v_fma_f64 v[127:128], v[139:140], v[131:132], v[127:128]
	s_waitcnt vmcnt(21)
	v_fma_f64 v[138:139], v[141:142], v[133:134], v[127:128]
	ds_read2_b64 v[127:130], v126 offset0:101 offset1:102
	ds_read2_b64 v[131:134], v126 offset0:103 offset1:104
	s_waitcnt vmcnt(19) lgkmcnt(1)
	v_fma_f64 v[127:128], v[143:144], v[127:128], v[138:139]
	buffer_load_dword v138, off, s[0:3], 0 offset:396
	s_waitcnt vmcnt(18)
	v_fma_f64 v[127:128], v[145:146], v[129:130], v[127:128]
	buffer_load_dword v140, off, s[0:3], 0 offset:404
	buffer_load_dword v141, off, s[0:3], 0 offset:424
	buffer_load_dword v143, off, s[0:3], 0 offset:416
	buffer_load_dword v145, off, s[0:3], 0 offset:408
	buffer_load_dword v139, off, s[0:3], 0 offset:400
	buffer_load_dword v146, off, s[0:3], 0 offset:412
	buffer_load_dword v144, off, s[0:3], 0 offset:420
	buffer_load_dword v142, off, s[0:3], 0 offset:428
	s_waitcnt vmcnt(24) lgkmcnt(0)
	v_fma_f64 v[127:128], v[147:148], v[131:132], v[127:128]
	s_waitcnt vmcnt(19)
	v_fma_f64 v[147:148], v[149:150], v[133:134], v[127:128]
	ds_read2_b64 v[127:130], v126 offset0:105 offset1:106
	ds_read2_b64 v[131:134], v126 offset0:107 offset1:108
	s_waitcnt vmcnt(18) lgkmcnt(1)
	v_fma_f64 v[127:128], v[155:156], v[127:128], v[147:148]
	s_waitcnt vmcnt(17)
	v_fma_f64 v[127:128], v[153:154], v[129:130], v[127:128]
	buffer_load_dword v148, off, s[0:3], 0 offset:436
	buffer_load_dword v149, off, s[0:3], 0 offset:456
	buffer_load_dword v153, off, s[0:3], 0 offset:448
	buffer_load_dword v155, off, s[0:3], 0 offset:440
	buffer_load_dword v147, off, s[0:3], 0 offset:432
	buffer_load_dword v156, off, s[0:3], 0 offset:444
	buffer_load_dword v154, off, s[0:3], 0 offset:452
	buffer_load_dword v150, off, s[0:3], 0 offset:460
	s_waitcnt vmcnt(24) lgkmcnt(0)
	v_fma_f64 v[127:128], v[151:152], v[131:132], v[127:128]
	s_waitcnt vmcnt(19)
	v_fma_f64 v[135:136], v[135:136], v[133:134], v[127:128]
	ds_read2_b64 v[127:130], v126 offset0:109 offset1:110
	ds_read2_b64 v[131:134], v126 offset0:111 offset1:112
	s_waitcnt vmcnt(18) lgkmcnt(1)
	v_fma_f64 v[127:128], v[159:160], v[127:128], v[135:136]
	s_waitcnt vmcnt(17)
	v_fma_f64 v[127:128], v[157:158], v[129:130], v[127:128]
	buffer_load_dword v136, off, s[0:3], 0 offset:468
	buffer_load_dword v151, off, s[0:3], 0 offset:488
	buffer_load_dword v157, off, s[0:3], 0 offset:480
	buffer_load_dword v159, off, s[0:3], 0 offset:472
	buffer_load_dword v135, off, s[0:3], 0 offset:464
	buffer_load_dword v160, off, s[0:3], 0 offset:476
	buffer_load_dword v158, off, s[0:3], 0 offset:484
	buffer_load_dword v152, off, s[0:3], 0 offset:492
	s_waitcnt vmcnt(24) lgkmcnt(0)
	v_fma_f64 v[127:128], v[137:138], v[131:132], v[127:128]
	s_waitcnt vmcnt(19)
	v_fma_f64 v[137:138], v[139:140], v[133:134], v[127:128]
	ds_read2_b64 v[127:130], v126 offset0:113 offset1:114
	ds_read2_b64 v[131:134], v126 offset0:115 offset1:116
	s_waitcnt vmcnt(18) lgkmcnt(1)
	v_fma_f64 v[127:128], v[145:146], v[127:128], v[137:138]
	buffer_load_dword v137, off, s[0:3], 0 offset:272
	buffer_load_dword v138, off, s[0:3], 0 offset:276
	s_waitcnt vmcnt(19)
	v_fma_f64 v[127:128], v[143:144], v[129:130], v[127:128]
	s_waitcnt vmcnt(18) lgkmcnt(0)
	v_fma_f64 v[127:128], v[141:142], v[131:132], v[127:128]
	s_waitcnt vmcnt(13)
	v_fma_f64 v[139:140], v[147:148], v[133:134], v[127:128]
	ds_read2_b64 v[127:130], v126 offset0:117 offset1:118
	ds_read2_b64 v[131:134], v126 offset0:119 offset1:120
	s_waitcnt vmcnt(12) lgkmcnt(1)
	v_fma_f64 v[127:128], v[155:156], v[127:128], v[139:140]
	s_waitcnt vmcnt(11)
	v_fma_f64 v[127:128], v[153:154], v[129:130], v[127:128]
	s_waitcnt vmcnt(10) lgkmcnt(0)
	v_fma_f64 v[127:128], v[149:150], v[131:132], v[127:128]
	s_waitcnt vmcnt(5)
	v_fma_f64 v[131:132], v[135:136], v[133:134], v[127:128]
	ds_read2_b64 v[127:130], v126 offset0:121 offset1:122
	ds_read_b64 v[133:134], v126 offset:984
	s_waitcnt vmcnt(4) lgkmcnt(1)
	v_fma_f64 v[127:128], v[159:160], v[127:128], v[131:132]
	s_waitcnt vmcnt(3)
	v_fma_f64 v[127:128], v[157:158], v[129:130], v[127:128]
	s_waitcnt vmcnt(2) lgkmcnt(0)
	v_fma_f64 v[127:128], v[151:152], v[133:134], v[127:128]
	s_waitcnt vmcnt(0)
	v_add_f64 v[127:128], v[137:138], -v[127:128]
	buffer_store_dword v128, off, s[0:3], 0 offset:276
	buffer_store_dword v127, off, s[0:3], 0 offset:272
	s_and_saveexec_b64 s[4:5], vcc
	s_cbranch_execz .LBB125_313
; %bb.312:
	buffer_load_dword v127, off, s[0:3], 0 offset:264
	buffer_load_dword v128, off, s[0:3], 0 offset:268
	s_waitcnt vmcnt(0)
	ds_write_b64 v125, v[127:128]
	buffer_store_dword v126, off, s[0:3], 0 offset:264
	buffer_store_dword v126, off, s[0:3], 0 offset:268
.LBB125_313:
	s_or_b64 exec, exec, s[4:5]
	s_waitcnt lgkmcnt(0)
	; wave barrier
	buffer_load_dword v135, off, s[0:3], 0 offset:272
	buffer_load_dword v136, off, s[0:3], 0 offset:276
	;; [unrolled: 1-line block ×22, first 2 shown]
	ds_read_b128 v[127:130], v126 offset:768
	ds_read_b128 v[131:134], v126 offset:784
	v_cmp_lt_u32_e32 vcc, 32, v0
	s_waitcnt vmcnt(20) lgkmcnt(1)
	v_fma_f64 v[127:128], v[135:136], v[127:128], 0
	s_waitcnt vmcnt(18)
	v_fma_f64 v[127:128], v[137:138], v[129:130], v[127:128]
	buffer_load_dword v136, off, s[0:3], 0 offset:364
	buffer_load_dword v137, off, s[0:3], 0 offset:384
	;; [unrolled: 1-line block ×7, first 2 shown]
	s_waitcnt vmcnt(23) lgkmcnt(0)
	v_fma_f64 v[127:128], v[139:140], v[131:132], v[127:128]
	s_waitcnt vmcnt(21)
	v_fma_f64 v[138:139], v[141:142], v[133:134], v[127:128]
	ds_read_b128 v[127:130], v126 offset:800
	ds_read_b128 v[131:134], v126 offset:816
	s_waitcnt vmcnt(19) lgkmcnt(1)
	v_fma_f64 v[127:128], v[143:144], v[127:128], v[138:139]
	buffer_load_dword v138, off, s[0:3], 0 offset:388
	s_waitcnt vmcnt(18)
	v_fma_f64 v[127:128], v[145:146], v[129:130], v[127:128]
	buffer_load_dword v140, off, s[0:3], 0 offset:396
	buffer_load_dword v141, off, s[0:3], 0 offset:416
	buffer_load_dword v143, off, s[0:3], 0 offset:408
	buffer_load_dword v145, off, s[0:3], 0 offset:400
	buffer_load_dword v139, off, s[0:3], 0 offset:392
	buffer_load_dword v146, off, s[0:3], 0 offset:404
	buffer_load_dword v144, off, s[0:3], 0 offset:412
	buffer_load_dword v142, off, s[0:3], 0 offset:420
	s_waitcnt vmcnt(24) lgkmcnt(0)
	v_fma_f64 v[127:128], v[147:148], v[131:132], v[127:128]
	s_waitcnt vmcnt(19)
	v_fma_f64 v[147:148], v[149:150], v[133:134], v[127:128]
	ds_read_b128 v[127:130], v126 offset:832
	ds_read_b128 v[131:134], v126 offset:848
	s_waitcnt vmcnt(18) lgkmcnt(1)
	v_fma_f64 v[127:128], v[155:156], v[127:128], v[147:148]
	s_waitcnt vmcnt(17)
	v_fma_f64 v[127:128], v[153:154], v[129:130], v[127:128]
	buffer_load_dword v148, off, s[0:3], 0 offset:428
	buffer_load_dword v149, off, s[0:3], 0 offset:448
	buffer_load_dword v153, off, s[0:3], 0 offset:440
	buffer_load_dword v155, off, s[0:3], 0 offset:432
	buffer_load_dword v147, off, s[0:3], 0 offset:424
	buffer_load_dword v156, off, s[0:3], 0 offset:436
	buffer_load_dword v154, off, s[0:3], 0 offset:444
	buffer_load_dword v150, off, s[0:3], 0 offset:452
	s_waitcnt vmcnt(24) lgkmcnt(0)
	v_fma_f64 v[127:128], v[151:152], v[131:132], v[127:128]
	s_waitcnt vmcnt(19)
	v_fma_f64 v[135:136], v[135:136], v[133:134], v[127:128]
	ds_read_b128 v[127:130], v126 offset:864
	ds_read_b128 v[131:134], v126 offset:880
	s_waitcnt vmcnt(18) lgkmcnt(1)
	v_fma_f64 v[127:128], v[159:160], v[127:128], v[135:136]
	;; [unrolled: 18-line block ×3, first 2 shown]
	buffer_load_dword v138, off, s[0:3], 0 offset:492
	buffer_load_dword v137, off, s[0:3], 0 offset:488
	;; [unrolled: 1-line block ×4, first 2 shown]
	s_waitcnt vmcnt(21)
	v_fma_f64 v[127:128], v[143:144], v[129:130], v[127:128]
	s_waitcnt vmcnt(20) lgkmcnt(0)
	v_fma_f64 v[127:128], v[141:142], v[131:132], v[127:128]
	s_waitcnt vmcnt(15)
	v_fma_f64 v[141:142], v[147:148], v[133:134], v[127:128]
	ds_read_b128 v[127:130], v126 offset:928
	ds_read_b128 v[131:134], v126 offset:944
	s_waitcnt vmcnt(14) lgkmcnt(1)
	v_fma_f64 v[127:128], v[155:156], v[127:128], v[141:142]
	s_waitcnt vmcnt(13)
	v_fma_f64 v[127:128], v[153:154], v[129:130], v[127:128]
	s_waitcnt vmcnt(12) lgkmcnt(0)
	v_fma_f64 v[127:128], v[149:150], v[131:132], v[127:128]
	s_waitcnt vmcnt(7)
	v_fma_f64 v[135:136], v[135:136], v[133:134], v[127:128]
	ds_read_b128 v[127:130], v126 offset:960
	ds_read_b128 v[131:134], v126 offset:976
	s_waitcnt vmcnt(6) lgkmcnt(1)
	v_fma_f64 v[126:127], v[159:160], v[127:128], v[135:136]
	s_waitcnt vmcnt(5)
	v_fma_f64 v[126:127], v[157:158], v[129:130], v[126:127]
	s_waitcnt vmcnt(4) lgkmcnt(0)
	v_fma_f64 v[126:127], v[151:152], v[131:132], v[126:127]
	s_waitcnt vmcnt(2)
	v_fma_f64 v[126:127], v[137:138], v[133:134], v[126:127]
	s_waitcnt vmcnt(0)
	v_add_f64 v[126:127], v[139:140], -v[126:127]
	buffer_store_dword v127, off, s[0:3], 0 offset:268
	buffer_store_dword v126, off, s[0:3], 0 offset:264
	s_and_saveexec_b64 s[4:5], vcc
	s_cbranch_execz .LBB125_315
; %bb.314:
	buffer_load_dword v126, off, s[0:3], 0 offset:256
	buffer_load_dword v127, off, s[0:3], 0 offset:260
	v_mov_b32_e32 v128, 0
	buffer_store_dword v128, off, s[0:3], 0 offset:256
	buffer_store_dword v128, off, s[0:3], 0 offset:260
	s_waitcnt vmcnt(2)
	ds_write_b64 v125, v[126:127]
.LBB125_315:
	s_or_b64 exec, exec, s[4:5]
	s_waitcnt lgkmcnt(0)
	; wave barrier
	buffer_load_dword v135, off, s[0:3], 0 offset:264
	buffer_load_dword v136, off, s[0:3], 0 offset:268
	;; [unrolled: 1-line block ×22, first 2 shown]
	v_mov_b32_e32 v126, 0
	ds_read2_b64 v[127:130], v126 offset0:95 offset1:96
	ds_read2_b64 v[131:134], v126 offset0:97 offset1:98
	v_cmp_lt_u32_e32 vcc, 31, v0
	s_waitcnt vmcnt(20) lgkmcnt(1)
	v_fma_f64 v[127:128], v[135:136], v[127:128], 0
	s_waitcnt vmcnt(18)
	v_fma_f64 v[127:128], v[137:138], v[129:130], v[127:128]
	buffer_load_dword v136, off, s[0:3], 0 offset:356
	buffer_load_dword v137, off, s[0:3], 0 offset:376
	;; [unrolled: 1-line block ×7, first 2 shown]
	s_waitcnt vmcnt(23) lgkmcnt(0)
	v_fma_f64 v[127:128], v[139:140], v[131:132], v[127:128]
	s_waitcnt vmcnt(21)
	v_fma_f64 v[138:139], v[141:142], v[133:134], v[127:128]
	ds_read2_b64 v[127:130], v126 offset0:99 offset1:100
	ds_read2_b64 v[131:134], v126 offset0:101 offset1:102
	s_waitcnt vmcnt(19) lgkmcnt(1)
	v_fma_f64 v[127:128], v[143:144], v[127:128], v[138:139]
	buffer_load_dword v138, off, s[0:3], 0 offset:380
	s_waitcnt vmcnt(18)
	v_fma_f64 v[127:128], v[145:146], v[129:130], v[127:128]
	buffer_load_dword v140, off, s[0:3], 0 offset:388
	buffer_load_dword v141, off, s[0:3], 0 offset:408
	;; [unrolled: 1-line block ×7, first 2 shown]
	s_waitcnt vmcnt(23) lgkmcnt(0)
	v_fma_f64 v[127:128], v[147:148], v[131:132], v[127:128]
	s_waitcnt vmcnt(18)
	v_fma_f64 v[147:148], v[149:150], v[133:134], v[127:128]
	ds_read2_b64 v[127:130], v126 offset0:103 offset1:104
	ds_read2_b64 v[131:134], v126 offset0:105 offset1:106
	buffer_load_dword v142, off, s[0:3], 0 offset:412
	s_waitcnt vmcnt(18) lgkmcnt(1)
	v_fma_f64 v[127:128], v[155:156], v[127:128], v[147:148]
	s_waitcnt vmcnt(17)
	v_fma_f64 v[127:128], v[153:154], v[129:130], v[127:128]
	buffer_load_dword v148, off, s[0:3], 0 offset:420
	buffer_load_dword v149, off, s[0:3], 0 offset:440
	;; [unrolled: 1-line block ×8, first 2 shown]
	s_waitcnt vmcnt(24) lgkmcnt(0)
	v_fma_f64 v[127:128], v[151:152], v[131:132], v[127:128]
	s_waitcnt vmcnt(19)
	v_fma_f64 v[135:136], v[135:136], v[133:134], v[127:128]
	ds_read2_b64 v[127:130], v126 offset0:107 offset1:108
	ds_read2_b64 v[131:134], v126 offset0:109 offset1:110
	s_waitcnt vmcnt(18) lgkmcnt(1)
	v_fma_f64 v[127:128], v[159:160], v[127:128], v[135:136]
	s_waitcnt vmcnt(17)
	v_fma_f64 v[127:128], v[157:158], v[129:130], v[127:128]
	buffer_load_dword v136, off, s[0:3], 0 offset:452
	buffer_load_dword v151, off, s[0:3], 0 offset:472
	buffer_load_dword v157, off, s[0:3], 0 offset:464
	buffer_load_dword v159, off, s[0:3], 0 offset:456
	buffer_load_dword v135, off, s[0:3], 0 offset:448
	buffer_load_dword v160, off, s[0:3], 0 offset:460
	buffer_load_dword v158, off, s[0:3], 0 offset:468
	s_waitcnt vmcnt(23) lgkmcnt(0)
	v_fma_f64 v[127:128], v[137:138], v[131:132], v[127:128]
	s_waitcnt vmcnt(18)
	v_fma_f64 v[137:138], v[139:140], v[133:134], v[127:128]
	ds_read2_b64 v[127:130], v126 offset0:111 offset1:112
	ds_read2_b64 v[131:134], v126 offset0:113 offset1:114
	buffer_load_dword v152, off, s[0:3], 0 offset:476
	s_waitcnt vmcnt(18) lgkmcnt(1)
	v_fma_f64 v[127:128], v[145:146], v[127:128], v[137:138]
	buffer_load_dword v138, off, s[0:3], 0 offset:484
	buffer_load_dword v139, off, s[0:3], 0 offset:488
	;; [unrolled: 1-line block ×4, first 2 shown]
	s_waitcnt vmcnt(21)
	v_fma_f64 v[127:128], v[143:144], v[129:130], v[127:128]
	s_waitcnt vmcnt(20) lgkmcnt(0)
	v_fma_f64 v[127:128], v[141:142], v[131:132], v[127:128]
	buffer_load_dword v141, off, s[0:3], 0 offset:256
	buffer_load_dword v142, off, s[0:3], 0 offset:260
	s_waitcnt vmcnt(17)
	v_fma_f64 v[143:144], v[147:148], v[133:134], v[127:128]
	ds_read2_b64 v[127:130], v126 offset0:115 offset1:116
	ds_read2_b64 v[131:134], v126 offset0:117 offset1:118
	s_waitcnt vmcnt(16) lgkmcnt(1)
	v_fma_f64 v[127:128], v[155:156], v[127:128], v[143:144]
	s_waitcnt vmcnt(15)
	v_fma_f64 v[127:128], v[153:154], v[129:130], v[127:128]
	s_waitcnt vmcnt(14) lgkmcnt(0)
	v_fma_f64 v[127:128], v[149:150], v[131:132], v[127:128]
	s_waitcnt vmcnt(9)
	v_fma_f64 v[135:136], v[135:136], v[133:134], v[127:128]
	ds_read2_b64 v[127:130], v126 offset0:119 offset1:120
	ds_read2_b64 v[131:134], v126 offset0:121 offset1:122
	s_waitcnt vmcnt(8) lgkmcnt(1)
	v_fma_f64 v[127:128], v[159:160], v[127:128], v[135:136]
	s_waitcnt vmcnt(7)
	v_fma_f64 v[127:128], v[157:158], v[129:130], v[127:128]
	ds_read_b64 v[129:130], v126 offset:984
	s_waitcnt vmcnt(6) lgkmcnt(1)
	v_fma_f64 v[127:128], v[151:152], v[131:132], v[127:128]
	s_waitcnt vmcnt(3)
	v_fma_f64 v[127:128], v[137:138], v[133:134], v[127:128]
	s_waitcnt vmcnt(2) lgkmcnt(0)
	v_fma_f64 v[127:128], v[139:140], v[129:130], v[127:128]
	s_waitcnt vmcnt(0)
	v_add_f64 v[127:128], v[141:142], -v[127:128]
	buffer_store_dword v128, off, s[0:3], 0 offset:260
	buffer_store_dword v127, off, s[0:3], 0 offset:256
	s_and_saveexec_b64 s[4:5], vcc
	s_cbranch_execz .LBB125_317
; %bb.316:
	buffer_load_dword v127, off, s[0:3], 0 offset:248
	buffer_load_dword v128, off, s[0:3], 0 offset:252
	s_waitcnt vmcnt(0)
	ds_write_b64 v125, v[127:128]
	buffer_store_dword v126, off, s[0:3], 0 offset:248
	buffer_store_dword v126, off, s[0:3], 0 offset:252
.LBB125_317:
	s_or_b64 exec, exec, s[4:5]
	s_waitcnt lgkmcnt(0)
	; wave barrier
	buffer_load_dword v135, off, s[0:3], 0 offset:256
	buffer_load_dword v136, off, s[0:3], 0 offset:260
	;; [unrolled: 1-line block ×22, first 2 shown]
	ds_read_b128 v[127:130], v126 offset:752
	ds_read_b128 v[131:134], v126 offset:768
	v_cmp_lt_u32_e32 vcc, 30, v0
	s_waitcnt vmcnt(20) lgkmcnt(1)
	v_fma_f64 v[127:128], v[135:136], v[127:128], 0
	s_waitcnt vmcnt(18)
	v_fma_f64 v[127:128], v[137:138], v[129:130], v[127:128]
	buffer_load_dword v136, off, s[0:3], 0 offset:348
	buffer_load_dword v137, off, s[0:3], 0 offset:368
	;; [unrolled: 1-line block ×7, first 2 shown]
	s_waitcnt vmcnt(23) lgkmcnt(0)
	v_fma_f64 v[127:128], v[139:140], v[131:132], v[127:128]
	s_waitcnt vmcnt(21)
	v_fma_f64 v[138:139], v[141:142], v[133:134], v[127:128]
	ds_read_b128 v[127:130], v126 offset:784
	ds_read_b128 v[131:134], v126 offset:800
	s_waitcnt vmcnt(19) lgkmcnt(1)
	v_fma_f64 v[127:128], v[143:144], v[127:128], v[138:139]
	buffer_load_dword v138, off, s[0:3], 0 offset:372
	s_waitcnt vmcnt(18)
	v_fma_f64 v[127:128], v[145:146], v[129:130], v[127:128]
	buffer_load_dword v140, off, s[0:3], 0 offset:380
	buffer_load_dword v141, off, s[0:3], 0 offset:400
	;; [unrolled: 1-line block ×7, first 2 shown]
	s_waitcnt vmcnt(23) lgkmcnt(0)
	v_fma_f64 v[127:128], v[147:148], v[131:132], v[127:128]
	s_waitcnt vmcnt(18)
	v_fma_f64 v[147:148], v[149:150], v[133:134], v[127:128]
	ds_read_b128 v[127:130], v126 offset:816
	ds_read_b128 v[131:134], v126 offset:832
	buffer_load_dword v142, off, s[0:3], 0 offset:404
	s_waitcnt vmcnt(18) lgkmcnt(1)
	v_fma_f64 v[127:128], v[155:156], v[127:128], v[147:148]
	s_waitcnt vmcnt(17)
	v_fma_f64 v[127:128], v[153:154], v[129:130], v[127:128]
	buffer_load_dword v148, off, s[0:3], 0 offset:412
	buffer_load_dword v149, off, s[0:3], 0 offset:432
	;; [unrolled: 1-line block ×8, first 2 shown]
	s_waitcnt vmcnt(24) lgkmcnt(0)
	v_fma_f64 v[127:128], v[151:152], v[131:132], v[127:128]
	s_waitcnt vmcnt(19)
	v_fma_f64 v[135:136], v[135:136], v[133:134], v[127:128]
	ds_read_b128 v[127:130], v126 offset:848
	ds_read_b128 v[131:134], v126 offset:864
	s_waitcnt vmcnt(18) lgkmcnt(1)
	v_fma_f64 v[127:128], v[159:160], v[127:128], v[135:136]
	s_waitcnt vmcnt(17)
	v_fma_f64 v[127:128], v[157:158], v[129:130], v[127:128]
	buffer_load_dword v136, off, s[0:3], 0 offset:444
	buffer_load_dword v151, off, s[0:3], 0 offset:464
	;; [unrolled: 1-line block ×8, first 2 shown]
	s_waitcnt vmcnt(24) lgkmcnt(0)
	v_fma_f64 v[127:128], v[137:138], v[131:132], v[127:128]
	s_waitcnt vmcnt(19)
	v_fma_f64 v[137:138], v[139:140], v[133:134], v[127:128]
	ds_read_b128 v[127:130], v126 offset:880
	ds_read_b128 v[131:134], v126 offset:896
	s_waitcnt vmcnt(18) lgkmcnt(1)
	v_fma_f64 v[127:128], v[145:146], v[127:128], v[137:138]
	s_waitcnt vmcnt(17)
	v_fma_f64 v[127:128], v[143:144], v[129:130], v[127:128]
	buffer_load_dword v138, off, s[0:3], 0 offset:476
	buffer_load_dword v139, off, s[0:3], 0 offset:488
	;; [unrolled: 1-line block ×6, first 2 shown]
	s_waitcnt vmcnt(22) lgkmcnt(0)
	v_fma_f64 v[127:128], v[141:142], v[131:132], v[127:128]
	s_waitcnt vmcnt(17)
	v_fma_f64 v[141:142], v[147:148], v[133:134], v[127:128]
	ds_read_b128 v[127:130], v126 offset:912
	buffer_load_dword v145, off, s[0:3], 0 offset:248
	buffer_load_dword v146, off, s[0:3], 0 offset:252
	ds_read_b128 v[131:134], v126 offset:928
	s_waitcnt vmcnt(18) lgkmcnt(1)
	v_fma_f64 v[127:128], v[155:156], v[127:128], v[141:142]
	s_waitcnt vmcnt(17)
	v_fma_f64 v[127:128], v[153:154], v[129:130], v[127:128]
	s_waitcnt vmcnt(16) lgkmcnt(0)
	v_fma_f64 v[127:128], v[149:150], v[131:132], v[127:128]
	s_waitcnt vmcnt(11)
	v_fma_f64 v[135:136], v[135:136], v[133:134], v[127:128]
	ds_read_b128 v[127:130], v126 offset:944
	ds_read_b128 v[131:134], v126 offset:960
	s_waitcnt vmcnt(10) lgkmcnt(1)
	v_fma_f64 v[127:128], v[159:160], v[127:128], v[135:136]
	s_waitcnt vmcnt(9)
	v_fma_f64 v[127:128], v[157:158], v[129:130], v[127:128]
	s_waitcnt vmcnt(8) lgkmcnt(0)
	v_fma_f64 v[127:128], v[151:152], v[131:132], v[127:128]
	s_waitcnt vmcnt(4)
	v_fma_f64 v[130:131], v[137:138], v[133:134], v[127:128]
	ds_read_b128 v[126:129], v126 offset:976
	s_waitcnt vmcnt(3) lgkmcnt(0)
	v_fma_f64 v[126:127], v[143:144], v[126:127], v[130:131]
	s_waitcnt vmcnt(2)
	v_fma_f64 v[126:127], v[139:140], v[128:129], v[126:127]
	s_waitcnt vmcnt(0)
	v_add_f64 v[126:127], v[145:146], -v[126:127]
	buffer_store_dword v127, off, s[0:3], 0 offset:252
	buffer_store_dword v126, off, s[0:3], 0 offset:248
	s_and_saveexec_b64 s[4:5], vcc
	s_cbranch_execz .LBB125_319
; %bb.318:
	buffer_load_dword v126, off, s[0:3], 0 offset:240
	buffer_load_dword v127, off, s[0:3], 0 offset:244
	v_mov_b32_e32 v128, 0
	buffer_store_dword v128, off, s[0:3], 0 offset:240
	buffer_store_dword v128, off, s[0:3], 0 offset:244
	s_waitcnt vmcnt(2)
	ds_write_b64 v125, v[126:127]
.LBB125_319:
	s_or_b64 exec, exec, s[4:5]
	s_waitcnt lgkmcnt(0)
	; wave barrier
	buffer_load_dword v135, off, s[0:3], 0 offset:248
	buffer_load_dword v136, off, s[0:3], 0 offset:252
	;; [unrolled: 1-line block ×22, first 2 shown]
	v_mov_b32_e32 v126, 0
	ds_read2_b64 v[127:130], v126 offset0:93 offset1:94
	ds_read2_b64 v[131:134], v126 offset0:95 offset1:96
	v_cmp_lt_u32_e32 vcc, 29, v0
	s_waitcnt vmcnt(20) lgkmcnt(1)
	v_fma_f64 v[127:128], v[135:136], v[127:128], 0
	s_waitcnt vmcnt(18)
	v_fma_f64 v[127:128], v[137:138], v[129:130], v[127:128]
	buffer_load_dword v136, off, s[0:3], 0 offset:340
	buffer_load_dword v137, off, s[0:3], 0 offset:360
	;; [unrolled: 1-line block ×7, first 2 shown]
	s_waitcnt vmcnt(23) lgkmcnt(0)
	v_fma_f64 v[127:128], v[139:140], v[131:132], v[127:128]
	s_waitcnt vmcnt(21)
	v_fma_f64 v[138:139], v[141:142], v[133:134], v[127:128]
	ds_read2_b64 v[127:130], v126 offset0:97 offset1:98
	ds_read2_b64 v[131:134], v126 offset0:99 offset1:100
	s_waitcnt vmcnt(19) lgkmcnt(1)
	v_fma_f64 v[127:128], v[143:144], v[127:128], v[138:139]
	buffer_load_dword v138, off, s[0:3], 0 offset:364
	s_waitcnt vmcnt(18)
	v_fma_f64 v[127:128], v[145:146], v[129:130], v[127:128]
	buffer_load_dword v140, off, s[0:3], 0 offset:372
	buffer_load_dword v141, off, s[0:3], 0 offset:392
	;; [unrolled: 1-line block ×7, first 2 shown]
	s_waitcnt vmcnt(23) lgkmcnt(0)
	v_fma_f64 v[127:128], v[147:148], v[131:132], v[127:128]
	s_waitcnt vmcnt(18)
	v_fma_f64 v[147:148], v[149:150], v[133:134], v[127:128]
	ds_read2_b64 v[127:130], v126 offset0:101 offset1:102
	ds_read2_b64 v[131:134], v126 offset0:103 offset1:104
	buffer_load_dword v142, off, s[0:3], 0 offset:396
	s_waitcnt vmcnt(18) lgkmcnt(1)
	v_fma_f64 v[127:128], v[155:156], v[127:128], v[147:148]
	s_waitcnt vmcnt(17)
	v_fma_f64 v[127:128], v[153:154], v[129:130], v[127:128]
	buffer_load_dword v148, off, s[0:3], 0 offset:404
	buffer_load_dword v149, off, s[0:3], 0 offset:424
	buffer_load_dword v153, off, s[0:3], 0 offset:416
	buffer_load_dword v155, off, s[0:3], 0 offset:408
	buffer_load_dword v147, off, s[0:3], 0 offset:400
	buffer_load_dword v156, off, s[0:3], 0 offset:412
	buffer_load_dword v154, off, s[0:3], 0 offset:420
	buffer_load_dword v150, off, s[0:3], 0 offset:428
	s_waitcnt vmcnt(24) lgkmcnt(0)
	v_fma_f64 v[127:128], v[151:152], v[131:132], v[127:128]
	s_waitcnt vmcnt(19)
	v_fma_f64 v[135:136], v[135:136], v[133:134], v[127:128]
	ds_read2_b64 v[127:130], v126 offset0:105 offset1:106
	ds_read2_b64 v[131:134], v126 offset0:107 offset1:108
	s_waitcnt vmcnt(18) lgkmcnt(1)
	v_fma_f64 v[127:128], v[159:160], v[127:128], v[135:136]
	s_waitcnt vmcnt(17)
	v_fma_f64 v[127:128], v[157:158], v[129:130], v[127:128]
	buffer_load_dword v136, off, s[0:3], 0 offset:436
	buffer_load_dword v151, off, s[0:3], 0 offset:456
	buffer_load_dword v157, off, s[0:3], 0 offset:448
	buffer_load_dword v159, off, s[0:3], 0 offset:440
	buffer_load_dword v135, off, s[0:3], 0 offset:432
	buffer_load_dword v160, off, s[0:3], 0 offset:444
	buffer_load_dword v158, off, s[0:3], 0 offset:452
	buffer_load_dword v152, off, s[0:3], 0 offset:460
	s_waitcnt vmcnt(24) lgkmcnt(0)
	v_fma_f64 v[127:128], v[137:138], v[131:132], v[127:128]
	s_waitcnt vmcnt(19)
	v_fma_f64 v[137:138], v[139:140], v[133:134], v[127:128]
	ds_read2_b64 v[127:130], v126 offset0:109 offset1:110
	ds_read2_b64 v[131:134], v126 offset0:111 offset1:112
	;; [unrolled: 18-line block ×3, first 2 shown]
	s_waitcnt vmcnt(18) lgkmcnt(1)
	v_fma_f64 v[127:128], v[155:156], v[127:128], v[141:142]
	buffer_load_dword v141, off, s[0:3], 0 offset:240
	buffer_load_dword v142, off, s[0:3], 0 offset:244
	s_waitcnt vmcnt(19)
	v_fma_f64 v[127:128], v[153:154], v[129:130], v[127:128]
	s_waitcnt vmcnt(18) lgkmcnt(0)
	v_fma_f64 v[127:128], v[149:150], v[131:132], v[127:128]
	s_waitcnt vmcnt(13)
	v_fma_f64 v[135:136], v[135:136], v[133:134], v[127:128]
	ds_read2_b64 v[127:130], v126 offset0:117 offset1:118
	ds_read2_b64 v[131:134], v126 offset0:119 offset1:120
	s_waitcnt vmcnt(12) lgkmcnt(1)
	v_fma_f64 v[127:128], v[159:160], v[127:128], v[135:136]
	s_waitcnt vmcnt(11)
	v_fma_f64 v[127:128], v[157:158], v[129:130], v[127:128]
	s_waitcnt vmcnt(10) lgkmcnt(0)
	v_fma_f64 v[127:128], v[151:152], v[131:132], v[127:128]
	s_waitcnt vmcnt(5)
	v_fma_f64 v[131:132], v[137:138], v[133:134], v[127:128]
	ds_read2_b64 v[127:130], v126 offset0:121 offset1:122
	ds_read_b64 v[133:134], v126 offset:984
	s_waitcnt vmcnt(4) lgkmcnt(1)
	v_fma_f64 v[127:128], v[145:146], v[127:128], v[131:132]
	s_waitcnt vmcnt(3)
	v_fma_f64 v[127:128], v[143:144], v[129:130], v[127:128]
	s_waitcnt vmcnt(2) lgkmcnt(0)
	v_fma_f64 v[127:128], v[139:140], v[133:134], v[127:128]
	s_waitcnt vmcnt(0)
	v_add_f64 v[127:128], v[141:142], -v[127:128]
	buffer_store_dword v128, off, s[0:3], 0 offset:244
	buffer_store_dword v127, off, s[0:3], 0 offset:240
	s_and_saveexec_b64 s[4:5], vcc
	s_cbranch_execz .LBB125_321
; %bb.320:
	buffer_load_dword v127, off, s[0:3], 0 offset:232
	buffer_load_dword v128, off, s[0:3], 0 offset:236
	s_waitcnt vmcnt(0)
	ds_write_b64 v125, v[127:128]
	buffer_store_dword v126, off, s[0:3], 0 offset:232
	buffer_store_dword v126, off, s[0:3], 0 offset:236
.LBB125_321:
	s_or_b64 exec, exec, s[4:5]
	s_waitcnt lgkmcnt(0)
	; wave barrier
	buffer_load_dword v135, off, s[0:3], 0 offset:240
	buffer_load_dword v136, off, s[0:3], 0 offset:244
	;; [unrolled: 1-line block ×22, first 2 shown]
	ds_read_b128 v[127:130], v126 offset:736
	ds_read_b128 v[131:134], v126 offset:752
	v_cmp_lt_u32_e32 vcc, 28, v0
	s_waitcnt vmcnt(20) lgkmcnt(1)
	v_fma_f64 v[127:128], v[135:136], v[127:128], 0
	s_waitcnt vmcnt(18)
	v_fma_f64 v[127:128], v[137:138], v[129:130], v[127:128]
	buffer_load_dword v136, off, s[0:3], 0 offset:332
	buffer_load_dword v137, off, s[0:3], 0 offset:352
	;; [unrolled: 1-line block ×7, first 2 shown]
	s_waitcnt vmcnt(23) lgkmcnt(0)
	v_fma_f64 v[127:128], v[139:140], v[131:132], v[127:128]
	s_waitcnt vmcnt(21)
	v_fma_f64 v[138:139], v[141:142], v[133:134], v[127:128]
	ds_read_b128 v[127:130], v126 offset:768
	ds_read_b128 v[131:134], v126 offset:784
	s_waitcnt vmcnt(19) lgkmcnt(1)
	v_fma_f64 v[127:128], v[143:144], v[127:128], v[138:139]
	buffer_load_dword v138, off, s[0:3], 0 offset:356
	s_waitcnt vmcnt(18)
	v_fma_f64 v[127:128], v[145:146], v[129:130], v[127:128]
	buffer_load_dword v140, off, s[0:3], 0 offset:364
	buffer_load_dword v141, off, s[0:3], 0 offset:384
	;; [unrolled: 1-line block ×7, first 2 shown]
	s_waitcnt vmcnt(23) lgkmcnt(0)
	v_fma_f64 v[127:128], v[147:148], v[131:132], v[127:128]
	s_waitcnt vmcnt(18)
	v_fma_f64 v[147:148], v[149:150], v[133:134], v[127:128]
	ds_read_b128 v[127:130], v126 offset:800
	ds_read_b128 v[131:134], v126 offset:816
	buffer_load_dword v142, off, s[0:3], 0 offset:388
	s_waitcnt vmcnt(18) lgkmcnt(1)
	v_fma_f64 v[127:128], v[155:156], v[127:128], v[147:148]
	s_waitcnt vmcnt(17)
	v_fma_f64 v[127:128], v[153:154], v[129:130], v[127:128]
	buffer_load_dword v148, off, s[0:3], 0 offset:396
	buffer_load_dword v149, off, s[0:3], 0 offset:416
	buffer_load_dword v153, off, s[0:3], 0 offset:408
	buffer_load_dword v155, off, s[0:3], 0 offset:400
	buffer_load_dword v147, off, s[0:3], 0 offset:392
	buffer_load_dword v156, off, s[0:3], 0 offset:404
	buffer_load_dword v154, off, s[0:3], 0 offset:412
	buffer_load_dword v150, off, s[0:3], 0 offset:420
	s_waitcnt vmcnt(24) lgkmcnt(0)
	v_fma_f64 v[127:128], v[151:152], v[131:132], v[127:128]
	s_waitcnt vmcnt(19)
	v_fma_f64 v[135:136], v[135:136], v[133:134], v[127:128]
	ds_read_b128 v[127:130], v126 offset:832
	ds_read_b128 v[131:134], v126 offset:848
	s_waitcnt vmcnt(18) lgkmcnt(1)
	v_fma_f64 v[127:128], v[159:160], v[127:128], v[135:136]
	s_waitcnt vmcnt(17)
	v_fma_f64 v[127:128], v[157:158], v[129:130], v[127:128]
	buffer_load_dword v136, off, s[0:3], 0 offset:428
	buffer_load_dword v151, off, s[0:3], 0 offset:448
	buffer_load_dword v157, off, s[0:3], 0 offset:440
	buffer_load_dword v159, off, s[0:3], 0 offset:432
	buffer_load_dword v135, off, s[0:3], 0 offset:424
	buffer_load_dword v160, off, s[0:3], 0 offset:436
	buffer_load_dword v158, off, s[0:3], 0 offset:444
	buffer_load_dword v152, off, s[0:3], 0 offset:452
	s_waitcnt vmcnt(24) lgkmcnt(0)
	v_fma_f64 v[127:128], v[137:138], v[131:132], v[127:128]
	s_waitcnt vmcnt(19)
	v_fma_f64 v[137:138], v[139:140], v[133:134], v[127:128]
	ds_read_b128 v[127:130], v126 offset:864
	ds_read_b128 v[131:134], v126 offset:880
	;; [unrolled: 18-line block ×3, first 2 shown]
	s_waitcnt vmcnt(18) lgkmcnt(1)
	v_fma_f64 v[127:128], v[155:156], v[127:128], v[141:142]
	buffer_load_dword v142, off, s[0:3], 0 offset:492
	buffer_load_dword v141, off, s[0:3], 0 offset:488
	;; [unrolled: 1-line block ×4, first 2 shown]
	s_waitcnt vmcnt(21)
	v_fma_f64 v[127:128], v[153:154], v[129:130], v[127:128]
	s_waitcnt vmcnt(20) lgkmcnt(0)
	v_fma_f64 v[127:128], v[149:150], v[131:132], v[127:128]
	s_waitcnt vmcnt(15)
	v_fma_f64 v[135:136], v[135:136], v[133:134], v[127:128]
	ds_read_b128 v[127:130], v126 offset:928
	ds_read_b128 v[131:134], v126 offset:944
	s_waitcnt vmcnt(14) lgkmcnt(1)
	v_fma_f64 v[127:128], v[159:160], v[127:128], v[135:136]
	s_waitcnt vmcnt(13)
	v_fma_f64 v[127:128], v[157:158], v[129:130], v[127:128]
	s_waitcnt vmcnt(12) lgkmcnt(0)
	v_fma_f64 v[127:128], v[151:152], v[131:132], v[127:128]
	s_waitcnt vmcnt(7)
	v_fma_f64 v[135:136], v[137:138], v[133:134], v[127:128]
	ds_read_b128 v[127:130], v126 offset:960
	ds_read_b128 v[131:134], v126 offset:976
	s_waitcnt vmcnt(6) lgkmcnt(1)
	v_fma_f64 v[126:127], v[145:146], v[127:128], v[135:136]
	s_waitcnt vmcnt(5)
	v_fma_f64 v[126:127], v[143:144], v[129:130], v[126:127]
	s_waitcnt vmcnt(4) lgkmcnt(0)
	v_fma_f64 v[126:127], v[139:140], v[131:132], v[126:127]
	s_waitcnt vmcnt(2)
	v_fma_f64 v[126:127], v[141:142], v[133:134], v[126:127]
	s_waitcnt vmcnt(0)
	v_add_f64 v[126:127], v[147:148], -v[126:127]
	buffer_store_dword v127, off, s[0:3], 0 offset:236
	buffer_store_dword v126, off, s[0:3], 0 offset:232
	s_and_saveexec_b64 s[4:5], vcc
	s_cbranch_execz .LBB125_323
; %bb.322:
	buffer_load_dword v126, off, s[0:3], 0 offset:224
	buffer_load_dword v127, off, s[0:3], 0 offset:228
	v_mov_b32_e32 v128, 0
	buffer_store_dword v128, off, s[0:3], 0 offset:224
	buffer_store_dword v128, off, s[0:3], 0 offset:228
	s_waitcnt vmcnt(2)
	ds_write_b64 v125, v[126:127]
.LBB125_323:
	s_or_b64 exec, exec, s[4:5]
	s_waitcnt lgkmcnt(0)
	; wave barrier
	buffer_load_dword v135, off, s[0:3], 0 offset:232
	buffer_load_dword v136, off, s[0:3], 0 offset:236
	;; [unrolled: 1-line block ×21, first 2 shown]
	v_mov_b32_e32 v126, 0
	ds_read2_b64 v[127:130], v126 offset0:91 offset1:92
	ds_read2_b64 v[131:134], v126 offset0:93 offset1:94
	buffer_load_dword v152, off, s[0:3], 0 offset:316
	v_cmp_lt_u32_e32 vcc, 27, v0
	s_waitcnt vmcnt(20) lgkmcnt(1)
	v_fma_f64 v[127:128], v[135:136], v[127:128], 0
	s_waitcnt vmcnt(18)
	v_fma_f64 v[127:128], v[137:138], v[129:130], v[127:128]
	buffer_load_dword v136, off, s[0:3], 0 offset:324
	buffer_load_dword v137, off, s[0:3], 0 offset:344
	;; [unrolled: 1-line block ×7, first 2 shown]
	s_waitcnt vmcnt(23) lgkmcnt(0)
	v_fma_f64 v[127:128], v[139:140], v[131:132], v[127:128]
	s_waitcnt vmcnt(21)
	v_fma_f64 v[138:139], v[141:142], v[133:134], v[127:128]
	ds_read2_b64 v[127:130], v126 offset0:95 offset1:96
	ds_read2_b64 v[131:134], v126 offset0:97 offset1:98
	s_waitcnt vmcnt(19) lgkmcnt(1)
	v_fma_f64 v[127:128], v[143:144], v[127:128], v[138:139]
	buffer_load_dword v138, off, s[0:3], 0 offset:348
	s_waitcnt vmcnt(18)
	v_fma_f64 v[127:128], v[145:146], v[129:130], v[127:128]
	buffer_load_dword v140, off, s[0:3], 0 offset:356
	buffer_load_dword v141, off, s[0:3], 0 offset:376
	;; [unrolled: 1-line block ×7, first 2 shown]
	s_waitcnt vmcnt(23) lgkmcnt(0)
	v_fma_f64 v[127:128], v[147:148], v[131:132], v[127:128]
	s_waitcnt vmcnt(18)
	v_fma_f64 v[147:148], v[149:150], v[133:134], v[127:128]
	ds_read2_b64 v[127:130], v126 offset0:99 offset1:100
	ds_read2_b64 v[131:134], v126 offset0:101 offset1:102
	buffer_load_dword v142, off, s[0:3], 0 offset:380
	s_waitcnt vmcnt(18) lgkmcnt(1)
	v_fma_f64 v[127:128], v[155:156], v[127:128], v[147:148]
	s_waitcnt vmcnt(17)
	v_fma_f64 v[127:128], v[153:154], v[129:130], v[127:128]
	buffer_load_dword v148, off, s[0:3], 0 offset:388
	buffer_load_dword v149, off, s[0:3], 0 offset:408
	;; [unrolled: 1-line block ×7, first 2 shown]
	s_waitcnt vmcnt(23) lgkmcnt(0)
	v_fma_f64 v[127:128], v[151:152], v[131:132], v[127:128]
	s_waitcnt vmcnt(18)
	v_fma_f64 v[135:136], v[135:136], v[133:134], v[127:128]
	ds_read2_b64 v[127:130], v126 offset0:103 offset1:104
	ds_read2_b64 v[131:134], v126 offset0:105 offset1:106
	buffer_load_dword v150, off, s[0:3], 0 offset:412
	s_waitcnt vmcnt(18) lgkmcnt(1)
	v_fma_f64 v[127:128], v[159:160], v[127:128], v[135:136]
	s_waitcnt vmcnt(17)
	v_fma_f64 v[127:128], v[157:158], v[129:130], v[127:128]
	buffer_load_dword v136, off, s[0:3], 0 offset:420
	buffer_load_dword v151, off, s[0:3], 0 offset:440
	;; [unrolled: 1-line block ×8, first 2 shown]
	s_waitcnt vmcnt(24) lgkmcnt(0)
	v_fma_f64 v[127:128], v[137:138], v[131:132], v[127:128]
	s_waitcnt vmcnt(19)
	v_fma_f64 v[137:138], v[139:140], v[133:134], v[127:128]
	ds_read2_b64 v[127:130], v126 offset0:107 offset1:108
	ds_read2_b64 v[131:134], v126 offset0:109 offset1:110
	s_waitcnt vmcnt(18) lgkmcnt(1)
	v_fma_f64 v[127:128], v[145:146], v[127:128], v[137:138]
	s_waitcnt vmcnt(17)
	v_fma_f64 v[127:128], v[143:144], v[129:130], v[127:128]
	buffer_load_dword v138, off, s[0:3], 0 offset:452
	buffer_load_dword v139, off, s[0:3], 0 offset:472
	;; [unrolled: 1-line block ×7, first 2 shown]
	s_waitcnt vmcnt(23) lgkmcnt(0)
	v_fma_f64 v[127:128], v[141:142], v[131:132], v[127:128]
	s_waitcnt vmcnt(18)
	v_fma_f64 v[140:141], v[147:148], v[133:134], v[127:128]
	ds_read2_b64 v[127:130], v126 offset0:111 offset1:112
	ds_read2_b64 v[131:134], v126 offset0:113 offset1:114
	s_waitcnt vmcnt(17) lgkmcnt(1)
	v_fma_f64 v[127:128], v[155:156], v[127:128], v[140:141]
	buffer_load_dword v140, off, s[0:3], 0 offset:476
	buffer_load_dword v142, off, s[0:3], 0 offset:484
	buffer_load_dword v147, off, s[0:3], 0 offset:488
	buffer_load_dword v141, off, s[0:3], 0 offset:480
	buffer_load_dword v148, off, s[0:3], 0 offset:492
	s_waitcnt vmcnt(21)
	v_fma_f64 v[127:128], v[153:154], v[129:130], v[127:128]
	s_waitcnt vmcnt(20) lgkmcnt(0)
	v_fma_f64 v[127:128], v[149:150], v[131:132], v[127:128]
	buffer_load_dword v149, off, s[0:3], 0 offset:224
	buffer_load_dword v150, off, s[0:3], 0 offset:228
	s_waitcnt vmcnt(17)
	v_fma_f64 v[135:136], v[135:136], v[133:134], v[127:128]
	ds_read2_b64 v[127:130], v126 offset0:115 offset1:116
	ds_read2_b64 v[131:134], v126 offset0:117 offset1:118
	s_waitcnt vmcnt(16) lgkmcnt(1)
	v_fma_f64 v[127:128], v[159:160], v[127:128], v[135:136]
	s_waitcnt vmcnt(15)
	v_fma_f64 v[127:128], v[157:158], v[129:130], v[127:128]
	s_waitcnt vmcnt(14) lgkmcnt(0)
	v_fma_f64 v[127:128], v[151:152], v[131:132], v[127:128]
	s_waitcnt vmcnt(9)
	v_fma_f64 v[135:136], v[137:138], v[133:134], v[127:128]
	ds_read2_b64 v[127:130], v126 offset0:119 offset1:120
	ds_read2_b64 v[131:134], v126 offset0:121 offset1:122
	s_waitcnt vmcnt(8) lgkmcnt(1)
	v_fma_f64 v[127:128], v[145:146], v[127:128], v[135:136]
	s_waitcnt vmcnt(7)
	v_fma_f64 v[127:128], v[143:144], v[129:130], v[127:128]
	ds_read_b64 v[129:130], v126 offset:984
	s_waitcnt vmcnt(6) lgkmcnt(1)
	v_fma_f64 v[127:128], v[139:140], v[131:132], v[127:128]
	s_waitcnt vmcnt(3)
	v_fma_f64 v[127:128], v[141:142], v[133:134], v[127:128]
	s_waitcnt vmcnt(2) lgkmcnt(0)
	v_fma_f64 v[127:128], v[147:148], v[129:130], v[127:128]
	s_waitcnt vmcnt(0)
	v_add_f64 v[127:128], v[149:150], -v[127:128]
	buffer_store_dword v128, off, s[0:3], 0 offset:228
	buffer_store_dword v127, off, s[0:3], 0 offset:224
	s_and_saveexec_b64 s[4:5], vcc
	s_cbranch_execz .LBB125_325
; %bb.324:
	buffer_load_dword v127, off, s[0:3], 0 offset:216
	buffer_load_dword v128, off, s[0:3], 0 offset:220
	s_waitcnt vmcnt(0)
	ds_write_b64 v125, v[127:128]
	buffer_store_dword v126, off, s[0:3], 0 offset:216
	buffer_store_dword v126, off, s[0:3], 0 offset:220
.LBB125_325:
	s_or_b64 exec, exec, s[4:5]
	s_waitcnt lgkmcnt(0)
	; wave barrier
	buffer_load_dword v135, off, s[0:3], 0 offset:224
	buffer_load_dword v136, off, s[0:3], 0 offset:228
	;; [unrolled: 1-line block ×21, first 2 shown]
	ds_read_b128 v[127:130], v126 offset:720
	ds_read_b128 v[131:134], v126 offset:736
	buffer_load_dword v152, off, s[0:3], 0 offset:308
	v_cmp_lt_u32_e32 vcc, 26, v0
	s_waitcnt vmcnt(20) lgkmcnt(1)
	v_fma_f64 v[127:128], v[135:136], v[127:128], 0
	s_waitcnt vmcnt(18)
	v_fma_f64 v[127:128], v[137:138], v[129:130], v[127:128]
	buffer_load_dword v136, off, s[0:3], 0 offset:316
	buffer_load_dword v137, off, s[0:3], 0 offset:336
	;; [unrolled: 1-line block ×7, first 2 shown]
	s_waitcnt vmcnt(23) lgkmcnt(0)
	v_fma_f64 v[127:128], v[139:140], v[131:132], v[127:128]
	s_waitcnt vmcnt(21)
	v_fma_f64 v[138:139], v[141:142], v[133:134], v[127:128]
	ds_read_b128 v[127:130], v126 offset:752
	ds_read_b128 v[131:134], v126 offset:768
	s_waitcnt vmcnt(19) lgkmcnt(1)
	v_fma_f64 v[127:128], v[143:144], v[127:128], v[138:139]
	buffer_load_dword v138, off, s[0:3], 0 offset:340
	s_waitcnt vmcnt(18)
	v_fma_f64 v[127:128], v[145:146], v[129:130], v[127:128]
	buffer_load_dword v140, off, s[0:3], 0 offset:348
	buffer_load_dword v141, off, s[0:3], 0 offset:368
	;; [unrolled: 1-line block ×8, first 2 shown]
	s_waitcnt vmcnt(24) lgkmcnt(0)
	v_fma_f64 v[127:128], v[147:148], v[131:132], v[127:128]
	s_waitcnt vmcnt(19)
	v_fma_f64 v[147:148], v[149:150], v[133:134], v[127:128]
	ds_read_b128 v[127:130], v126 offset:784
	ds_read_b128 v[131:134], v126 offset:800
	s_waitcnt vmcnt(18) lgkmcnt(1)
	v_fma_f64 v[127:128], v[155:156], v[127:128], v[147:148]
	s_waitcnt vmcnt(17)
	v_fma_f64 v[127:128], v[153:154], v[129:130], v[127:128]
	buffer_load_dword v148, off, s[0:3], 0 offset:380
	buffer_load_dword v149, off, s[0:3], 0 offset:400
	;; [unrolled: 1-line block ×7, first 2 shown]
	s_waitcnt vmcnt(23) lgkmcnt(0)
	v_fma_f64 v[127:128], v[151:152], v[131:132], v[127:128]
	s_waitcnt vmcnt(18)
	v_fma_f64 v[135:136], v[135:136], v[133:134], v[127:128]
	ds_read_b128 v[127:130], v126 offset:816
	ds_read_b128 v[131:134], v126 offset:832
	buffer_load_dword v150, off, s[0:3], 0 offset:404
	s_waitcnt vmcnt(18) lgkmcnt(1)
	v_fma_f64 v[127:128], v[159:160], v[127:128], v[135:136]
	s_waitcnt vmcnt(17)
	v_fma_f64 v[127:128], v[157:158], v[129:130], v[127:128]
	buffer_load_dword v136, off, s[0:3], 0 offset:412
	buffer_load_dword v151, off, s[0:3], 0 offset:432
	;; [unrolled: 1-line block ×8, first 2 shown]
	s_waitcnt vmcnt(24) lgkmcnt(0)
	v_fma_f64 v[127:128], v[137:138], v[131:132], v[127:128]
	s_waitcnt vmcnt(19)
	v_fma_f64 v[137:138], v[139:140], v[133:134], v[127:128]
	ds_read_b128 v[127:130], v126 offset:848
	ds_read_b128 v[131:134], v126 offset:864
	s_waitcnt vmcnt(18) lgkmcnt(1)
	v_fma_f64 v[127:128], v[145:146], v[127:128], v[137:138]
	s_waitcnt vmcnt(17)
	v_fma_f64 v[127:128], v[143:144], v[129:130], v[127:128]
	buffer_load_dword v138, off, s[0:3], 0 offset:444
	buffer_load_dword v139, off, s[0:3], 0 offset:464
	;; [unrolled: 1-line block ×7, first 2 shown]
	s_waitcnt vmcnt(23) lgkmcnt(0)
	v_fma_f64 v[127:128], v[141:142], v[131:132], v[127:128]
	s_waitcnt vmcnt(18)
	v_fma_f64 v[140:141], v[147:148], v[133:134], v[127:128]
	ds_read_b128 v[127:130], v126 offset:880
	ds_read_b128 v[131:134], v126 offset:896
	s_waitcnt vmcnt(17) lgkmcnt(1)
	v_fma_f64 v[127:128], v[155:156], v[127:128], v[140:141]
	buffer_load_dword v140, off, s[0:3], 0 offset:468
	s_waitcnt vmcnt(17)
	v_fma_f64 v[127:128], v[153:154], v[129:130], v[127:128]
	buffer_load_dword v142, off, s[0:3], 0 offset:476
	buffer_load_dword v147, off, s[0:3], 0 offset:488
	;; [unrolled: 1-line block ×6, first 2 shown]
	s_waitcnt vmcnt(22) lgkmcnt(0)
	v_fma_f64 v[127:128], v[149:150], v[131:132], v[127:128]
	s_waitcnt vmcnt(17)
	v_fma_f64 v[135:136], v[135:136], v[133:134], v[127:128]
	ds_read_b128 v[127:130], v126 offset:912
	buffer_load_dword v149, off, s[0:3], 0 offset:216
	buffer_load_dword v150, off, s[0:3], 0 offset:220
	ds_read_b128 v[131:134], v126 offset:928
	s_waitcnt vmcnt(18) lgkmcnt(1)
	v_fma_f64 v[127:128], v[159:160], v[127:128], v[135:136]
	s_waitcnt vmcnt(17)
	v_fma_f64 v[127:128], v[157:158], v[129:130], v[127:128]
	s_waitcnt vmcnt(16) lgkmcnt(0)
	v_fma_f64 v[127:128], v[151:152], v[131:132], v[127:128]
	s_waitcnt vmcnt(11)
	v_fma_f64 v[135:136], v[137:138], v[133:134], v[127:128]
	ds_read_b128 v[127:130], v126 offset:944
	ds_read_b128 v[131:134], v126 offset:960
	s_waitcnt vmcnt(10) lgkmcnt(1)
	v_fma_f64 v[127:128], v[145:146], v[127:128], v[135:136]
	s_waitcnt vmcnt(9)
	v_fma_f64 v[127:128], v[143:144], v[129:130], v[127:128]
	s_waitcnt vmcnt(8) lgkmcnt(0)
	v_fma_f64 v[127:128], v[139:140], v[131:132], v[127:128]
	s_waitcnt vmcnt(4)
	v_fma_f64 v[130:131], v[141:142], v[133:134], v[127:128]
	ds_read_b128 v[126:129], v126 offset:976
	s_waitcnt vmcnt(3) lgkmcnt(0)
	v_fma_f64 v[126:127], v[153:154], v[126:127], v[130:131]
	s_waitcnt vmcnt(2)
	v_fma_f64 v[126:127], v[147:148], v[128:129], v[126:127]
	s_waitcnt vmcnt(0)
	v_add_f64 v[126:127], v[149:150], -v[126:127]
	buffer_store_dword v127, off, s[0:3], 0 offset:220
	buffer_store_dword v126, off, s[0:3], 0 offset:216
	s_and_saveexec_b64 s[4:5], vcc
	s_cbranch_execz .LBB125_327
; %bb.326:
	buffer_load_dword v126, off, s[0:3], 0 offset:208
	buffer_load_dword v127, off, s[0:3], 0 offset:212
	v_mov_b32_e32 v128, 0
	buffer_store_dword v128, off, s[0:3], 0 offset:208
	buffer_store_dword v128, off, s[0:3], 0 offset:212
	s_waitcnt vmcnt(2)
	ds_write_b64 v125, v[126:127]
.LBB125_327:
	s_or_b64 exec, exec, s[4:5]
	s_waitcnt lgkmcnt(0)
	; wave barrier
	buffer_load_dword v135, off, s[0:3], 0 offset:216
	buffer_load_dword v136, off, s[0:3], 0 offset:220
	;; [unrolled: 1-line block ×21, first 2 shown]
	v_mov_b32_e32 v126, 0
	ds_read2_b64 v[127:130], v126 offset0:89 offset1:90
	ds_read2_b64 v[131:134], v126 offset0:91 offset1:92
	buffer_load_dword v152, off, s[0:3], 0 offset:300
	v_cmp_lt_u32_e32 vcc, 25, v0
	s_waitcnt vmcnt(20) lgkmcnt(1)
	v_fma_f64 v[127:128], v[135:136], v[127:128], 0
	s_waitcnt vmcnt(18)
	v_fma_f64 v[127:128], v[137:138], v[129:130], v[127:128]
	buffer_load_dword v136, off, s[0:3], 0 offset:308
	buffer_load_dword v137, off, s[0:3], 0 offset:328
	;; [unrolled: 1-line block ×7, first 2 shown]
	s_waitcnt vmcnt(23) lgkmcnt(0)
	v_fma_f64 v[127:128], v[139:140], v[131:132], v[127:128]
	s_waitcnt vmcnt(21)
	v_fma_f64 v[138:139], v[141:142], v[133:134], v[127:128]
	ds_read2_b64 v[127:130], v126 offset0:93 offset1:94
	ds_read2_b64 v[131:134], v126 offset0:95 offset1:96
	s_waitcnt vmcnt(19) lgkmcnt(1)
	v_fma_f64 v[127:128], v[143:144], v[127:128], v[138:139]
	buffer_load_dword v138, off, s[0:3], 0 offset:332
	s_waitcnt vmcnt(18)
	v_fma_f64 v[127:128], v[145:146], v[129:130], v[127:128]
	buffer_load_dword v140, off, s[0:3], 0 offset:340
	buffer_load_dword v141, off, s[0:3], 0 offset:360
	;; [unrolled: 1-line block ×8, first 2 shown]
	s_waitcnt vmcnt(24) lgkmcnt(0)
	v_fma_f64 v[127:128], v[147:148], v[131:132], v[127:128]
	s_waitcnt vmcnt(19)
	v_fma_f64 v[147:148], v[149:150], v[133:134], v[127:128]
	ds_read2_b64 v[127:130], v126 offset0:97 offset1:98
	ds_read2_b64 v[131:134], v126 offset0:99 offset1:100
	s_waitcnt vmcnt(18) lgkmcnt(1)
	v_fma_f64 v[127:128], v[155:156], v[127:128], v[147:148]
	s_waitcnt vmcnt(17)
	v_fma_f64 v[127:128], v[153:154], v[129:130], v[127:128]
	buffer_load_dword v148, off, s[0:3], 0 offset:372
	buffer_load_dword v149, off, s[0:3], 0 offset:392
	;; [unrolled: 1-line block ×7, first 2 shown]
	s_waitcnt vmcnt(23) lgkmcnt(0)
	v_fma_f64 v[127:128], v[151:152], v[131:132], v[127:128]
	s_waitcnt vmcnt(18)
	v_fma_f64 v[135:136], v[135:136], v[133:134], v[127:128]
	ds_read2_b64 v[127:130], v126 offset0:101 offset1:102
	ds_read2_b64 v[131:134], v126 offset0:103 offset1:104
	buffer_load_dword v150, off, s[0:3], 0 offset:396
	s_waitcnt vmcnt(18) lgkmcnt(1)
	v_fma_f64 v[127:128], v[159:160], v[127:128], v[135:136]
	s_waitcnt vmcnt(17)
	v_fma_f64 v[127:128], v[157:158], v[129:130], v[127:128]
	buffer_load_dword v136, off, s[0:3], 0 offset:404
	buffer_load_dword v151, off, s[0:3], 0 offset:424
	;; [unrolled: 1-line block ×8, first 2 shown]
	s_waitcnt vmcnt(24) lgkmcnt(0)
	v_fma_f64 v[127:128], v[137:138], v[131:132], v[127:128]
	s_waitcnt vmcnt(19)
	v_fma_f64 v[137:138], v[139:140], v[133:134], v[127:128]
	ds_read2_b64 v[127:130], v126 offset0:105 offset1:106
	ds_read2_b64 v[131:134], v126 offset0:107 offset1:108
	s_waitcnt vmcnt(18) lgkmcnt(1)
	v_fma_f64 v[127:128], v[145:146], v[127:128], v[137:138]
	s_waitcnt vmcnt(17)
	v_fma_f64 v[127:128], v[143:144], v[129:130], v[127:128]
	buffer_load_dword v138, off, s[0:3], 0 offset:436
	buffer_load_dword v139, off, s[0:3], 0 offset:456
	;; [unrolled: 1-line block ×7, first 2 shown]
	s_waitcnt vmcnt(23) lgkmcnt(0)
	v_fma_f64 v[127:128], v[141:142], v[131:132], v[127:128]
	s_waitcnt vmcnt(18)
	v_fma_f64 v[140:141], v[147:148], v[133:134], v[127:128]
	ds_read2_b64 v[127:130], v126 offset0:109 offset1:110
	ds_read2_b64 v[131:134], v126 offset0:111 offset1:112
	s_waitcnt vmcnt(17) lgkmcnt(1)
	v_fma_f64 v[127:128], v[155:156], v[127:128], v[140:141]
	buffer_load_dword v140, off, s[0:3], 0 offset:460
	s_waitcnt vmcnt(17)
	v_fma_f64 v[127:128], v[153:154], v[129:130], v[127:128]
	buffer_load_dword v142, off, s[0:3], 0 offset:468
	buffer_load_dword v147, off, s[0:3], 0 offset:488
	;; [unrolled: 1-line block ×8, first 2 shown]
	s_waitcnt vmcnt(24) lgkmcnt(0)
	v_fma_f64 v[127:128], v[149:150], v[131:132], v[127:128]
	s_waitcnt vmcnt(19)
	v_fma_f64 v[135:136], v[135:136], v[133:134], v[127:128]
	ds_read2_b64 v[127:130], v126 offset0:113 offset1:114
	ds_read2_b64 v[131:134], v126 offset0:115 offset1:116
	s_waitcnt vmcnt(18) lgkmcnt(1)
	v_fma_f64 v[127:128], v[159:160], v[127:128], v[135:136]
	buffer_load_dword v135, off, s[0:3], 0 offset:208
	buffer_load_dword v136, off, s[0:3], 0 offset:212
	s_waitcnt vmcnt(19)
	v_fma_f64 v[127:128], v[157:158], v[129:130], v[127:128]
	s_waitcnt vmcnt(18) lgkmcnt(0)
	v_fma_f64 v[127:128], v[151:152], v[131:132], v[127:128]
	s_waitcnt vmcnt(13)
	v_fma_f64 v[137:138], v[137:138], v[133:134], v[127:128]
	ds_read2_b64 v[127:130], v126 offset0:117 offset1:118
	ds_read2_b64 v[131:134], v126 offset0:119 offset1:120
	s_waitcnt vmcnt(12) lgkmcnt(1)
	v_fma_f64 v[127:128], v[145:146], v[127:128], v[137:138]
	s_waitcnt vmcnt(11)
	v_fma_f64 v[127:128], v[143:144], v[129:130], v[127:128]
	s_waitcnt vmcnt(10) lgkmcnt(0)
	v_fma_f64 v[127:128], v[139:140], v[131:132], v[127:128]
	s_waitcnt vmcnt(5)
	v_fma_f64 v[131:132], v[141:142], v[133:134], v[127:128]
	ds_read2_b64 v[127:130], v126 offset0:121 offset1:122
	ds_read_b64 v[133:134], v126 offset:984
	s_waitcnt vmcnt(4) lgkmcnt(1)
	v_fma_f64 v[127:128], v[155:156], v[127:128], v[131:132]
	s_waitcnt vmcnt(3)
	v_fma_f64 v[127:128], v[153:154], v[129:130], v[127:128]
	s_waitcnt vmcnt(2) lgkmcnt(0)
	v_fma_f64 v[127:128], v[147:148], v[133:134], v[127:128]
	s_waitcnt vmcnt(0)
	v_add_f64 v[127:128], v[135:136], -v[127:128]
	buffer_store_dword v128, off, s[0:3], 0 offset:212
	buffer_store_dword v127, off, s[0:3], 0 offset:208
	s_and_saveexec_b64 s[4:5], vcc
	s_cbranch_execz .LBB125_329
; %bb.328:
	buffer_load_dword v127, off, s[0:3], 0 offset:200
	buffer_load_dword v128, off, s[0:3], 0 offset:204
	s_waitcnt vmcnt(0)
	ds_write_b64 v125, v[127:128]
	buffer_store_dword v126, off, s[0:3], 0 offset:200
	buffer_store_dword v126, off, s[0:3], 0 offset:204
.LBB125_329:
	s_or_b64 exec, exec, s[4:5]
	s_waitcnt lgkmcnt(0)
	; wave barrier
	buffer_load_dword v135, off, s[0:3], 0 offset:208
	buffer_load_dword v136, off, s[0:3], 0 offset:212
	;; [unrolled: 1-line block ×21, first 2 shown]
	ds_read_b128 v[127:130], v126 offset:704
	ds_read_b128 v[131:134], v126 offset:720
	buffer_load_dword v152, off, s[0:3], 0 offset:292
	v_cmp_lt_u32_e32 vcc, 24, v0
	s_waitcnt vmcnt(20) lgkmcnt(1)
	v_fma_f64 v[127:128], v[135:136], v[127:128], 0
	s_waitcnt vmcnt(18)
	v_fma_f64 v[127:128], v[137:138], v[129:130], v[127:128]
	buffer_load_dword v136, off, s[0:3], 0 offset:300
	buffer_load_dword v137, off, s[0:3], 0 offset:320
	;; [unrolled: 1-line block ×7, first 2 shown]
	s_waitcnt vmcnt(23) lgkmcnt(0)
	v_fma_f64 v[127:128], v[139:140], v[131:132], v[127:128]
	s_waitcnt vmcnt(21)
	v_fma_f64 v[138:139], v[141:142], v[133:134], v[127:128]
	ds_read_b128 v[127:130], v126 offset:736
	ds_read_b128 v[131:134], v126 offset:752
	s_waitcnt vmcnt(19) lgkmcnt(1)
	v_fma_f64 v[127:128], v[143:144], v[127:128], v[138:139]
	buffer_load_dword v138, off, s[0:3], 0 offset:324
	s_waitcnt vmcnt(18)
	v_fma_f64 v[127:128], v[145:146], v[129:130], v[127:128]
	buffer_load_dword v140, off, s[0:3], 0 offset:332
	buffer_load_dword v141, off, s[0:3], 0 offset:352
	;; [unrolled: 1-line block ×8, first 2 shown]
	s_waitcnt vmcnt(24) lgkmcnt(0)
	v_fma_f64 v[127:128], v[147:148], v[131:132], v[127:128]
	s_waitcnt vmcnt(19)
	v_fma_f64 v[147:148], v[149:150], v[133:134], v[127:128]
	ds_read_b128 v[127:130], v126 offset:768
	ds_read_b128 v[131:134], v126 offset:784
	s_waitcnt vmcnt(18) lgkmcnt(1)
	v_fma_f64 v[127:128], v[155:156], v[127:128], v[147:148]
	s_waitcnt vmcnt(17)
	v_fma_f64 v[127:128], v[153:154], v[129:130], v[127:128]
	buffer_load_dword v148, off, s[0:3], 0 offset:364
	buffer_load_dword v149, off, s[0:3], 0 offset:384
	;; [unrolled: 1-line block ×7, first 2 shown]
	s_waitcnt vmcnt(23) lgkmcnt(0)
	v_fma_f64 v[127:128], v[151:152], v[131:132], v[127:128]
	s_waitcnt vmcnt(18)
	v_fma_f64 v[135:136], v[135:136], v[133:134], v[127:128]
	ds_read_b128 v[127:130], v126 offset:800
	ds_read_b128 v[131:134], v126 offset:816
	buffer_load_dword v150, off, s[0:3], 0 offset:388
	s_waitcnt vmcnt(18) lgkmcnt(1)
	v_fma_f64 v[127:128], v[159:160], v[127:128], v[135:136]
	s_waitcnt vmcnt(17)
	v_fma_f64 v[127:128], v[157:158], v[129:130], v[127:128]
	buffer_load_dword v136, off, s[0:3], 0 offset:396
	buffer_load_dword v151, off, s[0:3], 0 offset:416
	;; [unrolled: 1-line block ×8, first 2 shown]
	s_waitcnt vmcnt(24) lgkmcnt(0)
	v_fma_f64 v[127:128], v[137:138], v[131:132], v[127:128]
	s_waitcnt vmcnt(19)
	v_fma_f64 v[137:138], v[139:140], v[133:134], v[127:128]
	ds_read_b128 v[127:130], v126 offset:832
	ds_read_b128 v[131:134], v126 offset:848
	s_waitcnt vmcnt(18) lgkmcnt(1)
	v_fma_f64 v[127:128], v[145:146], v[127:128], v[137:138]
	s_waitcnt vmcnt(17)
	v_fma_f64 v[127:128], v[143:144], v[129:130], v[127:128]
	buffer_load_dword v138, off, s[0:3], 0 offset:428
	buffer_load_dword v139, off, s[0:3], 0 offset:448
	;; [unrolled: 1-line block ×7, first 2 shown]
	s_waitcnt vmcnt(23) lgkmcnt(0)
	v_fma_f64 v[127:128], v[141:142], v[131:132], v[127:128]
	s_waitcnt vmcnt(18)
	v_fma_f64 v[140:141], v[147:148], v[133:134], v[127:128]
	ds_read_b128 v[127:130], v126 offset:864
	ds_read_b128 v[131:134], v126 offset:880
	s_waitcnt vmcnt(17) lgkmcnt(1)
	v_fma_f64 v[127:128], v[155:156], v[127:128], v[140:141]
	buffer_load_dword v140, off, s[0:3], 0 offset:452
	s_waitcnt vmcnt(17)
	v_fma_f64 v[127:128], v[153:154], v[129:130], v[127:128]
	buffer_load_dword v142, off, s[0:3], 0 offset:460
	buffer_load_dword v147, off, s[0:3], 0 offset:480
	;; [unrolled: 1-line block ×8, first 2 shown]
	s_waitcnt vmcnt(24) lgkmcnt(0)
	v_fma_f64 v[127:128], v[149:150], v[131:132], v[127:128]
	s_waitcnt vmcnt(19)
	v_fma_f64 v[135:136], v[135:136], v[133:134], v[127:128]
	ds_read_b128 v[127:130], v126 offset:896
	ds_read_b128 v[131:134], v126 offset:912
	s_waitcnt vmcnt(18) lgkmcnt(1)
	v_fma_f64 v[127:128], v[159:160], v[127:128], v[135:136]
	buffer_load_dword v136, off, s[0:3], 0 offset:492
	buffer_load_dword v135, off, s[0:3], 0 offset:488
	;; [unrolled: 1-line block ×4, first 2 shown]
	s_waitcnt vmcnt(21)
	v_fma_f64 v[127:128], v[157:158], v[129:130], v[127:128]
	s_waitcnt vmcnt(20) lgkmcnt(0)
	v_fma_f64 v[127:128], v[151:152], v[131:132], v[127:128]
	s_waitcnt vmcnt(15)
	v_fma_f64 v[137:138], v[137:138], v[133:134], v[127:128]
	ds_read_b128 v[127:130], v126 offset:928
	ds_read_b128 v[131:134], v126 offset:944
	s_waitcnt vmcnt(14) lgkmcnt(1)
	v_fma_f64 v[127:128], v[145:146], v[127:128], v[137:138]
	s_waitcnt vmcnt(13)
	v_fma_f64 v[127:128], v[143:144], v[129:130], v[127:128]
	s_waitcnt vmcnt(12) lgkmcnt(0)
	v_fma_f64 v[127:128], v[139:140], v[131:132], v[127:128]
	s_waitcnt vmcnt(7)
	v_fma_f64 v[137:138], v[141:142], v[133:134], v[127:128]
	ds_read_b128 v[127:130], v126 offset:960
	ds_read_b128 v[131:134], v126 offset:976
	s_waitcnt vmcnt(6) lgkmcnt(1)
	v_fma_f64 v[126:127], v[155:156], v[127:128], v[137:138]
	s_waitcnt vmcnt(5)
	v_fma_f64 v[126:127], v[153:154], v[129:130], v[126:127]
	s_waitcnt vmcnt(4) lgkmcnt(0)
	v_fma_f64 v[126:127], v[147:148], v[131:132], v[126:127]
	s_waitcnt vmcnt(2)
	v_fma_f64 v[126:127], v[135:136], v[133:134], v[126:127]
	s_waitcnt vmcnt(0)
	v_add_f64 v[126:127], v[149:150], -v[126:127]
	buffer_store_dword v127, off, s[0:3], 0 offset:204
	buffer_store_dword v126, off, s[0:3], 0 offset:200
	s_and_saveexec_b64 s[4:5], vcc
	s_cbranch_execz .LBB125_331
; %bb.330:
	buffer_load_dword v126, off, s[0:3], 0 offset:192
	buffer_load_dword v127, off, s[0:3], 0 offset:196
	v_mov_b32_e32 v128, 0
	buffer_store_dword v128, off, s[0:3], 0 offset:192
	buffer_store_dword v128, off, s[0:3], 0 offset:196
	s_waitcnt vmcnt(2)
	ds_write_b64 v125, v[126:127]
.LBB125_331:
	s_or_b64 exec, exec, s[4:5]
	s_waitcnt lgkmcnt(0)
	; wave barrier
	buffer_load_dword v135, off, s[0:3], 0 offset:200
	buffer_load_dword v136, off, s[0:3], 0 offset:204
	;; [unrolled: 1-line block ×21, first 2 shown]
	v_mov_b32_e32 v126, 0
	ds_read2_b64 v[127:130], v126 offset0:87 offset1:88
	ds_read2_b64 v[131:134], v126 offset0:89 offset1:90
	buffer_load_dword v152, off, s[0:3], 0 offset:284
	v_cmp_lt_u32_e32 vcc, 23, v0
	s_waitcnt vmcnt(20) lgkmcnt(1)
	v_fma_f64 v[127:128], v[135:136], v[127:128], 0
	s_waitcnt vmcnt(18)
	v_fma_f64 v[127:128], v[137:138], v[129:130], v[127:128]
	buffer_load_dword v136, off, s[0:3], 0 offset:292
	buffer_load_dword v137, off, s[0:3], 0 offset:312
	;; [unrolled: 1-line block ×7, first 2 shown]
	s_waitcnt vmcnt(23) lgkmcnt(0)
	v_fma_f64 v[127:128], v[139:140], v[131:132], v[127:128]
	s_waitcnt vmcnt(21)
	v_fma_f64 v[138:139], v[141:142], v[133:134], v[127:128]
	ds_read2_b64 v[127:130], v126 offset0:91 offset1:92
	ds_read2_b64 v[131:134], v126 offset0:93 offset1:94
	s_waitcnt vmcnt(19) lgkmcnt(1)
	v_fma_f64 v[127:128], v[143:144], v[127:128], v[138:139]
	buffer_load_dword v138, off, s[0:3], 0 offset:316
	s_waitcnt vmcnt(18)
	v_fma_f64 v[127:128], v[145:146], v[129:130], v[127:128]
	buffer_load_dword v140, off, s[0:3], 0 offset:324
	buffer_load_dword v141, off, s[0:3], 0 offset:344
	;; [unrolled: 1-line block ×8, first 2 shown]
	s_waitcnt vmcnt(24) lgkmcnt(0)
	v_fma_f64 v[127:128], v[147:148], v[131:132], v[127:128]
	s_waitcnt vmcnt(19)
	v_fma_f64 v[147:148], v[149:150], v[133:134], v[127:128]
	ds_read2_b64 v[127:130], v126 offset0:95 offset1:96
	ds_read2_b64 v[131:134], v126 offset0:97 offset1:98
	s_waitcnt vmcnt(18) lgkmcnt(1)
	v_fma_f64 v[127:128], v[155:156], v[127:128], v[147:148]
	s_waitcnt vmcnt(17)
	v_fma_f64 v[127:128], v[153:154], v[129:130], v[127:128]
	buffer_load_dword v148, off, s[0:3], 0 offset:356
	buffer_load_dword v149, off, s[0:3], 0 offset:376
	;; [unrolled: 1-line block ×7, first 2 shown]
	s_waitcnt vmcnt(23) lgkmcnt(0)
	v_fma_f64 v[127:128], v[151:152], v[131:132], v[127:128]
	s_waitcnt vmcnt(18)
	v_fma_f64 v[135:136], v[135:136], v[133:134], v[127:128]
	ds_read2_b64 v[127:130], v126 offset0:99 offset1:100
	ds_read2_b64 v[131:134], v126 offset0:101 offset1:102
	buffer_load_dword v150, off, s[0:3], 0 offset:380
	s_waitcnt vmcnt(18) lgkmcnt(1)
	v_fma_f64 v[127:128], v[159:160], v[127:128], v[135:136]
	s_waitcnt vmcnt(17)
	v_fma_f64 v[127:128], v[157:158], v[129:130], v[127:128]
	buffer_load_dword v136, off, s[0:3], 0 offset:388
	buffer_load_dword v151, off, s[0:3], 0 offset:408
	;; [unrolled: 1-line block ×7, first 2 shown]
	s_waitcnt vmcnt(23) lgkmcnt(0)
	v_fma_f64 v[127:128], v[137:138], v[131:132], v[127:128]
	s_waitcnt vmcnt(18)
	v_fma_f64 v[137:138], v[139:140], v[133:134], v[127:128]
	ds_read2_b64 v[127:130], v126 offset0:103 offset1:104
	ds_read2_b64 v[131:134], v126 offset0:105 offset1:106
	buffer_load_dword v152, off, s[0:3], 0 offset:412
	s_waitcnt vmcnt(18) lgkmcnt(1)
	v_fma_f64 v[127:128], v[145:146], v[127:128], v[137:138]
	s_waitcnt vmcnt(17)
	v_fma_f64 v[127:128], v[143:144], v[129:130], v[127:128]
	buffer_load_dword v138, off, s[0:3], 0 offset:420
	buffer_load_dword v139, off, s[0:3], 0 offset:440
	;; [unrolled: 1-line block ×7, first 2 shown]
	s_waitcnt vmcnt(23) lgkmcnt(0)
	v_fma_f64 v[127:128], v[141:142], v[131:132], v[127:128]
	s_waitcnt vmcnt(18)
	v_fma_f64 v[140:141], v[147:148], v[133:134], v[127:128]
	ds_read2_b64 v[127:130], v126 offset0:107 offset1:108
	ds_read2_b64 v[131:134], v126 offset0:109 offset1:110
	s_waitcnt vmcnt(17) lgkmcnt(1)
	v_fma_f64 v[127:128], v[155:156], v[127:128], v[140:141]
	buffer_load_dword v140, off, s[0:3], 0 offset:444
	s_waitcnt vmcnt(17)
	v_fma_f64 v[127:128], v[153:154], v[129:130], v[127:128]
	buffer_load_dword v142, off, s[0:3], 0 offset:452
	buffer_load_dword v147, off, s[0:3], 0 offset:472
	;; [unrolled: 1-line block ×7, first 2 shown]
	s_waitcnt vmcnt(23) lgkmcnt(0)
	v_fma_f64 v[127:128], v[149:150], v[131:132], v[127:128]
	s_waitcnt vmcnt(18)
	v_fma_f64 v[135:136], v[135:136], v[133:134], v[127:128]
	ds_read2_b64 v[127:130], v126 offset0:111 offset1:112
	ds_read2_b64 v[131:134], v126 offset0:113 offset1:114
	buffer_load_dword v148, off, s[0:3], 0 offset:476
	s_waitcnt vmcnt(18) lgkmcnt(1)
	v_fma_f64 v[127:128], v[159:160], v[127:128], v[135:136]
	buffer_load_dword v136, off, s[0:3], 0 offset:484
	buffer_load_dword v149, off, s[0:3], 0 offset:488
	buffer_load_dword v135, off, s[0:3], 0 offset:480
	buffer_load_dword v150, off, s[0:3], 0 offset:492
	s_waitcnt vmcnt(21)
	v_fma_f64 v[127:128], v[157:158], v[129:130], v[127:128]
	s_waitcnt vmcnt(20) lgkmcnt(0)
	v_fma_f64 v[127:128], v[151:152], v[131:132], v[127:128]
	buffer_load_dword v151, off, s[0:3], 0 offset:192
	buffer_load_dword v152, off, s[0:3], 0 offset:196
	s_waitcnt vmcnt(17)
	v_fma_f64 v[137:138], v[137:138], v[133:134], v[127:128]
	ds_read2_b64 v[127:130], v126 offset0:115 offset1:116
	ds_read2_b64 v[131:134], v126 offset0:117 offset1:118
	s_waitcnt vmcnt(16) lgkmcnt(1)
	v_fma_f64 v[127:128], v[145:146], v[127:128], v[137:138]
	s_waitcnt vmcnt(15)
	v_fma_f64 v[127:128], v[143:144], v[129:130], v[127:128]
	s_waitcnt vmcnt(14) lgkmcnt(0)
	v_fma_f64 v[127:128], v[139:140], v[131:132], v[127:128]
	s_waitcnt vmcnt(9)
	v_fma_f64 v[137:138], v[141:142], v[133:134], v[127:128]
	ds_read2_b64 v[127:130], v126 offset0:119 offset1:120
	ds_read2_b64 v[131:134], v126 offset0:121 offset1:122
	s_waitcnt vmcnt(8) lgkmcnt(1)
	v_fma_f64 v[127:128], v[155:156], v[127:128], v[137:138]
	s_waitcnt vmcnt(7)
	v_fma_f64 v[127:128], v[153:154], v[129:130], v[127:128]
	ds_read_b64 v[129:130], v126 offset:984
	s_waitcnt vmcnt(6) lgkmcnt(1)
	v_fma_f64 v[127:128], v[147:148], v[131:132], v[127:128]
	s_waitcnt vmcnt(3)
	v_fma_f64 v[127:128], v[135:136], v[133:134], v[127:128]
	s_waitcnt vmcnt(2) lgkmcnt(0)
	v_fma_f64 v[127:128], v[149:150], v[129:130], v[127:128]
	s_waitcnt vmcnt(0)
	v_add_f64 v[127:128], v[151:152], -v[127:128]
	buffer_store_dword v128, off, s[0:3], 0 offset:196
	buffer_store_dword v127, off, s[0:3], 0 offset:192
	s_and_saveexec_b64 s[4:5], vcc
	s_cbranch_execz .LBB125_333
; %bb.332:
	buffer_load_dword v127, off, s[0:3], 0 offset:184
	buffer_load_dword v128, off, s[0:3], 0 offset:188
	s_waitcnt vmcnt(0)
	ds_write_b64 v125, v[127:128]
	buffer_store_dword v126, off, s[0:3], 0 offset:184
	buffer_store_dword v126, off, s[0:3], 0 offset:188
.LBB125_333:
	s_or_b64 exec, exec, s[4:5]
	s_waitcnt lgkmcnt(0)
	; wave barrier
	buffer_load_dword v135, off, s[0:3], 0 offset:192
	buffer_load_dword v136, off, s[0:3], 0 offset:196
	;; [unrolled: 1-line block ×22, first 2 shown]
	ds_read_b128 v[127:130], v126 offset:688
	ds_read_b128 v[131:134], v126 offset:704
	v_cmp_lt_u32_e32 vcc, 22, v0
	s_waitcnt vmcnt(20) lgkmcnt(1)
	v_fma_f64 v[127:128], v[135:136], v[127:128], 0
	s_waitcnt vmcnt(18)
	v_fma_f64 v[127:128], v[137:138], v[129:130], v[127:128]
	buffer_load_dword v136, off, s[0:3], 0 offset:284
	buffer_load_dword v137, off, s[0:3], 0 offset:304
	;; [unrolled: 1-line block ×7, first 2 shown]
	s_waitcnt vmcnt(23) lgkmcnt(0)
	v_fma_f64 v[127:128], v[139:140], v[131:132], v[127:128]
	s_waitcnt vmcnt(21)
	v_fma_f64 v[138:139], v[141:142], v[133:134], v[127:128]
	ds_read_b128 v[127:130], v126 offset:720
	ds_read_b128 v[131:134], v126 offset:736
	s_waitcnt vmcnt(19) lgkmcnt(1)
	v_fma_f64 v[127:128], v[143:144], v[127:128], v[138:139]
	buffer_load_dword v138, off, s[0:3], 0 offset:308
	s_waitcnt vmcnt(18)
	v_fma_f64 v[127:128], v[145:146], v[129:130], v[127:128]
	buffer_load_dword v140, off, s[0:3], 0 offset:316
	buffer_load_dword v141, off, s[0:3], 0 offset:336
	;; [unrolled: 1-line block ×8, first 2 shown]
	s_waitcnt vmcnt(24) lgkmcnt(0)
	v_fma_f64 v[127:128], v[147:148], v[131:132], v[127:128]
	s_waitcnt vmcnt(19)
	v_fma_f64 v[147:148], v[149:150], v[133:134], v[127:128]
	ds_read_b128 v[127:130], v126 offset:752
	ds_read_b128 v[131:134], v126 offset:768
	s_waitcnt vmcnt(18) lgkmcnt(1)
	v_fma_f64 v[127:128], v[155:156], v[127:128], v[147:148]
	s_waitcnt vmcnt(17)
	v_fma_f64 v[127:128], v[153:154], v[129:130], v[127:128]
	buffer_load_dword v148, off, s[0:3], 0 offset:348
	buffer_load_dword v149, off, s[0:3], 0 offset:368
	;; [unrolled: 1-line block ×8, first 2 shown]
	s_waitcnt vmcnt(24) lgkmcnt(0)
	v_fma_f64 v[127:128], v[151:152], v[131:132], v[127:128]
	s_waitcnt vmcnt(19)
	v_fma_f64 v[135:136], v[135:136], v[133:134], v[127:128]
	ds_read_b128 v[127:130], v126 offset:784
	ds_read_b128 v[131:134], v126 offset:800
	s_waitcnt vmcnt(18) lgkmcnt(1)
	v_fma_f64 v[127:128], v[159:160], v[127:128], v[135:136]
	s_waitcnt vmcnt(17)
	v_fma_f64 v[127:128], v[157:158], v[129:130], v[127:128]
	buffer_load_dword v136, off, s[0:3], 0 offset:380
	buffer_load_dword v151, off, s[0:3], 0 offset:400
	;; [unrolled: 1-line block ×7, first 2 shown]
	s_waitcnt vmcnt(23) lgkmcnt(0)
	v_fma_f64 v[127:128], v[137:138], v[131:132], v[127:128]
	s_waitcnt vmcnt(18)
	v_fma_f64 v[137:138], v[139:140], v[133:134], v[127:128]
	ds_read_b128 v[127:130], v126 offset:816
	ds_read_b128 v[131:134], v126 offset:832
	buffer_load_dword v152, off, s[0:3], 0 offset:404
	s_waitcnt vmcnt(18) lgkmcnt(1)
	v_fma_f64 v[127:128], v[145:146], v[127:128], v[137:138]
	s_waitcnt vmcnt(17)
	v_fma_f64 v[127:128], v[143:144], v[129:130], v[127:128]
	buffer_load_dword v138, off, s[0:3], 0 offset:412
	buffer_load_dword v139, off, s[0:3], 0 offset:432
	;; [unrolled: 1-line block ×7, first 2 shown]
	s_waitcnt vmcnt(23) lgkmcnt(0)
	v_fma_f64 v[127:128], v[141:142], v[131:132], v[127:128]
	s_waitcnt vmcnt(18)
	v_fma_f64 v[140:141], v[147:148], v[133:134], v[127:128]
	ds_read_b128 v[127:130], v126 offset:848
	ds_read_b128 v[131:134], v126 offset:864
	s_waitcnt vmcnt(17) lgkmcnt(1)
	v_fma_f64 v[127:128], v[155:156], v[127:128], v[140:141]
	buffer_load_dword v140, off, s[0:3], 0 offset:436
	s_waitcnt vmcnt(17)
	v_fma_f64 v[127:128], v[153:154], v[129:130], v[127:128]
	buffer_load_dword v142, off, s[0:3], 0 offset:444
	buffer_load_dword v147, off, s[0:3], 0 offset:464
	;; [unrolled: 1-line block ×8, first 2 shown]
	s_waitcnt vmcnt(24) lgkmcnt(0)
	v_fma_f64 v[127:128], v[149:150], v[131:132], v[127:128]
	s_waitcnt vmcnt(19)
	v_fma_f64 v[135:136], v[135:136], v[133:134], v[127:128]
	ds_read_b128 v[127:130], v126 offset:880
	ds_read_b128 v[131:134], v126 offset:896
	s_waitcnt vmcnt(18) lgkmcnt(1)
	v_fma_f64 v[127:128], v[159:160], v[127:128], v[135:136]
	s_waitcnt vmcnt(17)
	v_fma_f64 v[127:128], v[157:158], v[129:130], v[127:128]
	buffer_load_dword v136, off, s[0:3], 0 offset:476
	buffer_load_dword v149, off, s[0:3], 0 offset:488
	;; [unrolled: 1-line block ×6, first 2 shown]
	s_waitcnt vmcnt(22) lgkmcnt(0)
	v_fma_f64 v[127:128], v[151:152], v[131:132], v[127:128]
	s_waitcnt vmcnt(17)
	v_fma_f64 v[137:138], v[137:138], v[133:134], v[127:128]
	ds_read_b128 v[127:130], v126 offset:912
	buffer_load_dword v151, off, s[0:3], 0 offset:184
	buffer_load_dword v152, off, s[0:3], 0 offset:188
	ds_read_b128 v[131:134], v126 offset:928
	s_waitcnt vmcnt(18) lgkmcnt(1)
	v_fma_f64 v[127:128], v[145:146], v[127:128], v[137:138]
	s_waitcnt vmcnt(17)
	v_fma_f64 v[127:128], v[143:144], v[129:130], v[127:128]
	s_waitcnt vmcnt(16) lgkmcnt(0)
	v_fma_f64 v[127:128], v[139:140], v[131:132], v[127:128]
	s_waitcnt vmcnt(11)
	v_fma_f64 v[137:138], v[141:142], v[133:134], v[127:128]
	ds_read_b128 v[127:130], v126 offset:944
	ds_read_b128 v[131:134], v126 offset:960
	s_waitcnt vmcnt(10) lgkmcnt(1)
	v_fma_f64 v[127:128], v[155:156], v[127:128], v[137:138]
	s_waitcnt vmcnt(9)
	v_fma_f64 v[127:128], v[153:154], v[129:130], v[127:128]
	s_waitcnt vmcnt(8) lgkmcnt(0)
	v_fma_f64 v[127:128], v[147:148], v[131:132], v[127:128]
	s_waitcnt vmcnt(4)
	v_fma_f64 v[130:131], v[135:136], v[133:134], v[127:128]
	ds_read_b128 v[126:129], v126 offset:976
	s_waitcnt vmcnt(3) lgkmcnt(0)
	v_fma_f64 v[126:127], v[157:158], v[126:127], v[130:131]
	s_waitcnt vmcnt(2)
	v_fma_f64 v[126:127], v[149:150], v[128:129], v[126:127]
	s_waitcnt vmcnt(0)
	v_add_f64 v[126:127], v[151:152], -v[126:127]
	buffer_store_dword v127, off, s[0:3], 0 offset:188
	buffer_store_dword v126, off, s[0:3], 0 offset:184
	s_and_saveexec_b64 s[4:5], vcc
	s_cbranch_execz .LBB125_335
; %bb.334:
	buffer_load_dword v126, off, s[0:3], 0 offset:176
	buffer_load_dword v127, off, s[0:3], 0 offset:180
	v_mov_b32_e32 v128, 0
	buffer_store_dword v128, off, s[0:3], 0 offset:176
	buffer_store_dword v128, off, s[0:3], 0 offset:180
	s_waitcnt vmcnt(2)
	ds_write_b64 v125, v[126:127]
.LBB125_335:
	s_or_b64 exec, exec, s[4:5]
	s_waitcnt lgkmcnt(0)
	; wave barrier
	buffer_load_dword v135, off, s[0:3], 0 offset:184
	buffer_load_dword v136, off, s[0:3], 0 offset:188
	;; [unrolled: 1-line block ×22, first 2 shown]
	v_mov_b32_e32 v126, 0
	ds_read2_b64 v[127:130], v126 offset0:85 offset1:86
	ds_read2_b64 v[131:134], v126 offset0:87 offset1:88
	v_cmp_lt_u32_e32 vcc, 21, v0
	s_waitcnt vmcnt(20) lgkmcnt(1)
	v_fma_f64 v[127:128], v[135:136], v[127:128], 0
	s_waitcnt vmcnt(18)
	v_fma_f64 v[127:128], v[137:138], v[129:130], v[127:128]
	buffer_load_dword v136, off, s[0:3], 0 offset:276
	buffer_load_dword v137, off, s[0:3], 0 offset:296
	;; [unrolled: 1-line block ×7, first 2 shown]
	s_waitcnt vmcnt(23) lgkmcnt(0)
	v_fma_f64 v[127:128], v[139:140], v[131:132], v[127:128]
	s_waitcnt vmcnt(21)
	v_fma_f64 v[138:139], v[141:142], v[133:134], v[127:128]
	ds_read2_b64 v[127:130], v126 offset0:89 offset1:90
	ds_read2_b64 v[131:134], v126 offset0:91 offset1:92
	s_waitcnt vmcnt(19) lgkmcnt(1)
	v_fma_f64 v[127:128], v[143:144], v[127:128], v[138:139]
	buffer_load_dword v138, off, s[0:3], 0 offset:300
	s_waitcnt vmcnt(18)
	v_fma_f64 v[127:128], v[145:146], v[129:130], v[127:128]
	buffer_load_dword v140, off, s[0:3], 0 offset:308
	buffer_load_dword v141, off, s[0:3], 0 offset:328
	;; [unrolled: 1-line block ×8, first 2 shown]
	s_waitcnt vmcnt(24) lgkmcnt(0)
	v_fma_f64 v[127:128], v[147:148], v[131:132], v[127:128]
	s_waitcnt vmcnt(19)
	v_fma_f64 v[147:148], v[149:150], v[133:134], v[127:128]
	ds_read2_b64 v[127:130], v126 offset0:93 offset1:94
	ds_read2_b64 v[131:134], v126 offset0:95 offset1:96
	s_waitcnt vmcnt(18) lgkmcnt(1)
	v_fma_f64 v[127:128], v[155:156], v[127:128], v[147:148]
	s_waitcnt vmcnt(17)
	v_fma_f64 v[127:128], v[153:154], v[129:130], v[127:128]
	buffer_load_dword v148, off, s[0:3], 0 offset:340
	buffer_load_dword v149, off, s[0:3], 0 offset:360
	;; [unrolled: 1-line block ×8, first 2 shown]
	s_waitcnt vmcnt(24) lgkmcnt(0)
	v_fma_f64 v[127:128], v[151:152], v[131:132], v[127:128]
	s_waitcnt vmcnt(19)
	v_fma_f64 v[135:136], v[135:136], v[133:134], v[127:128]
	ds_read2_b64 v[127:130], v126 offset0:97 offset1:98
	ds_read2_b64 v[131:134], v126 offset0:99 offset1:100
	s_waitcnt vmcnt(18) lgkmcnt(1)
	v_fma_f64 v[127:128], v[159:160], v[127:128], v[135:136]
	s_waitcnt vmcnt(17)
	v_fma_f64 v[127:128], v[157:158], v[129:130], v[127:128]
	buffer_load_dword v136, off, s[0:3], 0 offset:372
	buffer_load_dword v151, off, s[0:3], 0 offset:392
	;; [unrolled: 1-line block ×7, first 2 shown]
	s_waitcnt vmcnt(23) lgkmcnt(0)
	v_fma_f64 v[127:128], v[137:138], v[131:132], v[127:128]
	s_waitcnt vmcnt(18)
	v_fma_f64 v[137:138], v[139:140], v[133:134], v[127:128]
	ds_read2_b64 v[127:130], v126 offset0:101 offset1:102
	ds_read2_b64 v[131:134], v126 offset0:103 offset1:104
	buffer_load_dword v152, off, s[0:3], 0 offset:396
	s_waitcnt vmcnt(18) lgkmcnt(1)
	v_fma_f64 v[127:128], v[145:146], v[127:128], v[137:138]
	s_waitcnt vmcnt(17)
	v_fma_f64 v[127:128], v[143:144], v[129:130], v[127:128]
	buffer_load_dword v138, off, s[0:3], 0 offset:404
	buffer_load_dword v139, off, s[0:3], 0 offset:424
	;; [unrolled: 1-line block ×7, first 2 shown]
	s_waitcnt vmcnt(23) lgkmcnt(0)
	v_fma_f64 v[127:128], v[141:142], v[131:132], v[127:128]
	s_waitcnt vmcnt(18)
	v_fma_f64 v[140:141], v[147:148], v[133:134], v[127:128]
	ds_read2_b64 v[127:130], v126 offset0:105 offset1:106
	ds_read2_b64 v[131:134], v126 offset0:107 offset1:108
	s_waitcnt vmcnt(17) lgkmcnt(1)
	v_fma_f64 v[127:128], v[155:156], v[127:128], v[140:141]
	buffer_load_dword v140, off, s[0:3], 0 offset:428
	s_waitcnt vmcnt(17)
	v_fma_f64 v[127:128], v[153:154], v[129:130], v[127:128]
	buffer_load_dword v142, off, s[0:3], 0 offset:436
	buffer_load_dword v147, off, s[0:3], 0 offset:456
	;; [unrolled: 1-line block ×8, first 2 shown]
	s_waitcnt vmcnt(24) lgkmcnt(0)
	v_fma_f64 v[127:128], v[149:150], v[131:132], v[127:128]
	s_waitcnt vmcnt(19)
	v_fma_f64 v[135:136], v[135:136], v[133:134], v[127:128]
	ds_read2_b64 v[127:130], v126 offset0:109 offset1:110
	ds_read2_b64 v[131:134], v126 offset0:111 offset1:112
	s_waitcnt vmcnt(18) lgkmcnt(1)
	v_fma_f64 v[127:128], v[159:160], v[127:128], v[135:136]
	s_waitcnt vmcnt(17)
	v_fma_f64 v[127:128], v[157:158], v[129:130], v[127:128]
	buffer_load_dword v136, off, s[0:3], 0 offset:468
	buffer_load_dword v149, off, s[0:3], 0 offset:488
	;; [unrolled: 1-line block ×8, first 2 shown]
	s_waitcnt vmcnt(24) lgkmcnt(0)
	v_fma_f64 v[127:128], v[151:152], v[131:132], v[127:128]
	s_waitcnt vmcnt(19)
	v_fma_f64 v[137:138], v[137:138], v[133:134], v[127:128]
	ds_read2_b64 v[127:130], v126 offset0:113 offset1:114
	ds_read2_b64 v[131:134], v126 offset0:115 offset1:116
	s_waitcnt vmcnt(18) lgkmcnt(1)
	v_fma_f64 v[127:128], v[145:146], v[127:128], v[137:138]
	buffer_load_dword v137, off, s[0:3], 0 offset:176
	buffer_load_dword v138, off, s[0:3], 0 offset:180
	s_waitcnt vmcnt(19)
	v_fma_f64 v[127:128], v[143:144], v[129:130], v[127:128]
	s_waitcnt vmcnt(18) lgkmcnt(0)
	v_fma_f64 v[127:128], v[139:140], v[131:132], v[127:128]
	s_waitcnt vmcnt(13)
	v_fma_f64 v[139:140], v[141:142], v[133:134], v[127:128]
	ds_read2_b64 v[127:130], v126 offset0:117 offset1:118
	ds_read2_b64 v[131:134], v126 offset0:119 offset1:120
	s_waitcnt vmcnt(12) lgkmcnt(1)
	v_fma_f64 v[127:128], v[155:156], v[127:128], v[139:140]
	s_waitcnt vmcnt(11)
	v_fma_f64 v[127:128], v[153:154], v[129:130], v[127:128]
	s_waitcnt vmcnt(10) lgkmcnt(0)
	v_fma_f64 v[127:128], v[147:148], v[131:132], v[127:128]
	s_waitcnt vmcnt(5)
	v_fma_f64 v[131:132], v[135:136], v[133:134], v[127:128]
	ds_read2_b64 v[127:130], v126 offset0:121 offset1:122
	ds_read_b64 v[133:134], v126 offset:984
	s_waitcnt vmcnt(4) lgkmcnt(1)
	v_fma_f64 v[127:128], v[159:160], v[127:128], v[131:132]
	s_waitcnt vmcnt(3)
	v_fma_f64 v[127:128], v[157:158], v[129:130], v[127:128]
	s_waitcnt vmcnt(2) lgkmcnt(0)
	v_fma_f64 v[127:128], v[149:150], v[133:134], v[127:128]
	s_waitcnt vmcnt(0)
	v_add_f64 v[127:128], v[137:138], -v[127:128]
	buffer_store_dword v128, off, s[0:3], 0 offset:180
	buffer_store_dword v127, off, s[0:3], 0 offset:176
	s_and_saveexec_b64 s[4:5], vcc
	s_cbranch_execz .LBB125_337
; %bb.336:
	buffer_load_dword v127, off, s[0:3], 0 offset:168
	buffer_load_dword v128, off, s[0:3], 0 offset:172
	s_waitcnt vmcnt(0)
	ds_write_b64 v125, v[127:128]
	buffer_store_dword v126, off, s[0:3], 0 offset:168
	buffer_store_dword v126, off, s[0:3], 0 offset:172
.LBB125_337:
	s_or_b64 exec, exec, s[4:5]
	s_waitcnt lgkmcnt(0)
	; wave barrier
	buffer_load_dword v135, off, s[0:3], 0 offset:176
	buffer_load_dword v136, off, s[0:3], 0 offset:180
	buffer_load_dword v137, off, s[0:3], 0 offset:184
	buffer_load_dword v138, off, s[0:3], 0 offset:188
	buffer_load_dword v139, off, s[0:3], 0 offset:192
	buffer_load_dword v140, off, s[0:3], 0 offset:196
	buffer_load_dword v141, off, s[0:3], 0 offset:200
	buffer_load_dword v142, off, s[0:3], 0 offset:204
	buffer_load_dword v143, off, s[0:3], 0 offset:208
	buffer_load_dword v144, off, s[0:3], 0 offset:212
	buffer_load_dword v145, off, s[0:3], 0 offset:216
	buffer_load_dword v146, off, s[0:3], 0 offset:220
	buffer_load_dword v147, off, s[0:3], 0 offset:224
	buffer_load_dword v148, off, s[0:3], 0 offset:228
	buffer_load_dword v150, off, s[0:3], 0 offset:236
	buffer_load_dword v151, off, s[0:3], 0 offset:256
	buffer_load_dword v153, off, s[0:3], 0 offset:248
	buffer_load_dword v155, off, s[0:3], 0 offset:240
	buffer_load_dword v149, off, s[0:3], 0 offset:232
	buffer_load_dword v156, off, s[0:3], 0 offset:244
	buffer_load_dword v154, off, s[0:3], 0 offset:252
	buffer_load_dword v152, off, s[0:3], 0 offset:260
	ds_read_b128 v[127:130], v126 offset:672
	ds_read_b128 v[131:134], v126 offset:688
	v_cmp_lt_u32_e32 vcc, 20, v0
	s_waitcnt vmcnt(20) lgkmcnt(1)
	v_fma_f64 v[127:128], v[135:136], v[127:128], 0
	s_waitcnt vmcnt(18)
	v_fma_f64 v[127:128], v[137:138], v[129:130], v[127:128]
	buffer_load_dword v136, off, s[0:3], 0 offset:268
	buffer_load_dword v137, off, s[0:3], 0 offset:288
	;; [unrolled: 1-line block ×7, first 2 shown]
	s_waitcnt vmcnt(23) lgkmcnt(0)
	v_fma_f64 v[127:128], v[139:140], v[131:132], v[127:128]
	s_waitcnt vmcnt(21)
	v_fma_f64 v[138:139], v[141:142], v[133:134], v[127:128]
	ds_read_b128 v[127:130], v126 offset:704
	ds_read_b128 v[131:134], v126 offset:720
	s_waitcnt vmcnt(19) lgkmcnt(1)
	v_fma_f64 v[127:128], v[143:144], v[127:128], v[138:139]
	buffer_load_dword v138, off, s[0:3], 0 offset:292
	s_waitcnt vmcnt(18)
	v_fma_f64 v[127:128], v[145:146], v[129:130], v[127:128]
	buffer_load_dword v140, off, s[0:3], 0 offset:300
	buffer_load_dword v141, off, s[0:3], 0 offset:320
	;; [unrolled: 1-line block ×8, first 2 shown]
	s_waitcnt vmcnt(24) lgkmcnt(0)
	v_fma_f64 v[127:128], v[147:148], v[131:132], v[127:128]
	s_waitcnt vmcnt(19)
	v_fma_f64 v[147:148], v[149:150], v[133:134], v[127:128]
	ds_read_b128 v[127:130], v126 offset:736
	ds_read_b128 v[131:134], v126 offset:752
	s_waitcnt vmcnt(18) lgkmcnt(1)
	v_fma_f64 v[127:128], v[155:156], v[127:128], v[147:148]
	s_waitcnt vmcnt(17)
	v_fma_f64 v[127:128], v[153:154], v[129:130], v[127:128]
	buffer_load_dword v148, off, s[0:3], 0 offset:332
	buffer_load_dword v149, off, s[0:3], 0 offset:352
	;; [unrolled: 1-line block ×8, first 2 shown]
	s_waitcnt vmcnt(24) lgkmcnt(0)
	v_fma_f64 v[127:128], v[151:152], v[131:132], v[127:128]
	s_waitcnt vmcnt(19)
	v_fma_f64 v[135:136], v[135:136], v[133:134], v[127:128]
	ds_read_b128 v[127:130], v126 offset:768
	ds_read_b128 v[131:134], v126 offset:784
	s_waitcnt vmcnt(18) lgkmcnt(1)
	v_fma_f64 v[127:128], v[159:160], v[127:128], v[135:136]
	s_waitcnt vmcnt(17)
	v_fma_f64 v[127:128], v[157:158], v[129:130], v[127:128]
	buffer_load_dword v136, off, s[0:3], 0 offset:364
	buffer_load_dword v151, off, s[0:3], 0 offset:384
	;; [unrolled: 1-line block ×7, first 2 shown]
	s_waitcnt vmcnt(23) lgkmcnt(0)
	v_fma_f64 v[127:128], v[137:138], v[131:132], v[127:128]
	s_waitcnt vmcnt(18)
	v_fma_f64 v[137:138], v[139:140], v[133:134], v[127:128]
	ds_read_b128 v[127:130], v126 offset:800
	ds_read_b128 v[131:134], v126 offset:816
	buffer_load_dword v152, off, s[0:3], 0 offset:388
	s_waitcnt vmcnt(18) lgkmcnt(1)
	v_fma_f64 v[127:128], v[145:146], v[127:128], v[137:138]
	s_waitcnt vmcnt(17)
	v_fma_f64 v[127:128], v[143:144], v[129:130], v[127:128]
	buffer_load_dword v138, off, s[0:3], 0 offset:396
	buffer_load_dword v139, off, s[0:3], 0 offset:416
	;; [unrolled: 1-line block ×7, first 2 shown]
	s_waitcnt vmcnt(23) lgkmcnt(0)
	v_fma_f64 v[127:128], v[141:142], v[131:132], v[127:128]
	s_waitcnt vmcnt(18)
	v_fma_f64 v[140:141], v[147:148], v[133:134], v[127:128]
	ds_read_b128 v[127:130], v126 offset:832
	ds_read_b128 v[131:134], v126 offset:848
	s_waitcnt vmcnt(17) lgkmcnt(1)
	v_fma_f64 v[127:128], v[155:156], v[127:128], v[140:141]
	buffer_load_dword v140, off, s[0:3], 0 offset:420
	s_waitcnt vmcnt(17)
	v_fma_f64 v[127:128], v[153:154], v[129:130], v[127:128]
	buffer_load_dword v142, off, s[0:3], 0 offset:428
	buffer_load_dword v147, off, s[0:3], 0 offset:448
	;; [unrolled: 1-line block ×8, first 2 shown]
	s_waitcnt vmcnt(24) lgkmcnt(0)
	v_fma_f64 v[127:128], v[149:150], v[131:132], v[127:128]
	s_waitcnt vmcnt(19)
	v_fma_f64 v[135:136], v[135:136], v[133:134], v[127:128]
	ds_read_b128 v[127:130], v126 offset:864
	ds_read_b128 v[131:134], v126 offset:880
	s_waitcnt vmcnt(18) lgkmcnt(1)
	v_fma_f64 v[127:128], v[159:160], v[127:128], v[135:136]
	s_waitcnt vmcnt(17)
	v_fma_f64 v[127:128], v[157:158], v[129:130], v[127:128]
	buffer_load_dword v136, off, s[0:3], 0 offset:460
	buffer_load_dword v149, off, s[0:3], 0 offset:480
	;; [unrolled: 1-line block ×8, first 2 shown]
	s_waitcnt vmcnt(24) lgkmcnt(0)
	v_fma_f64 v[127:128], v[151:152], v[131:132], v[127:128]
	s_waitcnt vmcnt(19)
	v_fma_f64 v[137:138], v[137:138], v[133:134], v[127:128]
	ds_read_b128 v[127:130], v126 offset:896
	ds_read_b128 v[131:134], v126 offset:912
	s_waitcnt vmcnt(18) lgkmcnt(1)
	v_fma_f64 v[127:128], v[145:146], v[127:128], v[137:138]
	buffer_load_dword v138, off, s[0:3], 0 offset:492
	buffer_load_dword v137, off, s[0:3], 0 offset:488
	s_waitcnt vmcnt(19)
	v_fma_f64 v[127:128], v[143:144], v[129:130], v[127:128]
	buffer_load_dword v143, off, s[0:3], 0 offset:168
	buffer_load_dword v144, off, s[0:3], 0 offset:172
	s_waitcnt vmcnt(20) lgkmcnt(0)
	v_fma_f64 v[127:128], v[139:140], v[131:132], v[127:128]
	s_waitcnt vmcnt(15)
	v_fma_f64 v[139:140], v[141:142], v[133:134], v[127:128]
	ds_read_b128 v[127:130], v126 offset:928
	ds_read_b128 v[131:134], v126 offset:944
	s_waitcnt vmcnt(14) lgkmcnt(1)
	v_fma_f64 v[127:128], v[155:156], v[127:128], v[139:140]
	s_waitcnt vmcnt(13)
	v_fma_f64 v[127:128], v[153:154], v[129:130], v[127:128]
	s_waitcnt vmcnt(12) lgkmcnt(0)
	v_fma_f64 v[127:128], v[147:148], v[131:132], v[127:128]
	s_waitcnt vmcnt(7)
	v_fma_f64 v[135:136], v[135:136], v[133:134], v[127:128]
	ds_read_b128 v[127:130], v126 offset:960
	ds_read_b128 v[131:134], v126 offset:976
	s_waitcnt vmcnt(6) lgkmcnt(1)
	v_fma_f64 v[126:127], v[159:160], v[127:128], v[135:136]
	s_waitcnt vmcnt(5)
	v_fma_f64 v[126:127], v[157:158], v[129:130], v[126:127]
	s_waitcnt vmcnt(4) lgkmcnt(0)
	v_fma_f64 v[126:127], v[149:150], v[131:132], v[126:127]
	s_waitcnt vmcnt(2)
	v_fma_f64 v[126:127], v[137:138], v[133:134], v[126:127]
	s_waitcnt vmcnt(0)
	v_add_f64 v[126:127], v[143:144], -v[126:127]
	buffer_store_dword v127, off, s[0:3], 0 offset:172
	buffer_store_dword v126, off, s[0:3], 0 offset:168
	s_and_saveexec_b64 s[4:5], vcc
	s_cbranch_execz .LBB125_339
; %bb.338:
	buffer_load_dword v126, off, s[0:3], 0 offset:160
	buffer_load_dword v127, off, s[0:3], 0 offset:164
	v_mov_b32_e32 v128, 0
	buffer_store_dword v128, off, s[0:3], 0 offset:160
	buffer_store_dword v128, off, s[0:3], 0 offset:164
	s_waitcnt vmcnt(2)
	ds_write_b64 v125, v[126:127]
.LBB125_339:
	s_or_b64 exec, exec, s[4:5]
	s_waitcnt lgkmcnt(0)
	; wave barrier
	buffer_load_dword v135, off, s[0:3], 0 offset:168
	buffer_load_dword v136, off, s[0:3], 0 offset:172
	;; [unrolled: 1-line block ×22, first 2 shown]
	v_mov_b32_e32 v126, 0
	ds_read2_b64 v[127:130], v126 offset0:83 offset1:84
	ds_read2_b64 v[131:134], v126 offset0:85 offset1:86
	v_cmp_lt_u32_e32 vcc, 19, v0
	s_waitcnt vmcnt(20) lgkmcnt(1)
	v_fma_f64 v[127:128], v[135:136], v[127:128], 0
	s_waitcnt vmcnt(18)
	v_fma_f64 v[127:128], v[137:138], v[129:130], v[127:128]
	buffer_load_dword v136, off, s[0:3], 0 offset:260
	buffer_load_dword v137, off, s[0:3], 0 offset:280
	;; [unrolled: 1-line block ×7, first 2 shown]
	s_waitcnt vmcnt(23) lgkmcnt(0)
	v_fma_f64 v[127:128], v[139:140], v[131:132], v[127:128]
	s_waitcnt vmcnt(21)
	v_fma_f64 v[138:139], v[141:142], v[133:134], v[127:128]
	ds_read2_b64 v[127:130], v126 offset0:87 offset1:88
	ds_read2_b64 v[131:134], v126 offset0:89 offset1:90
	s_waitcnt vmcnt(19) lgkmcnt(1)
	v_fma_f64 v[127:128], v[143:144], v[127:128], v[138:139]
	buffer_load_dword v138, off, s[0:3], 0 offset:284
	s_waitcnt vmcnt(18)
	v_fma_f64 v[127:128], v[145:146], v[129:130], v[127:128]
	buffer_load_dword v140, off, s[0:3], 0 offset:292
	buffer_load_dword v141, off, s[0:3], 0 offset:312
	;; [unrolled: 1-line block ×7, first 2 shown]
	s_waitcnt vmcnt(23) lgkmcnt(0)
	v_fma_f64 v[127:128], v[147:148], v[131:132], v[127:128]
	s_waitcnt vmcnt(18)
	v_fma_f64 v[147:148], v[149:150], v[133:134], v[127:128]
	ds_read2_b64 v[127:130], v126 offset0:91 offset1:92
	ds_read2_b64 v[131:134], v126 offset0:93 offset1:94
	buffer_load_dword v142, off, s[0:3], 0 offset:316
	s_waitcnt vmcnt(18) lgkmcnt(1)
	v_fma_f64 v[127:128], v[155:156], v[127:128], v[147:148]
	s_waitcnt vmcnt(17)
	v_fma_f64 v[127:128], v[153:154], v[129:130], v[127:128]
	buffer_load_dword v148, off, s[0:3], 0 offset:324
	buffer_load_dword v149, off, s[0:3], 0 offset:344
	;; [unrolled: 1-line block ×8, first 2 shown]
	s_waitcnt vmcnt(24) lgkmcnt(0)
	v_fma_f64 v[127:128], v[151:152], v[131:132], v[127:128]
	s_waitcnt vmcnt(19)
	v_fma_f64 v[135:136], v[135:136], v[133:134], v[127:128]
	ds_read2_b64 v[127:130], v126 offset0:95 offset1:96
	ds_read2_b64 v[131:134], v126 offset0:97 offset1:98
	s_waitcnt vmcnt(18) lgkmcnt(1)
	v_fma_f64 v[127:128], v[159:160], v[127:128], v[135:136]
	s_waitcnt vmcnt(17)
	v_fma_f64 v[127:128], v[157:158], v[129:130], v[127:128]
	buffer_load_dword v136, off, s[0:3], 0 offset:356
	buffer_load_dword v151, off, s[0:3], 0 offset:376
	;; [unrolled: 1-line block ×7, first 2 shown]
	s_waitcnt vmcnt(23) lgkmcnt(0)
	v_fma_f64 v[127:128], v[137:138], v[131:132], v[127:128]
	s_waitcnt vmcnt(18)
	v_fma_f64 v[137:138], v[139:140], v[133:134], v[127:128]
	ds_read2_b64 v[127:130], v126 offset0:99 offset1:100
	ds_read2_b64 v[131:134], v126 offset0:101 offset1:102
	buffer_load_dword v152, off, s[0:3], 0 offset:380
	s_waitcnt vmcnt(18) lgkmcnt(1)
	v_fma_f64 v[127:128], v[145:146], v[127:128], v[137:138]
	s_waitcnt vmcnt(17)
	v_fma_f64 v[127:128], v[143:144], v[129:130], v[127:128]
	buffer_load_dword v138, off, s[0:3], 0 offset:388
	buffer_load_dword v139, off, s[0:3], 0 offset:408
	;; [unrolled: 1-line block ×7, first 2 shown]
	s_waitcnt vmcnt(23) lgkmcnt(0)
	v_fma_f64 v[127:128], v[141:142], v[131:132], v[127:128]
	s_waitcnt vmcnt(18)
	v_fma_f64 v[140:141], v[147:148], v[133:134], v[127:128]
	ds_read2_b64 v[127:130], v126 offset0:103 offset1:104
	ds_read2_b64 v[131:134], v126 offset0:105 offset1:106
	s_waitcnt vmcnt(17) lgkmcnt(1)
	v_fma_f64 v[127:128], v[155:156], v[127:128], v[140:141]
	buffer_load_dword v140, off, s[0:3], 0 offset:412
	s_waitcnt vmcnt(17)
	v_fma_f64 v[127:128], v[153:154], v[129:130], v[127:128]
	buffer_load_dword v142, off, s[0:3], 0 offset:420
	buffer_load_dword v147, off, s[0:3], 0 offset:440
	;; [unrolled: 1-line block ×8, first 2 shown]
	s_waitcnt vmcnt(24) lgkmcnt(0)
	v_fma_f64 v[127:128], v[149:150], v[131:132], v[127:128]
	s_waitcnt vmcnt(19)
	v_fma_f64 v[135:136], v[135:136], v[133:134], v[127:128]
	ds_read2_b64 v[127:130], v126 offset0:107 offset1:108
	ds_read2_b64 v[131:134], v126 offset0:109 offset1:110
	s_waitcnt vmcnt(18) lgkmcnt(1)
	v_fma_f64 v[127:128], v[159:160], v[127:128], v[135:136]
	s_waitcnt vmcnt(17)
	v_fma_f64 v[127:128], v[157:158], v[129:130], v[127:128]
	buffer_load_dword v136, off, s[0:3], 0 offset:452
	buffer_load_dword v149, off, s[0:3], 0 offset:472
	;; [unrolled: 1-line block ×7, first 2 shown]
	s_waitcnt vmcnt(23) lgkmcnt(0)
	v_fma_f64 v[127:128], v[151:152], v[131:132], v[127:128]
	s_waitcnt vmcnt(18)
	v_fma_f64 v[137:138], v[137:138], v[133:134], v[127:128]
	ds_read2_b64 v[127:130], v126 offset0:111 offset1:112
	ds_read2_b64 v[131:134], v126 offset0:113 offset1:114
	buffer_load_dword v150, off, s[0:3], 0 offset:476
	s_waitcnt vmcnt(18) lgkmcnt(1)
	v_fma_f64 v[127:128], v[145:146], v[127:128], v[137:138]
	s_waitcnt vmcnt(17)
	v_fma_f64 v[127:128], v[143:144], v[129:130], v[127:128]
	buffer_load_dword v138, off, s[0:3], 0 offset:484
	buffer_load_dword v143, off, s[0:3], 0 offset:488
	;; [unrolled: 1-line block ×4, first 2 shown]
	s_waitcnt vmcnt(20) lgkmcnt(0)
	v_fma_f64 v[127:128], v[139:140], v[131:132], v[127:128]
	buffer_load_dword v139, off, s[0:3], 0 offset:160
	buffer_load_dword v140, off, s[0:3], 0 offset:164
	s_waitcnt vmcnt(17)
	v_fma_f64 v[141:142], v[141:142], v[133:134], v[127:128]
	ds_read2_b64 v[127:130], v126 offset0:115 offset1:116
	ds_read2_b64 v[131:134], v126 offset0:117 offset1:118
	s_waitcnt vmcnt(16) lgkmcnt(1)
	v_fma_f64 v[127:128], v[155:156], v[127:128], v[141:142]
	s_waitcnt vmcnt(15)
	v_fma_f64 v[127:128], v[153:154], v[129:130], v[127:128]
	s_waitcnt vmcnt(14) lgkmcnt(0)
	v_fma_f64 v[127:128], v[147:148], v[131:132], v[127:128]
	s_waitcnt vmcnt(9)
	v_fma_f64 v[135:136], v[135:136], v[133:134], v[127:128]
	ds_read2_b64 v[127:130], v126 offset0:119 offset1:120
	ds_read2_b64 v[131:134], v126 offset0:121 offset1:122
	s_waitcnt vmcnt(8) lgkmcnt(1)
	v_fma_f64 v[127:128], v[159:160], v[127:128], v[135:136]
	s_waitcnt vmcnt(7)
	v_fma_f64 v[127:128], v[157:158], v[129:130], v[127:128]
	ds_read_b64 v[129:130], v126 offset:984
	s_waitcnt vmcnt(6) lgkmcnt(1)
	v_fma_f64 v[127:128], v[149:150], v[131:132], v[127:128]
	s_waitcnt vmcnt(3)
	v_fma_f64 v[127:128], v[137:138], v[133:134], v[127:128]
	s_waitcnt vmcnt(2) lgkmcnt(0)
	v_fma_f64 v[127:128], v[143:144], v[129:130], v[127:128]
	s_waitcnt vmcnt(0)
	v_add_f64 v[127:128], v[139:140], -v[127:128]
	buffer_store_dword v128, off, s[0:3], 0 offset:164
	buffer_store_dword v127, off, s[0:3], 0 offset:160
	s_and_saveexec_b64 s[4:5], vcc
	s_cbranch_execz .LBB125_341
; %bb.340:
	buffer_load_dword v127, off, s[0:3], 0 offset:152
	buffer_load_dword v128, off, s[0:3], 0 offset:156
	s_waitcnt vmcnt(0)
	ds_write_b64 v125, v[127:128]
	buffer_store_dword v126, off, s[0:3], 0 offset:152
	buffer_store_dword v126, off, s[0:3], 0 offset:156
.LBB125_341:
	s_or_b64 exec, exec, s[4:5]
	s_waitcnt lgkmcnt(0)
	; wave barrier
	buffer_load_dword v135, off, s[0:3], 0 offset:160
	buffer_load_dword v136, off, s[0:3], 0 offset:164
	;; [unrolled: 1-line block ×22, first 2 shown]
	ds_read_b128 v[127:130], v126 offset:656
	ds_read_b128 v[131:134], v126 offset:672
	v_cmp_lt_u32_e32 vcc, 18, v0
	s_waitcnt vmcnt(20) lgkmcnt(1)
	v_fma_f64 v[127:128], v[135:136], v[127:128], 0
	s_waitcnt vmcnt(18)
	v_fma_f64 v[127:128], v[137:138], v[129:130], v[127:128]
	buffer_load_dword v136, off, s[0:3], 0 offset:252
	buffer_load_dword v137, off, s[0:3], 0 offset:272
	;; [unrolled: 1-line block ×7, first 2 shown]
	s_waitcnt vmcnt(23) lgkmcnt(0)
	v_fma_f64 v[127:128], v[139:140], v[131:132], v[127:128]
	s_waitcnt vmcnt(21)
	v_fma_f64 v[138:139], v[141:142], v[133:134], v[127:128]
	ds_read_b128 v[127:130], v126 offset:688
	ds_read_b128 v[131:134], v126 offset:704
	s_waitcnt vmcnt(19) lgkmcnt(1)
	v_fma_f64 v[127:128], v[143:144], v[127:128], v[138:139]
	buffer_load_dword v138, off, s[0:3], 0 offset:276
	s_waitcnt vmcnt(18)
	v_fma_f64 v[127:128], v[145:146], v[129:130], v[127:128]
	buffer_load_dword v140, off, s[0:3], 0 offset:284
	buffer_load_dword v141, off, s[0:3], 0 offset:304
	;; [unrolled: 1-line block ×7, first 2 shown]
	s_waitcnt vmcnt(23) lgkmcnt(0)
	v_fma_f64 v[127:128], v[147:148], v[131:132], v[127:128]
	s_waitcnt vmcnt(18)
	v_fma_f64 v[147:148], v[149:150], v[133:134], v[127:128]
	ds_read_b128 v[127:130], v126 offset:720
	ds_read_b128 v[131:134], v126 offset:736
	buffer_load_dword v142, off, s[0:3], 0 offset:308
	s_waitcnt vmcnt(18) lgkmcnt(1)
	v_fma_f64 v[127:128], v[155:156], v[127:128], v[147:148]
	s_waitcnt vmcnt(17)
	v_fma_f64 v[127:128], v[153:154], v[129:130], v[127:128]
	buffer_load_dword v148, off, s[0:3], 0 offset:316
	buffer_load_dword v149, off, s[0:3], 0 offset:336
	;; [unrolled: 1-line block ×8, first 2 shown]
	s_waitcnt vmcnt(24) lgkmcnt(0)
	v_fma_f64 v[127:128], v[151:152], v[131:132], v[127:128]
	s_waitcnt vmcnt(19)
	v_fma_f64 v[135:136], v[135:136], v[133:134], v[127:128]
	ds_read_b128 v[127:130], v126 offset:752
	ds_read_b128 v[131:134], v126 offset:768
	s_waitcnt vmcnt(18) lgkmcnt(1)
	v_fma_f64 v[127:128], v[159:160], v[127:128], v[135:136]
	s_waitcnt vmcnt(17)
	v_fma_f64 v[127:128], v[157:158], v[129:130], v[127:128]
	buffer_load_dword v136, off, s[0:3], 0 offset:348
	buffer_load_dword v151, off, s[0:3], 0 offset:368
	;; [unrolled: 1-line block ×8, first 2 shown]
	s_waitcnt vmcnt(24) lgkmcnt(0)
	v_fma_f64 v[127:128], v[137:138], v[131:132], v[127:128]
	s_waitcnt vmcnt(19)
	v_fma_f64 v[137:138], v[139:140], v[133:134], v[127:128]
	ds_read_b128 v[127:130], v126 offset:784
	ds_read_b128 v[131:134], v126 offset:800
	s_waitcnt vmcnt(18) lgkmcnt(1)
	v_fma_f64 v[127:128], v[145:146], v[127:128], v[137:138]
	s_waitcnt vmcnt(17)
	v_fma_f64 v[127:128], v[143:144], v[129:130], v[127:128]
	buffer_load_dword v138, off, s[0:3], 0 offset:380
	buffer_load_dword v139, off, s[0:3], 0 offset:400
	;; [unrolled: 1-line block ×7, first 2 shown]
	s_waitcnt vmcnt(23) lgkmcnt(0)
	v_fma_f64 v[127:128], v[141:142], v[131:132], v[127:128]
	s_waitcnt vmcnt(18)
	v_fma_f64 v[140:141], v[147:148], v[133:134], v[127:128]
	ds_read_b128 v[127:130], v126 offset:816
	ds_read_b128 v[131:134], v126 offset:832
	s_waitcnt vmcnt(17) lgkmcnt(1)
	v_fma_f64 v[127:128], v[155:156], v[127:128], v[140:141]
	buffer_load_dword v140, off, s[0:3], 0 offset:404
	s_waitcnt vmcnt(17)
	v_fma_f64 v[127:128], v[153:154], v[129:130], v[127:128]
	buffer_load_dword v142, off, s[0:3], 0 offset:412
	buffer_load_dword v147, off, s[0:3], 0 offset:432
	;; [unrolled: 1-line block ×8, first 2 shown]
	s_waitcnt vmcnt(24) lgkmcnt(0)
	v_fma_f64 v[127:128], v[149:150], v[131:132], v[127:128]
	s_waitcnt vmcnt(19)
	v_fma_f64 v[135:136], v[135:136], v[133:134], v[127:128]
	ds_read_b128 v[127:130], v126 offset:848
	ds_read_b128 v[131:134], v126 offset:864
	s_waitcnt vmcnt(18) lgkmcnt(1)
	v_fma_f64 v[127:128], v[159:160], v[127:128], v[135:136]
	s_waitcnt vmcnt(17)
	v_fma_f64 v[127:128], v[157:158], v[129:130], v[127:128]
	buffer_load_dword v136, off, s[0:3], 0 offset:444
	buffer_load_dword v149, off, s[0:3], 0 offset:464
	;; [unrolled: 1-line block ×8, first 2 shown]
	s_waitcnt vmcnt(24) lgkmcnt(0)
	v_fma_f64 v[127:128], v[151:152], v[131:132], v[127:128]
	s_waitcnt vmcnt(19)
	v_fma_f64 v[137:138], v[137:138], v[133:134], v[127:128]
	ds_read_b128 v[127:130], v126 offset:880
	ds_read_b128 v[131:134], v126 offset:896
	s_waitcnt vmcnt(18) lgkmcnt(1)
	v_fma_f64 v[127:128], v[145:146], v[127:128], v[137:138]
	s_waitcnt vmcnt(17)
	v_fma_f64 v[127:128], v[143:144], v[129:130], v[127:128]
	buffer_load_dword v138, off, s[0:3], 0 offset:476
	buffer_load_dword v143, off, s[0:3], 0 offset:488
	;; [unrolled: 1-line block ×6, first 2 shown]
	s_waitcnt vmcnt(22) lgkmcnt(0)
	v_fma_f64 v[127:128], v[139:140], v[131:132], v[127:128]
	s_waitcnt vmcnt(17)
	v_fma_f64 v[139:140], v[141:142], v[133:134], v[127:128]
	ds_read_b128 v[127:130], v126 offset:912
	buffer_load_dword v141, off, s[0:3], 0 offset:152
	buffer_load_dword v142, off, s[0:3], 0 offset:156
	ds_read_b128 v[131:134], v126 offset:928
	s_waitcnt vmcnt(18) lgkmcnt(1)
	v_fma_f64 v[127:128], v[155:156], v[127:128], v[139:140]
	s_waitcnt vmcnt(17)
	v_fma_f64 v[127:128], v[153:154], v[129:130], v[127:128]
	s_waitcnt vmcnt(16) lgkmcnt(0)
	v_fma_f64 v[127:128], v[147:148], v[131:132], v[127:128]
	s_waitcnt vmcnt(11)
	v_fma_f64 v[135:136], v[135:136], v[133:134], v[127:128]
	ds_read_b128 v[127:130], v126 offset:944
	ds_read_b128 v[131:134], v126 offset:960
	s_waitcnt vmcnt(10) lgkmcnt(1)
	v_fma_f64 v[127:128], v[159:160], v[127:128], v[135:136]
	s_waitcnt vmcnt(9)
	v_fma_f64 v[127:128], v[157:158], v[129:130], v[127:128]
	s_waitcnt vmcnt(8) lgkmcnt(0)
	v_fma_f64 v[127:128], v[149:150], v[131:132], v[127:128]
	s_waitcnt vmcnt(4)
	v_fma_f64 v[130:131], v[137:138], v[133:134], v[127:128]
	ds_read_b128 v[126:129], v126 offset:976
	s_waitcnt vmcnt(3) lgkmcnt(0)
	v_fma_f64 v[126:127], v[145:146], v[126:127], v[130:131]
	s_waitcnt vmcnt(2)
	v_fma_f64 v[126:127], v[143:144], v[128:129], v[126:127]
	s_waitcnt vmcnt(0)
	v_add_f64 v[126:127], v[141:142], -v[126:127]
	buffer_store_dword v127, off, s[0:3], 0 offset:156
	buffer_store_dword v126, off, s[0:3], 0 offset:152
	s_and_saveexec_b64 s[4:5], vcc
	s_cbranch_execz .LBB125_343
; %bb.342:
	buffer_load_dword v126, off, s[0:3], 0 offset:144
	buffer_load_dword v127, off, s[0:3], 0 offset:148
	v_mov_b32_e32 v128, 0
	buffer_store_dword v128, off, s[0:3], 0 offset:144
	buffer_store_dword v128, off, s[0:3], 0 offset:148
	s_waitcnt vmcnt(2)
	ds_write_b64 v125, v[126:127]
.LBB125_343:
	s_or_b64 exec, exec, s[4:5]
	s_waitcnt lgkmcnt(0)
	; wave barrier
	buffer_load_dword v135, off, s[0:3], 0 offset:152
	buffer_load_dword v136, off, s[0:3], 0 offset:156
	;; [unrolled: 1-line block ×22, first 2 shown]
	v_mov_b32_e32 v126, 0
	ds_read2_b64 v[127:130], v126 offset0:81 offset1:82
	ds_read2_b64 v[131:134], v126 offset0:83 offset1:84
	v_cmp_lt_u32_e32 vcc, 17, v0
	s_waitcnt vmcnt(20) lgkmcnt(1)
	v_fma_f64 v[127:128], v[135:136], v[127:128], 0
	s_waitcnt vmcnt(18)
	v_fma_f64 v[127:128], v[137:138], v[129:130], v[127:128]
	buffer_load_dword v136, off, s[0:3], 0 offset:244
	buffer_load_dword v137, off, s[0:3], 0 offset:264
	;; [unrolled: 1-line block ×7, first 2 shown]
	s_waitcnt vmcnt(23) lgkmcnt(0)
	v_fma_f64 v[127:128], v[139:140], v[131:132], v[127:128]
	s_waitcnt vmcnt(21)
	v_fma_f64 v[138:139], v[141:142], v[133:134], v[127:128]
	ds_read2_b64 v[127:130], v126 offset0:85 offset1:86
	ds_read2_b64 v[131:134], v126 offset0:87 offset1:88
	s_waitcnt vmcnt(19) lgkmcnt(1)
	v_fma_f64 v[127:128], v[143:144], v[127:128], v[138:139]
	buffer_load_dword v138, off, s[0:3], 0 offset:268
	s_waitcnt vmcnt(18)
	v_fma_f64 v[127:128], v[145:146], v[129:130], v[127:128]
	buffer_load_dword v140, off, s[0:3], 0 offset:276
	buffer_load_dword v141, off, s[0:3], 0 offset:296
	;; [unrolled: 1-line block ×7, first 2 shown]
	s_waitcnt vmcnt(23) lgkmcnt(0)
	v_fma_f64 v[127:128], v[147:148], v[131:132], v[127:128]
	s_waitcnt vmcnt(18)
	v_fma_f64 v[147:148], v[149:150], v[133:134], v[127:128]
	ds_read2_b64 v[127:130], v126 offset0:89 offset1:90
	ds_read2_b64 v[131:134], v126 offset0:91 offset1:92
	buffer_load_dword v142, off, s[0:3], 0 offset:300
	s_waitcnt vmcnt(18) lgkmcnt(1)
	v_fma_f64 v[127:128], v[155:156], v[127:128], v[147:148]
	s_waitcnt vmcnt(17)
	v_fma_f64 v[127:128], v[153:154], v[129:130], v[127:128]
	buffer_load_dword v148, off, s[0:3], 0 offset:308
	buffer_load_dword v149, off, s[0:3], 0 offset:328
	;; [unrolled: 1-line block ×8, first 2 shown]
	s_waitcnt vmcnt(24) lgkmcnt(0)
	v_fma_f64 v[127:128], v[151:152], v[131:132], v[127:128]
	s_waitcnt vmcnt(19)
	v_fma_f64 v[135:136], v[135:136], v[133:134], v[127:128]
	ds_read2_b64 v[127:130], v126 offset0:93 offset1:94
	ds_read2_b64 v[131:134], v126 offset0:95 offset1:96
	s_waitcnt vmcnt(18) lgkmcnt(1)
	v_fma_f64 v[127:128], v[159:160], v[127:128], v[135:136]
	s_waitcnt vmcnt(17)
	v_fma_f64 v[127:128], v[157:158], v[129:130], v[127:128]
	buffer_load_dword v136, off, s[0:3], 0 offset:340
	buffer_load_dword v151, off, s[0:3], 0 offset:360
	;; [unrolled: 1-line block ×8, first 2 shown]
	s_waitcnt vmcnt(24) lgkmcnt(0)
	v_fma_f64 v[127:128], v[137:138], v[131:132], v[127:128]
	s_waitcnt vmcnt(19)
	v_fma_f64 v[137:138], v[139:140], v[133:134], v[127:128]
	ds_read2_b64 v[127:130], v126 offset0:97 offset1:98
	ds_read2_b64 v[131:134], v126 offset0:99 offset1:100
	s_waitcnt vmcnt(18) lgkmcnt(1)
	v_fma_f64 v[127:128], v[145:146], v[127:128], v[137:138]
	s_waitcnt vmcnt(17)
	v_fma_f64 v[127:128], v[143:144], v[129:130], v[127:128]
	buffer_load_dword v138, off, s[0:3], 0 offset:372
	buffer_load_dword v139, off, s[0:3], 0 offset:392
	;; [unrolled: 1-line block ×7, first 2 shown]
	s_waitcnt vmcnt(23) lgkmcnt(0)
	v_fma_f64 v[127:128], v[141:142], v[131:132], v[127:128]
	s_waitcnt vmcnt(18)
	v_fma_f64 v[140:141], v[147:148], v[133:134], v[127:128]
	ds_read2_b64 v[127:130], v126 offset0:101 offset1:102
	ds_read2_b64 v[131:134], v126 offset0:103 offset1:104
	s_waitcnt vmcnt(17) lgkmcnt(1)
	v_fma_f64 v[127:128], v[155:156], v[127:128], v[140:141]
	buffer_load_dword v140, off, s[0:3], 0 offset:396
	s_waitcnt vmcnt(17)
	v_fma_f64 v[127:128], v[153:154], v[129:130], v[127:128]
	buffer_load_dword v142, off, s[0:3], 0 offset:404
	buffer_load_dword v147, off, s[0:3], 0 offset:424
	buffer_load_dword v153, off, s[0:3], 0 offset:416
	buffer_load_dword v155, off, s[0:3], 0 offset:408
	buffer_load_dword v141, off, s[0:3], 0 offset:400
	buffer_load_dword v156, off, s[0:3], 0 offset:412
	buffer_load_dword v154, off, s[0:3], 0 offset:420
	buffer_load_dword v148, off, s[0:3], 0 offset:428
	s_waitcnt vmcnt(24) lgkmcnt(0)
	v_fma_f64 v[127:128], v[149:150], v[131:132], v[127:128]
	s_waitcnt vmcnt(19)
	v_fma_f64 v[135:136], v[135:136], v[133:134], v[127:128]
	ds_read2_b64 v[127:130], v126 offset0:105 offset1:106
	ds_read2_b64 v[131:134], v126 offset0:107 offset1:108
	s_waitcnt vmcnt(18) lgkmcnt(1)
	v_fma_f64 v[127:128], v[159:160], v[127:128], v[135:136]
	s_waitcnt vmcnt(17)
	v_fma_f64 v[127:128], v[157:158], v[129:130], v[127:128]
	buffer_load_dword v136, off, s[0:3], 0 offset:436
	buffer_load_dword v149, off, s[0:3], 0 offset:456
	buffer_load_dword v157, off, s[0:3], 0 offset:448
	buffer_load_dword v159, off, s[0:3], 0 offset:440
	buffer_load_dword v135, off, s[0:3], 0 offset:432
	buffer_load_dword v160, off, s[0:3], 0 offset:444
	buffer_load_dword v158, off, s[0:3], 0 offset:452
	buffer_load_dword v150, off, s[0:3], 0 offset:460
	s_waitcnt vmcnt(24) lgkmcnt(0)
	v_fma_f64 v[127:128], v[151:152], v[131:132], v[127:128]
	s_waitcnt vmcnt(19)
	v_fma_f64 v[137:138], v[137:138], v[133:134], v[127:128]
	ds_read2_b64 v[127:130], v126 offset0:109 offset1:110
	ds_read2_b64 v[131:134], v126 offset0:111 offset1:112
	s_waitcnt vmcnt(18) lgkmcnt(1)
	v_fma_f64 v[127:128], v[145:146], v[127:128], v[137:138]
	;; [unrolled: 18-line block ×3, first 2 shown]
	buffer_load_dword v139, off, s[0:3], 0 offset:144
	buffer_load_dword v140, off, s[0:3], 0 offset:148
	s_waitcnt vmcnt(19)
	v_fma_f64 v[127:128], v[153:154], v[129:130], v[127:128]
	s_waitcnt vmcnt(18) lgkmcnt(0)
	v_fma_f64 v[127:128], v[147:148], v[131:132], v[127:128]
	s_waitcnt vmcnt(13)
	v_fma_f64 v[135:136], v[135:136], v[133:134], v[127:128]
	ds_read2_b64 v[127:130], v126 offset0:117 offset1:118
	ds_read2_b64 v[131:134], v126 offset0:119 offset1:120
	s_waitcnt vmcnt(12) lgkmcnt(1)
	v_fma_f64 v[127:128], v[159:160], v[127:128], v[135:136]
	s_waitcnt vmcnt(11)
	v_fma_f64 v[127:128], v[157:158], v[129:130], v[127:128]
	s_waitcnt vmcnt(10) lgkmcnt(0)
	v_fma_f64 v[127:128], v[149:150], v[131:132], v[127:128]
	s_waitcnt vmcnt(5)
	v_fma_f64 v[131:132], v[137:138], v[133:134], v[127:128]
	ds_read2_b64 v[127:130], v126 offset0:121 offset1:122
	ds_read_b64 v[133:134], v126 offset:984
	s_waitcnt vmcnt(4) lgkmcnt(1)
	v_fma_f64 v[127:128], v[151:152], v[127:128], v[131:132]
	s_waitcnt vmcnt(3)
	v_fma_f64 v[127:128], v[145:146], v[129:130], v[127:128]
	s_waitcnt vmcnt(2) lgkmcnt(0)
	v_fma_f64 v[127:128], v[143:144], v[133:134], v[127:128]
	s_waitcnt vmcnt(0)
	v_add_f64 v[127:128], v[139:140], -v[127:128]
	buffer_store_dword v128, off, s[0:3], 0 offset:148
	buffer_store_dword v127, off, s[0:3], 0 offset:144
	s_and_saveexec_b64 s[4:5], vcc
	s_cbranch_execz .LBB125_345
; %bb.344:
	buffer_load_dword v127, off, s[0:3], 0 offset:136
	buffer_load_dword v128, off, s[0:3], 0 offset:140
	s_waitcnt vmcnt(0)
	ds_write_b64 v125, v[127:128]
	buffer_store_dword v126, off, s[0:3], 0 offset:136
	buffer_store_dword v126, off, s[0:3], 0 offset:140
.LBB125_345:
	s_or_b64 exec, exec, s[4:5]
	s_waitcnt lgkmcnt(0)
	; wave barrier
	buffer_load_dword v135, off, s[0:3], 0 offset:144
	buffer_load_dword v136, off, s[0:3], 0 offset:148
	;; [unrolled: 1-line block ×22, first 2 shown]
	ds_read_b128 v[127:130], v126 offset:640
	ds_read_b128 v[131:134], v126 offset:656
	v_cmp_lt_u32_e32 vcc, 16, v0
	s_waitcnt vmcnt(20) lgkmcnt(1)
	v_fma_f64 v[127:128], v[135:136], v[127:128], 0
	s_waitcnt vmcnt(18)
	v_fma_f64 v[127:128], v[137:138], v[129:130], v[127:128]
	buffer_load_dword v136, off, s[0:3], 0 offset:236
	buffer_load_dword v137, off, s[0:3], 0 offset:256
	buffer_load_dword v157, off, s[0:3], 0 offset:248
	buffer_load_dword v159, off, s[0:3], 0 offset:240
	buffer_load_dword v135, off, s[0:3], 0 offset:232
	buffer_load_dword v160, off, s[0:3], 0 offset:244
	buffer_load_dword v158, off, s[0:3], 0 offset:252
	s_waitcnt vmcnt(23) lgkmcnt(0)
	v_fma_f64 v[127:128], v[139:140], v[131:132], v[127:128]
	s_waitcnt vmcnt(21)
	v_fma_f64 v[138:139], v[141:142], v[133:134], v[127:128]
	ds_read_b128 v[127:130], v126 offset:672
	ds_read_b128 v[131:134], v126 offset:688
	s_waitcnt vmcnt(19) lgkmcnt(1)
	v_fma_f64 v[127:128], v[143:144], v[127:128], v[138:139]
	buffer_load_dword v138, off, s[0:3], 0 offset:260
	s_waitcnt vmcnt(18)
	v_fma_f64 v[127:128], v[145:146], v[129:130], v[127:128]
	buffer_load_dword v140, off, s[0:3], 0 offset:268
	buffer_load_dword v141, off, s[0:3], 0 offset:288
	;; [unrolled: 1-line block ×7, first 2 shown]
	s_waitcnt vmcnt(23) lgkmcnt(0)
	v_fma_f64 v[127:128], v[147:148], v[131:132], v[127:128]
	s_waitcnt vmcnt(18)
	v_fma_f64 v[147:148], v[149:150], v[133:134], v[127:128]
	ds_read_b128 v[127:130], v126 offset:704
	ds_read_b128 v[131:134], v126 offset:720
	buffer_load_dword v142, off, s[0:3], 0 offset:292
	s_waitcnt vmcnt(18) lgkmcnt(1)
	v_fma_f64 v[127:128], v[155:156], v[127:128], v[147:148]
	s_waitcnt vmcnt(17)
	v_fma_f64 v[127:128], v[153:154], v[129:130], v[127:128]
	buffer_load_dword v148, off, s[0:3], 0 offset:300
	buffer_load_dword v149, off, s[0:3], 0 offset:320
	;; [unrolled: 1-line block ×8, first 2 shown]
	s_waitcnt vmcnt(24) lgkmcnt(0)
	v_fma_f64 v[127:128], v[151:152], v[131:132], v[127:128]
	s_waitcnt vmcnt(19)
	v_fma_f64 v[135:136], v[135:136], v[133:134], v[127:128]
	ds_read_b128 v[127:130], v126 offset:736
	ds_read_b128 v[131:134], v126 offset:752
	s_waitcnt vmcnt(18) lgkmcnt(1)
	v_fma_f64 v[127:128], v[159:160], v[127:128], v[135:136]
	s_waitcnt vmcnt(17)
	v_fma_f64 v[127:128], v[157:158], v[129:130], v[127:128]
	buffer_load_dword v136, off, s[0:3], 0 offset:332
	buffer_load_dword v151, off, s[0:3], 0 offset:352
	;; [unrolled: 1-line block ×8, first 2 shown]
	s_waitcnt vmcnt(24) lgkmcnt(0)
	v_fma_f64 v[127:128], v[137:138], v[131:132], v[127:128]
	s_waitcnt vmcnt(19)
	v_fma_f64 v[137:138], v[139:140], v[133:134], v[127:128]
	ds_read_b128 v[127:130], v126 offset:768
	ds_read_b128 v[131:134], v126 offset:784
	s_waitcnt vmcnt(18) lgkmcnt(1)
	v_fma_f64 v[127:128], v[145:146], v[127:128], v[137:138]
	s_waitcnt vmcnt(17)
	v_fma_f64 v[127:128], v[143:144], v[129:130], v[127:128]
	buffer_load_dword v138, off, s[0:3], 0 offset:364
	buffer_load_dword v139, off, s[0:3], 0 offset:384
	;; [unrolled: 1-line block ×7, first 2 shown]
	s_waitcnt vmcnt(23) lgkmcnt(0)
	v_fma_f64 v[127:128], v[141:142], v[131:132], v[127:128]
	s_waitcnt vmcnt(18)
	v_fma_f64 v[140:141], v[147:148], v[133:134], v[127:128]
	ds_read_b128 v[127:130], v126 offset:800
	ds_read_b128 v[131:134], v126 offset:816
	s_waitcnt vmcnt(17) lgkmcnt(1)
	v_fma_f64 v[127:128], v[155:156], v[127:128], v[140:141]
	buffer_load_dword v140, off, s[0:3], 0 offset:388
	s_waitcnt vmcnt(17)
	v_fma_f64 v[127:128], v[153:154], v[129:130], v[127:128]
	buffer_load_dword v142, off, s[0:3], 0 offset:396
	buffer_load_dword v147, off, s[0:3], 0 offset:416
	buffer_load_dword v153, off, s[0:3], 0 offset:408
	buffer_load_dword v155, off, s[0:3], 0 offset:400
	buffer_load_dword v141, off, s[0:3], 0 offset:392
	buffer_load_dword v156, off, s[0:3], 0 offset:404
	buffer_load_dword v154, off, s[0:3], 0 offset:412
	buffer_load_dword v148, off, s[0:3], 0 offset:420
	s_waitcnt vmcnt(24) lgkmcnt(0)
	v_fma_f64 v[127:128], v[149:150], v[131:132], v[127:128]
	s_waitcnt vmcnt(19)
	v_fma_f64 v[135:136], v[135:136], v[133:134], v[127:128]
	ds_read_b128 v[127:130], v126 offset:832
	ds_read_b128 v[131:134], v126 offset:848
	s_waitcnt vmcnt(18) lgkmcnt(1)
	v_fma_f64 v[127:128], v[159:160], v[127:128], v[135:136]
	s_waitcnt vmcnt(17)
	v_fma_f64 v[127:128], v[157:158], v[129:130], v[127:128]
	buffer_load_dword v136, off, s[0:3], 0 offset:428
	buffer_load_dword v149, off, s[0:3], 0 offset:448
	buffer_load_dword v157, off, s[0:3], 0 offset:440
	buffer_load_dword v159, off, s[0:3], 0 offset:432
	buffer_load_dword v135, off, s[0:3], 0 offset:424
	buffer_load_dword v160, off, s[0:3], 0 offset:436
	buffer_load_dword v158, off, s[0:3], 0 offset:444
	buffer_load_dword v150, off, s[0:3], 0 offset:452
	s_waitcnt vmcnt(24) lgkmcnt(0)
	v_fma_f64 v[127:128], v[151:152], v[131:132], v[127:128]
	s_waitcnt vmcnt(19)
	v_fma_f64 v[137:138], v[137:138], v[133:134], v[127:128]
	ds_read_b128 v[127:130], v126 offset:864
	ds_read_b128 v[131:134], v126 offset:880
	s_waitcnt vmcnt(18) lgkmcnt(1)
	v_fma_f64 v[127:128], v[145:146], v[127:128], v[137:138]
	;; [unrolled: 18-line block ×3, first 2 shown]
	buffer_load_dword v140, off, s[0:3], 0 offset:492
	buffer_load_dword v139, off, s[0:3], 0 offset:488
	;; [unrolled: 1-line block ×4, first 2 shown]
	s_waitcnt vmcnt(21)
	v_fma_f64 v[127:128], v[153:154], v[129:130], v[127:128]
	s_waitcnt vmcnt(20) lgkmcnt(0)
	v_fma_f64 v[127:128], v[147:148], v[131:132], v[127:128]
	s_waitcnt vmcnt(15)
	v_fma_f64 v[135:136], v[135:136], v[133:134], v[127:128]
	ds_read_b128 v[127:130], v126 offset:928
	ds_read_b128 v[131:134], v126 offset:944
	s_waitcnt vmcnt(14) lgkmcnt(1)
	v_fma_f64 v[127:128], v[159:160], v[127:128], v[135:136]
	s_waitcnt vmcnt(13)
	v_fma_f64 v[127:128], v[157:158], v[129:130], v[127:128]
	s_waitcnt vmcnt(12) lgkmcnt(0)
	v_fma_f64 v[127:128], v[149:150], v[131:132], v[127:128]
	s_waitcnt vmcnt(7)
	v_fma_f64 v[135:136], v[137:138], v[133:134], v[127:128]
	ds_read_b128 v[127:130], v126 offset:960
	ds_read_b128 v[131:134], v126 offset:976
	s_waitcnt vmcnt(6) lgkmcnt(1)
	v_fma_f64 v[126:127], v[151:152], v[127:128], v[135:136]
	s_waitcnt vmcnt(5)
	v_fma_f64 v[126:127], v[145:146], v[129:130], v[126:127]
	s_waitcnt vmcnt(4) lgkmcnt(0)
	v_fma_f64 v[126:127], v[143:144], v[131:132], v[126:127]
	s_waitcnt vmcnt(2)
	v_fma_f64 v[126:127], v[139:140], v[133:134], v[126:127]
	s_waitcnt vmcnt(0)
	v_add_f64 v[126:127], v[141:142], -v[126:127]
	buffer_store_dword v127, off, s[0:3], 0 offset:140
	buffer_store_dword v126, off, s[0:3], 0 offset:136
	s_and_saveexec_b64 s[4:5], vcc
	s_cbranch_execz .LBB125_347
; %bb.346:
	buffer_load_dword v126, off, s[0:3], 0 offset:128
	buffer_load_dword v127, off, s[0:3], 0 offset:132
	v_mov_b32_e32 v128, 0
	buffer_store_dword v128, off, s[0:3], 0 offset:128
	buffer_store_dword v128, off, s[0:3], 0 offset:132
	s_waitcnt vmcnt(2)
	ds_write_b64 v125, v[126:127]
.LBB125_347:
	s_or_b64 exec, exec, s[4:5]
	s_waitcnt lgkmcnt(0)
	; wave barrier
	buffer_load_dword v135, off, s[0:3], 0 offset:136
	buffer_load_dword v136, off, s[0:3], 0 offset:140
	;; [unrolled: 1-line block ×21, first 2 shown]
	v_mov_b32_e32 v126, 0
	ds_read2_b64 v[127:130], v126 offset0:79 offset1:80
	ds_read2_b64 v[131:134], v126 offset0:81 offset1:82
	buffer_load_dword v152, off, s[0:3], 0 offset:220
	v_cmp_lt_u32_e32 vcc, 15, v0
	s_waitcnt vmcnt(20) lgkmcnt(1)
	v_fma_f64 v[127:128], v[135:136], v[127:128], 0
	s_waitcnt vmcnt(18)
	v_fma_f64 v[127:128], v[137:138], v[129:130], v[127:128]
	buffer_load_dword v136, off, s[0:3], 0 offset:228
	buffer_load_dword v137, off, s[0:3], 0 offset:248
	;; [unrolled: 1-line block ×7, first 2 shown]
	s_waitcnt vmcnt(23) lgkmcnt(0)
	v_fma_f64 v[127:128], v[139:140], v[131:132], v[127:128]
	s_waitcnt vmcnt(21)
	v_fma_f64 v[138:139], v[141:142], v[133:134], v[127:128]
	ds_read2_b64 v[127:130], v126 offset0:83 offset1:84
	ds_read2_b64 v[131:134], v126 offset0:85 offset1:86
	s_waitcnt vmcnt(19) lgkmcnt(1)
	v_fma_f64 v[127:128], v[143:144], v[127:128], v[138:139]
	buffer_load_dword v138, off, s[0:3], 0 offset:252
	s_waitcnt vmcnt(18)
	v_fma_f64 v[127:128], v[145:146], v[129:130], v[127:128]
	buffer_load_dword v140, off, s[0:3], 0 offset:260
	buffer_load_dword v141, off, s[0:3], 0 offset:280
	;; [unrolled: 1-line block ×7, first 2 shown]
	s_waitcnt vmcnt(23) lgkmcnt(0)
	v_fma_f64 v[127:128], v[147:148], v[131:132], v[127:128]
	s_waitcnt vmcnt(18)
	v_fma_f64 v[147:148], v[149:150], v[133:134], v[127:128]
	ds_read2_b64 v[127:130], v126 offset0:87 offset1:88
	ds_read2_b64 v[131:134], v126 offset0:89 offset1:90
	buffer_load_dword v142, off, s[0:3], 0 offset:284
	s_waitcnt vmcnt(18) lgkmcnt(1)
	v_fma_f64 v[127:128], v[155:156], v[127:128], v[147:148]
	s_waitcnt vmcnt(17)
	v_fma_f64 v[127:128], v[153:154], v[129:130], v[127:128]
	buffer_load_dword v148, off, s[0:3], 0 offset:292
	buffer_load_dword v149, off, s[0:3], 0 offset:312
	;; [unrolled: 1-line block ×7, first 2 shown]
	s_waitcnt vmcnt(23) lgkmcnt(0)
	v_fma_f64 v[127:128], v[151:152], v[131:132], v[127:128]
	s_waitcnt vmcnt(18)
	v_fma_f64 v[135:136], v[135:136], v[133:134], v[127:128]
	ds_read2_b64 v[127:130], v126 offset0:91 offset1:92
	ds_read2_b64 v[131:134], v126 offset0:93 offset1:94
	buffer_load_dword v150, off, s[0:3], 0 offset:316
	s_waitcnt vmcnt(18) lgkmcnt(1)
	v_fma_f64 v[127:128], v[159:160], v[127:128], v[135:136]
	s_waitcnt vmcnt(17)
	v_fma_f64 v[127:128], v[157:158], v[129:130], v[127:128]
	buffer_load_dword v136, off, s[0:3], 0 offset:324
	buffer_load_dword v151, off, s[0:3], 0 offset:344
	buffer_load_dword v157, off, s[0:3], 0 offset:336
	buffer_load_dword v159, off, s[0:3], 0 offset:328
	buffer_load_dword v135, off, s[0:3], 0 offset:320
	buffer_load_dword v160, off, s[0:3], 0 offset:332
	buffer_load_dword v158, off, s[0:3], 0 offset:340
	buffer_load_dword v152, off, s[0:3], 0 offset:348
	s_waitcnt vmcnt(24) lgkmcnt(0)
	v_fma_f64 v[127:128], v[137:138], v[131:132], v[127:128]
	s_waitcnt vmcnt(19)
	v_fma_f64 v[137:138], v[139:140], v[133:134], v[127:128]
	ds_read2_b64 v[127:130], v126 offset0:95 offset1:96
	ds_read2_b64 v[131:134], v126 offset0:97 offset1:98
	s_waitcnt vmcnt(18) lgkmcnt(1)
	v_fma_f64 v[127:128], v[145:146], v[127:128], v[137:138]
	s_waitcnt vmcnt(17)
	v_fma_f64 v[127:128], v[143:144], v[129:130], v[127:128]
	buffer_load_dword v138, off, s[0:3], 0 offset:356
	buffer_load_dword v139, off, s[0:3], 0 offset:376
	;; [unrolled: 1-line block ×7, first 2 shown]
	s_waitcnt vmcnt(23) lgkmcnt(0)
	v_fma_f64 v[127:128], v[141:142], v[131:132], v[127:128]
	s_waitcnt vmcnt(18)
	v_fma_f64 v[140:141], v[147:148], v[133:134], v[127:128]
	ds_read2_b64 v[127:130], v126 offset0:99 offset1:100
	ds_read2_b64 v[131:134], v126 offset0:101 offset1:102
	s_waitcnt vmcnt(17) lgkmcnt(1)
	v_fma_f64 v[127:128], v[155:156], v[127:128], v[140:141]
	buffer_load_dword v140, off, s[0:3], 0 offset:380
	s_waitcnt vmcnt(17)
	v_fma_f64 v[127:128], v[153:154], v[129:130], v[127:128]
	buffer_load_dword v142, off, s[0:3], 0 offset:388
	buffer_load_dword v147, off, s[0:3], 0 offset:408
	;; [unrolled: 1-line block ×7, first 2 shown]
	s_waitcnt vmcnt(23) lgkmcnt(0)
	v_fma_f64 v[127:128], v[149:150], v[131:132], v[127:128]
	s_waitcnt vmcnt(18)
	v_fma_f64 v[135:136], v[135:136], v[133:134], v[127:128]
	ds_read2_b64 v[127:130], v126 offset0:103 offset1:104
	ds_read2_b64 v[131:134], v126 offset0:105 offset1:106
	buffer_load_dword v148, off, s[0:3], 0 offset:412
	s_waitcnt vmcnt(18) lgkmcnt(1)
	v_fma_f64 v[127:128], v[159:160], v[127:128], v[135:136]
	s_waitcnt vmcnt(17)
	v_fma_f64 v[127:128], v[157:158], v[129:130], v[127:128]
	buffer_load_dword v136, off, s[0:3], 0 offset:420
	buffer_load_dword v149, off, s[0:3], 0 offset:440
	;; [unrolled: 1-line block ×8, first 2 shown]
	s_waitcnt vmcnt(24) lgkmcnt(0)
	v_fma_f64 v[127:128], v[151:152], v[131:132], v[127:128]
	s_waitcnt vmcnt(19)
	v_fma_f64 v[137:138], v[137:138], v[133:134], v[127:128]
	ds_read2_b64 v[127:130], v126 offset0:107 offset1:108
	ds_read2_b64 v[131:134], v126 offset0:109 offset1:110
	s_waitcnt vmcnt(18) lgkmcnt(1)
	v_fma_f64 v[127:128], v[145:146], v[127:128], v[137:138]
	s_waitcnt vmcnt(17)
	v_fma_f64 v[127:128], v[143:144], v[129:130], v[127:128]
	buffer_load_dword v138, off, s[0:3], 0 offset:452
	buffer_load_dword v143, off, s[0:3], 0 offset:472
	;; [unrolled: 1-line block ×7, first 2 shown]
	s_waitcnt vmcnt(23) lgkmcnt(0)
	v_fma_f64 v[127:128], v[139:140], v[131:132], v[127:128]
	s_waitcnt vmcnt(18)
	v_fma_f64 v[139:140], v[141:142], v[133:134], v[127:128]
	ds_read2_b64 v[127:130], v126 offset0:111 offset1:112
	ds_read2_b64 v[131:134], v126 offset0:113 offset1:114
	buffer_load_dword v144, off, s[0:3], 0 offset:476
	s_waitcnt vmcnt(18) lgkmcnt(1)
	v_fma_f64 v[127:128], v[155:156], v[127:128], v[139:140]
	buffer_load_dword v140, off, s[0:3], 0 offset:484
	buffer_load_dword v141, off, s[0:3], 0 offset:488
	;; [unrolled: 1-line block ×4, first 2 shown]
	s_waitcnt vmcnt(21)
	v_fma_f64 v[127:128], v[153:154], v[129:130], v[127:128]
	s_waitcnt vmcnt(20) lgkmcnt(0)
	v_fma_f64 v[127:128], v[147:148], v[131:132], v[127:128]
	buffer_load_dword v147, off, s[0:3], 0 offset:128
	buffer_load_dword v148, off, s[0:3], 0 offset:132
	s_waitcnt vmcnt(17)
	v_fma_f64 v[135:136], v[135:136], v[133:134], v[127:128]
	ds_read2_b64 v[127:130], v126 offset0:115 offset1:116
	ds_read2_b64 v[131:134], v126 offset0:117 offset1:118
	s_waitcnt vmcnt(16) lgkmcnt(1)
	v_fma_f64 v[127:128], v[159:160], v[127:128], v[135:136]
	s_waitcnt vmcnt(15)
	v_fma_f64 v[127:128], v[157:158], v[129:130], v[127:128]
	s_waitcnt vmcnt(14) lgkmcnt(0)
	v_fma_f64 v[127:128], v[149:150], v[131:132], v[127:128]
	s_waitcnt vmcnt(9)
	v_fma_f64 v[135:136], v[137:138], v[133:134], v[127:128]
	ds_read2_b64 v[127:130], v126 offset0:119 offset1:120
	ds_read2_b64 v[131:134], v126 offset0:121 offset1:122
	s_waitcnt vmcnt(8) lgkmcnt(1)
	v_fma_f64 v[127:128], v[151:152], v[127:128], v[135:136]
	s_waitcnt vmcnt(7)
	v_fma_f64 v[127:128], v[145:146], v[129:130], v[127:128]
	ds_read_b64 v[129:130], v126 offset:984
	s_waitcnt vmcnt(6) lgkmcnt(1)
	v_fma_f64 v[127:128], v[143:144], v[131:132], v[127:128]
	s_waitcnt vmcnt(3)
	v_fma_f64 v[127:128], v[139:140], v[133:134], v[127:128]
	s_waitcnt vmcnt(2) lgkmcnt(0)
	v_fma_f64 v[127:128], v[141:142], v[129:130], v[127:128]
	s_waitcnt vmcnt(0)
	v_add_f64 v[127:128], v[147:148], -v[127:128]
	buffer_store_dword v128, off, s[0:3], 0 offset:132
	buffer_store_dword v127, off, s[0:3], 0 offset:128
	s_and_saveexec_b64 s[4:5], vcc
	s_cbranch_execz .LBB125_349
; %bb.348:
	buffer_load_dword v127, off, s[0:3], 0 offset:120
	buffer_load_dword v128, off, s[0:3], 0 offset:124
	s_waitcnt vmcnt(0)
	ds_write_b64 v125, v[127:128]
	buffer_store_dword v126, off, s[0:3], 0 offset:120
	buffer_store_dword v126, off, s[0:3], 0 offset:124
.LBB125_349:
	s_or_b64 exec, exec, s[4:5]
	s_waitcnt lgkmcnt(0)
	; wave barrier
	buffer_load_dword v135, off, s[0:3], 0 offset:128
	buffer_load_dword v136, off, s[0:3], 0 offset:132
	;; [unrolled: 1-line block ×21, first 2 shown]
	ds_read_b128 v[127:130], v126 offset:624
	ds_read_b128 v[131:134], v126 offset:640
	buffer_load_dword v152, off, s[0:3], 0 offset:212
	v_cmp_lt_u32_e32 vcc, 14, v0
	s_waitcnt vmcnt(20) lgkmcnt(1)
	v_fma_f64 v[127:128], v[135:136], v[127:128], 0
	s_waitcnt vmcnt(18)
	v_fma_f64 v[127:128], v[137:138], v[129:130], v[127:128]
	buffer_load_dword v136, off, s[0:3], 0 offset:220
	buffer_load_dword v137, off, s[0:3], 0 offset:240
	;; [unrolled: 1-line block ×7, first 2 shown]
	s_waitcnt vmcnt(23) lgkmcnt(0)
	v_fma_f64 v[127:128], v[139:140], v[131:132], v[127:128]
	s_waitcnt vmcnt(21)
	v_fma_f64 v[138:139], v[141:142], v[133:134], v[127:128]
	ds_read_b128 v[127:130], v126 offset:656
	ds_read_b128 v[131:134], v126 offset:672
	s_waitcnt vmcnt(19) lgkmcnt(1)
	v_fma_f64 v[127:128], v[143:144], v[127:128], v[138:139]
	buffer_load_dword v138, off, s[0:3], 0 offset:244
	s_waitcnt vmcnt(18)
	v_fma_f64 v[127:128], v[145:146], v[129:130], v[127:128]
	buffer_load_dword v140, off, s[0:3], 0 offset:252
	buffer_load_dword v141, off, s[0:3], 0 offset:272
	;; [unrolled: 1-line block ×8, first 2 shown]
	s_waitcnt vmcnt(24) lgkmcnt(0)
	v_fma_f64 v[127:128], v[147:148], v[131:132], v[127:128]
	s_waitcnt vmcnt(19)
	v_fma_f64 v[147:148], v[149:150], v[133:134], v[127:128]
	ds_read_b128 v[127:130], v126 offset:688
	ds_read_b128 v[131:134], v126 offset:704
	s_waitcnt vmcnt(18) lgkmcnt(1)
	v_fma_f64 v[127:128], v[155:156], v[127:128], v[147:148]
	s_waitcnt vmcnt(17)
	v_fma_f64 v[127:128], v[153:154], v[129:130], v[127:128]
	buffer_load_dword v148, off, s[0:3], 0 offset:284
	buffer_load_dword v149, off, s[0:3], 0 offset:304
	;; [unrolled: 1-line block ×7, first 2 shown]
	s_waitcnt vmcnt(23) lgkmcnt(0)
	v_fma_f64 v[127:128], v[151:152], v[131:132], v[127:128]
	s_waitcnt vmcnt(18)
	v_fma_f64 v[135:136], v[135:136], v[133:134], v[127:128]
	ds_read_b128 v[127:130], v126 offset:720
	ds_read_b128 v[131:134], v126 offset:736
	buffer_load_dword v150, off, s[0:3], 0 offset:308
	s_waitcnt vmcnt(18) lgkmcnt(1)
	v_fma_f64 v[127:128], v[159:160], v[127:128], v[135:136]
	s_waitcnt vmcnt(17)
	v_fma_f64 v[127:128], v[157:158], v[129:130], v[127:128]
	buffer_load_dword v136, off, s[0:3], 0 offset:316
	buffer_load_dword v151, off, s[0:3], 0 offset:336
	;; [unrolled: 1-line block ×8, first 2 shown]
	s_waitcnt vmcnt(24) lgkmcnt(0)
	v_fma_f64 v[127:128], v[137:138], v[131:132], v[127:128]
	s_waitcnt vmcnt(19)
	v_fma_f64 v[137:138], v[139:140], v[133:134], v[127:128]
	ds_read_b128 v[127:130], v126 offset:752
	ds_read_b128 v[131:134], v126 offset:768
	s_waitcnt vmcnt(18) lgkmcnt(1)
	v_fma_f64 v[127:128], v[145:146], v[127:128], v[137:138]
	s_waitcnt vmcnt(17)
	v_fma_f64 v[127:128], v[143:144], v[129:130], v[127:128]
	buffer_load_dword v138, off, s[0:3], 0 offset:348
	buffer_load_dword v139, off, s[0:3], 0 offset:368
	;; [unrolled: 1-line block ×7, first 2 shown]
	s_waitcnt vmcnt(23) lgkmcnt(0)
	v_fma_f64 v[127:128], v[141:142], v[131:132], v[127:128]
	s_waitcnt vmcnt(18)
	v_fma_f64 v[140:141], v[147:148], v[133:134], v[127:128]
	ds_read_b128 v[127:130], v126 offset:784
	ds_read_b128 v[131:134], v126 offset:800
	s_waitcnt vmcnt(17) lgkmcnt(1)
	v_fma_f64 v[127:128], v[155:156], v[127:128], v[140:141]
	buffer_load_dword v140, off, s[0:3], 0 offset:372
	s_waitcnt vmcnt(17)
	v_fma_f64 v[127:128], v[153:154], v[129:130], v[127:128]
	buffer_load_dword v142, off, s[0:3], 0 offset:380
	buffer_load_dword v147, off, s[0:3], 0 offset:400
	;; [unrolled: 1-line block ×7, first 2 shown]
	s_waitcnt vmcnt(23) lgkmcnt(0)
	v_fma_f64 v[127:128], v[149:150], v[131:132], v[127:128]
	s_waitcnt vmcnt(18)
	v_fma_f64 v[135:136], v[135:136], v[133:134], v[127:128]
	ds_read_b128 v[127:130], v126 offset:816
	ds_read_b128 v[131:134], v126 offset:832
	buffer_load_dword v148, off, s[0:3], 0 offset:404
	s_waitcnt vmcnt(18) lgkmcnt(1)
	v_fma_f64 v[127:128], v[159:160], v[127:128], v[135:136]
	s_waitcnt vmcnt(17)
	v_fma_f64 v[127:128], v[157:158], v[129:130], v[127:128]
	buffer_load_dword v136, off, s[0:3], 0 offset:412
	buffer_load_dword v149, off, s[0:3], 0 offset:432
	buffer_load_dword v157, off, s[0:3], 0 offset:424
	buffer_load_dword v159, off, s[0:3], 0 offset:416
	buffer_load_dword v135, off, s[0:3], 0 offset:408
	buffer_load_dword v160, off, s[0:3], 0 offset:420
	buffer_load_dword v158, off, s[0:3], 0 offset:428
	buffer_load_dword v150, off, s[0:3], 0 offset:436
	s_waitcnt vmcnt(24) lgkmcnt(0)
	v_fma_f64 v[127:128], v[151:152], v[131:132], v[127:128]
	s_waitcnt vmcnt(19)
	v_fma_f64 v[137:138], v[137:138], v[133:134], v[127:128]
	ds_read_b128 v[127:130], v126 offset:848
	ds_read_b128 v[131:134], v126 offset:864
	s_waitcnt vmcnt(18) lgkmcnt(1)
	v_fma_f64 v[127:128], v[145:146], v[127:128], v[137:138]
	s_waitcnt vmcnt(17)
	v_fma_f64 v[127:128], v[143:144], v[129:130], v[127:128]
	buffer_load_dword v138, off, s[0:3], 0 offset:444
	buffer_load_dword v143, off, s[0:3], 0 offset:464
	;; [unrolled: 1-line block ×8, first 2 shown]
	s_waitcnt vmcnt(24) lgkmcnt(0)
	v_fma_f64 v[127:128], v[139:140], v[131:132], v[127:128]
	s_waitcnt vmcnt(19)
	v_fma_f64 v[139:140], v[141:142], v[133:134], v[127:128]
	ds_read_b128 v[127:130], v126 offset:880
	ds_read_b128 v[131:134], v126 offset:896
	s_waitcnt vmcnt(18) lgkmcnt(1)
	v_fma_f64 v[127:128], v[155:156], v[127:128], v[139:140]
	s_waitcnt vmcnt(17)
	v_fma_f64 v[127:128], v[153:154], v[129:130], v[127:128]
	buffer_load_dword v140, off, s[0:3], 0 offset:476
	buffer_load_dword v141, off, s[0:3], 0 offset:488
	;; [unrolled: 1-line block ×6, first 2 shown]
	s_waitcnt vmcnt(22) lgkmcnt(0)
	v_fma_f64 v[127:128], v[147:148], v[131:132], v[127:128]
	s_waitcnt vmcnt(17)
	v_fma_f64 v[135:136], v[135:136], v[133:134], v[127:128]
	ds_read_b128 v[127:130], v126 offset:912
	buffer_load_dword v147, off, s[0:3], 0 offset:120
	buffer_load_dword v148, off, s[0:3], 0 offset:124
	ds_read_b128 v[131:134], v126 offset:928
	s_waitcnt vmcnt(18) lgkmcnt(1)
	v_fma_f64 v[127:128], v[159:160], v[127:128], v[135:136]
	s_waitcnt vmcnt(17)
	v_fma_f64 v[127:128], v[157:158], v[129:130], v[127:128]
	s_waitcnt vmcnt(16) lgkmcnt(0)
	v_fma_f64 v[127:128], v[149:150], v[131:132], v[127:128]
	s_waitcnt vmcnt(11)
	v_fma_f64 v[135:136], v[137:138], v[133:134], v[127:128]
	ds_read_b128 v[127:130], v126 offset:944
	ds_read_b128 v[131:134], v126 offset:960
	s_waitcnt vmcnt(10) lgkmcnt(1)
	v_fma_f64 v[127:128], v[151:152], v[127:128], v[135:136]
	s_waitcnt vmcnt(9)
	v_fma_f64 v[127:128], v[145:146], v[129:130], v[127:128]
	s_waitcnt vmcnt(8) lgkmcnt(0)
	v_fma_f64 v[127:128], v[143:144], v[131:132], v[127:128]
	s_waitcnt vmcnt(4)
	v_fma_f64 v[130:131], v[139:140], v[133:134], v[127:128]
	ds_read_b128 v[126:129], v126 offset:976
	s_waitcnt vmcnt(3) lgkmcnt(0)
	v_fma_f64 v[126:127], v[153:154], v[126:127], v[130:131]
	s_waitcnt vmcnt(2)
	v_fma_f64 v[126:127], v[141:142], v[128:129], v[126:127]
	s_waitcnt vmcnt(0)
	v_add_f64 v[126:127], v[147:148], -v[126:127]
	buffer_store_dword v127, off, s[0:3], 0 offset:124
	buffer_store_dword v126, off, s[0:3], 0 offset:120
	s_and_saveexec_b64 s[4:5], vcc
	s_cbranch_execz .LBB125_351
; %bb.350:
	buffer_load_dword v126, off, s[0:3], 0 offset:112
	buffer_load_dword v127, off, s[0:3], 0 offset:116
	v_mov_b32_e32 v128, 0
	buffer_store_dword v128, off, s[0:3], 0 offset:112
	buffer_store_dword v128, off, s[0:3], 0 offset:116
	s_waitcnt vmcnt(2)
	ds_write_b64 v125, v[126:127]
.LBB125_351:
	s_or_b64 exec, exec, s[4:5]
	s_waitcnt lgkmcnt(0)
	; wave barrier
	buffer_load_dword v135, off, s[0:3], 0 offset:120
	buffer_load_dword v136, off, s[0:3], 0 offset:124
	;; [unrolled: 1-line block ×21, first 2 shown]
	v_mov_b32_e32 v126, 0
	ds_read2_b64 v[127:130], v126 offset0:77 offset1:78
	ds_read2_b64 v[131:134], v126 offset0:79 offset1:80
	buffer_load_dword v152, off, s[0:3], 0 offset:204
	v_cmp_lt_u32_e32 vcc, 13, v0
	s_waitcnt vmcnt(20) lgkmcnt(1)
	v_fma_f64 v[127:128], v[135:136], v[127:128], 0
	s_waitcnt vmcnt(18)
	v_fma_f64 v[127:128], v[137:138], v[129:130], v[127:128]
	buffer_load_dword v136, off, s[0:3], 0 offset:212
	buffer_load_dword v137, off, s[0:3], 0 offset:232
	;; [unrolled: 1-line block ×7, first 2 shown]
	s_waitcnt vmcnt(23) lgkmcnt(0)
	v_fma_f64 v[127:128], v[139:140], v[131:132], v[127:128]
	s_waitcnt vmcnt(21)
	v_fma_f64 v[138:139], v[141:142], v[133:134], v[127:128]
	ds_read2_b64 v[127:130], v126 offset0:81 offset1:82
	ds_read2_b64 v[131:134], v126 offset0:83 offset1:84
	s_waitcnt vmcnt(19) lgkmcnt(1)
	v_fma_f64 v[127:128], v[143:144], v[127:128], v[138:139]
	buffer_load_dword v138, off, s[0:3], 0 offset:236
	s_waitcnt vmcnt(18)
	v_fma_f64 v[127:128], v[145:146], v[129:130], v[127:128]
	buffer_load_dword v140, off, s[0:3], 0 offset:244
	buffer_load_dword v141, off, s[0:3], 0 offset:264
	;; [unrolled: 1-line block ×8, first 2 shown]
	s_waitcnt vmcnt(24) lgkmcnt(0)
	v_fma_f64 v[127:128], v[147:148], v[131:132], v[127:128]
	s_waitcnt vmcnt(19)
	v_fma_f64 v[147:148], v[149:150], v[133:134], v[127:128]
	ds_read2_b64 v[127:130], v126 offset0:85 offset1:86
	ds_read2_b64 v[131:134], v126 offset0:87 offset1:88
	s_waitcnt vmcnt(18) lgkmcnt(1)
	v_fma_f64 v[127:128], v[155:156], v[127:128], v[147:148]
	s_waitcnt vmcnt(17)
	v_fma_f64 v[127:128], v[153:154], v[129:130], v[127:128]
	buffer_load_dword v148, off, s[0:3], 0 offset:276
	buffer_load_dword v149, off, s[0:3], 0 offset:296
	;; [unrolled: 1-line block ×7, first 2 shown]
	s_waitcnt vmcnt(23) lgkmcnt(0)
	v_fma_f64 v[127:128], v[151:152], v[131:132], v[127:128]
	s_waitcnt vmcnt(18)
	v_fma_f64 v[135:136], v[135:136], v[133:134], v[127:128]
	ds_read2_b64 v[127:130], v126 offset0:89 offset1:90
	ds_read2_b64 v[131:134], v126 offset0:91 offset1:92
	buffer_load_dword v150, off, s[0:3], 0 offset:300
	s_waitcnt vmcnt(18) lgkmcnt(1)
	v_fma_f64 v[127:128], v[159:160], v[127:128], v[135:136]
	s_waitcnt vmcnt(17)
	v_fma_f64 v[127:128], v[157:158], v[129:130], v[127:128]
	buffer_load_dword v136, off, s[0:3], 0 offset:308
	buffer_load_dword v151, off, s[0:3], 0 offset:328
	;; [unrolled: 1-line block ×8, first 2 shown]
	s_waitcnt vmcnt(24) lgkmcnt(0)
	v_fma_f64 v[127:128], v[137:138], v[131:132], v[127:128]
	s_waitcnt vmcnt(19)
	v_fma_f64 v[137:138], v[139:140], v[133:134], v[127:128]
	ds_read2_b64 v[127:130], v126 offset0:93 offset1:94
	ds_read2_b64 v[131:134], v126 offset0:95 offset1:96
	s_waitcnt vmcnt(18) lgkmcnt(1)
	v_fma_f64 v[127:128], v[145:146], v[127:128], v[137:138]
	s_waitcnt vmcnt(17)
	v_fma_f64 v[127:128], v[143:144], v[129:130], v[127:128]
	buffer_load_dword v138, off, s[0:3], 0 offset:340
	buffer_load_dword v139, off, s[0:3], 0 offset:360
	;; [unrolled: 1-line block ×7, first 2 shown]
	s_waitcnt vmcnt(23) lgkmcnt(0)
	v_fma_f64 v[127:128], v[141:142], v[131:132], v[127:128]
	s_waitcnt vmcnt(18)
	v_fma_f64 v[140:141], v[147:148], v[133:134], v[127:128]
	ds_read2_b64 v[127:130], v126 offset0:97 offset1:98
	ds_read2_b64 v[131:134], v126 offset0:99 offset1:100
	s_waitcnt vmcnt(17) lgkmcnt(1)
	v_fma_f64 v[127:128], v[155:156], v[127:128], v[140:141]
	buffer_load_dword v140, off, s[0:3], 0 offset:364
	s_waitcnt vmcnt(17)
	v_fma_f64 v[127:128], v[153:154], v[129:130], v[127:128]
	buffer_load_dword v142, off, s[0:3], 0 offset:372
	buffer_load_dword v147, off, s[0:3], 0 offset:392
	;; [unrolled: 1-line block ×7, first 2 shown]
	s_waitcnt vmcnt(23) lgkmcnt(0)
	v_fma_f64 v[127:128], v[149:150], v[131:132], v[127:128]
	s_waitcnt vmcnt(18)
	v_fma_f64 v[135:136], v[135:136], v[133:134], v[127:128]
	ds_read2_b64 v[127:130], v126 offset0:101 offset1:102
	ds_read2_b64 v[131:134], v126 offset0:103 offset1:104
	buffer_load_dword v148, off, s[0:3], 0 offset:396
	s_waitcnt vmcnt(18) lgkmcnt(1)
	v_fma_f64 v[127:128], v[159:160], v[127:128], v[135:136]
	s_waitcnt vmcnt(17)
	v_fma_f64 v[127:128], v[157:158], v[129:130], v[127:128]
	buffer_load_dword v136, off, s[0:3], 0 offset:404
	buffer_load_dword v149, off, s[0:3], 0 offset:424
	buffer_load_dword v157, off, s[0:3], 0 offset:416
	buffer_load_dword v159, off, s[0:3], 0 offset:408
	buffer_load_dword v135, off, s[0:3], 0 offset:400
	buffer_load_dword v160, off, s[0:3], 0 offset:412
	buffer_load_dword v158, off, s[0:3], 0 offset:420
	buffer_load_dword v150, off, s[0:3], 0 offset:428
	s_waitcnt vmcnt(24) lgkmcnt(0)
	v_fma_f64 v[127:128], v[151:152], v[131:132], v[127:128]
	s_waitcnt vmcnt(19)
	v_fma_f64 v[137:138], v[137:138], v[133:134], v[127:128]
	ds_read2_b64 v[127:130], v126 offset0:105 offset1:106
	ds_read2_b64 v[131:134], v126 offset0:107 offset1:108
	s_waitcnt vmcnt(18) lgkmcnt(1)
	v_fma_f64 v[127:128], v[145:146], v[127:128], v[137:138]
	s_waitcnt vmcnt(17)
	v_fma_f64 v[127:128], v[143:144], v[129:130], v[127:128]
	buffer_load_dword v138, off, s[0:3], 0 offset:436
	buffer_load_dword v143, off, s[0:3], 0 offset:456
	buffer_load_dword v145, off, s[0:3], 0 offset:448
	buffer_load_dword v151, off, s[0:3], 0 offset:440
	buffer_load_dword v137, off, s[0:3], 0 offset:432
	buffer_load_dword v152, off, s[0:3], 0 offset:444
	buffer_load_dword v146, off, s[0:3], 0 offset:452
	buffer_load_dword v144, off, s[0:3], 0 offset:460
	s_waitcnt vmcnt(24) lgkmcnt(0)
	v_fma_f64 v[127:128], v[139:140], v[131:132], v[127:128]
	s_waitcnt vmcnt(19)
	v_fma_f64 v[139:140], v[141:142], v[133:134], v[127:128]
	ds_read2_b64 v[127:130], v126 offset0:109 offset1:110
	ds_read2_b64 v[131:134], v126 offset0:111 offset1:112
	;; [unrolled: 18-line block ×3, first 2 shown]
	s_waitcnt vmcnt(18) lgkmcnt(1)
	v_fma_f64 v[127:128], v[159:160], v[127:128], v[135:136]
	buffer_load_dword v135, off, s[0:3], 0 offset:112
	buffer_load_dword v136, off, s[0:3], 0 offset:116
	s_waitcnt vmcnt(19)
	v_fma_f64 v[127:128], v[157:158], v[129:130], v[127:128]
	s_waitcnt vmcnt(18) lgkmcnt(0)
	v_fma_f64 v[127:128], v[149:150], v[131:132], v[127:128]
	s_waitcnt vmcnt(13)
	v_fma_f64 v[137:138], v[137:138], v[133:134], v[127:128]
	ds_read2_b64 v[127:130], v126 offset0:117 offset1:118
	ds_read2_b64 v[131:134], v126 offset0:119 offset1:120
	s_waitcnt vmcnt(12) lgkmcnt(1)
	v_fma_f64 v[127:128], v[151:152], v[127:128], v[137:138]
	s_waitcnt vmcnt(11)
	v_fma_f64 v[127:128], v[145:146], v[129:130], v[127:128]
	s_waitcnt vmcnt(10) lgkmcnt(0)
	v_fma_f64 v[127:128], v[143:144], v[131:132], v[127:128]
	s_waitcnt vmcnt(5)
	v_fma_f64 v[131:132], v[139:140], v[133:134], v[127:128]
	ds_read2_b64 v[127:130], v126 offset0:121 offset1:122
	ds_read_b64 v[133:134], v126 offset:984
	s_waitcnt vmcnt(4) lgkmcnt(1)
	v_fma_f64 v[127:128], v[155:156], v[127:128], v[131:132]
	s_waitcnt vmcnt(3)
	v_fma_f64 v[127:128], v[153:154], v[129:130], v[127:128]
	s_waitcnt vmcnt(2) lgkmcnt(0)
	v_fma_f64 v[127:128], v[141:142], v[133:134], v[127:128]
	s_waitcnt vmcnt(0)
	v_add_f64 v[127:128], v[135:136], -v[127:128]
	buffer_store_dword v128, off, s[0:3], 0 offset:116
	buffer_store_dword v127, off, s[0:3], 0 offset:112
	s_and_saveexec_b64 s[4:5], vcc
	s_cbranch_execz .LBB125_353
; %bb.352:
	buffer_load_dword v127, off, s[0:3], 0 offset:104
	buffer_load_dword v128, off, s[0:3], 0 offset:108
	s_waitcnt vmcnt(0)
	ds_write_b64 v125, v[127:128]
	buffer_store_dword v126, off, s[0:3], 0 offset:104
	buffer_store_dword v126, off, s[0:3], 0 offset:108
.LBB125_353:
	s_or_b64 exec, exec, s[4:5]
	s_waitcnt lgkmcnt(0)
	; wave barrier
	buffer_load_dword v135, off, s[0:3], 0 offset:112
	buffer_load_dword v136, off, s[0:3], 0 offset:116
	;; [unrolled: 1-line block ×21, first 2 shown]
	ds_read_b128 v[127:130], v126 offset:608
	ds_read_b128 v[131:134], v126 offset:624
	buffer_load_dword v152, off, s[0:3], 0 offset:196
	v_cmp_lt_u32_e32 vcc, 12, v0
	s_waitcnt vmcnt(20) lgkmcnt(1)
	v_fma_f64 v[127:128], v[135:136], v[127:128], 0
	s_waitcnt vmcnt(18)
	v_fma_f64 v[127:128], v[137:138], v[129:130], v[127:128]
	buffer_load_dword v136, off, s[0:3], 0 offset:204
	buffer_load_dword v137, off, s[0:3], 0 offset:224
	;; [unrolled: 1-line block ×7, first 2 shown]
	s_waitcnt vmcnt(23) lgkmcnt(0)
	v_fma_f64 v[127:128], v[139:140], v[131:132], v[127:128]
	s_waitcnt vmcnt(21)
	v_fma_f64 v[138:139], v[141:142], v[133:134], v[127:128]
	ds_read_b128 v[127:130], v126 offset:640
	ds_read_b128 v[131:134], v126 offset:656
	s_waitcnt vmcnt(19) lgkmcnt(1)
	v_fma_f64 v[127:128], v[143:144], v[127:128], v[138:139]
	buffer_load_dword v138, off, s[0:3], 0 offset:228
	s_waitcnt vmcnt(18)
	v_fma_f64 v[127:128], v[145:146], v[129:130], v[127:128]
	buffer_load_dword v140, off, s[0:3], 0 offset:236
	buffer_load_dword v141, off, s[0:3], 0 offset:256
	;; [unrolled: 1-line block ×8, first 2 shown]
	s_waitcnt vmcnt(24) lgkmcnt(0)
	v_fma_f64 v[127:128], v[147:148], v[131:132], v[127:128]
	s_waitcnt vmcnt(19)
	v_fma_f64 v[147:148], v[149:150], v[133:134], v[127:128]
	ds_read_b128 v[127:130], v126 offset:672
	ds_read_b128 v[131:134], v126 offset:688
	s_waitcnt vmcnt(18) lgkmcnt(1)
	v_fma_f64 v[127:128], v[155:156], v[127:128], v[147:148]
	s_waitcnt vmcnt(17)
	v_fma_f64 v[127:128], v[153:154], v[129:130], v[127:128]
	buffer_load_dword v148, off, s[0:3], 0 offset:268
	buffer_load_dword v149, off, s[0:3], 0 offset:288
	buffer_load_dword v153, off, s[0:3], 0 offset:280
	buffer_load_dword v155, off, s[0:3], 0 offset:272
	buffer_load_dword v147, off, s[0:3], 0 offset:264
	buffer_load_dword v156, off, s[0:3], 0 offset:276
	buffer_load_dword v154, off, s[0:3], 0 offset:284
	s_waitcnt vmcnt(23) lgkmcnt(0)
	v_fma_f64 v[127:128], v[151:152], v[131:132], v[127:128]
	s_waitcnt vmcnt(18)
	v_fma_f64 v[135:136], v[135:136], v[133:134], v[127:128]
	ds_read_b128 v[127:130], v126 offset:704
	ds_read_b128 v[131:134], v126 offset:720
	buffer_load_dword v150, off, s[0:3], 0 offset:292
	s_waitcnt vmcnt(18) lgkmcnt(1)
	v_fma_f64 v[127:128], v[159:160], v[127:128], v[135:136]
	s_waitcnt vmcnt(17)
	v_fma_f64 v[127:128], v[157:158], v[129:130], v[127:128]
	buffer_load_dword v136, off, s[0:3], 0 offset:300
	buffer_load_dword v151, off, s[0:3], 0 offset:320
	;; [unrolled: 1-line block ×8, first 2 shown]
	s_waitcnt vmcnt(24) lgkmcnt(0)
	v_fma_f64 v[127:128], v[137:138], v[131:132], v[127:128]
	s_waitcnt vmcnt(19)
	v_fma_f64 v[137:138], v[139:140], v[133:134], v[127:128]
	ds_read_b128 v[127:130], v126 offset:736
	ds_read_b128 v[131:134], v126 offset:752
	s_waitcnt vmcnt(18) lgkmcnt(1)
	v_fma_f64 v[127:128], v[145:146], v[127:128], v[137:138]
	s_waitcnt vmcnt(17)
	v_fma_f64 v[127:128], v[143:144], v[129:130], v[127:128]
	buffer_load_dword v138, off, s[0:3], 0 offset:332
	buffer_load_dword v139, off, s[0:3], 0 offset:352
	buffer_load_dword v143, off, s[0:3], 0 offset:344
	buffer_load_dword v145, off, s[0:3], 0 offset:336
	buffer_load_dword v137, off, s[0:3], 0 offset:328
	buffer_load_dword v146, off, s[0:3], 0 offset:340
	buffer_load_dword v144, off, s[0:3], 0 offset:348
	s_waitcnt vmcnt(23) lgkmcnt(0)
	v_fma_f64 v[127:128], v[141:142], v[131:132], v[127:128]
	s_waitcnt vmcnt(18)
	v_fma_f64 v[140:141], v[147:148], v[133:134], v[127:128]
	ds_read_b128 v[127:130], v126 offset:768
	ds_read_b128 v[131:134], v126 offset:784
	s_waitcnt vmcnt(17) lgkmcnt(1)
	v_fma_f64 v[127:128], v[155:156], v[127:128], v[140:141]
	buffer_load_dword v140, off, s[0:3], 0 offset:356
	s_waitcnt vmcnt(17)
	v_fma_f64 v[127:128], v[153:154], v[129:130], v[127:128]
	buffer_load_dword v142, off, s[0:3], 0 offset:364
	buffer_load_dword v147, off, s[0:3], 0 offset:384
	;; [unrolled: 1-line block ×7, first 2 shown]
	s_waitcnt vmcnt(23) lgkmcnt(0)
	v_fma_f64 v[127:128], v[149:150], v[131:132], v[127:128]
	s_waitcnt vmcnt(18)
	v_fma_f64 v[135:136], v[135:136], v[133:134], v[127:128]
	ds_read_b128 v[127:130], v126 offset:800
	ds_read_b128 v[131:134], v126 offset:816
	buffer_load_dword v148, off, s[0:3], 0 offset:388
	s_waitcnt vmcnt(18) lgkmcnt(1)
	v_fma_f64 v[127:128], v[159:160], v[127:128], v[135:136]
	s_waitcnt vmcnt(17)
	v_fma_f64 v[127:128], v[157:158], v[129:130], v[127:128]
	buffer_load_dword v136, off, s[0:3], 0 offset:396
	buffer_load_dword v149, off, s[0:3], 0 offset:416
	buffer_load_dword v157, off, s[0:3], 0 offset:408
	buffer_load_dword v159, off, s[0:3], 0 offset:400
	buffer_load_dword v135, off, s[0:3], 0 offset:392
	buffer_load_dword v160, off, s[0:3], 0 offset:404
	buffer_load_dword v158, off, s[0:3], 0 offset:412
	buffer_load_dword v150, off, s[0:3], 0 offset:420
	s_waitcnt vmcnt(24) lgkmcnt(0)
	v_fma_f64 v[127:128], v[151:152], v[131:132], v[127:128]
	s_waitcnt vmcnt(19)
	v_fma_f64 v[137:138], v[137:138], v[133:134], v[127:128]
	ds_read_b128 v[127:130], v126 offset:832
	ds_read_b128 v[131:134], v126 offset:848
	s_waitcnt vmcnt(18) lgkmcnt(1)
	v_fma_f64 v[127:128], v[145:146], v[127:128], v[137:138]
	s_waitcnt vmcnt(17)
	v_fma_f64 v[127:128], v[143:144], v[129:130], v[127:128]
	buffer_load_dword v138, off, s[0:3], 0 offset:428
	buffer_load_dword v143, off, s[0:3], 0 offset:448
	buffer_load_dword v145, off, s[0:3], 0 offset:440
	buffer_load_dword v151, off, s[0:3], 0 offset:432
	buffer_load_dword v137, off, s[0:3], 0 offset:424
	buffer_load_dword v152, off, s[0:3], 0 offset:436
	buffer_load_dword v146, off, s[0:3], 0 offset:444
	buffer_load_dword v144, off, s[0:3], 0 offset:452
	s_waitcnt vmcnt(24) lgkmcnt(0)
	v_fma_f64 v[127:128], v[139:140], v[131:132], v[127:128]
	s_waitcnt vmcnt(19)
	v_fma_f64 v[139:140], v[141:142], v[133:134], v[127:128]
	ds_read_b128 v[127:130], v126 offset:864
	ds_read_b128 v[131:134], v126 offset:880
	;; [unrolled: 18-line block ×3, first 2 shown]
	s_waitcnt vmcnt(18) lgkmcnt(1)
	v_fma_f64 v[127:128], v[159:160], v[127:128], v[135:136]
	buffer_load_dword v136, off, s[0:3], 0 offset:492
	buffer_load_dword v135, off, s[0:3], 0 offset:488
	;; [unrolled: 1-line block ×4, first 2 shown]
	s_waitcnt vmcnt(21)
	v_fma_f64 v[127:128], v[157:158], v[129:130], v[127:128]
	s_waitcnt vmcnt(20) lgkmcnt(0)
	v_fma_f64 v[127:128], v[149:150], v[131:132], v[127:128]
	s_waitcnt vmcnt(15)
	v_fma_f64 v[137:138], v[137:138], v[133:134], v[127:128]
	ds_read_b128 v[127:130], v126 offset:928
	ds_read_b128 v[131:134], v126 offset:944
	s_waitcnt vmcnt(14) lgkmcnt(1)
	v_fma_f64 v[127:128], v[151:152], v[127:128], v[137:138]
	s_waitcnt vmcnt(13)
	v_fma_f64 v[127:128], v[145:146], v[129:130], v[127:128]
	s_waitcnt vmcnt(12) lgkmcnt(0)
	v_fma_f64 v[127:128], v[143:144], v[131:132], v[127:128]
	s_waitcnt vmcnt(7)
	v_fma_f64 v[137:138], v[139:140], v[133:134], v[127:128]
	ds_read_b128 v[127:130], v126 offset:960
	ds_read_b128 v[131:134], v126 offset:976
	s_waitcnt vmcnt(6) lgkmcnt(1)
	v_fma_f64 v[126:127], v[155:156], v[127:128], v[137:138]
	s_waitcnt vmcnt(5)
	v_fma_f64 v[126:127], v[153:154], v[129:130], v[126:127]
	s_waitcnt vmcnt(4) lgkmcnt(0)
	v_fma_f64 v[126:127], v[141:142], v[131:132], v[126:127]
	s_waitcnt vmcnt(2)
	v_fma_f64 v[126:127], v[135:136], v[133:134], v[126:127]
	s_waitcnt vmcnt(0)
	v_add_f64 v[126:127], v[147:148], -v[126:127]
	buffer_store_dword v127, off, s[0:3], 0 offset:108
	buffer_store_dword v126, off, s[0:3], 0 offset:104
	s_and_saveexec_b64 s[4:5], vcc
	s_cbranch_execz .LBB125_355
; %bb.354:
	buffer_load_dword v126, off, s[0:3], 0 offset:96
	buffer_load_dword v127, off, s[0:3], 0 offset:100
	v_mov_b32_e32 v128, 0
	buffer_store_dword v128, off, s[0:3], 0 offset:96
	buffer_store_dword v128, off, s[0:3], 0 offset:100
	s_waitcnt vmcnt(2)
	ds_write_b64 v125, v[126:127]
.LBB125_355:
	s_or_b64 exec, exec, s[4:5]
	s_waitcnt lgkmcnt(0)
	; wave barrier
	buffer_load_dword v135, off, s[0:3], 0 offset:104
	buffer_load_dword v136, off, s[0:3], 0 offset:108
	;; [unrolled: 1-line block ×21, first 2 shown]
	v_mov_b32_e32 v126, 0
	ds_read2_b64 v[127:130], v126 offset0:75 offset1:76
	ds_read2_b64 v[131:134], v126 offset0:77 offset1:78
	buffer_load_dword v152, off, s[0:3], 0 offset:188
	v_cmp_lt_u32_e32 vcc, 11, v0
	s_waitcnt vmcnt(20) lgkmcnt(1)
	v_fma_f64 v[127:128], v[135:136], v[127:128], 0
	s_waitcnt vmcnt(18)
	v_fma_f64 v[127:128], v[137:138], v[129:130], v[127:128]
	buffer_load_dword v136, off, s[0:3], 0 offset:196
	buffer_load_dword v137, off, s[0:3], 0 offset:216
	;; [unrolled: 1-line block ×7, first 2 shown]
	s_waitcnt vmcnt(23) lgkmcnt(0)
	v_fma_f64 v[127:128], v[139:140], v[131:132], v[127:128]
	s_waitcnt vmcnt(21)
	v_fma_f64 v[138:139], v[141:142], v[133:134], v[127:128]
	ds_read2_b64 v[127:130], v126 offset0:79 offset1:80
	ds_read2_b64 v[131:134], v126 offset0:81 offset1:82
	s_waitcnt vmcnt(19) lgkmcnt(1)
	v_fma_f64 v[127:128], v[143:144], v[127:128], v[138:139]
	buffer_load_dword v138, off, s[0:3], 0 offset:220
	s_waitcnt vmcnt(18)
	v_fma_f64 v[127:128], v[145:146], v[129:130], v[127:128]
	buffer_load_dword v140, off, s[0:3], 0 offset:228
	buffer_load_dword v141, off, s[0:3], 0 offset:248
	;; [unrolled: 1-line block ×8, first 2 shown]
	s_waitcnt vmcnt(24) lgkmcnt(0)
	v_fma_f64 v[127:128], v[147:148], v[131:132], v[127:128]
	s_waitcnt vmcnt(19)
	v_fma_f64 v[147:148], v[149:150], v[133:134], v[127:128]
	ds_read2_b64 v[127:130], v126 offset0:83 offset1:84
	ds_read2_b64 v[131:134], v126 offset0:85 offset1:86
	s_waitcnt vmcnt(18) lgkmcnt(1)
	v_fma_f64 v[127:128], v[155:156], v[127:128], v[147:148]
	s_waitcnt vmcnt(17)
	v_fma_f64 v[127:128], v[153:154], v[129:130], v[127:128]
	buffer_load_dword v148, off, s[0:3], 0 offset:260
	buffer_load_dword v149, off, s[0:3], 0 offset:280
	;; [unrolled: 1-line block ×7, first 2 shown]
	s_waitcnt vmcnt(23) lgkmcnt(0)
	v_fma_f64 v[127:128], v[151:152], v[131:132], v[127:128]
	s_waitcnt vmcnt(18)
	v_fma_f64 v[135:136], v[135:136], v[133:134], v[127:128]
	ds_read2_b64 v[127:130], v126 offset0:87 offset1:88
	ds_read2_b64 v[131:134], v126 offset0:89 offset1:90
	buffer_load_dword v150, off, s[0:3], 0 offset:284
	s_waitcnt vmcnt(18) lgkmcnt(1)
	v_fma_f64 v[127:128], v[159:160], v[127:128], v[135:136]
	s_waitcnt vmcnt(17)
	v_fma_f64 v[127:128], v[157:158], v[129:130], v[127:128]
	buffer_load_dword v136, off, s[0:3], 0 offset:292
	buffer_load_dword v151, off, s[0:3], 0 offset:312
	;; [unrolled: 1-line block ×7, first 2 shown]
	s_waitcnt vmcnt(23) lgkmcnt(0)
	v_fma_f64 v[127:128], v[137:138], v[131:132], v[127:128]
	s_waitcnt vmcnt(18)
	v_fma_f64 v[137:138], v[139:140], v[133:134], v[127:128]
	ds_read2_b64 v[127:130], v126 offset0:91 offset1:92
	ds_read2_b64 v[131:134], v126 offset0:93 offset1:94
	buffer_load_dword v152, off, s[0:3], 0 offset:316
	s_waitcnt vmcnt(18) lgkmcnt(1)
	v_fma_f64 v[127:128], v[145:146], v[127:128], v[137:138]
	s_waitcnt vmcnt(17)
	v_fma_f64 v[127:128], v[143:144], v[129:130], v[127:128]
	buffer_load_dword v138, off, s[0:3], 0 offset:324
	buffer_load_dword v139, off, s[0:3], 0 offset:344
	;; [unrolled: 1-line block ×7, first 2 shown]
	s_waitcnt vmcnt(23) lgkmcnt(0)
	v_fma_f64 v[127:128], v[141:142], v[131:132], v[127:128]
	s_waitcnt vmcnt(18)
	v_fma_f64 v[140:141], v[147:148], v[133:134], v[127:128]
	ds_read2_b64 v[127:130], v126 offset0:95 offset1:96
	ds_read2_b64 v[131:134], v126 offset0:97 offset1:98
	s_waitcnt vmcnt(17) lgkmcnt(1)
	v_fma_f64 v[127:128], v[155:156], v[127:128], v[140:141]
	buffer_load_dword v140, off, s[0:3], 0 offset:348
	s_waitcnt vmcnt(17)
	v_fma_f64 v[127:128], v[153:154], v[129:130], v[127:128]
	buffer_load_dword v142, off, s[0:3], 0 offset:356
	buffer_load_dword v147, off, s[0:3], 0 offset:376
	;; [unrolled: 1-line block ×7, first 2 shown]
	s_waitcnt vmcnt(23) lgkmcnt(0)
	v_fma_f64 v[127:128], v[149:150], v[131:132], v[127:128]
	s_waitcnt vmcnt(18)
	v_fma_f64 v[135:136], v[135:136], v[133:134], v[127:128]
	ds_read2_b64 v[127:130], v126 offset0:99 offset1:100
	ds_read2_b64 v[131:134], v126 offset0:101 offset1:102
	buffer_load_dword v148, off, s[0:3], 0 offset:380
	s_waitcnt vmcnt(18) lgkmcnt(1)
	v_fma_f64 v[127:128], v[159:160], v[127:128], v[135:136]
	s_waitcnt vmcnt(17)
	v_fma_f64 v[127:128], v[157:158], v[129:130], v[127:128]
	buffer_load_dword v136, off, s[0:3], 0 offset:388
	buffer_load_dword v149, off, s[0:3], 0 offset:408
	;; [unrolled: 1-line block ×7, first 2 shown]
	s_waitcnt vmcnt(23) lgkmcnt(0)
	v_fma_f64 v[127:128], v[151:152], v[131:132], v[127:128]
	s_waitcnt vmcnt(18)
	v_fma_f64 v[137:138], v[137:138], v[133:134], v[127:128]
	ds_read2_b64 v[127:130], v126 offset0:103 offset1:104
	ds_read2_b64 v[131:134], v126 offset0:105 offset1:106
	buffer_load_dword v150, off, s[0:3], 0 offset:412
	s_waitcnt vmcnt(18) lgkmcnt(1)
	v_fma_f64 v[127:128], v[145:146], v[127:128], v[137:138]
	s_waitcnt vmcnt(17)
	v_fma_f64 v[127:128], v[143:144], v[129:130], v[127:128]
	buffer_load_dword v138, off, s[0:3], 0 offset:420
	buffer_load_dword v143, off, s[0:3], 0 offset:440
	;; [unrolled: 1-line block ×8, first 2 shown]
	s_waitcnt vmcnt(24) lgkmcnt(0)
	v_fma_f64 v[127:128], v[139:140], v[131:132], v[127:128]
	s_waitcnt vmcnt(19)
	v_fma_f64 v[139:140], v[141:142], v[133:134], v[127:128]
	ds_read2_b64 v[127:130], v126 offset0:107 offset1:108
	ds_read2_b64 v[131:134], v126 offset0:109 offset1:110
	s_waitcnt vmcnt(18) lgkmcnt(1)
	v_fma_f64 v[127:128], v[155:156], v[127:128], v[139:140]
	s_waitcnt vmcnt(17)
	v_fma_f64 v[127:128], v[153:154], v[129:130], v[127:128]
	buffer_load_dword v140, off, s[0:3], 0 offset:452
	buffer_load_dword v141, off, s[0:3], 0 offset:472
	;; [unrolled: 1-line block ×7, first 2 shown]
	s_waitcnt vmcnt(23) lgkmcnt(0)
	v_fma_f64 v[127:128], v[147:148], v[131:132], v[127:128]
	s_waitcnt vmcnt(18)
	v_fma_f64 v[135:136], v[135:136], v[133:134], v[127:128]
	ds_read2_b64 v[127:130], v126 offset0:111 offset1:112
	ds_read2_b64 v[131:134], v126 offset0:113 offset1:114
	buffer_load_dword v142, off, s[0:3], 0 offset:476
	s_waitcnt vmcnt(18) lgkmcnt(1)
	v_fma_f64 v[127:128], v[159:160], v[127:128], v[135:136]
	buffer_load_dword v136, off, s[0:3], 0 offset:484
	buffer_load_dword v147, off, s[0:3], 0 offset:488
	;; [unrolled: 1-line block ×4, first 2 shown]
	s_waitcnt vmcnt(21)
	v_fma_f64 v[127:128], v[157:158], v[129:130], v[127:128]
	s_waitcnt vmcnt(20) lgkmcnt(0)
	v_fma_f64 v[127:128], v[149:150], v[131:132], v[127:128]
	buffer_load_dword v149, off, s[0:3], 0 offset:96
	buffer_load_dword v150, off, s[0:3], 0 offset:100
	s_waitcnt vmcnt(17)
	v_fma_f64 v[137:138], v[137:138], v[133:134], v[127:128]
	ds_read2_b64 v[127:130], v126 offset0:115 offset1:116
	ds_read2_b64 v[131:134], v126 offset0:117 offset1:118
	s_waitcnt vmcnt(16) lgkmcnt(1)
	v_fma_f64 v[127:128], v[151:152], v[127:128], v[137:138]
	s_waitcnt vmcnt(15)
	v_fma_f64 v[127:128], v[145:146], v[129:130], v[127:128]
	s_waitcnt vmcnt(14) lgkmcnt(0)
	v_fma_f64 v[127:128], v[143:144], v[131:132], v[127:128]
	s_waitcnt vmcnt(9)
	v_fma_f64 v[137:138], v[139:140], v[133:134], v[127:128]
	ds_read2_b64 v[127:130], v126 offset0:119 offset1:120
	ds_read2_b64 v[131:134], v126 offset0:121 offset1:122
	s_waitcnt vmcnt(8) lgkmcnt(1)
	v_fma_f64 v[127:128], v[155:156], v[127:128], v[137:138]
	s_waitcnt vmcnt(7)
	v_fma_f64 v[127:128], v[153:154], v[129:130], v[127:128]
	ds_read_b64 v[129:130], v126 offset:984
	s_waitcnt vmcnt(6) lgkmcnt(1)
	v_fma_f64 v[127:128], v[141:142], v[131:132], v[127:128]
	s_waitcnt vmcnt(3)
	v_fma_f64 v[127:128], v[135:136], v[133:134], v[127:128]
	s_waitcnt vmcnt(2) lgkmcnt(0)
	v_fma_f64 v[127:128], v[147:148], v[129:130], v[127:128]
	s_waitcnt vmcnt(0)
	v_add_f64 v[127:128], v[149:150], -v[127:128]
	buffer_store_dword v128, off, s[0:3], 0 offset:100
	buffer_store_dword v127, off, s[0:3], 0 offset:96
	s_and_saveexec_b64 s[4:5], vcc
	s_cbranch_execz .LBB125_357
; %bb.356:
	buffer_load_dword v127, off, s[0:3], 0 offset:88
	buffer_load_dword v128, off, s[0:3], 0 offset:92
	s_waitcnt vmcnt(0)
	ds_write_b64 v125, v[127:128]
	buffer_store_dword v126, off, s[0:3], 0 offset:88
	buffer_store_dword v126, off, s[0:3], 0 offset:92
.LBB125_357:
	s_or_b64 exec, exec, s[4:5]
	s_waitcnt lgkmcnt(0)
	; wave barrier
	buffer_load_dword v135, off, s[0:3], 0 offset:96
	buffer_load_dword v136, off, s[0:3], 0 offset:100
	;; [unrolled: 1-line block ×22, first 2 shown]
	ds_read_b128 v[127:130], v126 offset:592
	ds_read_b128 v[131:134], v126 offset:608
	v_cmp_lt_u32_e32 vcc, 10, v0
	s_waitcnt vmcnt(20) lgkmcnt(1)
	v_fma_f64 v[127:128], v[135:136], v[127:128], 0
	s_waitcnt vmcnt(18)
	v_fma_f64 v[127:128], v[137:138], v[129:130], v[127:128]
	buffer_load_dword v136, off, s[0:3], 0 offset:188
	buffer_load_dword v137, off, s[0:3], 0 offset:208
	buffer_load_dword v157, off, s[0:3], 0 offset:200
	buffer_load_dword v159, off, s[0:3], 0 offset:192
	buffer_load_dword v135, off, s[0:3], 0 offset:184
	buffer_load_dword v160, off, s[0:3], 0 offset:196
	buffer_load_dword v158, off, s[0:3], 0 offset:204
	s_waitcnt vmcnt(23) lgkmcnt(0)
	v_fma_f64 v[127:128], v[139:140], v[131:132], v[127:128]
	s_waitcnt vmcnt(21)
	v_fma_f64 v[138:139], v[141:142], v[133:134], v[127:128]
	ds_read_b128 v[127:130], v126 offset:624
	ds_read_b128 v[131:134], v126 offset:640
	s_waitcnt vmcnt(19) lgkmcnt(1)
	v_fma_f64 v[127:128], v[143:144], v[127:128], v[138:139]
	buffer_load_dword v138, off, s[0:3], 0 offset:212
	s_waitcnt vmcnt(18)
	v_fma_f64 v[127:128], v[145:146], v[129:130], v[127:128]
	buffer_load_dword v140, off, s[0:3], 0 offset:220
	buffer_load_dword v141, off, s[0:3], 0 offset:240
	buffer_load_dword v143, off, s[0:3], 0 offset:232
	buffer_load_dword v145, off, s[0:3], 0 offset:224
	buffer_load_dword v139, off, s[0:3], 0 offset:216
	buffer_load_dword v146, off, s[0:3], 0 offset:228
	buffer_load_dword v144, off, s[0:3], 0 offset:236
	buffer_load_dword v142, off, s[0:3], 0 offset:244
	s_waitcnt vmcnt(24) lgkmcnt(0)
	v_fma_f64 v[127:128], v[147:148], v[131:132], v[127:128]
	s_waitcnt vmcnt(19)
	v_fma_f64 v[147:148], v[149:150], v[133:134], v[127:128]
	ds_read_b128 v[127:130], v126 offset:656
	ds_read_b128 v[131:134], v126 offset:672
	s_waitcnt vmcnt(18) lgkmcnt(1)
	v_fma_f64 v[127:128], v[155:156], v[127:128], v[147:148]
	s_waitcnt vmcnt(17)
	v_fma_f64 v[127:128], v[153:154], v[129:130], v[127:128]
	buffer_load_dword v148, off, s[0:3], 0 offset:252
	buffer_load_dword v149, off, s[0:3], 0 offset:272
	;; [unrolled: 1-line block ×8, first 2 shown]
	s_waitcnt vmcnt(24) lgkmcnt(0)
	v_fma_f64 v[127:128], v[151:152], v[131:132], v[127:128]
	s_waitcnt vmcnt(19)
	v_fma_f64 v[135:136], v[135:136], v[133:134], v[127:128]
	ds_read_b128 v[127:130], v126 offset:688
	ds_read_b128 v[131:134], v126 offset:704
	s_waitcnt vmcnt(18) lgkmcnt(1)
	v_fma_f64 v[127:128], v[159:160], v[127:128], v[135:136]
	s_waitcnt vmcnt(17)
	v_fma_f64 v[127:128], v[157:158], v[129:130], v[127:128]
	buffer_load_dword v136, off, s[0:3], 0 offset:284
	buffer_load_dword v151, off, s[0:3], 0 offset:304
	;; [unrolled: 1-line block ×7, first 2 shown]
	s_waitcnt vmcnt(23) lgkmcnt(0)
	v_fma_f64 v[127:128], v[137:138], v[131:132], v[127:128]
	s_waitcnt vmcnt(18)
	v_fma_f64 v[137:138], v[139:140], v[133:134], v[127:128]
	ds_read_b128 v[127:130], v126 offset:720
	ds_read_b128 v[131:134], v126 offset:736
	buffer_load_dword v152, off, s[0:3], 0 offset:308
	s_waitcnt vmcnt(18) lgkmcnt(1)
	v_fma_f64 v[127:128], v[145:146], v[127:128], v[137:138]
	s_waitcnt vmcnt(17)
	v_fma_f64 v[127:128], v[143:144], v[129:130], v[127:128]
	buffer_load_dword v138, off, s[0:3], 0 offset:316
	buffer_load_dword v139, off, s[0:3], 0 offset:336
	;; [unrolled: 1-line block ×7, first 2 shown]
	s_waitcnt vmcnt(23) lgkmcnt(0)
	v_fma_f64 v[127:128], v[141:142], v[131:132], v[127:128]
	s_waitcnt vmcnt(18)
	v_fma_f64 v[140:141], v[147:148], v[133:134], v[127:128]
	ds_read_b128 v[127:130], v126 offset:752
	ds_read_b128 v[131:134], v126 offset:768
	s_waitcnt vmcnt(17) lgkmcnt(1)
	v_fma_f64 v[127:128], v[155:156], v[127:128], v[140:141]
	buffer_load_dword v140, off, s[0:3], 0 offset:340
	s_waitcnt vmcnt(17)
	v_fma_f64 v[127:128], v[153:154], v[129:130], v[127:128]
	buffer_load_dword v142, off, s[0:3], 0 offset:348
	buffer_load_dword v147, off, s[0:3], 0 offset:368
	;; [unrolled: 1-line block ×8, first 2 shown]
	s_waitcnt vmcnt(24) lgkmcnt(0)
	v_fma_f64 v[127:128], v[149:150], v[131:132], v[127:128]
	s_waitcnt vmcnt(19)
	v_fma_f64 v[135:136], v[135:136], v[133:134], v[127:128]
	ds_read_b128 v[127:130], v126 offset:784
	ds_read_b128 v[131:134], v126 offset:800
	s_waitcnt vmcnt(18) lgkmcnt(1)
	v_fma_f64 v[127:128], v[159:160], v[127:128], v[135:136]
	s_waitcnt vmcnt(17)
	v_fma_f64 v[127:128], v[157:158], v[129:130], v[127:128]
	buffer_load_dword v136, off, s[0:3], 0 offset:380
	buffer_load_dword v149, off, s[0:3], 0 offset:400
	;; [unrolled: 1-line block ×7, first 2 shown]
	s_waitcnt vmcnt(23) lgkmcnt(0)
	v_fma_f64 v[127:128], v[151:152], v[131:132], v[127:128]
	s_waitcnt vmcnt(18)
	v_fma_f64 v[137:138], v[137:138], v[133:134], v[127:128]
	ds_read_b128 v[127:130], v126 offset:816
	ds_read_b128 v[131:134], v126 offset:832
	buffer_load_dword v150, off, s[0:3], 0 offset:404
	s_waitcnt vmcnt(18) lgkmcnt(1)
	v_fma_f64 v[127:128], v[145:146], v[127:128], v[137:138]
	s_waitcnt vmcnt(17)
	v_fma_f64 v[127:128], v[143:144], v[129:130], v[127:128]
	buffer_load_dword v138, off, s[0:3], 0 offset:412
	buffer_load_dword v143, off, s[0:3], 0 offset:432
	;; [unrolled: 1-line block ×8, first 2 shown]
	s_waitcnt vmcnt(24) lgkmcnt(0)
	v_fma_f64 v[127:128], v[139:140], v[131:132], v[127:128]
	s_waitcnt vmcnt(19)
	v_fma_f64 v[139:140], v[141:142], v[133:134], v[127:128]
	ds_read_b128 v[127:130], v126 offset:848
	ds_read_b128 v[131:134], v126 offset:864
	s_waitcnt vmcnt(18) lgkmcnt(1)
	v_fma_f64 v[127:128], v[155:156], v[127:128], v[139:140]
	s_waitcnt vmcnt(17)
	v_fma_f64 v[127:128], v[153:154], v[129:130], v[127:128]
	buffer_load_dword v140, off, s[0:3], 0 offset:444
	buffer_load_dword v141, off, s[0:3], 0 offset:464
	;; [unrolled: 1-line block ×8, first 2 shown]
	s_waitcnt vmcnt(24) lgkmcnt(0)
	v_fma_f64 v[127:128], v[147:148], v[131:132], v[127:128]
	s_waitcnt vmcnt(19)
	v_fma_f64 v[135:136], v[135:136], v[133:134], v[127:128]
	ds_read_b128 v[127:130], v126 offset:880
	ds_read_b128 v[131:134], v126 offset:896
	s_waitcnt vmcnt(18) lgkmcnt(1)
	v_fma_f64 v[127:128], v[159:160], v[127:128], v[135:136]
	s_waitcnt vmcnt(17)
	v_fma_f64 v[127:128], v[157:158], v[129:130], v[127:128]
	buffer_load_dword v136, off, s[0:3], 0 offset:476
	buffer_load_dword v147, off, s[0:3], 0 offset:488
	;; [unrolled: 1-line block ×6, first 2 shown]
	s_waitcnt vmcnt(22) lgkmcnt(0)
	v_fma_f64 v[127:128], v[149:150], v[131:132], v[127:128]
	s_waitcnt vmcnt(17)
	v_fma_f64 v[137:138], v[137:138], v[133:134], v[127:128]
	ds_read_b128 v[127:130], v126 offset:912
	buffer_load_dword v149, off, s[0:3], 0 offset:88
	buffer_load_dword v150, off, s[0:3], 0 offset:92
	ds_read_b128 v[131:134], v126 offset:928
	s_waitcnt vmcnt(18) lgkmcnt(1)
	v_fma_f64 v[127:128], v[151:152], v[127:128], v[137:138]
	s_waitcnt vmcnt(17)
	v_fma_f64 v[127:128], v[145:146], v[129:130], v[127:128]
	s_waitcnt vmcnt(16) lgkmcnt(0)
	v_fma_f64 v[127:128], v[143:144], v[131:132], v[127:128]
	s_waitcnt vmcnt(11)
	v_fma_f64 v[137:138], v[139:140], v[133:134], v[127:128]
	ds_read_b128 v[127:130], v126 offset:944
	ds_read_b128 v[131:134], v126 offset:960
	s_waitcnt vmcnt(10) lgkmcnt(1)
	v_fma_f64 v[127:128], v[155:156], v[127:128], v[137:138]
	s_waitcnt vmcnt(9)
	v_fma_f64 v[127:128], v[153:154], v[129:130], v[127:128]
	s_waitcnt vmcnt(8) lgkmcnt(0)
	v_fma_f64 v[127:128], v[141:142], v[131:132], v[127:128]
	s_waitcnt vmcnt(4)
	v_fma_f64 v[130:131], v[135:136], v[133:134], v[127:128]
	ds_read_b128 v[126:129], v126 offset:976
	s_waitcnt vmcnt(3) lgkmcnt(0)
	v_fma_f64 v[126:127], v[157:158], v[126:127], v[130:131]
	s_waitcnt vmcnt(2)
	v_fma_f64 v[126:127], v[147:148], v[128:129], v[126:127]
	s_waitcnt vmcnt(0)
	v_add_f64 v[126:127], v[149:150], -v[126:127]
	buffer_store_dword v127, off, s[0:3], 0 offset:92
	buffer_store_dword v126, off, s[0:3], 0 offset:88
	s_and_saveexec_b64 s[4:5], vcc
	s_cbranch_execz .LBB125_359
; %bb.358:
	buffer_load_dword v126, off, s[0:3], 0 offset:80
	buffer_load_dword v127, off, s[0:3], 0 offset:84
	v_mov_b32_e32 v128, 0
	buffer_store_dword v128, off, s[0:3], 0 offset:80
	buffer_store_dword v128, off, s[0:3], 0 offset:84
	s_waitcnt vmcnt(2)
	ds_write_b64 v125, v[126:127]
.LBB125_359:
	s_or_b64 exec, exec, s[4:5]
	s_waitcnt lgkmcnt(0)
	; wave barrier
	buffer_load_dword v135, off, s[0:3], 0 offset:88
	buffer_load_dword v136, off, s[0:3], 0 offset:92
	;; [unrolled: 1-line block ×22, first 2 shown]
	v_mov_b32_e32 v126, 0
	ds_read2_b64 v[127:130], v126 offset0:73 offset1:74
	ds_read2_b64 v[131:134], v126 offset0:75 offset1:76
	v_cmp_lt_u32_e32 vcc, 9, v0
	s_waitcnt vmcnt(20) lgkmcnt(1)
	v_fma_f64 v[127:128], v[135:136], v[127:128], 0
	s_waitcnt vmcnt(18)
	v_fma_f64 v[127:128], v[137:138], v[129:130], v[127:128]
	buffer_load_dword v136, off, s[0:3], 0 offset:180
	buffer_load_dword v137, off, s[0:3], 0 offset:200
	;; [unrolled: 1-line block ×7, first 2 shown]
	s_waitcnt vmcnt(23) lgkmcnt(0)
	v_fma_f64 v[127:128], v[139:140], v[131:132], v[127:128]
	s_waitcnt vmcnt(21)
	v_fma_f64 v[138:139], v[141:142], v[133:134], v[127:128]
	ds_read2_b64 v[127:130], v126 offset0:77 offset1:78
	ds_read2_b64 v[131:134], v126 offset0:79 offset1:80
	s_waitcnt vmcnt(19) lgkmcnt(1)
	v_fma_f64 v[127:128], v[143:144], v[127:128], v[138:139]
	buffer_load_dword v138, off, s[0:3], 0 offset:204
	s_waitcnt vmcnt(18)
	v_fma_f64 v[127:128], v[145:146], v[129:130], v[127:128]
	buffer_load_dword v140, off, s[0:3], 0 offset:212
	buffer_load_dword v141, off, s[0:3], 0 offset:232
	;; [unrolled: 1-line block ×8, first 2 shown]
	s_waitcnt vmcnt(24) lgkmcnt(0)
	v_fma_f64 v[127:128], v[147:148], v[131:132], v[127:128]
	s_waitcnt vmcnt(19)
	v_fma_f64 v[147:148], v[149:150], v[133:134], v[127:128]
	ds_read2_b64 v[127:130], v126 offset0:81 offset1:82
	ds_read2_b64 v[131:134], v126 offset0:83 offset1:84
	s_waitcnt vmcnt(18) lgkmcnt(1)
	v_fma_f64 v[127:128], v[155:156], v[127:128], v[147:148]
	s_waitcnt vmcnt(17)
	v_fma_f64 v[127:128], v[153:154], v[129:130], v[127:128]
	buffer_load_dword v148, off, s[0:3], 0 offset:244
	buffer_load_dword v149, off, s[0:3], 0 offset:264
	;; [unrolled: 1-line block ×8, first 2 shown]
	s_waitcnt vmcnt(24) lgkmcnt(0)
	v_fma_f64 v[127:128], v[151:152], v[131:132], v[127:128]
	s_waitcnt vmcnt(19)
	v_fma_f64 v[135:136], v[135:136], v[133:134], v[127:128]
	ds_read2_b64 v[127:130], v126 offset0:85 offset1:86
	ds_read2_b64 v[131:134], v126 offset0:87 offset1:88
	s_waitcnt vmcnt(18) lgkmcnt(1)
	v_fma_f64 v[127:128], v[159:160], v[127:128], v[135:136]
	s_waitcnt vmcnt(17)
	v_fma_f64 v[127:128], v[157:158], v[129:130], v[127:128]
	buffer_load_dword v136, off, s[0:3], 0 offset:276
	buffer_load_dword v151, off, s[0:3], 0 offset:296
	;; [unrolled: 1-line block ×7, first 2 shown]
	s_waitcnt vmcnt(23) lgkmcnt(0)
	v_fma_f64 v[127:128], v[137:138], v[131:132], v[127:128]
	s_waitcnt vmcnt(18)
	v_fma_f64 v[137:138], v[139:140], v[133:134], v[127:128]
	ds_read2_b64 v[127:130], v126 offset0:89 offset1:90
	ds_read2_b64 v[131:134], v126 offset0:91 offset1:92
	buffer_load_dword v152, off, s[0:3], 0 offset:300
	s_waitcnt vmcnt(18) lgkmcnt(1)
	v_fma_f64 v[127:128], v[145:146], v[127:128], v[137:138]
	s_waitcnt vmcnt(17)
	v_fma_f64 v[127:128], v[143:144], v[129:130], v[127:128]
	buffer_load_dword v138, off, s[0:3], 0 offset:308
	buffer_load_dword v139, off, s[0:3], 0 offset:328
	;; [unrolled: 1-line block ×7, first 2 shown]
	s_waitcnt vmcnt(23) lgkmcnt(0)
	v_fma_f64 v[127:128], v[141:142], v[131:132], v[127:128]
	s_waitcnt vmcnt(18)
	v_fma_f64 v[140:141], v[147:148], v[133:134], v[127:128]
	ds_read2_b64 v[127:130], v126 offset0:93 offset1:94
	ds_read2_b64 v[131:134], v126 offset0:95 offset1:96
	s_waitcnt vmcnt(17) lgkmcnt(1)
	v_fma_f64 v[127:128], v[155:156], v[127:128], v[140:141]
	buffer_load_dword v140, off, s[0:3], 0 offset:332
	s_waitcnt vmcnt(17)
	v_fma_f64 v[127:128], v[153:154], v[129:130], v[127:128]
	buffer_load_dword v142, off, s[0:3], 0 offset:340
	buffer_load_dword v147, off, s[0:3], 0 offset:360
	;; [unrolled: 1-line block ×8, first 2 shown]
	s_waitcnt vmcnt(24) lgkmcnt(0)
	v_fma_f64 v[127:128], v[149:150], v[131:132], v[127:128]
	s_waitcnt vmcnt(19)
	v_fma_f64 v[135:136], v[135:136], v[133:134], v[127:128]
	ds_read2_b64 v[127:130], v126 offset0:97 offset1:98
	ds_read2_b64 v[131:134], v126 offset0:99 offset1:100
	s_waitcnt vmcnt(18) lgkmcnt(1)
	v_fma_f64 v[127:128], v[159:160], v[127:128], v[135:136]
	s_waitcnt vmcnt(17)
	v_fma_f64 v[127:128], v[157:158], v[129:130], v[127:128]
	buffer_load_dword v136, off, s[0:3], 0 offset:372
	buffer_load_dword v149, off, s[0:3], 0 offset:392
	;; [unrolled: 1-line block ×7, first 2 shown]
	s_waitcnt vmcnt(23) lgkmcnt(0)
	v_fma_f64 v[127:128], v[151:152], v[131:132], v[127:128]
	s_waitcnt vmcnt(18)
	v_fma_f64 v[137:138], v[137:138], v[133:134], v[127:128]
	ds_read2_b64 v[127:130], v126 offset0:101 offset1:102
	ds_read2_b64 v[131:134], v126 offset0:103 offset1:104
	buffer_load_dword v150, off, s[0:3], 0 offset:396
	s_waitcnt vmcnt(18) lgkmcnt(1)
	v_fma_f64 v[127:128], v[145:146], v[127:128], v[137:138]
	s_waitcnt vmcnt(17)
	v_fma_f64 v[127:128], v[143:144], v[129:130], v[127:128]
	buffer_load_dword v138, off, s[0:3], 0 offset:404
	buffer_load_dword v143, off, s[0:3], 0 offset:424
	buffer_load_dword v145, off, s[0:3], 0 offset:416
	buffer_load_dword v151, off, s[0:3], 0 offset:408
	buffer_load_dword v137, off, s[0:3], 0 offset:400
	buffer_load_dword v152, off, s[0:3], 0 offset:412
	buffer_load_dword v146, off, s[0:3], 0 offset:420
	buffer_load_dword v144, off, s[0:3], 0 offset:428
	s_waitcnt vmcnt(24) lgkmcnt(0)
	v_fma_f64 v[127:128], v[139:140], v[131:132], v[127:128]
	s_waitcnt vmcnt(19)
	v_fma_f64 v[139:140], v[141:142], v[133:134], v[127:128]
	ds_read2_b64 v[127:130], v126 offset0:105 offset1:106
	ds_read2_b64 v[131:134], v126 offset0:107 offset1:108
	s_waitcnt vmcnt(18) lgkmcnt(1)
	v_fma_f64 v[127:128], v[155:156], v[127:128], v[139:140]
	s_waitcnt vmcnt(17)
	v_fma_f64 v[127:128], v[153:154], v[129:130], v[127:128]
	buffer_load_dword v140, off, s[0:3], 0 offset:436
	buffer_load_dword v141, off, s[0:3], 0 offset:456
	buffer_load_dword v153, off, s[0:3], 0 offset:448
	buffer_load_dword v155, off, s[0:3], 0 offset:440
	buffer_load_dword v139, off, s[0:3], 0 offset:432
	buffer_load_dword v156, off, s[0:3], 0 offset:444
	buffer_load_dword v154, off, s[0:3], 0 offset:452
	buffer_load_dword v142, off, s[0:3], 0 offset:460
	s_waitcnt vmcnt(24) lgkmcnt(0)
	v_fma_f64 v[127:128], v[147:148], v[131:132], v[127:128]
	s_waitcnt vmcnt(19)
	v_fma_f64 v[135:136], v[135:136], v[133:134], v[127:128]
	ds_read2_b64 v[127:130], v126 offset0:109 offset1:110
	ds_read2_b64 v[131:134], v126 offset0:111 offset1:112
	;; [unrolled: 18-line block ×3, first 2 shown]
	s_waitcnt vmcnt(18) lgkmcnt(1)
	v_fma_f64 v[127:128], v[151:152], v[127:128], v[137:138]
	buffer_load_dword v137, off, s[0:3], 0 offset:80
	buffer_load_dword v138, off, s[0:3], 0 offset:84
	s_waitcnt vmcnt(19)
	v_fma_f64 v[127:128], v[145:146], v[129:130], v[127:128]
	s_waitcnt vmcnt(18) lgkmcnt(0)
	v_fma_f64 v[127:128], v[143:144], v[131:132], v[127:128]
	s_waitcnt vmcnt(13)
	v_fma_f64 v[139:140], v[139:140], v[133:134], v[127:128]
	ds_read2_b64 v[127:130], v126 offset0:117 offset1:118
	ds_read2_b64 v[131:134], v126 offset0:119 offset1:120
	s_waitcnt vmcnt(12) lgkmcnt(1)
	v_fma_f64 v[127:128], v[155:156], v[127:128], v[139:140]
	s_waitcnt vmcnt(11)
	v_fma_f64 v[127:128], v[153:154], v[129:130], v[127:128]
	s_waitcnt vmcnt(10) lgkmcnt(0)
	v_fma_f64 v[127:128], v[141:142], v[131:132], v[127:128]
	s_waitcnt vmcnt(5)
	v_fma_f64 v[131:132], v[135:136], v[133:134], v[127:128]
	ds_read2_b64 v[127:130], v126 offset0:121 offset1:122
	ds_read_b64 v[133:134], v126 offset:984
	s_waitcnt vmcnt(4) lgkmcnt(1)
	v_fma_f64 v[127:128], v[159:160], v[127:128], v[131:132]
	s_waitcnt vmcnt(3)
	v_fma_f64 v[127:128], v[157:158], v[129:130], v[127:128]
	s_waitcnt vmcnt(2) lgkmcnt(0)
	v_fma_f64 v[127:128], v[147:148], v[133:134], v[127:128]
	s_waitcnt vmcnt(0)
	v_add_f64 v[127:128], v[137:138], -v[127:128]
	buffer_store_dword v128, off, s[0:3], 0 offset:84
	buffer_store_dword v127, off, s[0:3], 0 offset:80
	s_and_saveexec_b64 s[4:5], vcc
	s_cbranch_execz .LBB125_361
; %bb.360:
	buffer_load_dword v127, off, s[0:3], 0 offset:72
	buffer_load_dword v128, off, s[0:3], 0 offset:76
	s_waitcnt vmcnt(0)
	ds_write_b64 v125, v[127:128]
	buffer_store_dword v126, off, s[0:3], 0 offset:72
	buffer_store_dword v126, off, s[0:3], 0 offset:76
.LBB125_361:
	s_or_b64 exec, exec, s[4:5]
	s_waitcnt lgkmcnt(0)
	; wave barrier
	buffer_load_dword v135, off, s[0:3], 0 offset:80
	buffer_load_dword v136, off, s[0:3], 0 offset:84
	;; [unrolled: 1-line block ×22, first 2 shown]
	ds_read_b128 v[127:130], v126 offset:576
	ds_read_b128 v[131:134], v126 offset:592
	v_cmp_lt_u32_e32 vcc, 8, v0
	s_waitcnt vmcnt(20) lgkmcnt(1)
	v_fma_f64 v[127:128], v[135:136], v[127:128], 0
	s_waitcnt vmcnt(18)
	v_fma_f64 v[127:128], v[137:138], v[129:130], v[127:128]
	buffer_load_dword v136, off, s[0:3], 0 offset:172
	buffer_load_dword v137, off, s[0:3], 0 offset:192
	;; [unrolled: 1-line block ×7, first 2 shown]
	s_waitcnt vmcnt(23) lgkmcnt(0)
	v_fma_f64 v[127:128], v[139:140], v[131:132], v[127:128]
	s_waitcnt vmcnt(21)
	v_fma_f64 v[138:139], v[141:142], v[133:134], v[127:128]
	ds_read_b128 v[127:130], v126 offset:608
	ds_read_b128 v[131:134], v126 offset:624
	s_waitcnt vmcnt(19) lgkmcnt(1)
	v_fma_f64 v[127:128], v[143:144], v[127:128], v[138:139]
	buffer_load_dword v138, off, s[0:3], 0 offset:196
	s_waitcnt vmcnt(18)
	v_fma_f64 v[127:128], v[145:146], v[129:130], v[127:128]
	buffer_load_dword v140, off, s[0:3], 0 offset:204
	buffer_load_dword v141, off, s[0:3], 0 offset:224
	;; [unrolled: 1-line block ×8, first 2 shown]
	s_waitcnt vmcnt(24) lgkmcnt(0)
	v_fma_f64 v[127:128], v[147:148], v[131:132], v[127:128]
	s_waitcnt vmcnt(19)
	v_fma_f64 v[147:148], v[149:150], v[133:134], v[127:128]
	ds_read_b128 v[127:130], v126 offset:640
	ds_read_b128 v[131:134], v126 offset:656
	s_waitcnt vmcnt(18) lgkmcnt(1)
	v_fma_f64 v[127:128], v[155:156], v[127:128], v[147:148]
	s_waitcnt vmcnt(17)
	v_fma_f64 v[127:128], v[153:154], v[129:130], v[127:128]
	buffer_load_dword v148, off, s[0:3], 0 offset:236
	buffer_load_dword v149, off, s[0:3], 0 offset:256
	;; [unrolled: 1-line block ×8, first 2 shown]
	s_waitcnt vmcnt(24) lgkmcnt(0)
	v_fma_f64 v[127:128], v[151:152], v[131:132], v[127:128]
	s_waitcnt vmcnt(19)
	v_fma_f64 v[135:136], v[135:136], v[133:134], v[127:128]
	ds_read_b128 v[127:130], v126 offset:672
	ds_read_b128 v[131:134], v126 offset:688
	s_waitcnt vmcnt(18) lgkmcnt(1)
	v_fma_f64 v[127:128], v[159:160], v[127:128], v[135:136]
	s_waitcnt vmcnt(17)
	v_fma_f64 v[127:128], v[157:158], v[129:130], v[127:128]
	buffer_load_dword v136, off, s[0:3], 0 offset:268
	buffer_load_dword v151, off, s[0:3], 0 offset:288
	;; [unrolled: 1-line block ×7, first 2 shown]
	s_waitcnt vmcnt(23) lgkmcnt(0)
	v_fma_f64 v[127:128], v[137:138], v[131:132], v[127:128]
	s_waitcnt vmcnt(18)
	v_fma_f64 v[137:138], v[139:140], v[133:134], v[127:128]
	ds_read_b128 v[127:130], v126 offset:704
	ds_read_b128 v[131:134], v126 offset:720
	buffer_load_dword v152, off, s[0:3], 0 offset:292
	s_waitcnt vmcnt(18) lgkmcnt(1)
	v_fma_f64 v[127:128], v[145:146], v[127:128], v[137:138]
	s_waitcnt vmcnt(17)
	v_fma_f64 v[127:128], v[143:144], v[129:130], v[127:128]
	buffer_load_dword v138, off, s[0:3], 0 offset:300
	buffer_load_dword v139, off, s[0:3], 0 offset:320
	;; [unrolled: 1-line block ×7, first 2 shown]
	s_waitcnt vmcnt(23) lgkmcnt(0)
	v_fma_f64 v[127:128], v[141:142], v[131:132], v[127:128]
	s_waitcnt vmcnt(18)
	v_fma_f64 v[140:141], v[147:148], v[133:134], v[127:128]
	ds_read_b128 v[127:130], v126 offset:736
	ds_read_b128 v[131:134], v126 offset:752
	s_waitcnt vmcnt(17) lgkmcnt(1)
	v_fma_f64 v[127:128], v[155:156], v[127:128], v[140:141]
	buffer_load_dword v140, off, s[0:3], 0 offset:324
	s_waitcnt vmcnt(17)
	v_fma_f64 v[127:128], v[153:154], v[129:130], v[127:128]
	buffer_load_dword v142, off, s[0:3], 0 offset:332
	buffer_load_dword v147, off, s[0:3], 0 offset:352
	;; [unrolled: 1-line block ×8, first 2 shown]
	s_waitcnt vmcnt(24) lgkmcnt(0)
	v_fma_f64 v[127:128], v[149:150], v[131:132], v[127:128]
	s_waitcnt vmcnt(19)
	v_fma_f64 v[135:136], v[135:136], v[133:134], v[127:128]
	ds_read_b128 v[127:130], v126 offset:768
	ds_read_b128 v[131:134], v126 offset:784
	s_waitcnt vmcnt(18) lgkmcnt(1)
	v_fma_f64 v[127:128], v[159:160], v[127:128], v[135:136]
	s_waitcnt vmcnt(17)
	v_fma_f64 v[127:128], v[157:158], v[129:130], v[127:128]
	buffer_load_dword v136, off, s[0:3], 0 offset:364
	buffer_load_dword v149, off, s[0:3], 0 offset:384
	;; [unrolled: 1-line block ×7, first 2 shown]
	s_waitcnt vmcnt(23) lgkmcnt(0)
	v_fma_f64 v[127:128], v[151:152], v[131:132], v[127:128]
	s_waitcnt vmcnt(18)
	v_fma_f64 v[137:138], v[137:138], v[133:134], v[127:128]
	ds_read_b128 v[127:130], v126 offset:800
	ds_read_b128 v[131:134], v126 offset:816
	buffer_load_dword v150, off, s[0:3], 0 offset:388
	s_waitcnt vmcnt(18) lgkmcnt(1)
	v_fma_f64 v[127:128], v[145:146], v[127:128], v[137:138]
	s_waitcnt vmcnt(17)
	v_fma_f64 v[127:128], v[143:144], v[129:130], v[127:128]
	buffer_load_dword v138, off, s[0:3], 0 offset:396
	buffer_load_dword v143, off, s[0:3], 0 offset:416
	buffer_load_dword v145, off, s[0:3], 0 offset:408
	buffer_load_dword v151, off, s[0:3], 0 offset:400
	buffer_load_dword v137, off, s[0:3], 0 offset:392
	buffer_load_dword v152, off, s[0:3], 0 offset:404
	buffer_load_dword v146, off, s[0:3], 0 offset:412
	buffer_load_dword v144, off, s[0:3], 0 offset:420
	s_waitcnt vmcnt(24) lgkmcnt(0)
	v_fma_f64 v[127:128], v[139:140], v[131:132], v[127:128]
	s_waitcnt vmcnt(19)
	v_fma_f64 v[139:140], v[141:142], v[133:134], v[127:128]
	ds_read_b128 v[127:130], v126 offset:832
	ds_read_b128 v[131:134], v126 offset:848
	s_waitcnt vmcnt(18) lgkmcnt(1)
	v_fma_f64 v[127:128], v[155:156], v[127:128], v[139:140]
	s_waitcnt vmcnt(17)
	v_fma_f64 v[127:128], v[153:154], v[129:130], v[127:128]
	buffer_load_dword v140, off, s[0:3], 0 offset:428
	buffer_load_dword v141, off, s[0:3], 0 offset:448
	buffer_load_dword v153, off, s[0:3], 0 offset:440
	buffer_load_dword v155, off, s[0:3], 0 offset:432
	buffer_load_dword v139, off, s[0:3], 0 offset:424
	buffer_load_dword v156, off, s[0:3], 0 offset:436
	buffer_load_dword v154, off, s[0:3], 0 offset:444
	buffer_load_dword v142, off, s[0:3], 0 offset:452
	s_waitcnt vmcnt(24) lgkmcnt(0)
	v_fma_f64 v[127:128], v[147:148], v[131:132], v[127:128]
	s_waitcnt vmcnt(19)
	v_fma_f64 v[135:136], v[135:136], v[133:134], v[127:128]
	ds_read_b128 v[127:130], v126 offset:864
	ds_read_b128 v[131:134], v126 offset:880
	;; [unrolled: 18-line block ×3, first 2 shown]
	s_waitcnt vmcnt(18) lgkmcnt(1)
	v_fma_f64 v[127:128], v[151:152], v[127:128], v[137:138]
	buffer_load_dword v138, off, s[0:3], 0 offset:492
	buffer_load_dword v137, off, s[0:3], 0 offset:488
	s_waitcnt vmcnt(19)
	v_fma_f64 v[127:128], v[145:146], v[129:130], v[127:128]
	buffer_load_dword v145, off, s[0:3], 0 offset:72
	buffer_load_dword v146, off, s[0:3], 0 offset:76
	s_waitcnt vmcnt(20) lgkmcnt(0)
	v_fma_f64 v[127:128], v[143:144], v[131:132], v[127:128]
	s_waitcnt vmcnt(15)
	v_fma_f64 v[139:140], v[139:140], v[133:134], v[127:128]
	ds_read_b128 v[127:130], v126 offset:928
	ds_read_b128 v[131:134], v126 offset:944
	s_waitcnt vmcnt(14) lgkmcnt(1)
	v_fma_f64 v[127:128], v[155:156], v[127:128], v[139:140]
	s_waitcnt vmcnt(13)
	v_fma_f64 v[127:128], v[153:154], v[129:130], v[127:128]
	s_waitcnt vmcnt(12) lgkmcnt(0)
	v_fma_f64 v[127:128], v[141:142], v[131:132], v[127:128]
	s_waitcnt vmcnt(7)
	v_fma_f64 v[135:136], v[135:136], v[133:134], v[127:128]
	ds_read_b128 v[127:130], v126 offset:960
	ds_read_b128 v[131:134], v126 offset:976
	s_waitcnt vmcnt(6) lgkmcnt(1)
	v_fma_f64 v[126:127], v[159:160], v[127:128], v[135:136]
	s_waitcnt vmcnt(5)
	v_fma_f64 v[126:127], v[157:158], v[129:130], v[126:127]
	s_waitcnt vmcnt(4) lgkmcnt(0)
	v_fma_f64 v[126:127], v[147:148], v[131:132], v[126:127]
	s_waitcnt vmcnt(2)
	v_fma_f64 v[126:127], v[137:138], v[133:134], v[126:127]
	s_waitcnt vmcnt(0)
	v_add_f64 v[126:127], v[145:146], -v[126:127]
	buffer_store_dword v127, off, s[0:3], 0 offset:76
	buffer_store_dword v126, off, s[0:3], 0 offset:72
	s_and_saveexec_b64 s[4:5], vcc
	s_cbranch_execz .LBB125_363
; %bb.362:
	buffer_load_dword v126, off, s[0:3], 0 offset:64
	buffer_load_dword v127, off, s[0:3], 0 offset:68
	v_mov_b32_e32 v128, 0
	buffer_store_dword v128, off, s[0:3], 0 offset:64
	buffer_store_dword v128, off, s[0:3], 0 offset:68
	s_waitcnt vmcnt(2)
	ds_write_b64 v125, v[126:127]
.LBB125_363:
	s_or_b64 exec, exec, s[4:5]
	s_waitcnt lgkmcnt(0)
	; wave barrier
	buffer_load_dword v135, off, s[0:3], 0 offset:72
	buffer_load_dword v136, off, s[0:3], 0 offset:76
	;; [unrolled: 1-line block ×22, first 2 shown]
	v_mov_b32_e32 v126, 0
	ds_read2_b64 v[127:130], v126 offset0:71 offset1:72
	ds_read2_b64 v[131:134], v126 offset0:73 offset1:74
	v_cmp_lt_u32_e32 vcc, 7, v0
	s_waitcnt vmcnt(20) lgkmcnt(1)
	v_fma_f64 v[127:128], v[135:136], v[127:128], 0
	s_waitcnt vmcnt(18)
	v_fma_f64 v[127:128], v[137:138], v[129:130], v[127:128]
	buffer_load_dword v136, off, s[0:3], 0 offset:164
	buffer_load_dword v137, off, s[0:3], 0 offset:184
	;; [unrolled: 1-line block ×7, first 2 shown]
	s_waitcnt vmcnt(23) lgkmcnt(0)
	v_fma_f64 v[127:128], v[139:140], v[131:132], v[127:128]
	s_waitcnt vmcnt(21)
	v_fma_f64 v[138:139], v[141:142], v[133:134], v[127:128]
	ds_read2_b64 v[127:130], v126 offset0:75 offset1:76
	ds_read2_b64 v[131:134], v126 offset0:77 offset1:78
	s_waitcnt vmcnt(19) lgkmcnt(1)
	v_fma_f64 v[127:128], v[143:144], v[127:128], v[138:139]
	buffer_load_dword v138, off, s[0:3], 0 offset:188
	s_waitcnt vmcnt(18)
	v_fma_f64 v[127:128], v[145:146], v[129:130], v[127:128]
	buffer_load_dword v140, off, s[0:3], 0 offset:196
	buffer_load_dword v141, off, s[0:3], 0 offset:216
	buffer_load_dword v143, off, s[0:3], 0 offset:208
	buffer_load_dword v145, off, s[0:3], 0 offset:200
	buffer_load_dword v139, off, s[0:3], 0 offset:192
	buffer_load_dword v146, off, s[0:3], 0 offset:204
	buffer_load_dword v144, off, s[0:3], 0 offset:212
	s_waitcnt vmcnt(23) lgkmcnt(0)
	v_fma_f64 v[127:128], v[147:148], v[131:132], v[127:128]
	s_waitcnt vmcnt(18)
	v_fma_f64 v[147:148], v[149:150], v[133:134], v[127:128]
	ds_read2_b64 v[127:130], v126 offset0:79 offset1:80
	ds_read2_b64 v[131:134], v126 offset0:81 offset1:82
	buffer_load_dword v142, off, s[0:3], 0 offset:220
	s_waitcnt vmcnt(18) lgkmcnt(1)
	v_fma_f64 v[127:128], v[155:156], v[127:128], v[147:148]
	s_waitcnt vmcnt(17)
	v_fma_f64 v[127:128], v[153:154], v[129:130], v[127:128]
	buffer_load_dword v148, off, s[0:3], 0 offset:228
	buffer_load_dword v149, off, s[0:3], 0 offset:248
	;; [unrolled: 1-line block ×8, first 2 shown]
	s_waitcnt vmcnt(24) lgkmcnt(0)
	v_fma_f64 v[127:128], v[151:152], v[131:132], v[127:128]
	s_waitcnt vmcnt(19)
	v_fma_f64 v[135:136], v[135:136], v[133:134], v[127:128]
	ds_read2_b64 v[127:130], v126 offset0:83 offset1:84
	ds_read2_b64 v[131:134], v126 offset0:85 offset1:86
	s_waitcnt vmcnt(18) lgkmcnt(1)
	v_fma_f64 v[127:128], v[159:160], v[127:128], v[135:136]
	s_waitcnt vmcnt(17)
	v_fma_f64 v[127:128], v[157:158], v[129:130], v[127:128]
	buffer_load_dword v136, off, s[0:3], 0 offset:260
	buffer_load_dword v151, off, s[0:3], 0 offset:280
	;; [unrolled: 1-line block ×7, first 2 shown]
	s_waitcnt vmcnt(23) lgkmcnt(0)
	v_fma_f64 v[127:128], v[137:138], v[131:132], v[127:128]
	s_waitcnt vmcnt(18)
	v_fma_f64 v[137:138], v[139:140], v[133:134], v[127:128]
	ds_read2_b64 v[127:130], v126 offset0:87 offset1:88
	ds_read2_b64 v[131:134], v126 offset0:89 offset1:90
	buffer_load_dword v152, off, s[0:3], 0 offset:284
	s_waitcnt vmcnt(18) lgkmcnt(1)
	v_fma_f64 v[127:128], v[145:146], v[127:128], v[137:138]
	s_waitcnt vmcnt(17)
	v_fma_f64 v[127:128], v[143:144], v[129:130], v[127:128]
	buffer_load_dword v138, off, s[0:3], 0 offset:292
	buffer_load_dword v139, off, s[0:3], 0 offset:312
	;; [unrolled: 1-line block ×7, first 2 shown]
	s_waitcnt vmcnt(23) lgkmcnt(0)
	v_fma_f64 v[127:128], v[141:142], v[131:132], v[127:128]
	s_waitcnt vmcnt(18)
	v_fma_f64 v[140:141], v[147:148], v[133:134], v[127:128]
	ds_read2_b64 v[127:130], v126 offset0:91 offset1:92
	ds_read2_b64 v[131:134], v126 offset0:93 offset1:94
	s_waitcnt vmcnt(17) lgkmcnt(1)
	v_fma_f64 v[127:128], v[155:156], v[127:128], v[140:141]
	buffer_load_dword v140, off, s[0:3], 0 offset:316
	s_waitcnt vmcnt(17)
	v_fma_f64 v[127:128], v[153:154], v[129:130], v[127:128]
	buffer_load_dword v142, off, s[0:3], 0 offset:324
	buffer_load_dword v147, off, s[0:3], 0 offset:344
	;; [unrolled: 1-line block ×8, first 2 shown]
	s_waitcnt vmcnt(24) lgkmcnt(0)
	v_fma_f64 v[127:128], v[149:150], v[131:132], v[127:128]
	s_waitcnt vmcnt(19)
	v_fma_f64 v[135:136], v[135:136], v[133:134], v[127:128]
	ds_read2_b64 v[127:130], v126 offset0:95 offset1:96
	ds_read2_b64 v[131:134], v126 offset0:97 offset1:98
	s_waitcnt vmcnt(18) lgkmcnt(1)
	v_fma_f64 v[127:128], v[159:160], v[127:128], v[135:136]
	s_waitcnt vmcnt(17)
	v_fma_f64 v[127:128], v[157:158], v[129:130], v[127:128]
	buffer_load_dword v136, off, s[0:3], 0 offset:356
	buffer_load_dword v149, off, s[0:3], 0 offset:376
	buffer_load_dword v157, off, s[0:3], 0 offset:368
	buffer_load_dword v159, off, s[0:3], 0 offset:360
	buffer_load_dword v135, off, s[0:3], 0 offset:352
	buffer_load_dword v160, off, s[0:3], 0 offset:364
	buffer_load_dword v158, off, s[0:3], 0 offset:372
	s_waitcnt vmcnt(23) lgkmcnt(0)
	v_fma_f64 v[127:128], v[151:152], v[131:132], v[127:128]
	s_waitcnt vmcnt(18)
	v_fma_f64 v[137:138], v[137:138], v[133:134], v[127:128]
	ds_read2_b64 v[127:130], v126 offset0:99 offset1:100
	ds_read2_b64 v[131:134], v126 offset0:101 offset1:102
	buffer_load_dword v150, off, s[0:3], 0 offset:380
	s_waitcnt vmcnt(18) lgkmcnt(1)
	v_fma_f64 v[127:128], v[145:146], v[127:128], v[137:138]
	s_waitcnt vmcnt(17)
	v_fma_f64 v[127:128], v[143:144], v[129:130], v[127:128]
	buffer_load_dword v138, off, s[0:3], 0 offset:388
	buffer_load_dword v143, off, s[0:3], 0 offset:408
	;; [unrolled: 1-line block ×7, first 2 shown]
	s_waitcnt vmcnt(23) lgkmcnt(0)
	v_fma_f64 v[127:128], v[139:140], v[131:132], v[127:128]
	s_waitcnt vmcnt(18)
	v_fma_f64 v[139:140], v[141:142], v[133:134], v[127:128]
	ds_read2_b64 v[127:130], v126 offset0:103 offset1:104
	ds_read2_b64 v[131:134], v126 offset0:105 offset1:106
	buffer_load_dword v144, off, s[0:3], 0 offset:412
	s_waitcnt vmcnt(18) lgkmcnt(1)
	v_fma_f64 v[127:128], v[155:156], v[127:128], v[139:140]
	s_waitcnt vmcnt(17)
	v_fma_f64 v[127:128], v[153:154], v[129:130], v[127:128]
	buffer_load_dword v140, off, s[0:3], 0 offset:420
	buffer_load_dword v141, off, s[0:3], 0 offset:440
	;; [unrolled: 1-line block ×8, first 2 shown]
	s_waitcnt vmcnt(24) lgkmcnt(0)
	v_fma_f64 v[127:128], v[147:148], v[131:132], v[127:128]
	s_waitcnt vmcnt(19)
	v_fma_f64 v[135:136], v[135:136], v[133:134], v[127:128]
	ds_read2_b64 v[127:130], v126 offset0:107 offset1:108
	ds_read2_b64 v[131:134], v126 offset0:109 offset1:110
	s_waitcnt vmcnt(18) lgkmcnt(1)
	v_fma_f64 v[127:128], v[159:160], v[127:128], v[135:136]
	s_waitcnt vmcnt(17)
	v_fma_f64 v[127:128], v[157:158], v[129:130], v[127:128]
	buffer_load_dword v136, off, s[0:3], 0 offset:452
	buffer_load_dword v147, off, s[0:3], 0 offset:472
	;; [unrolled: 1-line block ×7, first 2 shown]
	s_waitcnt vmcnt(23) lgkmcnt(0)
	v_fma_f64 v[127:128], v[149:150], v[131:132], v[127:128]
	s_waitcnt vmcnt(18)
	v_fma_f64 v[137:138], v[137:138], v[133:134], v[127:128]
	ds_read2_b64 v[127:130], v126 offset0:111 offset1:112
	ds_read2_b64 v[131:134], v126 offset0:113 offset1:114
	buffer_load_dword v148, off, s[0:3], 0 offset:476
	s_waitcnt vmcnt(18) lgkmcnt(1)
	v_fma_f64 v[127:128], v[151:152], v[127:128], v[137:138]
	s_waitcnt vmcnt(17)
	v_fma_f64 v[127:128], v[145:146], v[129:130], v[127:128]
	buffer_load_dword v138, off, s[0:3], 0 offset:484
	buffer_load_dword v145, off, s[0:3], 0 offset:488
	;; [unrolled: 1-line block ×4, first 2 shown]
	s_waitcnt vmcnt(20) lgkmcnt(0)
	v_fma_f64 v[127:128], v[143:144], v[131:132], v[127:128]
	buffer_load_dword v143, off, s[0:3], 0 offset:64
	buffer_load_dword v144, off, s[0:3], 0 offset:68
	s_waitcnt vmcnt(17)
	v_fma_f64 v[139:140], v[139:140], v[133:134], v[127:128]
	ds_read2_b64 v[127:130], v126 offset0:115 offset1:116
	ds_read2_b64 v[131:134], v126 offset0:117 offset1:118
	s_waitcnt vmcnt(16) lgkmcnt(1)
	v_fma_f64 v[127:128], v[155:156], v[127:128], v[139:140]
	s_waitcnt vmcnt(15)
	v_fma_f64 v[127:128], v[153:154], v[129:130], v[127:128]
	s_waitcnt vmcnt(14) lgkmcnt(0)
	v_fma_f64 v[127:128], v[141:142], v[131:132], v[127:128]
	s_waitcnt vmcnt(9)
	v_fma_f64 v[135:136], v[135:136], v[133:134], v[127:128]
	ds_read2_b64 v[127:130], v126 offset0:119 offset1:120
	ds_read2_b64 v[131:134], v126 offset0:121 offset1:122
	s_waitcnt vmcnt(8) lgkmcnt(1)
	v_fma_f64 v[127:128], v[159:160], v[127:128], v[135:136]
	s_waitcnt vmcnt(7)
	v_fma_f64 v[127:128], v[157:158], v[129:130], v[127:128]
	ds_read_b64 v[129:130], v126 offset:984
	s_waitcnt vmcnt(6) lgkmcnt(1)
	v_fma_f64 v[127:128], v[147:148], v[131:132], v[127:128]
	s_waitcnt vmcnt(3)
	v_fma_f64 v[127:128], v[137:138], v[133:134], v[127:128]
	s_waitcnt vmcnt(2) lgkmcnt(0)
	v_fma_f64 v[127:128], v[145:146], v[129:130], v[127:128]
	s_waitcnt vmcnt(0)
	v_add_f64 v[127:128], v[143:144], -v[127:128]
	buffer_store_dword v128, off, s[0:3], 0 offset:68
	buffer_store_dword v127, off, s[0:3], 0 offset:64
	s_and_saveexec_b64 s[4:5], vcc
	s_cbranch_execz .LBB125_365
; %bb.364:
	buffer_load_dword v127, off, s[0:3], 0 offset:56
	buffer_load_dword v128, off, s[0:3], 0 offset:60
	s_waitcnt vmcnt(0)
	ds_write_b64 v125, v[127:128]
	buffer_store_dword v126, off, s[0:3], 0 offset:56
	buffer_store_dword v126, off, s[0:3], 0 offset:60
.LBB125_365:
	s_or_b64 exec, exec, s[4:5]
	s_waitcnt lgkmcnt(0)
	; wave barrier
	buffer_load_dword v135, off, s[0:3], 0 offset:64
	buffer_load_dword v136, off, s[0:3], 0 offset:68
	;; [unrolled: 1-line block ×22, first 2 shown]
	ds_read_b128 v[127:130], v126 offset:560
	ds_read_b128 v[131:134], v126 offset:576
	v_cmp_lt_u32_e32 vcc, 6, v0
	s_waitcnt vmcnt(20) lgkmcnt(1)
	v_fma_f64 v[127:128], v[135:136], v[127:128], 0
	s_waitcnt vmcnt(18)
	v_fma_f64 v[127:128], v[137:138], v[129:130], v[127:128]
	buffer_load_dword v136, off, s[0:3], 0 offset:156
	buffer_load_dword v137, off, s[0:3], 0 offset:176
	;; [unrolled: 1-line block ×7, first 2 shown]
	s_waitcnt vmcnt(23) lgkmcnt(0)
	v_fma_f64 v[127:128], v[139:140], v[131:132], v[127:128]
	s_waitcnt vmcnt(21)
	v_fma_f64 v[138:139], v[141:142], v[133:134], v[127:128]
	ds_read_b128 v[127:130], v126 offset:592
	ds_read_b128 v[131:134], v126 offset:608
	s_waitcnt vmcnt(19) lgkmcnt(1)
	v_fma_f64 v[127:128], v[143:144], v[127:128], v[138:139]
	buffer_load_dword v138, off, s[0:3], 0 offset:180
	s_waitcnt vmcnt(18)
	v_fma_f64 v[127:128], v[145:146], v[129:130], v[127:128]
	buffer_load_dword v140, off, s[0:3], 0 offset:188
	buffer_load_dword v141, off, s[0:3], 0 offset:208
	;; [unrolled: 1-line block ×7, first 2 shown]
	s_waitcnt vmcnt(23) lgkmcnt(0)
	v_fma_f64 v[127:128], v[147:148], v[131:132], v[127:128]
	s_waitcnt vmcnt(18)
	v_fma_f64 v[147:148], v[149:150], v[133:134], v[127:128]
	ds_read_b128 v[127:130], v126 offset:624
	ds_read_b128 v[131:134], v126 offset:640
	buffer_load_dword v142, off, s[0:3], 0 offset:212
	s_waitcnt vmcnt(18) lgkmcnt(1)
	v_fma_f64 v[127:128], v[155:156], v[127:128], v[147:148]
	s_waitcnt vmcnt(17)
	v_fma_f64 v[127:128], v[153:154], v[129:130], v[127:128]
	buffer_load_dword v148, off, s[0:3], 0 offset:220
	buffer_load_dword v149, off, s[0:3], 0 offset:240
	;; [unrolled: 1-line block ×8, first 2 shown]
	s_waitcnt vmcnt(24) lgkmcnt(0)
	v_fma_f64 v[127:128], v[151:152], v[131:132], v[127:128]
	s_waitcnt vmcnt(19)
	v_fma_f64 v[135:136], v[135:136], v[133:134], v[127:128]
	ds_read_b128 v[127:130], v126 offset:656
	ds_read_b128 v[131:134], v126 offset:672
	s_waitcnt vmcnt(18) lgkmcnt(1)
	v_fma_f64 v[127:128], v[159:160], v[127:128], v[135:136]
	s_waitcnt vmcnt(17)
	v_fma_f64 v[127:128], v[157:158], v[129:130], v[127:128]
	buffer_load_dword v136, off, s[0:3], 0 offset:252
	buffer_load_dword v151, off, s[0:3], 0 offset:272
	;; [unrolled: 1-line block ×8, first 2 shown]
	s_waitcnt vmcnt(24) lgkmcnt(0)
	v_fma_f64 v[127:128], v[137:138], v[131:132], v[127:128]
	s_waitcnt vmcnt(19)
	v_fma_f64 v[137:138], v[139:140], v[133:134], v[127:128]
	ds_read_b128 v[127:130], v126 offset:688
	ds_read_b128 v[131:134], v126 offset:704
	s_waitcnt vmcnt(18) lgkmcnt(1)
	v_fma_f64 v[127:128], v[145:146], v[127:128], v[137:138]
	s_waitcnt vmcnt(17)
	v_fma_f64 v[127:128], v[143:144], v[129:130], v[127:128]
	buffer_load_dword v138, off, s[0:3], 0 offset:284
	buffer_load_dword v139, off, s[0:3], 0 offset:304
	;; [unrolled: 1-line block ×7, first 2 shown]
	s_waitcnt vmcnt(23) lgkmcnt(0)
	v_fma_f64 v[127:128], v[141:142], v[131:132], v[127:128]
	s_waitcnt vmcnt(18)
	v_fma_f64 v[140:141], v[147:148], v[133:134], v[127:128]
	ds_read_b128 v[127:130], v126 offset:720
	ds_read_b128 v[131:134], v126 offset:736
	s_waitcnt vmcnt(17) lgkmcnt(1)
	v_fma_f64 v[127:128], v[155:156], v[127:128], v[140:141]
	buffer_load_dword v140, off, s[0:3], 0 offset:308
	s_waitcnt vmcnt(17)
	v_fma_f64 v[127:128], v[153:154], v[129:130], v[127:128]
	buffer_load_dword v142, off, s[0:3], 0 offset:316
	buffer_load_dword v147, off, s[0:3], 0 offset:336
	buffer_load_dword v153, off, s[0:3], 0 offset:328
	buffer_load_dword v155, off, s[0:3], 0 offset:320
	buffer_load_dword v141, off, s[0:3], 0 offset:312
	buffer_load_dword v156, off, s[0:3], 0 offset:324
	buffer_load_dword v154, off, s[0:3], 0 offset:332
	buffer_load_dword v148, off, s[0:3], 0 offset:340
	s_waitcnt vmcnt(24) lgkmcnt(0)
	v_fma_f64 v[127:128], v[149:150], v[131:132], v[127:128]
	s_waitcnt vmcnt(19)
	v_fma_f64 v[135:136], v[135:136], v[133:134], v[127:128]
	ds_read_b128 v[127:130], v126 offset:752
	ds_read_b128 v[131:134], v126 offset:768
	s_waitcnt vmcnt(18) lgkmcnt(1)
	v_fma_f64 v[127:128], v[159:160], v[127:128], v[135:136]
	s_waitcnt vmcnt(17)
	v_fma_f64 v[127:128], v[157:158], v[129:130], v[127:128]
	buffer_load_dword v136, off, s[0:3], 0 offset:348
	buffer_load_dword v149, off, s[0:3], 0 offset:368
	;; [unrolled: 1-line block ×8, first 2 shown]
	s_waitcnt vmcnt(24) lgkmcnt(0)
	v_fma_f64 v[127:128], v[151:152], v[131:132], v[127:128]
	s_waitcnt vmcnt(19)
	v_fma_f64 v[137:138], v[137:138], v[133:134], v[127:128]
	ds_read_b128 v[127:130], v126 offset:784
	ds_read_b128 v[131:134], v126 offset:800
	s_waitcnt vmcnt(18) lgkmcnt(1)
	v_fma_f64 v[127:128], v[145:146], v[127:128], v[137:138]
	s_waitcnt vmcnt(17)
	v_fma_f64 v[127:128], v[143:144], v[129:130], v[127:128]
	buffer_load_dword v138, off, s[0:3], 0 offset:380
	buffer_load_dword v143, off, s[0:3], 0 offset:400
	;; [unrolled: 1-line block ×7, first 2 shown]
	s_waitcnt vmcnt(23) lgkmcnt(0)
	v_fma_f64 v[127:128], v[139:140], v[131:132], v[127:128]
	s_waitcnt vmcnt(18)
	v_fma_f64 v[139:140], v[141:142], v[133:134], v[127:128]
	ds_read_b128 v[127:130], v126 offset:816
	ds_read_b128 v[131:134], v126 offset:832
	buffer_load_dword v144, off, s[0:3], 0 offset:404
	s_waitcnt vmcnt(18) lgkmcnt(1)
	v_fma_f64 v[127:128], v[155:156], v[127:128], v[139:140]
	s_waitcnt vmcnt(17)
	v_fma_f64 v[127:128], v[153:154], v[129:130], v[127:128]
	buffer_load_dword v140, off, s[0:3], 0 offset:412
	buffer_load_dword v141, off, s[0:3], 0 offset:432
	;; [unrolled: 1-line block ×8, first 2 shown]
	s_waitcnt vmcnt(24) lgkmcnt(0)
	v_fma_f64 v[127:128], v[147:148], v[131:132], v[127:128]
	s_waitcnt vmcnt(19)
	v_fma_f64 v[135:136], v[135:136], v[133:134], v[127:128]
	ds_read_b128 v[127:130], v126 offset:848
	ds_read_b128 v[131:134], v126 offset:864
	s_waitcnt vmcnt(18) lgkmcnt(1)
	v_fma_f64 v[127:128], v[159:160], v[127:128], v[135:136]
	s_waitcnt vmcnt(17)
	v_fma_f64 v[127:128], v[157:158], v[129:130], v[127:128]
	buffer_load_dword v136, off, s[0:3], 0 offset:444
	buffer_load_dword v147, off, s[0:3], 0 offset:464
	;; [unrolled: 1-line block ×8, first 2 shown]
	s_waitcnt vmcnt(24) lgkmcnt(0)
	v_fma_f64 v[127:128], v[149:150], v[131:132], v[127:128]
	s_waitcnt vmcnt(19)
	v_fma_f64 v[137:138], v[137:138], v[133:134], v[127:128]
	ds_read_b128 v[127:130], v126 offset:880
	ds_read_b128 v[131:134], v126 offset:896
	s_waitcnt vmcnt(18) lgkmcnt(1)
	v_fma_f64 v[127:128], v[151:152], v[127:128], v[137:138]
	s_waitcnt vmcnt(17)
	v_fma_f64 v[127:128], v[145:146], v[129:130], v[127:128]
	buffer_load_dword v138, off, s[0:3], 0 offset:476
	buffer_load_dword v145, off, s[0:3], 0 offset:488
	buffer_load_dword v149, off, s[0:3], 0 offset:480
	buffer_load_dword v137, off, s[0:3], 0 offset:472
	buffer_load_dword v150, off, s[0:3], 0 offset:484
	buffer_load_dword v146, off, s[0:3], 0 offset:492
	s_waitcnt vmcnt(22) lgkmcnt(0)
	v_fma_f64 v[127:128], v[143:144], v[131:132], v[127:128]
	s_waitcnt vmcnt(17)
	v_fma_f64 v[139:140], v[139:140], v[133:134], v[127:128]
	ds_read_b128 v[127:130], v126 offset:912
	buffer_load_dword v143, off, s[0:3], 0 offset:56
	buffer_load_dword v144, off, s[0:3], 0 offset:60
	ds_read_b128 v[131:134], v126 offset:928
	s_waitcnt vmcnt(18) lgkmcnt(1)
	v_fma_f64 v[127:128], v[155:156], v[127:128], v[139:140]
	s_waitcnt vmcnt(17)
	v_fma_f64 v[127:128], v[153:154], v[129:130], v[127:128]
	s_waitcnt vmcnt(16) lgkmcnt(0)
	v_fma_f64 v[127:128], v[141:142], v[131:132], v[127:128]
	s_waitcnt vmcnt(11)
	v_fma_f64 v[135:136], v[135:136], v[133:134], v[127:128]
	ds_read_b128 v[127:130], v126 offset:944
	ds_read_b128 v[131:134], v126 offset:960
	s_waitcnt vmcnt(10) lgkmcnt(1)
	v_fma_f64 v[127:128], v[159:160], v[127:128], v[135:136]
	s_waitcnt vmcnt(9)
	v_fma_f64 v[127:128], v[157:158], v[129:130], v[127:128]
	s_waitcnt vmcnt(8) lgkmcnt(0)
	v_fma_f64 v[127:128], v[147:148], v[131:132], v[127:128]
	s_waitcnt vmcnt(4)
	v_fma_f64 v[130:131], v[137:138], v[133:134], v[127:128]
	ds_read_b128 v[126:129], v126 offset:976
	s_waitcnt vmcnt(3) lgkmcnt(0)
	v_fma_f64 v[126:127], v[149:150], v[126:127], v[130:131]
	s_waitcnt vmcnt(2)
	v_fma_f64 v[126:127], v[145:146], v[128:129], v[126:127]
	s_waitcnt vmcnt(0)
	v_add_f64 v[126:127], v[143:144], -v[126:127]
	buffer_store_dword v127, off, s[0:3], 0 offset:60
	buffer_store_dword v126, off, s[0:3], 0 offset:56
	s_and_saveexec_b64 s[4:5], vcc
	s_cbranch_execz .LBB125_367
; %bb.366:
	buffer_load_dword v126, off, s[0:3], 0 offset:48
	buffer_load_dword v127, off, s[0:3], 0 offset:52
	v_mov_b32_e32 v128, 0
	buffer_store_dword v128, off, s[0:3], 0 offset:48
	buffer_store_dword v128, off, s[0:3], 0 offset:52
	s_waitcnt vmcnt(2)
	ds_write_b64 v125, v[126:127]
.LBB125_367:
	s_or_b64 exec, exec, s[4:5]
	s_waitcnt lgkmcnt(0)
	; wave barrier
	buffer_load_dword v135, off, s[0:3], 0 offset:56
	buffer_load_dword v136, off, s[0:3], 0 offset:60
	;; [unrolled: 1-line block ×22, first 2 shown]
	v_mov_b32_e32 v126, 0
	ds_read2_b64 v[127:130], v126 offset0:69 offset1:70
	ds_read2_b64 v[131:134], v126 offset0:71 offset1:72
	v_cmp_lt_u32_e32 vcc, 5, v0
	s_waitcnt vmcnt(20) lgkmcnt(1)
	v_fma_f64 v[127:128], v[135:136], v[127:128], 0
	s_waitcnt vmcnt(18)
	v_fma_f64 v[127:128], v[137:138], v[129:130], v[127:128]
	buffer_load_dword v136, off, s[0:3], 0 offset:148
	buffer_load_dword v137, off, s[0:3], 0 offset:168
	buffer_load_dword v157, off, s[0:3], 0 offset:160
	buffer_load_dword v159, off, s[0:3], 0 offset:152
	buffer_load_dword v135, off, s[0:3], 0 offset:144
	buffer_load_dword v160, off, s[0:3], 0 offset:156
	buffer_load_dword v158, off, s[0:3], 0 offset:164
	s_waitcnt vmcnt(23) lgkmcnt(0)
	v_fma_f64 v[127:128], v[139:140], v[131:132], v[127:128]
	s_waitcnt vmcnt(21)
	v_fma_f64 v[138:139], v[141:142], v[133:134], v[127:128]
	ds_read2_b64 v[127:130], v126 offset0:73 offset1:74
	ds_read2_b64 v[131:134], v126 offset0:75 offset1:76
	s_waitcnt vmcnt(19) lgkmcnt(1)
	v_fma_f64 v[127:128], v[143:144], v[127:128], v[138:139]
	buffer_load_dword v138, off, s[0:3], 0 offset:172
	s_waitcnt vmcnt(18)
	v_fma_f64 v[127:128], v[145:146], v[129:130], v[127:128]
	buffer_load_dword v140, off, s[0:3], 0 offset:180
	buffer_load_dword v141, off, s[0:3], 0 offset:200
	;; [unrolled: 1-line block ×7, first 2 shown]
	s_waitcnt vmcnt(23) lgkmcnt(0)
	v_fma_f64 v[127:128], v[147:148], v[131:132], v[127:128]
	s_waitcnt vmcnt(18)
	v_fma_f64 v[147:148], v[149:150], v[133:134], v[127:128]
	ds_read2_b64 v[127:130], v126 offset0:77 offset1:78
	ds_read2_b64 v[131:134], v126 offset0:79 offset1:80
	buffer_load_dword v142, off, s[0:3], 0 offset:204
	s_waitcnt vmcnt(18) lgkmcnt(1)
	v_fma_f64 v[127:128], v[155:156], v[127:128], v[147:148]
	s_waitcnt vmcnt(17)
	v_fma_f64 v[127:128], v[153:154], v[129:130], v[127:128]
	buffer_load_dword v148, off, s[0:3], 0 offset:212
	buffer_load_dword v149, off, s[0:3], 0 offset:232
	;; [unrolled: 1-line block ×8, first 2 shown]
	s_waitcnt vmcnt(24) lgkmcnt(0)
	v_fma_f64 v[127:128], v[151:152], v[131:132], v[127:128]
	s_waitcnt vmcnt(19)
	v_fma_f64 v[135:136], v[135:136], v[133:134], v[127:128]
	ds_read2_b64 v[127:130], v126 offset0:81 offset1:82
	ds_read2_b64 v[131:134], v126 offset0:83 offset1:84
	s_waitcnt vmcnt(18) lgkmcnt(1)
	v_fma_f64 v[127:128], v[159:160], v[127:128], v[135:136]
	s_waitcnt vmcnt(17)
	v_fma_f64 v[127:128], v[157:158], v[129:130], v[127:128]
	buffer_load_dword v136, off, s[0:3], 0 offset:244
	buffer_load_dword v151, off, s[0:3], 0 offset:264
	;; [unrolled: 1-line block ×8, first 2 shown]
	s_waitcnt vmcnt(24) lgkmcnt(0)
	v_fma_f64 v[127:128], v[137:138], v[131:132], v[127:128]
	s_waitcnt vmcnt(19)
	v_fma_f64 v[137:138], v[139:140], v[133:134], v[127:128]
	ds_read2_b64 v[127:130], v126 offset0:85 offset1:86
	ds_read2_b64 v[131:134], v126 offset0:87 offset1:88
	s_waitcnt vmcnt(18) lgkmcnt(1)
	v_fma_f64 v[127:128], v[145:146], v[127:128], v[137:138]
	s_waitcnt vmcnt(17)
	v_fma_f64 v[127:128], v[143:144], v[129:130], v[127:128]
	buffer_load_dword v138, off, s[0:3], 0 offset:276
	buffer_load_dword v139, off, s[0:3], 0 offset:296
	;; [unrolled: 1-line block ×7, first 2 shown]
	s_waitcnt vmcnt(23) lgkmcnt(0)
	v_fma_f64 v[127:128], v[141:142], v[131:132], v[127:128]
	s_waitcnt vmcnt(18)
	v_fma_f64 v[140:141], v[147:148], v[133:134], v[127:128]
	ds_read2_b64 v[127:130], v126 offset0:89 offset1:90
	ds_read2_b64 v[131:134], v126 offset0:91 offset1:92
	s_waitcnt vmcnt(17) lgkmcnt(1)
	v_fma_f64 v[127:128], v[155:156], v[127:128], v[140:141]
	buffer_load_dword v140, off, s[0:3], 0 offset:300
	s_waitcnt vmcnt(17)
	v_fma_f64 v[127:128], v[153:154], v[129:130], v[127:128]
	buffer_load_dword v142, off, s[0:3], 0 offset:308
	buffer_load_dword v147, off, s[0:3], 0 offset:328
	buffer_load_dword v153, off, s[0:3], 0 offset:320
	buffer_load_dword v155, off, s[0:3], 0 offset:312
	buffer_load_dword v141, off, s[0:3], 0 offset:304
	buffer_load_dword v156, off, s[0:3], 0 offset:316
	buffer_load_dword v154, off, s[0:3], 0 offset:324
	buffer_load_dword v148, off, s[0:3], 0 offset:332
	s_waitcnt vmcnt(24) lgkmcnt(0)
	v_fma_f64 v[127:128], v[149:150], v[131:132], v[127:128]
	s_waitcnt vmcnt(19)
	v_fma_f64 v[135:136], v[135:136], v[133:134], v[127:128]
	ds_read2_b64 v[127:130], v126 offset0:93 offset1:94
	ds_read2_b64 v[131:134], v126 offset0:95 offset1:96
	s_waitcnt vmcnt(18) lgkmcnt(1)
	v_fma_f64 v[127:128], v[159:160], v[127:128], v[135:136]
	s_waitcnt vmcnt(17)
	v_fma_f64 v[127:128], v[157:158], v[129:130], v[127:128]
	buffer_load_dword v136, off, s[0:3], 0 offset:340
	buffer_load_dword v149, off, s[0:3], 0 offset:360
	;; [unrolled: 1-line block ×8, first 2 shown]
	s_waitcnt vmcnt(24) lgkmcnt(0)
	v_fma_f64 v[127:128], v[151:152], v[131:132], v[127:128]
	s_waitcnt vmcnt(19)
	v_fma_f64 v[137:138], v[137:138], v[133:134], v[127:128]
	ds_read2_b64 v[127:130], v126 offset0:97 offset1:98
	ds_read2_b64 v[131:134], v126 offset0:99 offset1:100
	s_waitcnt vmcnt(18) lgkmcnt(1)
	v_fma_f64 v[127:128], v[145:146], v[127:128], v[137:138]
	s_waitcnt vmcnt(17)
	v_fma_f64 v[127:128], v[143:144], v[129:130], v[127:128]
	buffer_load_dword v138, off, s[0:3], 0 offset:372
	buffer_load_dword v143, off, s[0:3], 0 offset:392
	;; [unrolled: 1-line block ×7, first 2 shown]
	s_waitcnt vmcnt(23) lgkmcnt(0)
	v_fma_f64 v[127:128], v[139:140], v[131:132], v[127:128]
	s_waitcnt vmcnt(18)
	v_fma_f64 v[139:140], v[141:142], v[133:134], v[127:128]
	ds_read2_b64 v[127:130], v126 offset0:101 offset1:102
	ds_read2_b64 v[131:134], v126 offset0:103 offset1:104
	buffer_load_dword v144, off, s[0:3], 0 offset:396
	s_waitcnt vmcnt(18) lgkmcnt(1)
	v_fma_f64 v[127:128], v[155:156], v[127:128], v[139:140]
	s_waitcnt vmcnt(17)
	v_fma_f64 v[127:128], v[153:154], v[129:130], v[127:128]
	buffer_load_dword v140, off, s[0:3], 0 offset:404
	buffer_load_dword v141, off, s[0:3], 0 offset:424
	buffer_load_dword v153, off, s[0:3], 0 offset:416
	buffer_load_dword v155, off, s[0:3], 0 offset:408
	buffer_load_dword v139, off, s[0:3], 0 offset:400
	buffer_load_dword v156, off, s[0:3], 0 offset:412
	buffer_load_dword v154, off, s[0:3], 0 offset:420
	buffer_load_dword v142, off, s[0:3], 0 offset:428
	s_waitcnt vmcnt(24) lgkmcnt(0)
	v_fma_f64 v[127:128], v[147:148], v[131:132], v[127:128]
	s_waitcnt vmcnt(19)
	v_fma_f64 v[135:136], v[135:136], v[133:134], v[127:128]
	ds_read2_b64 v[127:130], v126 offset0:105 offset1:106
	ds_read2_b64 v[131:134], v126 offset0:107 offset1:108
	s_waitcnt vmcnt(18) lgkmcnt(1)
	v_fma_f64 v[127:128], v[159:160], v[127:128], v[135:136]
	s_waitcnt vmcnt(17)
	v_fma_f64 v[127:128], v[157:158], v[129:130], v[127:128]
	buffer_load_dword v136, off, s[0:3], 0 offset:436
	buffer_load_dword v147, off, s[0:3], 0 offset:456
	buffer_load_dword v157, off, s[0:3], 0 offset:448
	buffer_load_dword v159, off, s[0:3], 0 offset:440
	buffer_load_dword v135, off, s[0:3], 0 offset:432
	buffer_load_dword v160, off, s[0:3], 0 offset:444
	buffer_load_dword v158, off, s[0:3], 0 offset:452
	buffer_load_dword v148, off, s[0:3], 0 offset:460
	s_waitcnt vmcnt(24) lgkmcnt(0)
	v_fma_f64 v[127:128], v[149:150], v[131:132], v[127:128]
	s_waitcnt vmcnt(19)
	v_fma_f64 v[137:138], v[137:138], v[133:134], v[127:128]
	ds_read2_b64 v[127:130], v126 offset0:109 offset1:110
	ds_read2_b64 v[131:134], v126 offset0:111 offset1:112
	;; [unrolled: 18-line block ×3, first 2 shown]
	s_waitcnt vmcnt(18) lgkmcnt(1)
	v_fma_f64 v[127:128], v[155:156], v[127:128], v[139:140]
	buffer_load_dword v139, off, s[0:3], 0 offset:48
	buffer_load_dword v140, off, s[0:3], 0 offset:52
	s_waitcnt vmcnt(19)
	v_fma_f64 v[127:128], v[153:154], v[129:130], v[127:128]
	s_waitcnt vmcnt(18) lgkmcnt(0)
	v_fma_f64 v[127:128], v[141:142], v[131:132], v[127:128]
	s_waitcnt vmcnt(13)
	v_fma_f64 v[135:136], v[135:136], v[133:134], v[127:128]
	ds_read2_b64 v[127:130], v126 offset0:117 offset1:118
	ds_read2_b64 v[131:134], v126 offset0:119 offset1:120
	s_waitcnt vmcnt(12) lgkmcnt(1)
	v_fma_f64 v[127:128], v[159:160], v[127:128], v[135:136]
	s_waitcnt vmcnt(11)
	v_fma_f64 v[127:128], v[157:158], v[129:130], v[127:128]
	s_waitcnt vmcnt(10) lgkmcnt(0)
	v_fma_f64 v[127:128], v[147:148], v[131:132], v[127:128]
	s_waitcnt vmcnt(5)
	v_fma_f64 v[131:132], v[137:138], v[133:134], v[127:128]
	ds_read2_b64 v[127:130], v126 offset0:121 offset1:122
	ds_read_b64 v[133:134], v126 offset:984
	s_waitcnt vmcnt(4) lgkmcnt(1)
	v_fma_f64 v[127:128], v[151:152], v[127:128], v[131:132]
	s_waitcnt vmcnt(3)
	v_fma_f64 v[127:128], v[149:150], v[129:130], v[127:128]
	s_waitcnt vmcnt(2) lgkmcnt(0)
	v_fma_f64 v[127:128], v[145:146], v[133:134], v[127:128]
	s_waitcnt vmcnt(0)
	v_add_f64 v[127:128], v[139:140], -v[127:128]
	buffer_store_dword v128, off, s[0:3], 0 offset:52
	buffer_store_dword v127, off, s[0:3], 0 offset:48
	s_and_saveexec_b64 s[4:5], vcc
	s_cbranch_execz .LBB125_369
; %bb.368:
	buffer_load_dword v127, off, s[0:3], 0 offset:40
	buffer_load_dword v128, off, s[0:3], 0 offset:44
	s_waitcnt vmcnt(0)
	ds_write_b64 v125, v[127:128]
	buffer_store_dword v126, off, s[0:3], 0 offset:40
	buffer_store_dword v126, off, s[0:3], 0 offset:44
.LBB125_369:
	s_or_b64 exec, exec, s[4:5]
	s_waitcnt lgkmcnt(0)
	; wave barrier
	buffer_load_dword v135, off, s[0:3], 0 offset:48
	buffer_load_dword v136, off, s[0:3], 0 offset:52
	;; [unrolled: 1-line block ×22, first 2 shown]
	ds_read_b128 v[127:130], v126 offset:544
	ds_read_b128 v[131:134], v126 offset:560
	v_cmp_lt_u32_e32 vcc, 4, v0
	s_waitcnt vmcnt(20) lgkmcnt(1)
	v_fma_f64 v[127:128], v[135:136], v[127:128], 0
	s_waitcnt vmcnt(18)
	v_fma_f64 v[127:128], v[137:138], v[129:130], v[127:128]
	buffer_load_dword v136, off, s[0:3], 0 offset:140
	buffer_load_dword v137, off, s[0:3], 0 offset:160
	;; [unrolled: 1-line block ×7, first 2 shown]
	s_waitcnt vmcnt(23) lgkmcnt(0)
	v_fma_f64 v[127:128], v[139:140], v[131:132], v[127:128]
	s_waitcnt vmcnt(21)
	v_fma_f64 v[138:139], v[141:142], v[133:134], v[127:128]
	ds_read_b128 v[127:130], v126 offset:576
	ds_read_b128 v[131:134], v126 offset:592
	s_waitcnt vmcnt(19) lgkmcnt(1)
	v_fma_f64 v[127:128], v[143:144], v[127:128], v[138:139]
	buffer_load_dword v138, off, s[0:3], 0 offset:164
	s_waitcnt vmcnt(18)
	v_fma_f64 v[127:128], v[145:146], v[129:130], v[127:128]
	buffer_load_dword v140, off, s[0:3], 0 offset:172
	buffer_load_dword v141, off, s[0:3], 0 offset:192
	;; [unrolled: 1-line block ×7, first 2 shown]
	s_waitcnt vmcnt(23) lgkmcnt(0)
	v_fma_f64 v[127:128], v[147:148], v[131:132], v[127:128]
	s_waitcnt vmcnt(18)
	v_fma_f64 v[147:148], v[149:150], v[133:134], v[127:128]
	ds_read_b128 v[127:130], v126 offset:608
	ds_read_b128 v[131:134], v126 offset:624
	buffer_load_dword v142, off, s[0:3], 0 offset:196
	s_waitcnt vmcnt(18) lgkmcnt(1)
	v_fma_f64 v[127:128], v[155:156], v[127:128], v[147:148]
	s_waitcnt vmcnt(17)
	v_fma_f64 v[127:128], v[153:154], v[129:130], v[127:128]
	buffer_load_dword v148, off, s[0:3], 0 offset:204
	buffer_load_dword v149, off, s[0:3], 0 offset:224
	;; [unrolled: 1-line block ×8, first 2 shown]
	s_waitcnt vmcnt(24) lgkmcnt(0)
	v_fma_f64 v[127:128], v[151:152], v[131:132], v[127:128]
	s_waitcnt vmcnt(19)
	v_fma_f64 v[135:136], v[135:136], v[133:134], v[127:128]
	ds_read_b128 v[127:130], v126 offset:640
	ds_read_b128 v[131:134], v126 offset:656
	s_waitcnt vmcnt(18) lgkmcnt(1)
	v_fma_f64 v[127:128], v[159:160], v[127:128], v[135:136]
	s_waitcnt vmcnt(17)
	v_fma_f64 v[127:128], v[157:158], v[129:130], v[127:128]
	buffer_load_dword v136, off, s[0:3], 0 offset:236
	buffer_load_dword v151, off, s[0:3], 0 offset:256
	;; [unrolled: 1-line block ×8, first 2 shown]
	s_waitcnt vmcnt(24) lgkmcnt(0)
	v_fma_f64 v[127:128], v[137:138], v[131:132], v[127:128]
	s_waitcnt vmcnt(19)
	v_fma_f64 v[137:138], v[139:140], v[133:134], v[127:128]
	ds_read_b128 v[127:130], v126 offset:672
	ds_read_b128 v[131:134], v126 offset:688
	s_waitcnt vmcnt(18) lgkmcnt(1)
	v_fma_f64 v[127:128], v[145:146], v[127:128], v[137:138]
	s_waitcnt vmcnt(17)
	v_fma_f64 v[127:128], v[143:144], v[129:130], v[127:128]
	buffer_load_dword v138, off, s[0:3], 0 offset:268
	buffer_load_dword v139, off, s[0:3], 0 offset:288
	buffer_load_dword v143, off, s[0:3], 0 offset:280
	buffer_load_dword v145, off, s[0:3], 0 offset:272
	buffer_load_dword v137, off, s[0:3], 0 offset:264
	buffer_load_dword v146, off, s[0:3], 0 offset:276
	buffer_load_dword v144, off, s[0:3], 0 offset:284
	s_waitcnt vmcnt(23) lgkmcnt(0)
	v_fma_f64 v[127:128], v[141:142], v[131:132], v[127:128]
	s_waitcnt vmcnt(18)
	v_fma_f64 v[140:141], v[147:148], v[133:134], v[127:128]
	ds_read_b128 v[127:130], v126 offset:704
	ds_read_b128 v[131:134], v126 offset:720
	s_waitcnt vmcnt(17) lgkmcnt(1)
	v_fma_f64 v[127:128], v[155:156], v[127:128], v[140:141]
	buffer_load_dword v140, off, s[0:3], 0 offset:292
	s_waitcnt vmcnt(17)
	v_fma_f64 v[127:128], v[153:154], v[129:130], v[127:128]
	buffer_load_dword v142, off, s[0:3], 0 offset:300
	buffer_load_dword v147, off, s[0:3], 0 offset:320
	;; [unrolled: 1-line block ×8, first 2 shown]
	s_waitcnt vmcnt(24) lgkmcnt(0)
	v_fma_f64 v[127:128], v[149:150], v[131:132], v[127:128]
	s_waitcnt vmcnt(19)
	v_fma_f64 v[135:136], v[135:136], v[133:134], v[127:128]
	ds_read_b128 v[127:130], v126 offset:736
	ds_read_b128 v[131:134], v126 offset:752
	s_waitcnt vmcnt(18) lgkmcnt(1)
	v_fma_f64 v[127:128], v[159:160], v[127:128], v[135:136]
	s_waitcnt vmcnt(17)
	v_fma_f64 v[127:128], v[157:158], v[129:130], v[127:128]
	buffer_load_dword v136, off, s[0:3], 0 offset:332
	buffer_load_dword v149, off, s[0:3], 0 offset:352
	;; [unrolled: 1-line block ×8, first 2 shown]
	s_waitcnt vmcnt(24) lgkmcnt(0)
	v_fma_f64 v[127:128], v[151:152], v[131:132], v[127:128]
	s_waitcnt vmcnt(19)
	v_fma_f64 v[137:138], v[137:138], v[133:134], v[127:128]
	ds_read_b128 v[127:130], v126 offset:768
	ds_read_b128 v[131:134], v126 offset:784
	s_waitcnt vmcnt(18) lgkmcnt(1)
	v_fma_f64 v[127:128], v[145:146], v[127:128], v[137:138]
	s_waitcnt vmcnt(17)
	v_fma_f64 v[127:128], v[143:144], v[129:130], v[127:128]
	buffer_load_dword v138, off, s[0:3], 0 offset:364
	buffer_load_dword v143, off, s[0:3], 0 offset:384
	;; [unrolled: 1-line block ×7, first 2 shown]
	s_waitcnt vmcnt(23) lgkmcnt(0)
	v_fma_f64 v[127:128], v[139:140], v[131:132], v[127:128]
	s_waitcnt vmcnt(18)
	v_fma_f64 v[139:140], v[141:142], v[133:134], v[127:128]
	ds_read_b128 v[127:130], v126 offset:800
	ds_read_b128 v[131:134], v126 offset:816
	buffer_load_dword v144, off, s[0:3], 0 offset:388
	s_waitcnt vmcnt(18) lgkmcnt(1)
	v_fma_f64 v[127:128], v[155:156], v[127:128], v[139:140]
	s_waitcnt vmcnt(17)
	v_fma_f64 v[127:128], v[153:154], v[129:130], v[127:128]
	buffer_load_dword v140, off, s[0:3], 0 offset:396
	buffer_load_dword v141, off, s[0:3], 0 offset:416
	buffer_load_dword v153, off, s[0:3], 0 offset:408
	buffer_load_dword v155, off, s[0:3], 0 offset:400
	buffer_load_dword v139, off, s[0:3], 0 offset:392
	buffer_load_dword v156, off, s[0:3], 0 offset:404
	buffer_load_dword v154, off, s[0:3], 0 offset:412
	buffer_load_dword v142, off, s[0:3], 0 offset:420
	s_waitcnt vmcnt(24) lgkmcnt(0)
	v_fma_f64 v[127:128], v[147:148], v[131:132], v[127:128]
	s_waitcnt vmcnt(19)
	v_fma_f64 v[135:136], v[135:136], v[133:134], v[127:128]
	ds_read_b128 v[127:130], v126 offset:832
	ds_read_b128 v[131:134], v126 offset:848
	s_waitcnt vmcnt(18) lgkmcnt(1)
	v_fma_f64 v[127:128], v[159:160], v[127:128], v[135:136]
	s_waitcnt vmcnt(17)
	v_fma_f64 v[127:128], v[157:158], v[129:130], v[127:128]
	buffer_load_dword v136, off, s[0:3], 0 offset:428
	buffer_load_dword v147, off, s[0:3], 0 offset:448
	buffer_load_dword v157, off, s[0:3], 0 offset:440
	buffer_load_dword v159, off, s[0:3], 0 offset:432
	buffer_load_dword v135, off, s[0:3], 0 offset:424
	buffer_load_dword v160, off, s[0:3], 0 offset:436
	buffer_load_dword v158, off, s[0:3], 0 offset:444
	buffer_load_dword v148, off, s[0:3], 0 offset:452
	s_waitcnt vmcnt(24) lgkmcnt(0)
	v_fma_f64 v[127:128], v[149:150], v[131:132], v[127:128]
	s_waitcnt vmcnt(19)
	v_fma_f64 v[137:138], v[137:138], v[133:134], v[127:128]
	ds_read_b128 v[127:130], v126 offset:864
	ds_read_b128 v[131:134], v126 offset:880
	;; [unrolled: 18-line block ×3, first 2 shown]
	s_waitcnt vmcnt(18) lgkmcnt(1)
	v_fma_f64 v[127:128], v[155:156], v[127:128], v[139:140]
	buffer_load_dword v140, off, s[0:3], 0 offset:492
	buffer_load_dword v139, off, s[0:3], 0 offset:488
	;; [unrolled: 1-line block ×4, first 2 shown]
	s_waitcnt vmcnt(21)
	v_fma_f64 v[127:128], v[153:154], v[129:130], v[127:128]
	s_waitcnt vmcnt(20) lgkmcnt(0)
	v_fma_f64 v[127:128], v[141:142], v[131:132], v[127:128]
	s_waitcnt vmcnt(15)
	v_fma_f64 v[135:136], v[135:136], v[133:134], v[127:128]
	ds_read_b128 v[127:130], v126 offset:928
	ds_read_b128 v[131:134], v126 offset:944
	s_waitcnt vmcnt(14) lgkmcnt(1)
	v_fma_f64 v[127:128], v[159:160], v[127:128], v[135:136]
	s_waitcnt vmcnt(13)
	v_fma_f64 v[127:128], v[157:158], v[129:130], v[127:128]
	s_waitcnt vmcnt(12) lgkmcnt(0)
	v_fma_f64 v[127:128], v[147:148], v[131:132], v[127:128]
	s_waitcnt vmcnt(7)
	v_fma_f64 v[135:136], v[137:138], v[133:134], v[127:128]
	ds_read_b128 v[127:130], v126 offset:960
	ds_read_b128 v[131:134], v126 offset:976
	s_waitcnt vmcnt(6) lgkmcnt(1)
	v_fma_f64 v[126:127], v[151:152], v[127:128], v[135:136]
	s_waitcnt vmcnt(5)
	v_fma_f64 v[126:127], v[149:150], v[129:130], v[126:127]
	s_waitcnt vmcnt(4) lgkmcnt(0)
	v_fma_f64 v[126:127], v[145:146], v[131:132], v[126:127]
	s_waitcnt vmcnt(2)
	v_fma_f64 v[126:127], v[139:140], v[133:134], v[126:127]
	s_waitcnt vmcnt(0)
	v_add_f64 v[126:127], v[143:144], -v[126:127]
	buffer_store_dword v127, off, s[0:3], 0 offset:44
	buffer_store_dword v126, off, s[0:3], 0 offset:40
	s_and_saveexec_b64 s[4:5], vcc
	s_cbranch_execz .LBB125_371
; %bb.370:
	buffer_load_dword v126, off, s[0:3], 0 offset:32
	buffer_load_dword v127, off, s[0:3], 0 offset:36
	v_mov_b32_e32 v128, 0
	buffer_store_dword v128, off, s[0:3], 0 offset:32
	buffer_store_dword v128, off, s[0:3], 0 offset:36
	s_waitcnt vmcnt(2)
	ds_write_b64 v125, v[126:127]
.LBB125_371:
	s_or_b64 exec, exec, s[4:5]
	s_waitcnt lgkmcnt(0)
	; wave barrier
	buffer_load_dword v135, off, s[0:3], 0 offset:40
	buffer_load_dword v136, off, s[0:3], 0 offset:44
	buffer_load_dword v137, off, s[0:3], 0 offset:48
	buffer_load_dword v138, off, s[0:3], 0 offset:52
	buffer_load_dword v139, off, s[0:3], 0 offset:56
	buffer_load_dword v140, off, s[0:3], 0 offset:60
	buffer_load_dword v141, off, s[0:3], 0 offset:64
	buffer_load_dword v142, off, s[0:3], 0 offset:68
	buffer_load_dword v143, off, s[0:3], 0 offset:72
	buffer_load_dword v144, off, s[0:3], 0 offset:76
	buffer_load_dword v145, off, s[0:3], 0 offset:80
	buffer_load_dword v146, off, s[0:3], 0 offset:84
	buffer_load_dword v147, off, s[0:3], 0 offset:88
	buffer_load_dword v148, off, s[0:3], 0 offset:92
	buffer_load_dword v150, off, s[0:3], 0 offset:100
	buffer_load_dword v151, off, s[0:3], 0 offset:120
	buffer_load_dword v153, off, s[0:3], 0 offset:112
	buffer_load_dword v155, off, s[0:3], 0 offset:104
	buffer_load_dword v149, off, s[0:3], 0 offset:96
	buffer_load_dword v156, off, s[0:3], 0 offset:108
	buffer_load_dword v154, off, s[0:3], 0 offset:116
	v_mov_b32_e32 v126, 0
	ds_read2_b64 v[127:130], v126 offset0:67 offset1:68
	ds_read2_b64 v[131:134], v126 offset0:69 offset1:70
	buffer_load_dword v152, off, s[0:3], 0 offset:124
	v_cmp_lt_u32_e32 vcc, 3, v0
	s_waitcnt vmcnt(20) lgkmcnt(1)
	v_fma_f64 v[127:128], v[135:136], v[127:128], 0
	s_waitcnt vmcnt(18)
	v_fma_f64 v[127:128], v[137:138], v[129:130], v[127:128]
	buffer_load_dword v136, off, s[0:3], 0 offset:132
	buffer_load_dword v137, off, s[0:3], 0 offset:152
	;; [unrolled: 1-line block ×7, first 2 shown]
	s_waitcnt vmcnt(23) lgkmcnt(0)
	v_fma_f64 v[127:128], v[139:140], v[131:132], v[127:128]
	s_waitcnt vmcnt(21)
	v_fma_f64 v[138:139], v[141:142], v[133:134], v[127:128]
	ds_read2_b64 v[127:130], v126 offset0:71 offset1:72
	ds_read2_b64 v[131:134], v126 offset0:73 offset1:74
	s_waitcnt vmcnt(19) lgkmcnt(1)
	v_fma_f64 v[127:128], v[143:144], v[127:128], v[138:139]
	buffer_load_dword v138, off, s[0:3], 0 offset:156
	s_waitcnt vmcnt(18)
	v_fma_f64 v[127:128], v[145:146], v[129:130], v[127:128]
	buffer_load_dword v140, off, s[0:3], 0 offset:164
	buffer_load_dword v141, off, s[0:3], 0 offset:184
	;; [unrolled: 1-line block ×7, first 2 shown]
	s_waitcnt vmcnt(23) lgkmcnt(0)
	v_fma_f64 v[127:128], v[147:148], v[131:132], v[127:128]
	s_waitcnt vmcnt(18)
	v_fma_f64 v[147:148], v[149:150], v[133:134], v[127:128]
	ds_read2_b64 v[127:130], v126 offset0:75 offset1:76
	ds_read2_b64 v[131:134], v126 offset0:77 offset1:78
	buffer_load_dword v142, off, s[0:3], 0 offset:188
	s_waitcnt vmcnt(18) lgkmcnt(1)
	v_fma_f64 v[127:128], v[155:156], v[127:128], v[147:148]
	s_waitcnt vmcnt(17)
	v_fma_f64 v[127:128], v[153:154], v[129:130], v[127:128]
	buffer_load_dword v148, off, s[0:3], 0 offset:196
	buffer_load_dword v149, off, s[0:3], 0 offset:216
	;; [unrolled: 1-line block ×7, first 2 shown]
	s_waitcnt vmcnt(23) lgkmcnt(0)
	v_fma_f64 v[127:128], v[151:152], v[131:132], v[127:128]
	s_waitcnt vmcnt(18)
	v_fma_f64 v[135:136], v[135:136], v[133:134], v[127:128]
	ds_read2_b64 v[127:130], v126 offset0:79 offset1:80
	ds_read2_b64 v[131:134], v126 offset0:81 offset1:82
	buffer_load_dword v150, off, s[0:3], 0 offset:220
	s_waitcnt vmcnt(18) lgkmcnt(1)
	v_fma_f64 v[127:128], v[159:160], v[127:128], v[135:136]
	s_waitcnt vmcnt(17)
	v_fma_f64 v[127:128], v[157:158], v[129:130], v[127:128]
	buffer_load_dword v136, off, s[0:3], 0 offset:228
	buffer_load_dword v151, off, s[0:3], 0 offset:248
	;; [unrolled: 1-line block ×8, first 2 shown]
	s_waitcnt vmcnt(24) lgkmcnt(0)
	v_fma_f64 v[127:128], v[137:138], v[131:132], v[127:128]
	s_waitcnt vmcnt(19)
	v_fma_f64 v[137:138], v[139:140], v[133:134], v[127:128]
	ds_read2_b64 v[127:130], v126 offset0:83 offset1:84
	ds_read2_b64 v[131:134], v126 offset0:85 offset1:86
	s_waitcnt vmcnt(18) lgkmcnt(1)
	v_fma_f64 v[127:128], v[145:146], v[127:128], v[137:138]
	s_waitcnt vmcnt(17)
	v_fma_f64 v[127:128], v[143:144], v[129:130], v[127:128]
	buffer_load_dword v138, off, s[0:3], 0 offset:260
	buffer_load_dword v139, off, s[0:3], 0 offset:280
	;; [unrolled: 1-line block ×7, first 2 shown]
	s_waitcnt vmcnt(23) lgkmcnt(0)
	v_fma_f64 v[127:128], v[141:142], v[131:132], v[127:128]
	s_waitcnt vmcnt(18)
	v_fma_f64 v[140:141], v[147:148], v[133:134], v[127:128]
	ds_read2_b64 v[127:130], v126 offset0:87 offset1:88
	ds_read2_b64 v[131:134], v126 offset0:89 offset1:90
	s_waitcnt vmcnt(17) lgkmcnt(1)
	v_fma_f64 v[127:128], v[155:156], v[127:128], v[140:141]
	buffer_load_dword v140, off, s[0:3], 0 offset:284
	s_waitcnt vmcnt(17)
	v_fma_f64 v[127:128], v[153:154], v[129:130], v[127:128]
	buffer_load_dword v142, off, s[0:3], 0 offset:292
	buffer_load_dword v147, off, s[0:3], 0 offset:312
	;; [unrolled: 1-line block ×7, first 2 shown]
	s_waitcnt vmcnt(23) lgkmcnt(0)
	v_fma_f64 v[127:128], v[149:150], v[131:132], v[127:128]
	s_waitcnt vmcnt(18)
	v_fma_f64 v[135:136], v[135:136], v[133:134], v[127:128]
	ds_read2_b64 v[127:130], v126 offset0:91 offset1:92
	ds_read2_b64 v[131:134], v126 offset0:93 offset1:94
	buffer_load_dword v148, off, s[0:3], 0 offset:316
	s_waitcnt vmcnt(18) lgkmcnt(1)
	v_fma_f64 v[127:128], v[159:160], v[127:128], v[135:136]
	s_waitcnt vmcnt(17)
	v_fma_f64 v[127:128], v[157:158], v[129:130], v[127:128]
	buffer_load_dword v136, off, s[0:3], 0 offset:324
	buffer_load_dword v149, off, s[0:3], 0 offset:344
	;; [unrolled: 1-line block ×8, first 2 shown]
	s_waitcnt vmcnt(24) lgkmcnt(0)
	v_fma_f64 v[127:128], v[151:152], v[131:132], v[127:128]
	s_waitcnt vmcnt(19)
	v_fma_f64 v[137:138], v[137:138], v[133:134], v[127:128]
	ds_read2_b64 v[127:130], v126 offset0:95 offset1:96
	ds_read2_b64 v[131:134], v126 offset0:97 offset1:98
	s_waitcnt vmcnt(18) lgkmcnt(1)
	v_fma_f64 v[127:128], v[145:146], v[127:128], v[137:138]
	s_waitcnt vmcnt(17)
	v_fma_f64 v[127:128], v[143:144], v[129:130], v[127:128]
	buffer_load_dword v138, off, s[0:3], 0 offset:356
	buffer_load_dword v143, off, s[0:3], 0 offset:376
	;; [unrolled: 1-line block ×7, first 2 shown]
	s_waitcnt vmcnt(23) lgkmcnt(0)
	v_fma_f64 v[127:128], v[139:140], v[131:132], v[127:128]
	s_waitcnt vmcnt(18)
	v_fma_f64 v[139:140], v[141:142], v[133:134], v[127:128]
	ds_read2_b64 v[127:130], v126 offset0:99 offset1:100
	ds_read2_b64 v[131:134], v126 offset0:101 offset1:102
	buffer_load_dword v144, off, s[0:3], 0 offset:380
	s_waitcnt vmcnt(18) lgkmcnt(1)
	v_fma_f64 v[127:128], v[155:156], v[127:128], v[139:140]
	s_waitcnt vmcnt(17)
	v_fma_f64 v[127:128], v[153:154], v[129:130], v[127:128]
	buffer_load_dword v140, off, s[0:3], 0 offset:388
	buffer_load_dword v141, off, s[0:3], 0 offset:408
	;; [unrolled: 1-line block ×7, first 2 shown]
	s_waitcnt vmcnt(23) lgkmcnt(0)
	v_fma_f64 v[127:128], v[147:148], v[131:132], v[127:128]
	s_waitcnt vmcnt(18)
	v_fma_f64 v[135:136], v[135:136], v[133:134], v[127:128]
	ds_read2_b64 v[127:130], v126 offset0:103 offset1:104
	ds_read2_b64 v[131:134], v126 offset0:105 offset1:106
	buffer_load_dword v142, off, s[0:3], 0 offset:412
	s_waitcnt vmcnt(18) lgkmcnt(1)
	v_fma_f64 v[127:128], v[159:160], v[127:128], v[135:136]
	s_waitcnt vmcnt(17)
	v_fma_f64 v[127:128], v[157:158], v[129:130], v[127:128]
	buffer_load_dword v136, off, s[0:3], 0 offset:420
	buffer_load_dword v147, off, s[0:3], 0 offset:440
	;; [unrolled: 1-line block ×8, first 2 shown]
	s_waitcnt vmcnt(24) lgkmcnt(0)
	v_fma_f64 v[127:128], v[149:150], v[131:132], v[127:128]
	s_waitcnt vmcnt(19)
	v_fma_f64 v[137:138], v[137:138], v[133:134], v[127:128]
	ds_read2_b64 v[127:130], v126 offset0:107 offset1:108
	ds_read2_b64 v[131:134], v126 offset0:109 offset1:110
	s_waitcnt vmcnt(18) lgkmcnt(1)
	v_fma_f64 v[127:128], v[151:152], v[127:128], v[137:138]
	s_waitcnt vmcnt(17)
	v_fma_f64 v[127:128], v[145:146], v[129:130], v[127:128]
	buffer_load_dword v138, off, s[0:3], 0 offset:452
	buffer_load_dword v145, off, s[0:3], 0 offset:472
	;; [unrolled: 1-line block ×7, first 2 shown]
	s_waitcnt vmcnt(23) lgkmcnt(0)
	v_fma_f64 v[127:128], v[143:144], v[131:132], v[127:128]
	s_waitcnt vmcnt(18)
	v_fma_f64 v[139:140], v[139:140], v[133:134], v[127:128]
	ds_read2_b64 v[127:130], v126 offset0:111 offset1:112
	ds_read2_b64 v[131:134], v126 offset0:113 offset1:114
	buffer_load_dword v146, off, s[0:3], 0 offset:476
	s_waitcnt vmcnt(18) lgkmcnt(1)
	v_fma_f64 v[127:128], v[155:156], v[127:128], v[139:140]
	buffer_load_dword v140, off, s[0:3], 0 offset:484
	buffer_load_dword v143, off, s[0:3], 0 offset:488
	;; [unrolled: 1-line block ×4, first 2 shown]
	s_waitcnt vmcnt(21)
	v_fma_f64 v[127:128], v[153:154], v[129:130], v[127:128]
	s_waitcnt vmcnt(20) lgkmcnt(0)
	v_fma_f64 v[127:128], v[141:142], v[131:132], v[127:128]
	buffer_load_dword v141, off, s[0:3], 0 offset:32
	buffer_load_dword v142, off, s[0:3], 0 offset:36
	s_waitcnt vmcnt(17)
	v_fma_f64 v[135:136], v[135:136], v[133:134], v[127:128]
	ds_read2_b64 v[127:130], v126 offset0:115 offset1:116
	ds_read2_b64 v[131:134], v126 offset0:117 offset1:118
	s_waitcnt vmcnt(16) lgkmcnt(1)
	v_fma_f64 v[127:128], v[159:160], v[127:128], v[135:136]
	s_waitcnt vmcnt(15)
	v_fma_f64 v[127:128], v[157:158], v[129:130], v[127:128]
	s_waitcnt vmcnt(14) lgkmcnt(0)
	v_fma_f64 v[127:128], v[147:148], v[131:132], v[127:128]
	s_waitcnt vmcnt(9)
	v_fma_f64 v[135:136], v[137:138], v[133:134], v[127:128]
	ds_read2_b64 v[127:130], v126 offset0:119 offset1:120
	ds_read2_b64 v[131:134], v126 offset0:121 offset1:122
	s_waitcnt vmcnt(8) lgkmcnt(1)
	v_fma_f64 v[127:128], v[151:152], v[127:128], v[135:136]
	s_waitcnt vmcnt(7)
	v_fma_f64 v[127:128], v[149:150], v[129:130], v[127:128]
	ds_read_b64 v[129:130], v126 offset:984
	s_waitcnt vmcnt(6) lgkmcnt(1)
	v_fma_f64 v[127:128], v[145:146], v[131:132], v[127:128]
	s_waitcnt vmcnt(3)
	v_fma_f64 v[127:128], v[139:140], v[133:134], v[127:128]
	s_waitcnt vmcnt(2) lgkmcnt(0)
	v_fma_f64 v[127:128], v[143:144], v[129:130], v[127:128]
	s_waitcnt vmcnt(0)
	v_add_f64 v[127:128], v[141:142], -v[127:128]
	buffer_store_dword v128, off, s[0:3], 0 offset:36
	buffer_store_dword v127, off, s[0:3], 0 offset:32
	s_and_saveexec_b64 s[4:5], vcc
	s_cbranch_execz .LBB125_373
; %bb.372:
	buffer_load_dword v127, off, s[0:3], 0 offset:24
	buffer_load_dword v128, off, s[0:3], 0 offset:28
	s_waitcnt vmcnt(0)
	ds_write_b64 v125, v[127:128]
	buffer_store_dword v126, off, s[0:3], 0 offset:24
	buffer_store_dword v126, off, s[0:3], 0 offset:28
.LBB125_373:
	s_or_b64 exec, exec, s[4:5]
	s_waitcnt lgkmcnt(0)
	; wave barrier
	buffer_load_dword v135, off, s[0:3], 0 offset:32
	buffer_load_dword v136, off, s[0:3], 0 offset:36
	;; [unrolled: 1-line block ×21, first 2 shown]
	ds_read_b128 v[127:130], v126 offset:528
	ds_read_b128 v[131:134], v126 offset:544
	buffer_load_dword v152, off, s[0:3], 0 offset:116
	v_cmp_lt_u32_e32 vcc, 2, v0
	s_waitcnt vmcnt(20) lgkmcnt(1)
	v_fma_f64 v[127:128], v[135:136], v[127:128], 0
	s_waitcnt vmcnt(18)
	v_fma_f64 v[127:128], v[137:138], v[129:130], v[127:128]
	buffer_load_dword v136, off, s[0:3], 0 offset:124
	buffer_load_dword v137, off, s[0:3], 0 offset:144
	;; [unrolled: 1-line block ×7, first 2 shown]
	s_waitcnt vmcnt(23) lgkmcnt(0)
	v_fma_f64 v[127:128], v[139:140], v[131:132], v[127:128]
	s_waitcnt vmcnt(21)
	v_fma_f64 v[138:139], v[141:142], v[133:134], v[127:128]
	ds_read_b128 v[127:130], v126 offset:560
	ds_read_b128 v[131:134], v126 offset:576
	s_waitcnt vmcnt(19) lgkmcnt(1)
	v_fma_f64 v[127:128], v[143:144], v[127:128], v[138:139]
	buffer_load_dword v138, off, s[0:3], 0 offset:148
	s_waitcnt vmcnt(18)
	v_fma_f64 v[127:128], v[145:146], v[129:130], v[127:128]
	buffer_load_dword v140, off, s[0:3], 0 offset:156
	buffer_load_dword v141, off, s[0:3], 0 offset:176
	;; [unrolled: 1-line block ×8, first 2 shown]
	s_waitcnt vmcnt(24) lgkmcnt(0)
	v_fma_f64 v[127:128], v[147:148], v[131:132], v[127:128]
	s_waitcnt vmcnt(19)
	v_fma_f64 v[147:148], v[149:150], v[133:134], v[127:128]
	ds_read_b128 v[127:130], v126 offset:592
	ds_read_b128 v[131:134], v126 offset:608
	s_waitcnt vmcnt(18) lgkmcnt(1)
	v_fma_f64 v[127:128], v[155:156], v[127:128], v[147:148]
	s_waitcnt vmcnt(17)
	v_fma_f64 v[127:128], v[153:154], v[129:130], v[127:128]
	buffer_load_dword v148, off, s[0:3], 0 offset:188
	buffer_load_dword v149, off, s[0:3], 0 offset:208
	buffer_load_dword v153, off, s[0:3], 0 offset:200
	buffer_load_dword v155, off, s[0:3], 0 offset:192
	buffer_load_dword v147, off, s[0:3], 0 offset:184
	buffer_load_dword v156, off, s[0:3], 0 offset:196
	buffer_load_dword v154, off, s[0:3], 0 offset:204
	s_waitcnt vmcnt(23) lgkmcnt(0)
	v_fma_f64 v[127:128], v[151:152], v[131:132], v[127:128]
	s_waitcnt vmcnt(18)
	v_fma_f64 v[135:136], v[135:136], v[133:134], v[127:128]
	ds_read_b128 v[127:130], v126 offset:624
	ds_read_b128 v[131:134], v126 offset:640
	buffer_load_dword v150, off, s[0:3], 0 offset:212
	s_waitcnt vmcnt(18) lgkmcnt(1)
	v_fma_f64 v[127:128], v[159:160], v[127:128], v[135:136]
	s_waitcnt vmcnt(17)
	v_fma_f64 v[127:128], v[157:158], v[129:130], v[127:128]
	buffer_load_dword v136, off, s[0:3], 0 offset:220
	buffer_load_dword v151, off, s[0:3], 0 offset:240
	;; [unrolled: 1-line block ×8, first 2 shown]
	s_waitcnt vmcnt(24) lgkmcnt(0)
	v_fma_f64 v[127:128], v[137:138], v[131:132], v[127:128]
	s_waitcnt vmcnt(19)
	v_fma_f64 v[137:138], v[139:140], v[133:134], v[127:128]
	ds_read_b128 v[127:130], v126 offset:656
	ds_read_b128 v[131:134], v126 offset:672
	s_waitcnt vmcnt(18) lgkmcnt(1)
	v_fma_f64 v[127:128], v[145:146], v[127:128], v[137:138]
	s_waitcnt vmcnt(17)
	v_fma_f64 v[127:128], v[143:144], v[129:130], v[127:128]
	buffer_load_dword v138, off, s[0:3], 0 offset:252
	buffer_load_dword v139, off, s[0:3], 0 offset:272
	;; [unrolled: 1-line block ×7, first 2 shown]
	s_waitcnt vmcnt(23) lgkmcnt(0)
	v_fma_f64 v[127:128], v[141:142], v[131:132], v[127:128]
	s_waitcnt vmcnt(18)
	v_fma_f64 v[140:141], v[147:148], v[133:134], v[127:128]
	ds_read_b128 v[127:130], v126 offset:688
	ds_read_b128 v[131:134], v126 offset:704
	s_waitcnt vmcnt(17) lgkmcnt(1)
	v_fma_f64 v[127:128], v[155:156], v[127:128], v[140:141]
	buffer_load_dword v140, off, s[0:3], 0 offset:276
	s_waitcnt vmcnt(17)
	v_fma_f64 v[127:128], v[153:154], v[129:130], v[127:128]
	buffer_load_dword v142, off, s[0:3], 0 offset:284
	buffer_load_dword v147, off, s[0:3], 0 offset:304
	;; [unrolled: 1-line block ×7, first 2 shown]
	s_waitcnt vmcnt(23) lgkmcnt(0)
	v_fma_f64 v[127:128], v[149:150], v[131:132], v[127:128]
	s_waitcnt vmcnt(18)
	v_fma_f64 v[135:136], v[135:136], v[133:134], v[127:128]
	ds_read_b128 v[127:130], v126 offset:720
	ds_read_b128 v[131:134], v126 offset:736
	buffer_load_dword v148, off, s[0:3], 0 offset:308
	s_waitcnt vmcnt(18) lgkmcnt(1)
	v_fma_f64 v[127:128], v[159:160], v[127:128], v[135:136]
	s_waitcnt vmcnt(17)
	v_fma_f64 v[127:128], v[157:158], v[129:130], v[127:128]
	buffer_load_dword v136, off, s[0:3], 0 offset:316
	buffer_load_dword v149, off, s[0:3], 0 offset:336
	buffer_load_dword v157, off, s[0:3], 0 offset:328
	buffer_load_dword v159, off, s[0:3], 0 offset:320
	buffer_load_dword v135, off, s[0:3], 0 offset:312
	buffer_load_dword v160, off, s[0:3], 0 offset:324
	buffer_load_dword v158, off, s[0:3], 0 offset:332
	buffer_load_dword v150, off, s[0:3], 0 offset:340
	s_waitcnt vmcnt(24) lgkmcnt(0)
	v_fma_f64 v[127:128], v[151:152], v[131:132], v[127:128]
	s_waitcnt vmcnt(19)
	v_fma_f64 v[137:138], v[137:138], v[133:134], v[127:128]
	ds_read_b128 v[127:130], v126 offset:752
	ds_read_b128 v[131:134], v126 offset:768
	s_waitcnt vmcnt(18) lgkmcnt(1)
	v_fma_f64 v[127:128], v[145:146], v[127:128], v[137:138]
	s_waitcnt vmcnt(17)
	v_fma_f64 v[127:128], v[143:144], v[129:130], v[127:128]
	buffer_load_dword v138, off, s[0:3], 0 offset:348
	buffer_load_dword v143, off, s[0:3], 0 offset:368
	;; [unrolled: 1-line block ×8, first 2 shown]
	s_waitcnt vmcnt(24) lgkmcnt(0)
	v_fma_f64 v[127:128], v[139:140], v[131:132], v[127:128]
	s_waitcnt vmcnt(19)
	v_fma_f64 v[139:140], v[141:142], v[133:134], v[127:128]
	ds_read_b128 v[127:130], v126 offset:784
	ds_read_b128 v[131:134], v126 offset:800
	s_waitcnt vmcnt(18) lgkmcnt(1)
	v_fma_f64 v[127:128], v[155:156], v[127:128], v[139:140]
	s_waitcnt vmcnt(17)
	v_fma_f64 v[127:128], v[153:154], v[129:130], v[127:128]
	buffer_load_dword v140, off, s[0:3], 0 offset:380
	buffer_load_dword v141, off, s[0:3], 0 offset:400
	;; [unrolled: 1-line block ×7, first 2 shown]
	s_waitcnt vmcnt(23) lgkmcnt(0)
	v_fma_f64 v[127:128], v[147:148], v[131:132], v[127:128]
	s_waitcnt vmcnt(18)
	v_fma_f64 v[135:136], v[135:136], v[133:134], v[127:128]
	ds_read_b128 v[127:130], v126 offset:816
	ds_read_b128 v[131:134], v126 offset:832
	buffer_load_dword v142, off, s[0:3], 0 offset:404
	s_waitcnt vmcnt(18) lgkmcnt(1)
	v_fma_f64 v[127:128], v[159:160], v[127:128], v[135:136]
	s_waitcnt vmcnt(17)
	v_fma_f64 v[127:128], v[157:158], v[129:130], v[127:128]
	buffer_load_dword v136, off, s[0:3], 0 offset:412
	buffer_load_dword v147, off, s[0:3], 0 offset:432
	;; [unrolled: 1-line block ×8, first 2 shown]
	s_waitcnt vmcnt(24) lgkmcnt(0)
	v_fma_f64 v[127:128], v[149:150], v[131:132], v[127:128]
	s_waitcnt vmcnt(19)
	v_fma_f64 v[137:138], v[137:138], v[133:134], v[127:128]
	ds_read_b128 v[127:130], v126 offset:848
	ds_read_b128 v[131:134], v126 offset:864
	s_waitcnt vmcnt(18) lgkmcnt(1)
	v_fma_f64 v[127:128], v[151:152], v[127:128], v[137:138]
	s_waitcnt vmcnt(17)
	v_fma_f64 v[127:128], v[145:146], v[129:130], v[127:128]
	buffer_load_dword v138, off, s[0:3], 0 offset:444
	buffer_load_dword v145, off, s[0:3], 0 offset:464
	;; [unrolled: 1-line block ×8, first 2 shown]
	s_waitcnt vmcnt(24) lgkmcnt(0)
	v_fma_f64 v[127:128], v[143:144], v[131:132], v[127:128]
	s_waitcnt vmcnt(19)
	v_fma_f64 v[139:140], v[139:140], v[133:134], v[127:128]
	ds_read_b128 v[127:130], v126 offset:880
	ds_read_b128 v[131:134], v126 offset:896
	s_waitcnt vmcnt(18) lgkmcnt(1)
	v_fma_f64 v[127:128], v[155:156], v[127:128], v[139:140]
	s_waitcnt vmcnt(17)
	v_fma_f64 v[127:128], v[153:154], v[129:130], v[127:128]
	buffer_load_dword v140, off, s[0:3], 0 offset:476
	buffer_load_dword v143, off, s[0:3], 0 offset:488
	;; [unrolled: 1-line block ×6, first 2 shown]
	s_waitcnt vmcnt(22) lgkmcnt(0)
	v_fma_f64 v[127:128], v[141:142], v[131:132], v[127:128]
	s_waitcnt vmcnt(17)
	v_fma_f64 v[135:136], v[135:136], v[133:134], v[127:128]
	ds_read_b128 v[127:130], v126 offset:912
	buffer_load_dword v141, off, s[0:3], 0 offset:24
	buffer_load_dword v142, off, s[0:3], 0 offset:28
	ds_read_b128 v[131:134], v126 offset:928
	s_waitcnt vmcnt(18) lgkmcnt(1)
	v_fma_f64 v[127:128], v[159:160], v[127:128], v[135:136]
	s_waitcnt vmcnt(17)
	v_fma_f64 v[127:128], v[157:158], v[129:130], v[127:128]
	s_waitcnt vmcnt(16) lgkmcnt(0)
	v_fma_f64 v[127:128], v[147:148], v[131:132], v[127:128]
	s_waitcnt vmcnt(11)
	v_fma_f64 v[135:136], v[137:138], v[133:134], v[127:128]
	ds_read_b128 v[127:130], v126 offset:944
	ds_read_b128 v[131:134], v126 offset:960
	s_waitcnt vmcnt(10) lgkmcnt(1)
	v_fma_f64 v[127:128], v[151:152], v[127:128], v[135:136]
	s_waitcnt vmcnt(9)
	v_fma_f64 v[127:128], v[149:150], v[129:130], v[127:128]
	s_waitcnt vmcnt(8) lgkmcnt(0)
	v_fma_f64 v[127:128], v[145:146], v[131:132], v[127:128]
	s_waitcnt vmcnt(4)
	v_fma_f64 v[130:131], v[139:140], v[133:134], v[127:128]
	ds_read_b128 v[126:129], v126 offset:976
	s_waitcnt vmcnt(3) lgkmcnt(0)
	v_fma_f64 v[126:127], v[153:154], v[126:127], v[130:131]
	s_waitcnt vmcnt(2)
	v_fma_f64 v[126:127], v[143:144], v[128:129], v[126:127]
	s_waitcnt vmcnt(0)
	v_add_f64 v[126:127], v[141:142], -v[126:127]
	buffer_store_dword v127, off, s[0:3], 0 offset:28
	buffer_store_dword v126, off, s[0:3], 0 offset:24
	s_and_saveexec_b64 s[4:5], vcc
	s_cbranch_execz .LBB125_375
; %bb.374:
	buffer_load_dword v126, off, s[0:3], 0 offset:16
	buffer_load_dword v127, off, s[0:3], 0 offset:20
	v_mov_b32_e32 v128, 0
	buffer_store_dword v128, off, s[0:3], 0 offset:16
	buffer_store_dword v128, off, s[0:3], 0 offset:20
	s_waitcnt vmcnt(2)
	ds_write_b64 v125, v[126:127]
.LBB125_375:
	s_or_b64 exec, exec, s[4:5]
	s_waitcnt lgkmcnt(0)
	; wave barrier
	buffer_load_dword v135, off, s[0:3], 0 offset:24
	buffer_load_dword v136, off, s[0:3], 0 offset:28
	;; [unrolled: 1-line block ×21, first 2 shown]
	v_mov_b32_e32 v126, 0
	ds_read2_b64 v[127:130], v126 offset0:65 offset1:66
	ds_read2_b64 v[131:134], v126 offset0:67 offset1:68
	buffer_load_dword v152, off, s[0:3], 0 offset:108
	v_cmp_lt_u32_e32 vcc, 1, v0
	s_waitcnt vmcnt(20) lgkmcnt(1)
	v_fma_f64 v[127:128], v[135:136], v[127:128], 0
	s_waitcnt vmcnt(18)
	v_fma_f64 v[127:128], v[137:138], v[129:130], v[127:128]
	buffer_load_dword v136, off, s[0:3], 0 offset:116
	buffer_load_dword v137, off, s[0:3], 0 offset:136
	;; [unrolled: 1-line block ×7, first 2 shown]
	s_waitcnt vmcnt(23) lgkmcnt(0)
	v_fma_f64 v[127:128], v[139:140], v[131:132], v[127:128]
	s_waitcnt vmcnt(21)
	v_fma_f64 v[138:139], v[141:142], v[133:134], v[127:128]
	ds_read2_b64 v[127:130], v126 offset0:69 offset1:70
	ds_read2_b64 v[131:134], v126 offset0:71 offset1:72
	s_waitcnt vmcnt(19) lgkmcnt(1)
	v_fma_f64 v[127:128], v[143:144], v[127:128], v[138:139]
	buffer_load_dword v138, off, s[0:3], 0 offset:140
	s_waitcnt vmcnt(18)
	v_fma_f64 v[127:128], v[145:146], v[129:130], v[127:128]
	buffer_load_dword v140, off, s[0:3], 0 offset:148
	buffer_load_dword v141, off, s[0:3], 0 offset:168
	;; [unrolled: 1-line block ×8, first 2 shown]
	s_waitcnt vmcnt(24) lgkmcnt(0)
	v_fma_f64 v[127:128], v[147:148], v[131:132], v[127:128]
	s_waitcnt vmcnt(19)
	v_fma_f64 v[147:148], v[149:150], v[133:134], v[127:128]
	ds_read2_b64 v[127:130], v126 offset0:73 offset1:74
	ds_read2_b64 v[131:134], v126 offset0:75 offset1:76
	s_waitcnt vmcnt(18) lgkmcnt(1)
	v_fma_f64 v[127:128], v[155:156], v[127:128], v[147:148]
	s_waitcnt vmcnt(17)
	v_fma_f64 v[127:128], v[153:154], v[129:130], v[127:128]
	buffer_load_dword v148, off, s[0:3], 0 offset:180
	buffer_load_dword v149, off, s[0:3], 0 offset:200
	;; [unrolled: 1-line block ×7, first 2 shown]
	s_waitcnt vmcnt(23) lgkmcnt(0)
	v_fma_f64 v[127:128], v[151:152], v[131:132], v[127:128]
	s_waitcnt vmcnt(18)
	v_fma_f64 v[135:136], v[135:136], v[133:134], v[127:128]
	ds_read2_b64 v[127:130], v126 offset0:77 offset1:78
	ds_read2_b64 v[131:134], v126 offset0:79 offset1:80
	buffer_load_dword v150, off, s[0:3], 0 offset:204
	s_waitcnt vmcnt(18) lgkmcnt(1)
	v_fma_f64 v[127:128], v[159:160], v[127:128], v[135:136]
	s_waitcnt vmcnt(17)
	v_fma_f64 v[127:128], v[157:158], v[129:130], v[127:128]
	buffer_load_dword v136, off, s[0:3], 0 offset:212
	buffer_load_dword v151, off, s[0:3], 0 offset:232
	buffer_load_dword v157, off, s[0:3], 0 offset:224
	buffer_load_dword v159, off, s[0:3], 0 offset:216
	buffer_load_dword v135, off, s[0:3], 0 offset:208
	buffer_load_dword v160, off, s[0:3], 0 offset:220
	buffer_load_dword v158, off, s[0:3], 0 offset:228
	buffer_load_dword v152, off, s[0:3], 0 offset:236
	s_waitcnt vmcnt(24) lgkmcnt(0)
	v_fma_f64 v[127:128], v[137:138], v[131:132], v[127:128]
	s_waitcnt vmcnt(19)
	v_fma_f64 v[137:138], v[139:140], v[133:134], v[127:128]
	ds_read2_b64 v[127:130], v126 offset0:81 offset1:82
	ds_read2_b64 v[131:134], v126 offset0:83 offset1:84
	s_waitcnt vmcnt(18) lgkmcnt(1)
	v_fma_f64 v[127:128], v[145:146], v[127:128], v[137:138]
	s_waitcnt vmcnt(17)
	v_fma_f64 v[127:128], v[143:144], v[129:130], v[127:128]
	buffer_load_dword v138, off, s[0:3], 0 offset:244
	buffer_load_dword v139, off, s[0:3], 0 offset:264
	;; [unrolled: 1-line block ×7, first 2 shown]
	s_waitcnt vmcnt(23) lgkmcnt(0)
	v_fma_f64 v[127:128], v[141:142], v[131:132], v[127:128]
	s_waitcnt vmcnt(18)
	v_fma_f64 v[140:141], v[147:148], v[133:134], v[127:128]
	ds_read2_b64 v[127:130], v126 offset0:85 offset1:86
	ds_read2_b64 v[131:134], v126 offset0:87 offset1:88
	s_waitcnt vmcnt(17) lgkmcnt(1)
	v_fma_f64 v[127:128], v[155:156], v[127:128], v[140:141]
	buffer_load_dword v140, off, s[0:3], 0 offset:268
	s_waitcnt vmcnt(17)
	v_fma_f64 v[127:128], v[153:154], v[129:130], v[127:128]
	buffer_load_dword v142, off, s[0:3], 0 offset:276
	buffer_load_dword v147, off, s[0:3], 0 offset:296
	;; [unrolled: 1-line block ×7, first 2 shown]
	s_waitcnt vmcnt(23) lgkmcnt(0)
	v_fma_f64 v[127:128], v[149:150], v[131:132], v[127:128]
	s_waitcnt vmcnt(18)
	v_fma_f64 v[135:136], v[135:136], v[133:134], v[127:128]
	ds_read2_b64 v[127:130], v126 offset0:89 offset1:90
	ds_read2_b64 v[131:134], v126 offset0:91 offset1:92
	buffer_load_dword v148, off, s[0:3], 0 offset:300
	s_waitcnt vmcnt(18) lgkmcnt(1)
	v_fma_f64 v[127:128], v[159:160], v[127:128], v[135:136]
	s_waitcnt vmcnt(17)
	v_fma_f64 v[127:128], v[157:158], v[129:130], v[127:128]
	buffer_load_dword v136, off, s[0:3], 0 offset:308
	buffer_load_dword v149, off, s[0:3], 0 offset:328
	;; [unrolled: 1-line block ×8, first 2 shown]
	s_waitcnt vmcnt(24) lgkmcnt(0)
	v_fma_f64 v[127:128], v[151:152], v[131:132], v[127:128]
	s_waitcnt vmcnt(19)
	v_fma_f64 v[137:138], v[137:138], v[133:134], v[127:128]
	ds_read2_b64 v[127:130], v126 offset0:93 offset1:94
	ds_read2_b64 v[131:134], v126 offset0:95 offset1:96
	s_waitcnt vmcnt(18) lgkmcnt(1)
	v_fma_f64 v[127:128], v[145:146], v[127:128], v[137:138]
	s_waitcnt vmcnt(17)
	v_fma_f64 v[127:128], v[143:144], v[129:130], v[127:128]
	buffer_load_dword v138, off, s[0:3], 0 offset:340
	buffer_load_dword v143, off, s[0:3], 0 offset:360
	;; [unrolled: 1-line block ×8, first 2 shown]
	s_waitcnt vmcnt(24) lgkmcnt(0)
	v_fma_f64 v[127:128], v[139:140], v[131:132], v[127:128]
	s_waitcnt vmcnt(19)
	v_fma_f64 v[139:140], v[141:142], v[133:134], v[127:128]
	ds_read2_b64 v[127:130], v126 offset0:97 offset1:98
	ds_read2_b64 v[131:134], v126 offset0:99 offset1:100
	s_waitcnt vmcnt(18) lgkmcnt(1)
	v_fma_f64 v[127:128], v[155:156], v[127:128], v[139:140]
	s_waitcnt vmcnt(17)
	v_fma_f64 v[127:128], v[153:154], v[129:130], v[127:128]
	buffer_load_dword v140, off, s[0:3], 0 offset:372
	buffer_load_dword v141, off, s[0:3], 0 offset:392
	buffer_load_dword v153, off, s[0:3], 0 offset:384
	buffer_load_dword v155, off, s[0:3], 0 offset:376
	buffer_load_dword v139, off, s[0:3], 0 offset:368
	buffer_load_dword v156, off, s[0:3], 0 offset:380
	buffer_load_dword v154, off, s[0:3], 0 offset:388
	s_waitcnt vmcnt(23) lgkmcnt(0)
	v_fma_f64 v[127:128], v[147:148], v[131:132], v[127:128]
	s_waitcnt vmcnt(18)
	v_fma_f64 v[135:136], v[135:136], v[133:134], v[127:128]
	ds_read2_b64 v[127:130], v126 offset0:101 offset1:102
	ds_read2_b64 v[131:134], v126 offset0:103 offset1:104
	buffer_load_dword v142, off, s[0:3], 0 offset:396
	s_waitcnt vmcnt(18) lgkmcnt(1)
	v_fma_f64 v[127:128], v[159:160], v[127:128], v[135:136]
	s_waitcnt vmcnt(17)
	v_fma_f64 v[127:128], v[157:158], v[129:130], v[127:128]
	buffer_load_dword v136, off, s[0:3], 0 offset:404
	buffer_load_dword v147, off, s[0:3], 0 offset:424
	buffer_load_dword v157, off, s[0:3], 0 offset:416
	buffer_load_dword v159, off, s[0:3], 0 offset:408
	buffer_load_dword v135, off, s[0:3], 0 offset:400
	buffer_load_dword v160, off, s[0:3], 0 offset:412
	buffer_load_dword v158, off, s[0:3], 0 offset:420
	buffer_load_dword v148, off, s[0:3], 0 offset:428
	s_waitcnt vmcnt(24) lgkmcnt(0)
	v_fma_f64 v[127:128], v[149:150], v[131:132], v[127:128]
	s_waitcnt vmcnt(19)
	v_fma_f64 v[137:138], v[137:138], v[133:134], v[127:128]
	ds_read2_b64 v[127:130], v126 offset0:105 offset1:106
	ds_read2_b64 v[131:134], v126 offset0:107 offset1:108
	s_waitcnt vmcnt(18) lgkmcnt(1)
	v_fma_f64 v[127:128], v[151:152], v[127:128], v[137:138]
	s_waitcnt vmcnt(17)
	v_fma_f64 v[127:128], v[145:146], v[129:130], v[127:128]
	buffer_load_dword v138, off, s[0:3], 0 offset:436
	buffer_load_dword v145, off, s[0:3], 0 offset:456
	buffer_load_dword v149, off, s[0:3], 0 offset:448
	buffer_load_dword v151, off, s[0:3], 0 offset:440
	buffer_load_dword v137, off, s[0:3], 0 offset:432
	buffer_load_dword v152, off, s[0:3], 0 offset:444
	buffer_load_dword v150, off, s[0:3], 0 offset:452
	buffer_load_dword v146, off, s[0:3], 0 offset:460
	s_waitcnt vmcnt(24) lgkmcnt(0)
	v_fma_f64 v[127:128], v[143:144], v[131:132], v[127:128]
	s_waitcnt vmcnt(19)
	v_fma_f64 v[139:140], v[139:140], v[133:134], v[127:128]
	ds_read2_b64 v[127:130], v126 offset0:109 offset1:110
	ds_read2_b64 v[131:134], v126 offset0:111 offset1:112
	;; [unrolled: 18-line block ×3, first 2 shown]
	s_waitcnt vmcnt(18) lgkmcnt(1)
	v_fma_f64 v[127:128], v[159:160], v[127:128], v[135:136]
	buffer_load_dword v135, off, s[0:3], 0 offset:16
	buffer_load_dword v136, off, s[0:3], 0 offset:20
	s_waitcnt vmcnt(19)
	v_fma_f64 v[127:128], v[157:158], v[129:130], v[127:128]
	s_waitcnt vmcnt(18) lgkmcnt(0)
	v_fma_f64 v[127:128], v[147:148], v[131:132], v[127:128]
	s_waitcnt vmcnt(13)
	v_fma_f64 v[137:138], v[137:138], v[133:134], v[127:128]
	ds_read2_b64 v[127:130], v126 offset0:117 offset1:118
	ds_read2_b64 v[131:134], v126 offset0:119 offset1:120
	s_waitcnt vmcnt(12) lgkmcnt(1)
	v_fma_f64 v[127:128], v[151:152], v[127:128], v[137:138]
	s_waitcnt vmcnt(11)
	v_fma_f64 v[127:128], v[149:150], v[129:130], v[127:128]
	s_waitcnt vmcnt(10) lgkmcnt(0)
	v_fma_f64 v[127:128], v[145:146], v[131:132], v[127:128]
	s_waitcnt vmcnt(5)
	v_fma_f64 v[131:132], v[139:140], v[133:134], v[127:128]
	ds_read2_b64 v[127:130], v126 offset0:121 offset1:122
	ds_read_b64 v[133:134], v126 offset:984
	s_waitcnt vmcnt(4) lgkmcnt(1)
	v_fma_f64 v[127:128], v[155:156], v[127:128], v[131:132]
	s_waitcnt vmcnt(3)
	v_fma_f64 v[127:128], v[153:154], v[129:130], v[127:128]
	s_waitcnt vmcnt(2) lgkmcnt(0)
	v_fma_f64 v[127:128], v[143:144], v[133:134], v[127:128]
	s_waitcnt vmcnt(0)
	v_add_f64 v[127:128], v[135:136], -v[127:128]
	buffer_store_dword v128, off, s[0:3], 0 offset:20
	buffer_store_dword v127, off, s[0:3], 0 offset:16
	s_and_saveexec_b64 s[4:5], vcc
	s_cbranch_execz .LBB125_377
; %bb.376:
	buffer_load_dword v127, off, s[0:3], 0 offset:8
	buffer_load_dword v128, off, s[0:3], 0 offset:12
	s_waitcnt vmcnt(0)
	ds_write_b64 v125, v[127:128]
	buffer_store_dword v126, off, s[0:3], 0 offset:8
	buffer_store_dword v126, off, s[0:3], 0 offset:12
.LBB125_377:
	s_or_b64 exec, exec, s[4:5]
	s_waitcnt lgkmcnt(0)
	; wave barrier
	buffer_load_dword v135, off, s[0:3], 0 offset:16
	buffer_load_dword v136, off, s[0:3], 0 offset:20
	;; [unrolled: 1-line block ×21, first 2 shown]
	ds_read_b128 v[127:130], v126 offset:512
	ds_read_b128 v[131:134], v126 offset:528
	buffer_load_dword v152, off, s[0:3], 0 offset:100
	v_cmp_ne_u32_e32 vcc, 0, v0
	s_waitcnt vmcnt(20) lgkmcnt(1)
	v_fma_f64 v[127:128], v[135:136], v[127:128], 0
	s_waitcnt vmcnt(18)
	v_fma_f64 v[127:128], v[137:138], v[129:130], v[127:128]
	buffer_load_dword v136, off, s[0:3], 0 offset:108
	buffer_load_dword v137, off, s[0:3], 0 offset:128
	;; [unrolled: 1-line block ×7, first 2 shown]
	s_waitcnt vmcnt(23) lgkmcnt(0)
	v_fma_f64 v[127:128], v[139:140], v[131:132], v[127:128]
	s_waitcnt vmcnt(21)
	v_fma_f64 v[138:139], v[141:142], v[133:134], v[127:128]
	ds_read_b128 v[127:130], v126 offset:544
	ds_read_b128 v[131:134], v126 offset:560
	s_waitcnt vmcnt(19) lgkmcnt(1)
	v_fma_f64 v[127:128], v[143:144], v[127:128], v[138:139]
	buffer_load_dword v138, off, s[0:3], 0 offset:132
	s_waitcnt vmcnt(18)
	v_fma_f64 v[127:128], v[145:146], v[129:130], v[127:128]
	buffer_load_dword v140, off, s[0:3], 0 offset:140
	buffer_load_dword v141, off, s[0:3], 0 offset:160
	buffer_load_dword v143, off, s[0:3], 0 offset:152
	buffer_load_dword v145, off, s[0:3], 0 offset:144
	buffer_load_dword v139, off, s[0:3], 0 offset:136
	buffer_load_dword v146, off, s[0:3], 0 offset:148
	buffer_load_dword v144, off, s[0:3], 0 offset:156
	buffer_load_dword v142, off, s[0:3], 0 offset:164
	s_waitcnt vmcnt(24) lgkmcnt(0)
	v_fma_f64 v[127:128], v[147:148], v[131:132], v[127:128]
	s_waitcnt vmcnt(19)
	v_fma_f64 v[147:148], v[149:150], v[133:134], v[127:128]
	ds_read_b128 v[127:130], v126 offset:576
	ds_read_b128 v[131:134], v126 offset:592
	s_waitcnt vmcnt(18) lgkmcnt(1)
	v_fma_f64 v[127:128], v[155:156], v[127:128], v[147:148]
	s_waitcnt vmcnt(17)
	v_fma_f64 v[127:128], v[153:154], v[129:130], v[127:128]
	buffer_load_dword v148, off, s[0:3], 0 offset:172
	buffer_load_dword v149, off, s[0:3], 0 offset:192
	;; [unrolled: 1-line block ×7, first 2 shown]
	s_waitcnt vmcnt(23) lgkmcnt(0)
	v_fma_f64 v[127:128], v[151:152], v[131:132], v[127:128]
	s_waitcnt vmcnt(18)
	v_fma_f64 v[135:136], v[135:136], v[133:134], v[127:128]
	ds_read_b128 v[127:130], v126 offset:608
	ds_read_b128 v[131:134], v126 offset:624
	buffer_load_dword v150, off, s[0:3], 0 offset:196
	s_waitcnt vmcnt(18) lgkmcnt(1)
	v_fma_f64 v[127:128], v[159:160], v[127:128], v[135:136]
	s_waitcnt vmcnt(17)
	v_fma_f64 v[127:128], v[157:158], v[129:130], v[127:128]
	buffer_load_dword v136, off, s[0:3], 0 offset:204
	buffer_load_dword v151, off, s[0:3], 0 offset:224
	buffer_load_dword v157, off, s[0:3], 0 offset:216
	buffer_load_dword v159, off, s[0:3], 0 offset:208
	buffer_load_dword v135, off, s[0:3], 0 offset:200
	buffer_load_dword v160, off, s[0:3], 0 offset:212
	buffer_load_dword v158, off, s[0:3], 0 offset:220
	buffer_load_dword v152, off, s[0:3], 0 offset:228
	s_waitcnt vmcnt(24) lgkmcnt(0)
	v_fma_f64 v[127:128], v[137:138], v[131:132], v[127:128]
	s_waitcnt vmcnt(19)
	v_fma_f64 v[137:138], v[139:140], v[133:134], v[127:128]
	ds_read_b128 v[127:130], v126 offset:640
	ds_read_b128 v[131:134], v126 offset:656
	s_waitcnt vmcnt(18) lgkmcnt(1)
	v_fma_f64 v[127:128], v[145:146], v[127:128], v[137:138]
	s_waitcnt vmcnt(17)
	v_fma_f64 v[127:128], v[143:144], v[129:130], v[127:128]
	buffer_load_dword v138, off, s[0:3], 0 offset:236
	buffer_load_dword v139, off, s[0:3], 0 offset:256
	;; [unrolled: 1-line block ×7, first 2 shown]
	s_waitcnt vmcnt(23) lgkmcnt(0)
	v_fma_f64 v[127:128], v[141:142], v[131:132], v[127:128]
	s_waitcnt vmcnt(18)
	v_fma_f64 v[140:141], v[147:148], v[133:134], v[127:128]
	ds_read_b128 v[127:130], v126 offset:672
	ds_read_b128 v[131:134], v126 offset:688
	s_waitcnt vmcnt(17) lgkmcnt(1)
	v_fma_f64 v[127:128], v[155:156], v[127:128], v[140:141]
	buffer_load_dword v140, off, s[0:3], 0 offset:260
	s_waitcnt vmcnt(17)
	v_fma_f64 v[127:128], v[153:154], v[129:130], v[127:128]
	buffer_load_dword v142, off, s[0:3], 0 offset:268
	buffer_load_dword v147, off, s[0:3], 0 offset:288
	;; [unrolled: 1-line block ×7, first 2 shown]
	s_waitcnt vmcnt(23) lgkmcnt(0)
	v_fma_f64 v[127:128], v[149:150], v[131:132], v[127:128]
	s_waitcnt vmcnt(18)
	v_fma_f64 v[135:136], v[135:136], v[133:134], v[127:128]
	ds_read_b128 v[127:130], v126 offset:704
	ds_read_b128 v[131:134], v126 offset:720
	buffer_load_dword v148, off, s[0:3], 0 offset:292
	s_waitcnt vmcnt(18) lgkmcnt(1)
	v_fma_f64 v[127:128], v[159:160], v[127:128], v[135:136]
	s_waitcnt vmcnt(17)
	v_fma_f64 v[127:128], v[157:158], v[129:130], v[127:128]
	buffer_load_dword v136, off, s[0:3], 0 offset:300
	buffer_load_dword v149, off, s[0:3], 0 offset:320
	;; [unrolled: 1-line block ×8, first 2 shown]
	s_waitcnt vmcnt(24) lgkmcnt(0)
	v_fma_f64 v[127:128], v[151:152], v[131:132], v[127:128]
	s_waitcnt vmcnt(19)
	v_fma_f64 v[137:138], v[137:138], v[133:134], v[127:128]
	ds_read_b128 v[127:130], v126 offset:736
	ds_read_b128 v[131:134], v126 offset:752
	s_waitcnt vmcnt(18) lgkmcnt(1)
	v_fma_f64 v[127:128], v[145:146], v[127:128], v[137:138]
	s_waitcnt vmcnt(17)
	v_fma_f64 v[127:128], v[143:144], v[129:130], v[127:128]
	buffer_load_dword v138, off, s[0:3], 0 offset:332
	buffer_load_dword v143, off, s[0:3], 0 offset:352
	;; [unrolled: 1-line block ×8, first 2 shown]
	s_waitcnt vmcnt(24) lgkmcnt(0)
	v_fma_f64 v[127:128], v[139:140], v[131:132], v[127:128]
	s_waitcnt vmcnt(19)
	v_fma_f64 v[139:140], v[141:142], v[133:134], v[127:128]
	ds_read_b128 v[127:130], v126 offset:768
	ds_read_b128 v[131:134], v126 offset:784
	s_waitcnt vmcnt(18) lgkmcnt(1)
	v_fma_f64 v[127:128], v[155:156], v[127:128], v[139:140]
	s_waitcnt vmcnt(17)
	v_fma_f64 v[127:128], v[153:154], v[129:130], v[127:128]
	buffer_load_dword v140, off, s[0:3], 0 offset:364
	buffer_load_dword v141, off, s[0:3], 0 offset:384
	;; [unrolled: 1-line block ×7, first 2 shown]
	s_waitcnt vmcnt(23) lgkmcnt(0)
	v_fma_f64 v[127:128], v[147:148], v[131:132], v[127:128]
	s_waitcnt vmcnt(18)
	v_fma_f64 v[135:136], v[135:136], v[133:134], v[127:128]
	ds_read_b128 v[127:130], v126 offset:800
	ds_read_b128 v[131:134], v126 offset:816
	buffer_load_dword v142, off, s[0:3], 0 offset:388
	s_waitcnt vmcnt(18) lgkmcnt(1)
	v_fma_f64 v[127:128], v[159:160], v[127:128], v[135:136]
	s_waitcnt vmcnt(17)
	v_fma_f64 v[127:128], v[157:158], v[129:130], v[127:128]
	buffer_load_dword v136, off, s[0:3], 0 offset:396
	buffer_load_dword v147, off, s[0:3], 0 offset:416
	buffer_load_dword v157, off, s[0:3], 0 offset:408
	buffer_load_dword v159, off, s[0:3], 0 offset:400
	buffer_load_dword v135, off, s[0:3], 0 offset:392
	buffer_load_dword v160, off, s[0:3], 0 offset:404
	buffer_load_dword v158, off, s[0:3], 0 offset:412
	buffer_load_dword v148, off, s[0:3], 0 offset:420
	s_waitcnt vmcnt(24) lgkmcnt(0)
	v_fma_f64 v[127:128], v[149:150], v[131:132], v[127:128]
	s_waitcnt vmcnt(19)
	v_fma_f64 v[137:138], v[137:138], v[133:134], v[127:128]
	ds_read_b128 v[127:130], v126 offset:832
	ds_read_b128 v[131:134], v126 offset:848
	s_waitcnt vmcnt(18) lgkmcnt(1)
	v_fma_f64 v[127:128], v[151:152], v[127:128], v[137:138]
	s_waitcnt vmcnt(17)
	v_fma_f64 v[127:128], v[145:146], v[129:130], v[127:128]
	buffer_load_dword v138, off, s[0:3], 0 offset:428
	buffer_load_dword v145, off, s[0:3], 0 offset:448
	buffer_load_dword v149, off, s[0:3], 0 offset:440
	buffer_load_dword v151, off, s[0:3], 0 offset:432
	buffer_load_dword v137, off, s[0:3], 0 offset:424
	buffer_load_dword v152, off, s[0:3], 0 offset:436
	buffer_load_dword v150, off, s[0:3], 0 offset:444
	buffer_load_dword v146, off, s[0:3], 0 offset:452
	s_waitcnt vmcnt(24) lgkmcnt(0)
	v_fma_f64 v[127:128], v[143:144], v[131:132], v[127:128]
	s_waitcnt vmcnt(19)
	v_fma_f64 v[139:140], v[139:140], v[133:134], v[127:128]
	ds_read_b128 v[127:130], v126 offset:864
	ds_read_b128 v[131:134], v126 offset:880
	;; [unrolled: 18-line block ×3, first 2 shown]
	s_waitcnt vmcnt(18) lgkmcnt(1)
	v_fma_f64 v[127:128], v[159:160], v[127:128], v[135:136]
	buffer_load_dword v136, off, s[0:3], 0 offset:492
	buffer_load_dword v135, off, s[0:3], 0 offset:488
	;; [unrolled: 1-line block ×4, first 2 shown]
	s_waitcnt vmcnt(21)
	v_fma_f64 v[127:128], v[157:158], v[129:130], v[127:128]
	s_waitcnt vmcnt(20) lgkmcnt(0)
	v_fma_f64 v[127:128], v[147:148], v[131:132], v[127:128]
	s_waitcnt vmcnt(15)
	v_fma_f64 v[137:138], v[137:138], v[133:134], v[127:128]
	ds_read_b128 v[127:130], v126 offset:928
	ds_read_b128 v[131:134], v126 offset:944
	s_waitcnt vmcnt(14) lgkmcnt(1)
	v_fma_f64 v[127:128], v[151:152], v[127:128], v[137:138]
	s_waitcnt vmcnt(13)
	v_fma_f64 v[127:128], v[149:150], v[129:130], v[127:128]
	s_waitcnt vmcnt(12) lgkmcnt(0)
	v_fma_f64 v[127:128], v[145:146], v[131:132], v[127:128]
	s_waitcnt vmcnt(7)
	v_fma_f64 v[137:138], v[139:140], v[133:134], v[127:128]
	ds_read_b128 v[127:130], v126 offset:960
	ds_read_b128 v[131:134], v126 offset:976
	s_waitcnt vmcnt(6) lgkmcnt(1)
	v_fma_f64 v[126:127], v[155:156], v[127:128], v[137:138]
	s_waitcnt vmcnt(5)
	v_fma_f64 v[126:127], v[153:154], v[129:130], v[126:127]
	s_waitcnt vmcnt(4) lgkmcnt(0)
	v_fma_f64 v[126:127], v[143:144], v[131:132], v[126:127]
	s_waitcnt vmcnt(2)
	v_fma_f64 v[126:127], v[135:136], v[133:134], v[126:127]
	s_waitcnt vmcnt(0)
	v_add_f64 v[126:127], v[141:142], -v[126:127]
	buffer_store_dword v127, off, s[0:3], 0 offset:12
	buffer_store_dword v126, off, s[0:3], 0 offset:8
	s_and_saveexec_b64 s[4:5], vcc
	s_cbranch_execz .LBB125_379
; %bb.378:
	buffer_load_dword v126, off, s[0:3], 0
	buffer_load_dword v127, off, s[0:3], 0 offset:4
	v_mov_b32_e32 v0, 0
	buffer_store_dword v0, off, s[0:3], 0
	buffer_store_dword v0, off, s[0:3], 0 offset:4
	s_waitcnt vmcnt(2)
	ds_write_b64 v125, v[126:127]
.LBB125_379:
	s_or_b64 exec, exec, s[4:5]
	s_waitcnt lgkmcnt(0)
	; wave barrier
	buffer_load_dword v133, off, s[0:3], 0 offset:8
	buffer_load_dword v134, off, s[0:3], 0 offset:12
	;; [unrolled: 1-line block ×21, first 2 shown]
	v_mov_b32_e32 v0, 0
	ds_read2_b64 v[125:128], v0 offset0:63 offset1:64
	ds_read2_b64 v[129:132], v0 offset0:65 offset1:66
	buffer_load_dword v150, off, s[0:3], 0 offset:92
	s_and_b64 vcc, exec, s[14:15]
	s_waitcnt vmcnt(20) lgkmcnt(1)
	v_fma_f64 v[125:126], v[133:134], v[125:126], 0
	s_waitcnt vmcnt(18)
	v_fma_f64 v[125:126], v[135:136], v[127:128], v[125:126]
	buffer_load_dword v134, off, s[0:3], 0 offset:100
	buffer_load_dword v135, off, s[0:3], 0 offset:120
	;; [unrolled: 1-line block ×7, first 2 shown]
	s_waitcnt vmcnt(23) lgkmcnt(0)
	v_fma_f64 v[125:126], v[137:138], v[129:130], v[125:126]
	s_waitcnt vmcnt(21)
	v_fma_f64 v[136:137], v[139:140], v[131:132], v[125:126]
	ds_read2_b64 v[125:128], v0 offset0:67 offset1:68
	ds_read2_b64 v[129:132], v0 offset0:69 offset1:70
	s_waitcnt vmcnt(19) lgkmcnt(1)
	v_fma_f64 v[125:126], v[141:142], v[125:126], v[136:137]
	buffer_load_dword v136, off, s[0:3], 0 offset:124
	s_waitcnt vmcnt(18)
	v_fma_f64 v[125:126], v[143:144], v[127:128], v[125:126]
	buffer_load_dword v138, off, s[0:3], 0 offset:132
	buffer_load_dword v139, off, s[0:3], 0 offset:152
	;; [unrolled: 1-line block ×8, first 2 shown]
	s_waitcnt vmcnt(24) lgkmcnt(0)
	v_fma_f64 v[125:126], v[145:146], v[129:130], v[125:126]
	s_waitcnt vmcnt(19)
	v_fma_f64 v[145:146], v[147:148], v[131:132], v[125:126]
	ds_read2_b64 v[125:128], v0 offset0:71 offset1:72
	ds_read2_b64 v[129:132], v0 offset0:73 offset1:74
	s_waitcnt vmcnt(18) lgkmcnt(1)
	v_fma_f64 v[125:126], v[153:154], v[125:126], v[145:146]
	s_waitcnt vmcnt(17)
	v_fma_f64 v[125:126], v[151:152], v[127:128], v[125:126]
	buffer_load_dword v146, off, s[0:3], 0 offset:164
	buffer_load_dword v147, off, s[0:3], 0 offset:184
	;; [unrolled: 1-line block ×7, first 2 shown]
	s_waitcnt vmcnt(23) lgkmcnt(0)
	v_fma_f64 v[125:126], v[149:150], v[129:130], v[125:126]
	s_waitcnt vmcnt(18)
	v_fma_f64 v[133:134], v[133:134], v[131:132], v[125:126]
	ds_read2_b64 v[125:128], v0 offset0:75 offset1:76
	ds_read2_b64 v[129:132], v0 offset0:77 offset1:78
	buffer_load_dword v148, off, s[0:3], 0 offset:188
	s_waitcnt vmcnt(18) lgkmcnt(1)
	v_fma_f64 v[125:126], v[157:158], v[125:126], v[133:134]
	s_waitcnt vmcnt(17)
	v_fma_f64 v[125:126], v[155:156], v[127:128], v[125:126]
	buffer_load_dword v134, off, s[0:3], 0 offset:196
	buffer_load_dword v149, off, s[0:3], 0 offset:216
	;; [unrolled: 1-line block ×7, first 2 shown]
	s_waitcnt vmcnt(23) lgkmcnt(0)
	v_fma_f64 v[125:126], v[135:136], v[129:130], v[125:126]
	s_waitcnt vmcnt(18)
	v_fma_f64 v[135:136], v[137:138], v[131:132], v[125:126]
	ds_read2_b64 v[125:128], v0 offset0:79 offset1:80
	ds_read2_b64 v[129:132], v0 offset0:81 offset1:82
	buffer_load_dword v150, off, s[0:3], 0 offset:220
	s_waitcnt vmcnt(18) lgkmcnt(1)
	v_fma_f64 v[125:126], v[143:144], v[125:126], v[135:136]
	s_waitcnt vmcnt(17)
	v_fma_f64 v[125:126], v[141:142], v[127:128], v[125:126]
	buffer_load_dword v136, off, s[0:3], 0 offset:228
	buffer_load_dword v137, off, s[0:3], 0 offset:248
	;; [unrolled: 1-line block ×7, first 2 shown]
	s_waitcnt vmcnt(23) lgkmcnt(0)
	v_fma_f64 v[125:126], v[139:140], v[129:130], v[125:126]
	s_waitcnt vmcnt(18)
	v_fma_f64 v[138:139], v[145:146], v[131:132], v[125:126]
	ds_read2_b64 v[125:128], v0 offset0:83 offset1:84
	ds_read2_b64 v[129:132], v0 offset0:85 offset1:86
	s_waitcnt vmcnt(17) lgkmcnt(1)
	v_fma_f64 v[125:126], v[153:154], v[125:126], v[138:139]
	buffer_load_dword v138, off, s[0:3], 0 offset:252
	s_waitcnt vmcnt(17)
	v_fma_f64 v[125:126], v[151:152], v[127:128], v[125:126]
	buffer_load_dword v140, off, s[0:3], 0 offset:260
	buffer_load_dword v145, off, s[0:3], 0 offset:280
	buffer_load_dword v151, off, s[0:3], 0 offset:272
	buffer_load_dword v153, off, s[0:3], 0 offset:264
	buffer_load_dword v139, off, s[0:3], 0 offset:256
	buffer_load_dword v154, off, s[0:3], 0 offset:268
	buffer_load_dword v152, off, s[0:3], 0 offset:276
	s_waitcnt vmcnt(23) lgkmcnt(0)
	v_fma_f64 v[125:126], v[147:148], v[129:130], v[125:126]
	s_waitcnt vmcnt(18)
	v_fma_f64 v[133:134], v[133:134], v[131:132], v[125:126]
	ds_read2_b64 v[125:128], v0 offset0:87 offset1:88
	ds_read2_b64 v[129:132], v0 offset0:89 offset1:90
	buffer_load_dword v146, off, s[0:3], 0 offset:284
	s_waitcnt vmcnt(18) lgkmcnt(1)
	v_fma_f64 v[125:126], v[157:158], v[125:126], v[133:134]
	s_waitcnt vmcnt(17)
	v_fma_f64 v[125:126], v[155:156], v[127:128], v[125:126]
	buffer_load_dword v134, off, s[0:3], 0 offset:292
	buffer_load_dword v147, off, s[0:3], 0 offset:312
	;; [unrolled: 1-line block ×7, first 2 shown]
	s_waitcnt vmcnt(23) lgkmcnt(0)
	v_fma_f64 v[125:126], v[149:150], v[129:130], v[125:126]
	s_waitcnt vmcnt(18)
	v_fma_f64 v[135:136], v[135:136], v[131:132], v[125:126]
	ds_read2_b64 v[125:128], v0 offset0:91 offset1:92
	ds_read2_b64 v[129:132], v0 offset0:93 offset1:94
	buffer_load_dword v148, off, s[0:3], 0 offset:316
	s_waitcnt vmcnt(18) lgkmcnt(1)
	v_fma_f64 v[125:126], v[143:144], v[125:126], v[135:136]
	s_waitcnt vmcnt(17)
	v_fma_f64 v[125:126], v[141:142], v[127:128], v[125:126]
	buffer_load_dword v136, off, s[0:3], 0 offset:324
	buffer_load_dword v141, off, s[0:3], 0 offset:344
	;; [unrolled: 1-line block ×8, first 2 shown]
	s_waitcnt vmcnt(24) lgkmcnt(0)
	v_fma_f64 v[125:126], v[137:138], v[129:130], v[125:126]
	s_waitcnt vmcnt(19)
	v_fma_f64 v[137:138], v[139:140], v[131:132], v[125:126]
	ds_read2_b64 v[125:128], v0 offset0:95 offset1:96
	ds_read2_b64 v[129:132], v0 offset0:97 offset1:98
	s_waitcnt vmcnt(18) lgkmcnt(1)
	v_fma_f64 v[125:126], v[153:154], v[125:126], v[137:138]
	s_waitcnt vmcnt(17)
	v_fma_f64 v[125:126], v[151:152], v[127:128], v[125:126]
	buffer_load_dword v138, off, s[0:3], 0 offset:356
	buffer_load_dword v139, off, s[0:3], 0 offset:376
	;; [unrolled: 1-line block ×7, first 2 shown]
	s_waitcnt vmcnt(23) lgkmcnt(0)
	v_fma_f64 v[125:126], v[145:146], v[129:130], v[125:126]
	s_waitcnt vmcnt(18)
	v_fma_f64 v[133:134], v[133:134], v[131:132], v[125:126]
	ds_read2_b64 v[125:128], v0 offset0:99 offset1:100
	ds_read2_b64 v[129:132], v0 offset0:101 offset1:102
	buffer_load_dword v140, off, s[0:3], 0 offset:380
	s_waitcnt vmcnt(18) lgkmcnt(1)
	v_fma_f64 v[125:126], v[157:158], v[125:126], v[133:134]
	s_waitcnt vmcnt(17)
	v_fma_f64 v[125:126], v[155:156], v[127:128], v[125:126]
	buffer_load_dword v134, off, s[0:3], 0 offset:388
	buffer_load_dword v145, off, s[0:3], 0 offset:408
	;; [unrolled: 1-line block ×7, first 2 shown]
	s_waitcnt vmcnt(23) lgkmcnt(0)
	v_fma_f64 v[125:126], v[147:148], v[129:130], v[125:126]
	s_waitcnt vmcnt(18)
	v_fma_f64 v[135:136], v[135:136], v[131:132], v[125:126]
	ds_read2_b64 v[125:128], v0 offset0:103 offset1:104
	ds_read2_b64 v[129:132], v0 offset0:105 offset1:106
	buffer_load_dword v146, off, s[0:3], 0 offset:412
	s_waitcnt vmcnt(18) lgkmcnt(1)
	v_fma_f64 v[125:126], v[149:150], v[125:126], v[135:136]
	s_waitcnt vmcnt(17)
	v_fma_f64 v[125:126], v[143:144], v[127:128], v[125:126]
	buffer_load_dword v136, off, s[0:3], 0 offset:420
	buffer_load_dword v143, off, s[0:3], 0 offset:440
	;; [unrolled: 1-line block ×8, first 2 shown]
	s_waitcnt vmcnt(24) lgkmcnt(0)
	v_fma_f64 v[125:126], v[141:142], v[129:130], v[125:126]
	s_waitcnt vmcnt(19)
	v_fma_f64 v[137:138], v[137:138], v[131:132], v[125:126]
	ds_read2_b64 v[125:128], v0 offset0:107 offset1:108
	ds_read2_b64 v[129:132], v0 offset0:109 offset1:110
	s_waitcnt vmcnt(18) lgkmcnt(1)
	v_fma_f64 v[125:126], v[153:154], v[125:126], v[137:138]
	s_waitcnt vmcnt(17)
	v_fma_f64 v[125:126], v[151:152], v[127:128], v[125:126]
	buffer_load_dword v138, off, s[0:3], 0 offset:452
	buffer_load_dword v141, off, s[0:3], 0 offset:472
	;; [unrolled: 1-line block ×7, first 2 shown]
	s_waitcnt vmcnt(23) lgkmcnt(0)
	v_fma_f64 v[125:126], v[139:140], v[129:130], v[125:126]
	s_waitcnt vmcnt(18)
	v_fma_f64 v[133:134], v[133:134], v[131:132], v[125:126]
	ds_read2_b64 v[125:128], v0 offset0:111 offset1:112
	ds_read2_b64 v[129:132], v0 offset0:113 offset1:114
	buffer_load_dword v142, off, s[0:3], 0 offset:476
	s_waitcnt vmcnt(18) lgkmcnt(1)
	v_fma_f64 v[125:126], v[157:158], v[125:126], v[133:134]
	s_waitcnt vmcnt(17)
	v_fma_f64 v[127:128], v[155:156], v[127:128], v[125:126]
	buffer_load_dword v126, off, s[0:3], 0 offset:484
	buffer_load_dword v139, off, s[0:3], 0 offset:488
	buffer_load_dword v125, off, s[0:3], 0 offset:480
	buffer_load_dword v140, off, s[0:3], 0 offset:492
	s_waitcnt vmcnt(20) lgkmcnt(0)
	v_fma_f64 v[127:128], v[145:146], v[129:130], v[127:128]
	buffer_load_dword v145, off, s[0:3], 0
	buffer_load_dword v146, off, s[0:3], 0 offset:4
	s_waitcnt vmcnt(17)
	v_fma_f64 v[135:136], v[135:136], v[131:132], v[127:128]
	ds_read2_b64 v[127:130], v0 offset0:115 offset1:116
	ds_read2_b64 v[131:134], v0 offset0:117 offset1:118
	s_waitcnt vmcnt(16) lgkmcnt(1)
	v_fma_f64 v[127:128], v[149:150], v[127:128], v[135:136]
	s_waitcnt vmcnt(15)
	v_fma_f64 v[127:128], v[147:148], v[129:130], v[127:128]
	s_waitcnt vmcnt(14) lgkmcnt(0)
	v_fma_f64 v[127:128], v[143:144], v[131:132], v[127:128]
	s_waitcnt vmcnt(9)
	v_fma_f64 v[135:136], v[137:138], v[133:134], v[127:128]
	ds_read2_b64 v[127:130], v0 offset0:119 offset1:120
	ds_read2_b64 v[131:134], v0 offset0:121 offset1:122
	s_waitcnt vmcnt(8) lgkmcnt(1)
	v_fma_f64 v[127:128], v[153:154], v[127:128], v[135:136]
	s_waitcnt vmcnt(7)
	v_fma_f64 v[127:128], v[151:152], v[129:130], v[127:128]
	ds_read_b64 v[129:130], v0 offset:984
	s_waitcnt vmcnt(6) lgkmcnt(1)
	v_fma_f64 v[127:128], v[141:142], v[131:132], v[127:128]
	s_waitcnt vmcnt(3)
	v_fma_f64 v[127:128], v[125:126], v[133:134], v[127:128]
	s_waitcnt vmcnt(2) lgkmcnt(0)
	v_fma_f64 v[127:128], v[139:140], v[129:130], v[127:128]
	s_waitcnt vmcnt(0)
	v_add_f64 v[127:128], v[145:146], -v[127:128]
	buffer_store_dword v128, off, s[0:3], 0 offset:4
	buffer_store_dword v127, off, s[0:3], 0
	s_cbranch_vccz .LBB125_502
; %bb.380:
	global_load_dword v0, v0, s[12:13] offset:240
	s_waitcnt vmcnt(0)
	v_add_u32_e32 v0, -1, v0
	v_cmp_ne_u32_e32 vcc, 60, v0
	s_cbranch_vccz .LBB125_382
; %bb.381:
	v_lshlrev_b32_e32 v0, 3, v0
	buffer_load_dword v127, v0, s[0:3], 0 offen offset:4
	buffer_load_dword v128, v0, s[0:3], 0 offen
	s_waitcnt vmcnt(1)
	buffer_store_dword v127, off, s[0:3], 0 offset:484
	s_waitcnt vmcnt(1)
	buffer_store_dword v128, off, s[0:3], 0 offset:480
	buffer_store_dword v126, v0, s[0:3], 0 offen offset:4
	buffer_store_dword v125, v0, s[0:3], 0 offen
.LBB125_382:
	v_mov_b32_e32 v0, 0
	global_load_dword v125, v0, s[12:13] offset:236
	s_waitcnt vmcnt(0)
	v_add_u32_e32 v125, -1, v125
	v_cmp_eq_u32_e32 vcc, 59, v125
	s_cbranch_vccnz .LBB125_384
; %bb.383:
	v_lshlrev_b32_e32 v125, 3, v125
	buffer_load_dword v126, v125, s[0:3], 0 offen
	buffer_load_dword v127, v125, s[0:3], 0 offen offset:4
	buffer_load_dword v128, off, s[0:3], 0 offset:472
	buffer_load_dword v129, off, s[0:3], 0 offset:476
	s_waitcnt vmcnt(3)
	buffer_store_dword v126, off, s[0:3], 0 offset:472
	s_waitcnt vmcnt(3)
	buffer_store_dword v127, off, s[0:3], 0 offset:476
	s_waitcnt vmcnt(3)
	buffer_store_dword v128, v125, s[0:3], 0 offen
	s_waitcnt vmcnt(3)
	buffer_store_dword v129, v125, s[0:3], 0 offen offset:4
.LBB125_384:
	global_load_dword v0, v0, s[12:13] offset:232
	s_waitcnt vmcnt(0)
	v_add_u32_e32 v0, -1, v0
	v_cmp_eq_u32_e32 vcc, 58, v0
	s_cbranch_vccnz .LBB125_386
; %bb.385:
	v_lshlrev_b32_e32 v0, 3, v0
	buffer_load_dword v125, v0, s[0:3], 0 offen
	buffer_load_dword v126, v0, s[0:3], 0 offen offset:4
	buffer_load_dword v127, off, s[0:3], 0 offset:468
	buffer_load_dword v128, off, s[0:3], 0 offset:464
	s_waitcnt vmcnt(3)
	buffer_store_dword v125, off, s[0:3], 0 offset:464
	s_waitcnt vmcnt(3)
	buffer_store_dword v126, off, s[0:3], 0 offset:468
	s_waitcnt vmcnt(3)
	buffer_store_dword v127, v0, s[0:3], 0 offen offset:4
	s_waitcnt vmcnt(3)
	buffer_store_dword v128, v0, s[0:3], 0 offen
.LBB125_386:
	v_mov_b32_e32 v0, 0
	global_load_dword v125, v0, s[12:13] offset:228
	s_waitcnt vmcnt(0)
	v_add_u32_e32 v125, -1, v125
	v_cmp_eq_u32_e32 vcc, 57, v125
	s_cbranch_vccnz .LBB125_388
; %bb.387:
	v_lshlrev_b32_e32 v125, 3, v125
	buffer_load_dword v126, v125, s[0:3], 0 offen
	buffer_load_dword v127, v125, s[0:3], 0 offen offset:4
	buffer_load_dword v128, off, s[0:3], 0 offset:456
	buffer_load_dword v129, off, s[0:3], 0 offset:460
	s_waitcnt vmcnt(3)
	buffer_store_dword v126, off, s[0:3], 0 offset:456
	s_waitcnt vmcnt(3)
	buffer_store_dword v127, off, s[0:3], 0 offset:460
	s_waitcnt vmcnt(3)
	buffer_store_dword v128, v125, s[0:3], 0 offen
	s_waitcnt vmcnt(3)
	buffer_store_dword v129, v125, s[0:3], 0 offen offset:4
.LBB125_388:
	global_load_dword v0, v0, s[12:13] offset:224
	s_waitcnt vmcnt(0)
	v_add_u32_e32 v0, -1, v0
	v_cmp_eq_u32_e32 vcc, 56, v0
	s_cbranch_vccnz .LBB125_390
; %bb.389:
	v_lshlrev_b32_e32 v0, 3, v0
	buffer_load_dword v125, v0, s[0:3], 0 offen
	buffer_load_dword v126, v0, s[0:3], 0 offen offset:4
	buffer_load_dword v127, off, s[0:3], 0 offset:452
	buffer_load_dword v128, off, s[0:3], 0 offset:448
	s_waitcnt vmcnt(3)
	buffer_store_dword v125, off, s[0:3], 0 offset:448
	s_waitcnt vmcnt(3)
	buffer_store_dword v126, off, s[0:3], 0 offset:452
	s_waitcnt vmcnt(3)
	buffer_store_dword v127, v0, s[0:3], 0 offen offset:4
	s_waitcnt vmcnt(3)
	buffer_store_dword v128, v0, s[0:3], 0 offen
.LBB125_390:
	;; [unrolled: 41-line block ×29, first 2 shown]
	v_mov_b32_e32 v0, 0
	global_load_dword v125, v0, s[12:13] offset:4
	s_waitcnt vmcnt(0)
	v_add_u32_e32 v125, -1, v125
	v_cmp_eq_u32_e32 vcc, 1, v125
	s_cbranch_vccnz .LBB125_500
; %bb.499:
	v_lshlrev_b32_e32 v125, 3, v125
	buffer_load_dword v126, v125, s[0:3], 0 offen
	buffer_load_dword v127, v125, s[0:3], 0 offen offset:4
	buffer_load_dword v128, off, s[0:3], 0 offset:8
	buffer_load_dword v129, off, s[0:3], 0 offset:12
	s_waitcnt vmcnt(3)
	buffer_store_dword v126, off, s[0:3], 0 offset:8
	s_waitcnt vmcnt(3)
	buffer_store_dword v127, off, s[0:3], 0 offset:12
	s_waitcnt vmcnt(3)
	buffer_store_dword v128, v125, s[0:3], 0 offen
	s_waitcnt vmcnt(3)
	buffer_store_dword v129, v125, s[0:3], 0 offen offset:4
.LBB125_500:
	global_load_dword v0, v0, s[12:13]
	s_nop 0
	buffer_load_dword v127, off, s[0:3], 0
	buffer_load_dword v128, off, s[0:3], 0 offset:4
	s_waitcnt vmcnt(2)
	v_add_u32_e32 v0, -1, v0
	v_cmp_eq_u32_e32 vcc, 0, v0
	s_cbranch_vccnz .LBB125_502
; %bb.501:
	v_lshlrev_b32_e32 v0, 3, v0
	buffer_load_dword v125, v0, s[0:3], 0 offen offset:4
	buffer_load_dword v126, v0, s[0:3], 0 offen
	s_waitcnt vmcnt(1)
	buffer_store_dword v125, off, s[0:3], 0 offset:4
	s_waitcnt vmcnt(1)
	buffer_store_dword v126, off, s[0:3], 0
	buffer_store_dword v128, v0, s[0:3], 0 offen offset:4
	buffer_store_dword v127, v0, s[0:3], 0 offen
	buffer_load_dword v127, off, s[0:3], 0
	s_nop 0
	buffer_load_dword v128, off, s[0:3], 0 offset:4
.LBB125_502:
	s_waitcnt vmcnt(0)
	flat_store_dwordx2 v[1:2], v[127:128]
	buffer_load_dword v0, off, s[0:3], 0 offset:8
	s_nop 0
	buffer_load_dword v1, off, s[0:3], 0 offset:12
	s_waitcnt vmcnt(0)
	flat_store_dwordx2 v[3:4], v[0:1]
	buffer_load_dword v0, off, s[0:3], 0 offset:16
	s_nop 0
	buffer_load_dword v1, off, s[0:3], 0 offset:20
	s_waitcnt vmcnt(0)
	flat_store_dwordx2 v[5:6], v[0:1]
	buffer_load_dword v0, off, s[0:3], 0 offset:24
	s_nop 0
	buffer_load_dword v1, off, s[0:3], 0 offset:28
	s_waitcnt vmcnt(0)
	flat_store_dwordx2 v[7:8], v[0:1]
	buffer_load_dword v0, off, s[0:3], 0 offset:32
	s_nop 0
	buffer_load_dword v1, off, s[0:3], 0 offset:36
	s_waitcnt vmcnt(0)
	flat_store_dwordx2 v[9:10], v[0:1]
	buffer_load_dword v0, off, s[0:3], 0 offset:40
	s_nop 0
	buffer_load_dword v1, off, s[0:3], 0 offset:44
	s_waitcnt vmcnt(0)
	flat_store_dwordx2 v[11:12], v[0:1]
	buffer_load_dword v0, off, s[0:3], 0 offset:48
	s_nop 0
	buffer_load_dword v1, off, s[0:3], 0 offset:52
	s_waitcnt vmcnt(0)
	flat_store_dwordx2 v[13:14], v[0:1]
	buffer_load_dword v0, off, s[0:3], 0 offset:56
	s_nop 0
	buffer_load_dword v1, off, s[0:3], 0 offset:60
	s_waitcnt vmcnt(0)
	flat_store_dwordx2 v[15:16], v[0:1]
	buffer_load_dword v0, off, s[0:3], 0 offset:64
	s_nop 0
	buffer_load_dword v1, off, s[0:3], 0 offset:68
	s_waitcnt vmcnt(0)
	flat_store_dwordx2 v[17:18], v[0:1]
	buffer_load_dword v0, off, s[0:3], 0 offset:72
	s_nop 0
	buffer_load_dword v1, off, s[0:3], 0 offset:76
	s_waitcnt vmcnt(0)
	flat_store_dwordx2 v[19:20], v[0:1]
	buffer_load_dword v0, off, s[0:3], 0 offset:80
	s_nop 0
	buffer_load_dword v1, off, s[0:3], 0 offset:84
	s_waitcnt vmcnt(0)
	flat_store_dwordx2 v[21:22], v[0:1]
	buffer_load_dword v0, off, s[0:3], 0 offset:88
	s_nop 0
	buffer_load_dword v1, off, s[0:3], 0 offset:92
	s_waitcnt vmcnt(0)
	flat_store_dwordx2 v[23:24], v[0:1]
	buffer_load_dword v0, off, s[0:3], 0 offset:96
	s_nop 0
	buffer_load_dword v1, off, s[0:3], 0 offset:100
	s_waitcnt vmcnt(0)
	flat_store_dwordx2 v[25:26], v[0:1]
	buffer_load_dword v0, off, s[0:3], 0 offset:104
	s_nop 0
	buffer_load_dword v1, off, s[0:3], 0 offset:108
	s_waitcnt vmcnt(0)
	flat_store_dwordx2 v[27:28], v[0:1]
	buffer_load_dword v0, off, s[0:3], 0 offset:112
	s_nop 0
	buffer_load_dword v1, off, s[0:3], 0 offset:116
	s_waitcnt vmcnt(0)
	flat_store_dwordx2 v[29:30], v[0:1]
	buffer_load_dword v0, off, s[0:3], 0 offset:120
	s_nop 0
	buffer_load_dword v1, off, s[0:3], 0 offset:124
	s_waitcnt vmcnt(0)
	flat_store_dwordx2 v[31:32], v[0:1]
	buffer_load_dword v0, off, s[0:3], 0 offset:128
	s_nop 0
	buffer_load_dword v1, off, s[0:3], 0 offset:132
	s_waitcnt vmcnt(0)
	flat_store_dwordx2 v[33:34], v[0:1]
	buffer_load_dword v0, off, s[0:3], 0 offset:136
	s_nop 0
	buffer_load_dword v1, off, s[0:3], 0 offset:140
	s_waitcnt vmcnt(0)
	flat_store_dwordx2 v[35:36], v[0:1]
	buffer_load_dword v0, off, s[0:3], 0 offset:144
	s_nop 0
	buffer_load_dword v1, off, s[0:3], 0 offset:148
	s_waitcnt vmcnt(0)
	flat_store_dwordx2 v[37:38], v[0:1]
	buffer_load_dword v0, off, s[0:3], 0 offset:152
	s_nop 0
	buffer_load_dword v1, off, s[0:3], 0 offset:156
	s_waitcnt vmcnt(0)
	flat_store_dwordx2 v[39:40], v[0:1]
	buffer_load_dword v0, off, s[0:3], 0 offset:160
	s_nop 0
	buffer_load_dword v1, off, s[0:3], 0 offset:164
	s_waitcnt vmcnt(0)
	flat_store_dwordx2 v[41:42], v[0:1]
	buffer_load_dword v0, off, s[0:3], 0 offset:168
	s_nop 0
	buffer_load_dword v1, off, s[0:3], 0 offset:172
	s_waitcnt vmcnt(0)
	flat_store_dwordx2 v[43:44], v[0:1]
	buffer_load_dword v0, off, s[0:3], 0 offset:176
	s_nop 0
	buffer_load_dword v1, off, s[0:3], 0 offset:180
	s_waitcnt vmcnt(0)
	flat_store_dwordx2 v[45:46], v[0:1]
	buffer_load_dword v0, off, s[0:3], 0 offset:184
	s_nop 0
	buffer_load_dword v1, off, s[0:3], 0 offset:188
	s_waitcnt vmcnt(0)
	flat_store_dwordx2 v[47:48], v[0:1]
	buffer_load_dword v0, off, s[0:3], 0 offset:192
	s_nop 0
	buffer_load_dword v1, off, s[0:3], 0 offset:196
	s_waitcnt vmcnt(0)
	flat_store_dwordx2 v[49:50], v[0:1]
	buffer_load_dword v0, off, s[0:3], 0 offset:200
	s_nop 0
	buffer_load_dword v1, off, s[0:3], 0 offset:204
	s_waitcnt vmcnt(0)
	flat_store_dwordx2 v[51:52], v[0:1]
	buffer_load_dword v0, off, s[0:3], 0 offset:208
	s_nop 0
	buffer_load_dword v1, off, s[0:3], 0 offset:212
	s_waitcnt vmcnt(0)
	flat_store_dwordx2 v[53:54], v[0:1]
	buffer_load_dword v0, off, s[0:3], 0 offset:216
	s_nop 0
	buffer_load_dword v1, off, s[0:3], 0 offset:220
	s_waitcnt vmcnt(0)
	flat_store_dwordx2 v[55:56], v[0:1]
	buffer_load_dword v0, off, s[0:3], 0 offset:224
	s_nop 0
	buffer_load_dword v1, off, s[0:3], 0 offset:228
	s_waitcnt vmcnt(0)
	flat_store_dwordx2 v[57:58], v[0:1]
	buffer_load_dword v0, off, s[0:3], 0 offset:232
	s_nop 0
	buffer_load_dword v1, off, s[0:3], 0 offset:236
	s_waitcnt vmcnt(0)
	flat_store_dwordx2 v[59:60], v[0:1]
	buffer_load_dword v0, off, s[0:3], 0 offset:240
	s_nop 0
	buffer_load_dword v1, off, s[0:3], 0 offset:244
	s_waitcnt vmcnt(0)
	flat_store_dwordx2 v[61:62], v[0:1]
	buffer_load_dword v0, off, s[0:3], 0 offset:248
	s_nop 0
	buffer_load_dword v1, off, s[0:3], 0 offset:252
	s_waitcnt vmcnt(0)
	flat_store_dwordx2 v[63:64], v[0:1]
	buffer_load_dword v0, off, s[0:3], 0 offset:256
	s_nop 0
	buffer_load_dword v1, off, s[0:3], 0 offset:260
	s_waitcnt vmcnt(0)
	flat_store_dwordx2 v[65:66], v[0:1]
	buffer_load_dword v0, off, s[0:3], 0 offset:264
	s_nop 0
	buffer_load_dword v1, off, s[0:3], 0 offset:268
	s_waitcnt vmcnt(0)
	flat_store_dwordx2 v[67:68], v[0:1]
	buffer_load_dword v0, off, s[0:3], 0 offset:272
	s_nop 0
	buffer_load_dword v1, off, s[0:3], 0 offset:276
	s_waitcnt vmcnt(0)
	flat_store_dwordx2 v[69:70], v[0:1]
	buffer_load_dword v0, off, s[0:3], 0 offset:280
	s_nop 0
	buffer_load_dword v1, off, s[0:3], 0 offset:284
	s_waitcnt vmcnt(0)
	flat_store_dwordx2 v[71:72], v[0:1]
	buffer_load_dword v0, off, s[0:3], 0 offset:288
	s_nop 0
	buffer_load_dword v1, off, s[0:3], 0 offset:292
	s_waitcnt vmcnt(0)
	flat_store_dwordx2 v[73:74], v[0:1]
	buffer_load_dword v0, off, s[0:3], 0 offset:296
	s_nop 0
	buffer_load_dword v1, off, s[0:3], 0 offset:300
	s_waitcnt vmcnt(0)
	flat_store_dwordx2 v[75:76], v[0:1]
	buffer_load_dword v0, off, s[0:3], 0 offset:304
	s_nop 0
	buffer_load_dword v1, off, s[0:3], 0 offset:308
	s_waitcnt vmcnt(0)
	flat_store_dwordx2 v[77:78], v[0:1]
	buffer_load_dword v0, off, s[0:3], 0 offset:312
	s_nop 0
	buffer_load_dword v1, off, s[0:3], 0 offset:316
	s_waitcnt vmcnt(0)
	flat_store_dwordx2 v[79:80], v[0:1]
	buffer_load_dword v0, off, s[0:3], 0 offset:320
	s_nop 0
	buffer_load_dword v1, off, s[0:3], 0 offset:324
	s_waitcnt vmcnt(0)
	flat_store_dwordx2 v[81:82], v[0:1]
	buffer_load_dword v0, off, s[0:3], 0 offset:328
	s_nop 0
	buffer_load_dword v1, off, s[0:3], 0 offset:332
	s_waitcnt vmcnt(0)
	flat_store_dwordx2 v[83:84], v[0:1]
	buffer_load_dword v0, off, s[0:3], 0 offset:336
	s_nop 0
	buffer_load_dword v1, off, s[0:3], 0 offset:340
	s_waitcnt vmcnt(0)
	flat_store_dwordx2 v[85:86], v[0:1]
	buffer_load_dword v0, off, s[0:3], 0 offset:344
	s_nop 0
	buffer_load_dword v1, off, s[0:3], 0 offset:348
	s_waitcnt vmcnt(0)
	flat_store_dwordx2 v[87:88], v[0:1]
	buffer_load_dword v0, off, s[0:3], 0 offset:352
	s_nop 0
	buffer_load_dword v1, off, s[0:3], 0 offset:356
	s_waitcnt vmcnt(0)
	flat_store_dwordx2 v[89:90], v[0:1]
	buffer_load_dword v0, off, s[0:3], 0 offset:360
	s_nop 0
	buffer_load_dword v1, off, s[0:3], 0 offset:364
	s_waitcnt vmcnt(0)
	flat_store_dwordx2 v[91:92], v[0:1]
	buffer_load_dword v0, off, s[0:3], 0 offset:368
	s_nop 0
	buffer_load_dword v1, off, s[0:3], 0 offset:372
	s_waitcnt vmcnt(0)
	flat_store_dwordx2 v[93:94], v[0:1]
	buffer_load_dword v0, off, s[0:3], 0 offset:376
	s_nop 0
	buffer_load_dword v1, off, s[0:3], 0 offset:380
	s_waitcnt vmcnt(0)
	flat_store_dwordx2 v[95:96], v[0:1]
	buffer_load_dword v0, off, s[0:3], 0 offset:384
	s_nop 0
	buffer_load_dword v1, off, s[0:3], 0 offset:388
	s_waitcnt vmcnt(0)
	flat_store_dwordx2 v[97:98], v[0:1]
	buffer_load_dword v0, off, s[0:3], 0 offset:392
	s_nop 0
	buffer_load_dword v1, off, s[0:3], 0 offset:396
	s_waitcnt vmcnt(0)
	flat_store_dwordx2 v[99:100], v[0:1]
	buffer_load_dword v0, off, s[0:3], 0 offset:400
	s_nop 0
	buffer_load_dword v1, off, s[0:3], 0 offset:404
	s_waitcnt vmcnt(0)
	flat_store_dwordx2 v[101:102], v[0:1]
	buffer_load_dword v0, off, s[0:3], 0 offset:408
	s_nop 0
	buffer_load_dword v1, off, s[0:3], 0 offset:412
	s_waitcnt vmcnt(0)
	flat_store_dwordx2 v[103:104], v[0:1]
	buffer_load_dword v0, off, s[0:3], 0 offset:416
	s_nop 0
	buffer_load_dword v1, off, s[0:3], 0 offset:420
	s_waitcnt vmcnt(0)
	flat_store_dwordx2 v[105:106], v[0:1]
	buffer_load_dword v0, off, s[0:3], 0 offset:424
	s_nop 0
	buffer_load_dword v1, off, s[0:3], 0 offset:428
	s_waitcnt vmcnt(0)
	flat_store_dwordx2 v[107:108], v[0:1]
	buffer_load_dword v0, off, s[0:3], 0 offset:432
	s_nop 0
	buffer_load_dword v1, off, s[0:3], 0 offset:436
	s_waitcnt vmcnt(0)
	flat_store_dwordx2 v[109:110], v[0:1]
	buffer_load_dword v0, off, s[0:3], 0 offset:440
	s_nop 0
	buffer_load_dword v1, off, s[0:3], 0 offset:444
	s_waitcnt vmcnt(0)
	flat_store_dwordx2 v[111:112], v[0:1]
	buffer_load_dword v0, off, s[0:3], 0 offset:448
	s_nop 0
	buffer_load_dword v1, off, s[0:3], 0 offset:452
	s_waitcnt vmcnt(0)
	flat_store_dwordx2 v[113:114], v[0:1]
	buffer_load_dword v0, off, s[0:3], 0 offset:456
	s_nop 0
	buffer_load_dword v1, off, s[0:3], 0 offset:460
	s_waitcnt vmcnt(0)
	flat_store_dwordx2 v[115:116], v[0:1]
	buffer_load_dword v0, off, s[0:3], 0 offset:464
	s_nop 0
	buffer_load_dword v1, off, s[0:3], 0 offset:468
	s_waitcnt vmcnt(0)
	flat_store_dwordx2 v[117:118], v[0:1]
	buffer_load_dword v0, off, s[0:3], 0 offset:472
	s_nop 0
	buffer_load_dword v1, off, s[0:3], 0 offset:476
	s_waitcnt vmcnt(0)
	flat_store_dwordx2 v[119:120], v[0:1]
	buffer_load_dword v0, off, s[0:3], 0 offset:480
	s_nop 0
	buffer_load_dword v1, off, s[0:3], 0 offset:484
	s_waitcnt vmcnt(0)
	flat_store_dwordx2 v[121:122], v[0:1]
	buffer_load_dword v0, off, s[0:3], 0 offset:488
	s_nop 0
	buffer_load_dword v1, off, s[0:3], 0 offset:492
	s_waitcnt vmcnt(0)
	flat_store_dwordx2 v[123:124], v[0:1]
	s_endpgm
	.section	.rodata,"a",@progbits
	.p2align	6, 0x0
	.amdhsa_kernel _ZN9rocsolver6v33100L18getri_kernel_smallILi62EdPKPdEEvT1_iilPiilS6_bb
		.amdhsa_group_segment_fixed_size 1000
		.amdhsa_private_segment_fixed_size 512
		.amdhsa_kernarg_size 60
		.amdhsa_user_sgpr_count 6
		.amdhsa_user_sgpr_private_segment_buffer 1
		.amdhsa_user_sgpr_dispatch_ptr 0
		.amdhsa_user_sgpr_queue_ptr 0
		.amdhsa_user_sgpr_kernarg_segment_ptr 1
		.amdhsa_user_sgpr_dispatch_id 0
		.amdhsa_user_sgpr_flat_scratch_init 0
		.amdhsa_user_sgpr_private_segment_size 0
		.amdhsa_uses_dynamic_stack 0
		.amdhsa_system_sgpr_private_segment_wavefront_offset 1
		.amdhsa_system_sgpr_workgroup_id_x 1
		.amdhsa_system_sgpr_workgroup_id_y 0
		.amdhsa_system_sgpr_workgroup_id_z 0
		.amdhsa_system_sgpr_workgroup_info 0
		.amdhsa_system_vgpr_workitem_id 0
		.amdhsa_next_free_vgpr 161
		.amdhsa_next_free_sgpr 21
		.amdhsa_reserve_vcc 1
		.amdhsa_reserve_flat_scratch 0
		.amdhsa_float_round_mode_32 0
		.amdhsa_float_round_mode_16_64 0
		.amdhsa_float_denorm_mode_32 3
		.amdhsa_float_denorm_mode_16_64 3
		.amdhsa_dx10_clamp 1
		.amdhsa_ieee_mode 1
		.amdhsa_fp16_overflow 0
		.amdhsa_exception_fp_ieee_invalid_op 0
		.amdhsa_exception_fp_denorm_src 0
		.amdhsa_exception_fp_ieee_div_zero 0
		.amdhsa_exception_fp_ieee_overflow 0
		.amdhsa_exception_fp_ieee_underflow 0
		.amdhsa_exception_fp_ieee_inexact 0
		.amdhsa_exception_int_div_zero 0
	.end_amdhsa_kernel
	.section	.text._ZN9rocsolver6v33100L18getri_kernel_smallILi62EdPKPdEEvT1_iilPiilS6_bb,"axG",@progbits,_ZN9rocsolver6v33100L18getri_kernel_smallILi62EdPKPdEEvT1_iilPiilS6_bb,comdat
.Lfunc_end125:
	.size	_ZN9rocsolver6v33100L18getri_kernel_smallILi62EdPKPdEEvT1_iilPiilS6_bb, .Lfunc_end125-_ZN9rocsolver6v33100L18getri_kernel_smallILi62EdPKPdEEvT1_iilPiilS6_bb
                                        ; -- End function
	.set _ZN9rocsolver6v33100L18getri_kernel_smallILi62EdPKPdEEvT1_iilPiilS6_bb.num_vgpr, 161
	.set _ZN9rocsolver6v33100L18getri_kernel_smallILi62EdPKPdEEvT1_iilPiilS6_bb.num_agpr, 0
	.set _ZN9rocsolver6v33100L18getri_kernel_smallILi62EdPKPdEEvT1_iilPiilS6_bb.numbered_sgpr, 21
	.set _ZN9rocsolver6v33100L18getri_kernel_smallILi62EdPKPdEEvT1_iilPiilS6_bb.num_named_barrier, 0
	.set _ZN9rocsolver6v33100L18getri_kernel_smallILi62EdPKPdEEvT1_iilPiilS6_bb.private_seg_size, 512
	.set _ZN9rocsolver6v33100L18getri_kernel_smallILi62EdPKPdEEvT1_iilPiilS6_bb.uses_vcc, 1
	.set _ZN9rocsolver6v33100L18getri_kernel_smallILi62EdPKPdEEvT1_iilPiilS6_bb.uses_flat_scratch, 0
	.set _ZN9rocsolver6v33100L18getri_kernel_smallILi62EdPKPdEEvT1_iilPiilS6_bb.has_dyn_sized_stack, 0
	.set _ZN9rocsolver6v33100L18getri_kernel_smallILi62EdPKPdEEvT1_iilPiilS6_bb.has_recursion, 0
	.set _ZN9rocsolver6v33100L18getri_kernel_smallILi62EdPKPdEEvT1_iilPiilS6_bb.has_indirect_call, 0
	.section	.AMDGPU.csdata,"",@progbits
; Kernel info:
; codeLenInByte = 91416
; TotalNumSgprs: 25
; NumVgprs: 161
; ScratchSize: 512
; MemoryBound: 1
; FloatMode: 240
; IeeeMode: 1
; LDSByteSize: 1000 bytes/workgroup (compile time only)
; SGPRBlocks: 3
; VGPRBlocks: 40
; NumSGPRsForWavesPerEU: 25
; NumVGPRsForWavesPerEU: 161
; Occupancy: 1
; WaveLimiterHint : 1
; COMPUTE_PGM_RSRC2:SCRATCH_EN: 1
; COMPUTE_PGM_RSRC2:USER_SGPR: 6
; COMPUTE_PGM_RSRC2:TRAP_HANDLER: 0
; COMPUTE_PGM_RSRC2:TGID_X_EN: 1
; COMPUTE_PGM_RSRC2:TGID_Y_EN: 0
; COMPUTE_PGM_RSRC2:TGID_Z_EN: 0
; COMPUTE_PGM_RSRC2:TIDIG_COMP_CNT: 0
	.section	.text._ZN9rocsolver6v33100L18getri_kernel_smallILi63EdPKPdEEvT1_iilPiilS6_bb,"axG",@progbits,_ZN9rocsolver6v33100L18getri_kernel_smallILi63EdPKPdEEvT1_iilPiilS6_bb,comdat
	.globl	_ZN9rocsolver6v33100L18getri_kernel_smallILi63EdPKPdEEvT1_iilPiilS6_bb ; -- Begin function _ZN9rocsolver6v33100L18getri_kernel_smallILi63EdPKPdEEvT1_iilPiilS6_bb
	.p2align	8
	.type	_ZN9rocsolver6v33100L18getri_kernel_smallILi63EdPKPdEEvT1_iilPiilS6_bb,@function
_ZN9rocsolver6v33100L18getri_kernel_smallILi63EdPKPdEEvT1_iilPiilS6_bb: ; @_ZN9rocsolver6v33100L18getri_kernel_smallILi63EdPKPdEEvT1_iilPiilS6_bb
; %bb.0:
	s_add_u32 s0, s0, s7
	s_addc_u32 s1, s1, 0
	v_cmp_gt_u32_e32 vcc, 63, v0
	s_and_saveexec_b64 s[8:9], vcc
	s_cbranch_execz .LBB126_260
; %bb.1:
	s_load_dword s18, s[4:5], 0x38
	s_load_dwordx2 s[12:13], s[4:5], 0x0
	s_load_dwordx4 s[8:11], s[4:5], 0x28
	s_waitcnt lgkmcnt(0)
	s_bitcmp1_b32 s18, 8
	s_cselect_b64 s[14:15], -1, 0
	s_ashr_i32 s7, s6, 31
	s_lshl_b64 s[16:17], s[6:7], 3
	s_add_u32 s12, s12, s16
	s_addc_u32 s13, s13, s17
	s_load_dwordx2 s[16:17], s[12:13], 0x0
	s_bfe_u32 s12, s18, 0x10008
	s_cmp_eq_u32 s12, 0
                                        ; implicit-def: $sgpr12_sgpr13
	s_cbranch_scc1 .LBB126_3
; %bb.2:
	s_load_dword s12, s[4:5], 0x20
	s_load_dwordx2 s[18:19], s[4:5], 0x18
	s_mul_i32 s13, s8, s7
	s_mul_hi_u32 s20, s8, s6
	s_add_i32 s20, s20, s13
	s_mul_i32 s9, s9, s6
	s_add_i32 s9, s20, s9
	s_mul_i32 s8, s8, s6
	s_waitcnt lgkmcnt(0)
	s_ashr_i32 s13, s12, 31
	s_lshl_b64 s[8:9], s[8:9], 2
	s_add_u32 s18, s18, s8
	s_addc_u32 s19, s19, s9
	s_lshl_b64 s[8:9], s[12:13], 2
	s_add_u32 s12, s18, s8
	s_addc_u32 s13, s19, s9
.LBB126_3:
	s_load_dwordx2 s[8:9], s[4:5], 0x8
	v_lshlrev_b32_e32 v129, 3, v0
	s_load_dword s4, s[4:5], 0x38
	s_waitcnt lgkmcnt(0)
	s_ashr_i32 s19, s8, 31
	s_mov_b32 s18, s8
	s_lshl_b64 s[18:19], s[18:19], 3
	s_add_u32 s5, s16, s18
	s_addc_u32 s8, s17, s19
	v_mov_b32_e32 v2, s8
	v_add_co_u32_e32 v1, vcc, s5, v129
	v_addc_co_u32_e32 v2, vcc, 0, v2, vcc
	flat_load_dwordx2 v[5:6], v[1:2]
	s_mov_b32 s16, s9
	s_ashr_i32 s17, s9, 31
	s_lshl_b64 s[16:17], s[16:17], 3
	v_mov_b32_e32 v4, s17
	v_add_co_u32_e32 v3, vcc, s16, v1
	v_addc_co_u32_e32 v4, vcc, v2, v4, vcc
	s_add_i32 s16, s9, s9
	v_add_u32_e32 v9, s16, v0
	v_ashrrev_i32_e32 v10, 31, v9
	v_mov_b32_e32 v11, s8
	v_add_u32_e32 v12, s9, v9
	v_ashrrev_i32_e32 v13, 31, v12
	v_mov_b32_e32 v14, s8
	v_mov_b32_e32 v15, s8
	;; [unrolled: 1-line block ×59, first 2 shown]
	s_bitcmp0_b32 s4, 0
	s_waitcnt vmcnt(0) lgkmcnt(0)
	buffer_store_dword v6, off, s[0:3], 0 offset:4
	buffer_store_dword v5, off, s[0:3], 0
	flat_load_dwordx2 v[7:8], v[3:4]
	v_lshlrev_b64 v[5:6], 3, v[9:10]
	s_waitcnt vmcnt(0) lgkmcnt(0)
	buffer_store_dword v8, off, s[0:3], 0 offset:12
	buffer_store_dword v7, off, s[0:3], 0 offset:8
	v_add_co_u32_e32 v5, vcc, s5, v5
	v_addc_co_u32_e32 v6, vcc, v11, v6, vcc
	flat_load_dwordx2 v[10:11], v[5:6]
	v_lshlrev_b64 v[7:8], 3, v[12:13]
	s_waitcnt vmcnt(0) lgkmcnt(0)
	buffer_store_dword v11, off, s[0:3], 0 offset:20
	buffer_store_dword v10, off, s[0:3], 0 offset:16
	v_add_co_u32_e32 v7, vcc, s5, v7
	v_addc_co_u32_e32 v8, vcc, v14, v8, vcc
	flat_load_dwordx2 v[13:14], v[7:8]
	v_add_u32_e32 v11, s9, v12
	v_ashrrev_i32_e32 v12, 31, v11
	v_lshlrev_b64 v[9:10], 3, v[11:12]
	s_waitcnt vmcnt(0) lgkmcnt(0)
	buffer_store_dword v14, off, s[0:3], 0 offset:28
	buffer_store_dword v13, off, s[0:3], 0 offset:24
	v_add_co_u32_e32 v9, vcc, s5, v9
	v_addc_co_u32_e32 v10, vcc, v15, v10, vcc
	flat_load_dwordx2 v[13:14], v[9:10]
	v_add_u32_e32 v15, s9, v11
	v_ashrrev_i32_e32 v16, 31, v15
	v_lshlrev_b64 v[11:12], 3, v[15:16]
	v_add_u32_e32 v18, s9, v15
	v_add_co_u32_e32 v11, vcc, s5, v11
	v_addc_co_u32_e32 v12, vcc, v17, v12, vcc
	v_ashrrev_i32_e32 v19, 31, v18
	s_waitcnt vmcnt(0) lgkmcnt(0)
	buffer_store_dword v14, off, s[0:3], 0 offset:36
	buffer_store_dword v13, off, s[0:3], 0 offset:32
	flat_load_dwordx2 v[16:17], v[11:12]
	v_lshlrev_b64 v[13:14], 3, v[18:19]
	s_waitcnt vmcnt(0) lgkmcnt(0)
	buffer_store_dword v17, off, s[0:3], 0 offset:44
	buffer_store_dword v16, off, s[0:3], 0 offset:40
	v_add_co_u32_e32 v13, vcc, s5, v13
	v_addc_co_u32_e32 v14, vcc, v20, v14, vcc
	flat_load_dwordx2 v[19:20], v[13:14]
	v_add_u32_e32 v17, s9, v18
	v_ashrrev_i32_e32 v18, 31, v17
	v_lshlrev_b64 v[15:16], 3, v[17:18]
	s_waitcnt vmcnt(0) lgkmcnt(0)
	buffer_store_dword v20, off, s[0:3], 0 offset:52
	buffer_store_dword v19, off, s[0:3], 0 offset:48
	v_add_co_u32_e32 v15, vcc, s5, v15
	v_addc_co_u32_e32 v16, vcc, v21, v16, vcc
	flat_load_dwordx2 v[19:20], v[15:16]
	v_add_u32_e32 v21, s9, v17
	v_ashrrev_i32_e32 v22, 31, v21
	v_lshlrev_b64 v[17:18], 3, v[21:22]
	v_add_u32_e32 v24, s9, v21
	v_add_co_u32_e32 v17, vcc, s5, v17
	v_addc_co_u32_e32 v18, vcc, v23, v18, vcc
	v_ashrrev_i32_e32 v25, 31, v24
	s_waitcnt vmcnt(0) lgkmcnt(0)
	buffer_store_dword v20, off, s[0:3], 0 offset:60
	buffer_store_dword v19, off, s[0:3], 0 offset:56
	;; [unrolled: 27-line block ×7, first 2 shown]
	flat_load_dwordx2 v[52:53], v[47:48]
	v_lshlrev_b64 v[49:50], 3, v[54:55]
	s_waitcnt vmcnt(0) lgkmcnt(0)
	buffer_store_dword v53, off, s[0:3], 0 offset:188
	buffer_store_dword v52, off, s[0:3], 0 offset:184
	v_add_co_u32_e32 v49, vcc, s5, v49
	v_addc_co_u32_e32 v50, vcc, v56, v50, vcc
	flat_load_dwordx2 v[55:56], v[49:50]
	v_add_u32_e32 v53, s9, v54
	v_ashrrev_i32_e32 v54, 31, v53
	v_lshlrev_b64 v[51:52], 3, v[53:54]
	s_waitcnt vmcnt(0) lgkmcnt(0)
	buffer_store_dword v56, off, s[0:3], 0 offset:196
	buffer_store_dword v55, off, s[0:3], 0 offset:192
	v_add_co_u32_e32 v51, vcc, s5, v51
	v_addc_co_u32_e32 v52, vcc, v57, v52, vcc
	flat_load_dwordx2 v[55:56], v[51:52]
	v_add_u32_e32 v57, s9, v53
	v_ashrrev_i32_e32 v58, 31, v57
	v_lshlrev_b64 v[53:54], 3, v[57:58]
	v_add_u32_e32 v60, s9, v57
	v_add_co_u32_e32 v53, vcc, s5, v53
	v_addc_co_u32_e32 v54, vcc, v59, v54, vcc
	s_waitcnt vmcnt(0) lgkmcnt(0)
	buffer_store_dword v56, off, s[0:3], 0 offset:204
	buffer_store_dword v55, off, s[0:3], 0 offset:200
	flat_load_dwordx2 v[58:59], v[53:54]
	v_ashrrev_i32_e32 v61, 31, v60
	v_lshlrev_b64 v[55:56], 3, v[60:61]
	s_waitcnt vmcnt(0) lgkmcnt(0)
	buffer_store_dword v59, off, s[0:3], 0 offset:212
	buffer_store_dword v58, off, s[0:3], 0 offset:208
	v_add_co_u32_e32 v55, vcc, s5, v55
	v_addc_co_u32_e32 v56, vcc, v62, v56, vcc
	flat_load_dwordx2 v[61:62], v[55:56]
	v_add_u32_e32 v59, s9, v60
	v_ashrrev_i32_e32 v60, 31, v59
	v_lshlrev_b64 v[57:58], 3, v[59:60]
	s_waitcnt vmcnt(0) lgkmcnt(0)
	buffer_store_dword v62, off, s[0:3], 0 offset:220
	buffer_store_dword v61, off, s[0:3], 0 offset:216
	v_add_co_u32_e32 v57, vcc, s5, v57
	v_addc_co_u32_e32 v58, vcc, v63, v58, vcc
	flat_load_dwordx2 v[61:62], v[57:58]
	v_add_u32_e32 v63, s9, v59
	;; [unrolled: 9-line block ×35, first 2 shown]
	v_ashrrev_i32_e32 v126, 31, v125
	v_lshlrev_b64 v[125:126], 3, v[125:126]
	s_waitcnt vmcnt(0) lgkmcnt(0)
	buffer_store_dword v128, off, s[0:3], 0 offset:492
	buffer_store_dword v127, off, s[0:3], 0 offset:488
	v_add_co_u32_e32 v125, vcc, s5, v125
	v_addc_co_u32_e32 v126, vcc, v130, v126, vcc
	flat_load_dwordx2 v[127:128], v[125:126]
	s_mov_b64 s[8:9], -1
	s_waitcnt vmcnt(0) lgkmcnt(0)
	buffer_store_dword v128, off, s[0:3], 0 offset:500
	buffer_store_dword v127, off, s[0:3], 0 offset:496
	s_cbranch_scc1 .LBB126_258
; %bb.4:
	v_cmp_eq_u32_e64 s[4:5], 0, v0
	s_and_saveexec_b64 s[8:9], s[4:5]
; %bb.5:
	v_mov_b32_e32 v127, 0
	ds_write_b32 v127, v127 offset:504
; %bb.6:
	s_or_b64 exec, exec, s[8:9]
	v_mov_b32_e32 v127, 0
	v_lshl_add_u32 v127, v0, 3, v127
	s_waitcnt lgkmcnt(0)
	; wave barrier
	buffer_load_dword v130, v127, s[0:3], 0 offen
	buffer_load_dword v131, v127, s[0:3], 0 offen offset:4
	s_waitcnt vmcnt(0)
	v_cmp_eq_f64_e32 vcc, 0, v[130:131]
	s_and_saveexec_b64 s[16:17], vcc
	s_cbranch_execz .LBB126_10
; %bb.7:
	v_mov_b32_e32 v128, 0
	ds_read_b32 v131, v128 offset:504
	v_add_u32_e32 v130, 1, v0
	s_waitcnt lgkmcnt(0)
	v_readfirstlane_b32 s8, v131
	s_cmp_eq_u32 s8, 0
	s_cselect_b64 s[18:19], -1, 0
	v_cmp_gt_i32_e32 vcc, s8, v130
	s_or_b64 s[18:19], s[18:19], vcc
	s_and_b64 exec, exec, s[18:19]
	s_cbranch_execz .LBB126_10
; %bb.8:
	s_mov_b64 s[18:19], 0
	v_mov_b32_e32 v131, s8
.LBB126_9:                              ; =>This Inner Loop Header: Depth=1
	ds_cmpst_rtn_b32 v131, v128, v131, v130 offset:504
	s_waitcnt lgkmcnt(0)
	v_cmp_ne_u32_e32 vcc, 0, v131
	v_cmp_le_i32_e64 s[8:9], v131, v130
	s_and_b64 s[8:9], vcc, s[8:9]
	s_and_b64 s[8:9], exec, s[8:9]
	s_or_b64 s[18:19], s[8:9], s[18:19]
	s_andn2_b64 exec, exec, s[18:19]
	s_cbranch_execnz .LBB126_9
.LBB126_10:
	s_or_b64 exec, exec, s[16:17]
	v_mov_b32_e32 v130, 0
	; wave barrier
	ds_read_b32 v128, v130 offset:504
	s_and_saveexec_b64 s[8:9], s[4:5]
	s_cbranch_execz .LBB126_12
; %bb.11:
	s_lshl_b64 s[16:17], s[6:7], 2
	s_add_u32 s16, s10, s16
	s_addc_u32 s17, s11, s17
	s_waitcnt lgkmcnt(0)
	global_store_dword v130, v128, s[16:17]
.LBB126_12:
	s_or_b64 exec, exec, s[8:9]
	s_waitcnt lgkmcnt(0)
	v_cmp_ne_u32_e32 vcc, 0, v128
	s_mov_b64 s[8:9], 0
	s_cbranch_vccnz .LBB126_258
; %bb.13:
	buffer_load_dword v130, v127, s[0:3], 0 offen
	buffer_load_dword v131, v127, s[0:3], 0 offen offset:4
	s_waitcnt vmcnt(0)
	v_div_scale_f64 v[132:133], s[8:9], v[130:131], v[130:131], 1.0
	v_rcp_f64_e32 v[134:135], v[132:133]
	v_fma_f64 v[136:137], -v[132:133], v[134:135], 1.0
	v_fma_f64 v[134:135], v[134:135], v[136:137], v[134:135]
	v_div_scale_f64 v[136:137], vcc, 1.0, v[130:131], 1.0
	v_fma_f64 v[138:139], -v[132:133], v[134:135], 1.0
	v_fma_f64 v[134:135], v[134:135], v[138:139], v[134:135]
	v_mul_f64 v[138:139], v[136:137], v[134:135]
	v_fma_f64 v[132:133], -v[132:133], v[138:139], v[136:137]
	v_div_fmas_f64 v[132:133], v[132:133], v[134:135], v[138:139]
	v_div_fixup_f64 v[131:132], v[132:133], v[130:131], 1.0
	v_or_b32_e32 v130, 0x200, v129
	buffer_store_dword v132, v127, s[0:3], 0 offen offset:4
	buffer_store_dword v131, v127, s[0:3], 0 offen
	buffer_load_dword v134, off, s[0:3], 0 offset:12
	buffer_load_dword v133, off, s[0:3], 0 offset:8
	v_xor_b32_e32 v132, 0x80000000, v132
	s_waitcnt vmcnt(0)
	ds_write2st64_b64 v129, v[131:132], v[133:134] offset1:1
	s_waitcnt lgkmcnt(0)
	; wave barrier
	s_and_saveexec_b64 s[8:9], s[4:5]
	s_cbranch_execz .LBB126_15
; %bb.14:
	buffer_load_dword v131, v127, s[0:3], 0 offen
	buffer_load_dword v132, v127, s[0:3], 0 offen offset:4
	ds_read_b64 v[133:134], v130
	v_mov_b32_e32 v128, 0
	ds_read_b64 v[135:136], v128 offset:8
	s_waitcnt vmcnt(0) lgkmcnt(1)
	v_fma_f64 v[131:132], v[131:132], v[133:134], 0
	s_waitcnt lgkmcnt(0)
	v_mul_f64 v[131:132], v[131:132], v[135:136]
	buffer_store_dword v131, off, s[0:3], 0 offset:8
	buffer_store_dword v132, off, s[0:3], 0 offset:12
.LBB126_15:
	s_or_b64 exec, exec, s[8:9]
	; wave barrier
	buffer_load_dword v131, off, s[0:3], 0 offset:16
	buffer_load_dword v132, off, s[0:3], 0 offset:20
	v_cmp_gt_u32_e32 vcc, 2, v0
	s_waitcnt vmcnt(0)
	ds_write_b64 v130, v[131:132]
	s_waitcnt lgkmcnt(0)
	; wave barrier
	s_and_saveexec_b64 s[8:9], vcc
	s_cbranch_execz .LBB126_17
; %bb.16:
	buffer_load_dword v131, v127, s[0:3], 0 offen
	buffer_load_dword v132, v127, s[0:3], 0 offen offset:4
	s_nop 0
	buffer_load_dword v127, off, s[0:3], 0 offset:8
	buffer_load_dword v128, off, s[0:3], 0 offset:12
	ds_read_b64 v[133:134], v130
	s_waitcnt vmcnt(2) lgkmcnt(0)
	v_fma_f64 v[135:136], v[131:132], v[133:134], 0
	v_mov_b32_e32 v131, 0
	ds_read2_b64 v[131:134], v131 offset0:2 offset1:65
	s_waitcnt vmcnt(0) lgkmcnt(0)
	v_fma_f64 v[127:128], v[127:128], v[133:134], v[135:136]
	v_cndmask_b32_e64 v128, v136, v128, s[4:5]
	v_cndmask_b32_e64 v127, v135, v127, s[4:5]
	v_mul_f64 v[127:128], v[127:128], v[131:132]
	buffer_store_dword v128, off, s[0:3], 0 offset:20
	buffer_store_dword v127, off, s[0:3], 0 offset:16
.LBB126_17:
	s_or_b64 exec, exec, s[8:9]
	; wave barrier
	buffer_load_dword v127, off, s[0:3], 0 offset:24
	buffer_load_dword v128, off, s[0:3], 0 offset:28
	v_cmp_gt_u32_e32 vcc, 3, v0
	v_add_u32_e32 v131, -1, v0
	s_waitcnt vmcnt(0)
	ds_write_b64 v130, v[127:128]
	s_waitcnt lgkmcnt(0)
	; wave barrier
	s_and_saveexec_b64 s[4:5], vcc
	s_cbranch_execz .LBB126_21
; %bb.18:
	v_mov_b32_e32 v127, 0
	v_add_u32_e32 v132, -1, v0
	v_or_b32_e32 v133, 0x200, v129
	v_mov_b32_e32 v134, v129
	v_mov_b32_e32 v128, 0
	s_mov_b64 s[8:9], 0
.LBB126_19:                             ; =>This Inner Loop Header: Depth=1
	buffer_load_dword v135, v134, s[0:3], 0 offen
	buffer_load_dword v136, v134, s[0:3], 0 offen offset:4
	ds_read_b64 v[137:138], v133
	v_add_u32_e32 v132, 1, v132
	v_cmp_lt_u32_e32 vcc, 1, v132
	v_add_u32_e32 v133, 8, v133
	s_or_b64 s[8:9], vcc, s[8:9]
	v_add_u32_e32 v134, 8, v134
	s_waitcnt vmcnt(0) lgkmcnt(0)
	v_fma_f64 v[127:128], v[135:136], v[137:138], v[127:128]
	s_andn2_b64 exec, exec, s[8:9]
	s_cbranch_execnz .LBB126_19
; %bb.20:
	s_or_b64 exec, exec, s[8:9]
	v_mov_b32_e32 v132, 0
	ds_read_b64 v[132:133], v132 offset:24
	s_waitcnt lgkmcnt(0)
	v_mul_f64 v[127:128], v[127:128], v[132:133]
	buffer_store_dword v128, off, s[0:3], 0 offset:28
	buffer_store_dword v127, off, s[0:3], 0 offset:24
.LBB126_21:
	s_or_b64 exec, exec, s[4:5]
	; wave barrier
	buffer_load_dword v127, off, s[0:3], 0 offset:32
	buffer_load_dword v128, off, s[0:3], 0 offset:36
	v_cmp_gt_u32_e32 vcc, 4, v0
	s_waitcnt vmcnt(0)
	ds_write_b64 v130, v[127:128]
	s_waitcnt lgkmcnt(0)
	; wave barrier
	s_and_saveexec_b64 s[4:5], vcc
	s_cbranch_execz .LBB126_25
; %bb.22:
	v_mov_b32_e32 v127, 0
	v_add_u32_e32 v132, -1, v0
	v_or_b32_e32 v133, 0x200, v129
	v_mov_b32_e32 v134, v129
	v_mov_b32_e32 v128, 0
	s_mov_b64 s[8:9], 0
.LBB126_23:                             ; =>This Inner Loop Header: Depth=1
	buffer_load_dword v135, v134, s[0:3], 0 offen
	buffer_load_dword v136, v134, s[0:3], 0 offen offset:4
	ds_read_b64 v[137:138], v133
	v_add_u32_e32 v132, 1, v132
	v_cmp_lt_u32_e32 vcc, 2, v132
	v_add_u32_e32 v133, 8, v133
	s_or_b64 s[8:9], vcc, s[8:9]
	v_add_u32_e32 v134, 8, v134
	s_waitcnt vmcnt(0) lgkmcnt(0)
	v_fma_f64 v[127:128], v[135:136], v[137:138], v[127:128]
	s_andn2_b64 exec, exec, s[8:9]
	s_cbranch_execnz .LBB126_23
; %bb.24:
	s_or_b64 exec, exec, s[8:9]
	v_mov_b32_e32 v132, 0
	ds_read_b64 v[132:133], v132 offset:32
	s_waitcnt lgkmcnt(0)
	v_mul_f64 v[127:128], v[127:128], v[132:133]
	buffer_store_dword v128, off, s[0:3], 0 offset:36
	buffer_store_dword v127, off, s[0:3], 0 offset:32
.LBB126_25:
	s_or_b64 exec, exec, s[4:5]
	; wave barrier
	buffer_load_dword v127, off, s[0:3], 0 offset:40
	buffer_load_dword v128, off, s[0:3], 0 offset:44
	v_cmp_gt_u32_e32 vcc, 5, v0
	;; [unrolled: 40-line block ×21, first 2 shown]
	s_waitcnt vmcnt(0)
	ds_write_b64 v130, v[127:128]
	s_waitcnt lgkmcnt(0)
	; wave barrier
	s_and_saveexec_b64 s[4:5], vcc
	s_cbranch_execz .LBB126_105
; %bb.102:
	v_mov_b32_e32 v127, 0
	v_add_u32_e32 v132, -1, v0
	v_or_b32_e32 v133, 0x200, v129
	v_mov_b32_e32 v134, v129
	v_mov_b32_e32 v128, 0
	s_mov_b64 s[8:9], 0
.LBB126_103:                            ; =>This Inner Loop Header: Depth=1
	buffer_load_dword v135, v134, s[0:3], 0 offen
	buffer_load_dword v136, v134, s[0:3], 0 offen offset:4
	ds_read_b64 v[137:138], v133
	v_add_u32_e32 v132, 1, v132
	v_cmp_lt_u32_e32 vcc, 22, v132
	v_add_u32_e32 v133, 8, v133
	s_or_b64 s[8:9], vcc, s[8:9]
	v_add_u32_e32 v134, 8, v134
	s_waitcnt vmcnt(0) lgkmcnt(0)
	v_fma_f64 v[127:128], v[135:136], v[137:138], v[127:128]
	s_andn2_b64 exec, exec, s[8:9]
	s_cbranch_execnz .LBB126_103
; %bb.104:
	s_or_b64 exec, exec, s[8:9]
	v_mov_b32_e32 v132, 0
	ds_read_b64 v[132:133], v132 offset:192
	s_waitcnt lgkmcnt(0)
	v_mul_f64 v[127:128], v[127:128], v[132:133]
	buffer_store_dword v128, off, s[0:3], 0 offset:196
	buffer_store_dword v127, off, s[0:3], 0 offset:192
.LBB126_105:
	s_or_b64 exec, exec, s[4:5]
	; wave barrier
	buffer_load_dword v127, off, s[0:3], 0 offset:200
	buffer_load_dword v128, off, s[0:3], 0 offset:204
	v_cmp_gt_u32_e32 vcc, 25, v0
	s_waitcnt vmcnt(0)
	ds_write_b64 v130, v[127:128]
	s_waitcnt lgkmcnt(0)
	; wave barrier
	s_and_saveexec_b64 s[4:5], vcc
	s_cbranch_execz .LBB126_109
; %bb.106:
	v_mov_b32_e32 v127, 0
	v_add_u32_e32 v132, -1, v0
	v_or_b32_e32 v133, 0x200, v129
	v_mov_b32_e32 v134, v129
	v_mov_b32_e32 v128, 0
	s_mov_b64 s[8:9], 0
.LBB126_107:                            ; =>This Inner Loop Header: Depth=1
	buffer_load_dword v135, v134, s[0:3], 0 offen
	buffer_load_dword v136, v134, s[0:3], 0 offen offset:4
	ds_read_b64 v[137:138], v133
	v_add_u32_e32 v132, 1, v132
	v_cmp_lt_u32_e32 vcc, 23, v132
	v_add_u32_e32 v133, 8, v133
	s_or_b64 s[8:9], vcc, s[8:9]
	v_add_u32_e32 v134, 8, v134
	s_waitcnt vmcnt(0) lgkmcnt(0)
	v_fma_f64 v[127:128], v[135:136], v[137:138], v[127:128]
	s_andn2_b64 exec, exec, s[8:9]
	s_cbranch_execnz .LBB126_107
; %bb.108:
	s_or_b64 exec, exec, s[8:9]
	v_mov_b32_e32 v132, 0
	ds_read_b64 v[132:133], v132 offset:200
	s_waitcnt lgkmcnt(0)
	v_mul_f64 v[127:128], v[127:128], v[132:133]
	buffer_store_dword v128, off, s[0:3], 0 offset:204
	buffer_store_dword v127, off, s[0:3], 0 offset:200
.LBB126_109:
	s_or_b64 exec, exec, s[4:5]
	; wave barrier
	buffer_load_dword v127, off, s[0:3], 0 offset:208
	buffer_load_dword v128, off, s[0:3], 0 offset:212
	v_cmp_gt_u32_e32 vcc, 26, v0
	;; [unrolled: 40-line block ×37, first 2 shown]
	s_waitcnt vmcnt(0)
	ds_write_b64 v130, v[127:128]
	s_waitcnt lgkmcnt(0)
	; wave barrier
	s_and_saveexec_b64 s[4:5], vcc
	s_cbranch_execz .LBB126_253
; %bb.250:
	v_mov_b32_e32 v127, 0
	v_add_u32_e32 v132, -1, v0
	v_or_b32_e32 v133, 0x200, v129
	v_mov_b32_e32 v134, v129
	v_mov_b32_e32 v128, 0
	s_mov_b64 s[8:9], 0
.LBB126_251:                            ; =>This Inner Loop Header: Depth=1
	buffer_load_dword v135, v134, s[0:3], 0 offen
	buffer_load_dword v136, v134, s[0:3], 0 offen offset:4
	ds_read_b64 v[137:138], v133
	v_add_u32_e32 v132, 1, v132
	v_cmp_lt_u32_e32 vcc, 59, v132
	v_add_u32_e32 v133, 8, v133
	s_or_b64 s[8:9], vcc, s[8:9]
	v_add_u32_e32 v134, 8, v134
	s_waitcnt vmcnt(0) lgkmcnt(0)
	v_fma_f64 v[127:128], v[135:136], v[137:138], v[127:128]
	s_andn2_b64 exec, exec, s[8:9]
	s_cbranch_execnz .LBB126_251
; %bb.252:
	s_or_b64 exec, exec, s[8:9]
	v_mov_b32_e32 v132, 0
	ds_read_b64 v[132:133], v132 offset:488
	s_waitcnt lgkmcnt(0)
	v_mul_f64 v[127:128], v[127:128], v[132:133]
	buffer_store_dword v128, off, s[0:3], 0 offset:492
	buffer_store_dword v127, off, s[0:3], 0 offset:488
.LBB126_253:
	s_or_b64 exec, exec, s[4:5]
	; wave barrier
	buffer_load_dword v127, off, s[0:3], 0 offset:496
	buffer_load_dword v128, off, s[0:3], 0 offset:500
	v_cmp_ne_u32_e32 vcc, 62, v0
	s_waitcnt vmcnt(0)
	ds_write_b64 v130, v[127:128]
	s_waitcnt lgkmcnt(0)
	; wave barrier
	s_and_saveexec_b64 s[4:5], vcc
	s_cbranch_execz .LBB126_257
; %bb.254:
	v_mov_b32_e32 v127, 0
	v_or_b32_e32 v130, 0x200, v129
	v_mov_b32_e32 v128, 0
	s_mov_b64 s[8:9], 0
.LBB126_255:                            ; =>This Inner Loop Header: Depth=1
	buffer_load_dword v132, v129, s[0:3], 0 offen
	buffer_load_dword v133, v129, s[0:3], 0 offen offset:4
	ds_read_b64 v[134:135], v130
	v_add_u32_e32 v131, 1, v131
	v_cmp_lt_u32_e32 vcc, 60, v131
	v_add_u32_e32 v130, 8, v130
	s_or_b64 s[8:9], vcc, s[8:9]
	v_add_u32_e32 v129, 8, v129
	s_waitcnt vmcnt(0) lgkmcnt(0)
	v_fma_f64 v[127:128], v[132:133], v[134:135], v[127:128]
	s_andn2_b64 exec, exec, s[8:9]
	s_cbranch_execnz .LBB126_255
; %bb.256:
	s_or_b64 exec, exec, s[8:9]
	v_mov_b32_e32 v129, 0
	ds_read_b64 v[129:130], v129 offset:496
	s_waitcnt lgkmcnt(0)
	v_mul_f64 v[127:128], v[127:128], v[129:130]
	buffer_store_dword v128, off, s[0:3], 0 offset:500
	buffer_store_dword v127, off, s[0:3], 0 offset:496
.LBB126_257:
	s_or_b64 exec, exec, s[4:5]
	s_mov_b64 s[8:9], -1
	; wave barrier
.LBB126_258:
	s_and_b64 vcc, exec, s[8:9]
	s_cbranch_vccz .LBB126_260
; %bb.259:
	s_lshl_b64 s[4:5], s[6:7], 2
	s_add_u32 s4, s10, s4
	s_addc_u32 s5, s11, s5
	v_mov_b32_e32 v127, 0
	global_load_dword v127, v127, s[4:5]
	s_waitcnt vmcnt(0)
	v_cmp_ne_u32_e32 vcc, 0, v127
	s_cbranch_vccz .LBB126_261
.LBB126_260:
	s_endpgm
.LBB126_261:
	v_mov_b32_e32 v127, 0x200
	v_lshl_or_b32 v127, v0, 3, v127
	v_cmp_eq_u32_e32 vcc, 62, v0
	s_and_saveexec_b64 s[4:5], vcc
	s_cbranch_execz .LBB126_263
; %bb.262:
	buffer_load_dword v128, off, s[0:3], 0 offset:488
	buffer_load_dword v129, off, s[0:3], 0 offset:492
	v_mov_b32_e32 v130, 0
	buffer_store_dword v130, off, s[0:3], 0 offset:488
	buffer_store_dword v130, off, s[0:3], 0 offset:492
	s_waitcnt vmcnt(2)
	ds_write_b64 v127, v[128:129]
.LBB126_263:
	s_or_b64 exec, exec, s[4:5]
	s_waitcnt lgkmcnt(0)
	; wave barrier
	buffer_load_dword v129, off, s[0:3], 0 offset:496
	buffer_load_dword v130, off, s[0:3], 0 offset:500
	;; [unrolled: 1-line block ×4, first 2 shown]
	v_mov_b32_e32 v128, 0
	ds_read_b64 v[133:134], v128 offset:1008
	v_cmp_lt_u32_e32 vcc, 60, v0
	s_waitcnt vmcnt(2) lgkmcnt(0)
	v_fma_f64 v[129:130], v[129:130], v[133:134], 0
	s_waitcnt vmcnt(0)
	v_add_f64 v[129:130], v[131:132], -v[129:130]
	buffer_store_dword v129, off, s[0:3], 0 offset:488
	buffer_store_dword v130, off, s[0:3], 0 offset:492
	s_and_saveexec_b64 s[4:5], vcc
	s_cbranch_execz .LBB126_265
; %bb.264:
	buffer_load_dword v129, off, s[0:3], 0 offset:480
	buffer_load_dword v130, off, s[0:3], 0 offset:484
	s_waitcnt vmcnt(0)
	ds_write_b64 v127, v[129:130]
	buffer_store_dword v128, off, s[0:3], 0 offset:480
	buffer_store_dword v128, off, s[0:3], 0 offset:484
.LBB126_265:
	s_or_b64 exec, exec, s[4:5]
	s_waitcnt lgkmcnt(0)
	; wave barrier
	buffer_load_dword v132, off, s[0:3], 0 offset:488
	buffer_load_dword v133, off, s[0:3], 0 offset:492
	;; [unrolled: 1-line block ×6, first 2 shown]
	ds_read2_b64 v[128:131], v128 offset0:125 offset1:126
	v_cmp_lt_u32_e32 vcc, 59, v0
	s_waitcnt vmcnt(4) lgkmcnt(0)
	v_fma_f64 v[128:129], v[132:133], v[128:129], 0
	s_waitcnt vmcnt(2)
	v_fma_f64 v[128:129], v[134:135], v[130:131], v[128:129]
	s_waitcnt vmcnt(0)
	v_add_f64 v[128:129], v[136:137], -v[128:129]
	buffer_store_dword v128, off, s[0:3], 0 offset:480
	buffer_store_dword v129, off, s[0:3], 0 offset:484
	s_and_saveexec_b64 s[4:5], vcc
	s_cbranch_execz .LBB126_267
; %bb.266:
	buffer_load_dword v128, off, s[0:3], 0 offset:472
	buffer_load_dword v129, off, s[0:3], 0 offset:476
	v_mov_b32_e32 v130, 0
	buffer_store_dword v130, off, s[0:3], 0 offset:472
	buffer_store_dword v130, off, s[0:3], 0 offset:476
	s_waitcnt vmcnt(2)
	ds_write_b64 v127, v[128:129]
.LBB126_267:
	s_or_b64 exec, exec, s[4:5]
	s_waitcnt lgkmcnt(0)
	; wave barrier
	buffer_load_dword v133, off, s[0:3], 0 offset:480
	buffer_load_dword v134, off, s[0:3], 0 offset:484
	buffer_load_dword v135, off, s[0:3], 0 offset:488
	buffer_load_dword v136, off, s[0:3], 0 offset:492
	buffer_load_dword v137, off, s[0:3], 0 offset:496
	buffer_load_dword v138, off, s[0:3], 0 offset:500
	buffer_load_dword v139, off, s[0:3], 0 offset:472
	buffer_load_dword v140, off, s[0:3], 0 offset:476
	v_mov_b32_e32 v128, 0
	ds_read_b128 v[129:132], v128 offset:992
	ds_read_b64 v[141:142], v128 offset:1008
	v_cmp_lt_u32_e32 vcc, 58, v0
	s_waitcnt vmcnt(6) lgkmcnt(1)
	v_fma_f64 v[129:130], v[133:134], v[129:130], 0
	s_waitcnt vmcnt(4)
	v_fma_f64 v[129:130], v[135:136], v[131:132], v[129:130]
	s_waitcnt vmcnt(2) lgkmcnt(0)
	v_fma_f64 v[129:130], v[137:138], v[141:142], v[129:130]
	s_waitcnt vmcnt(0)
	v_add_f64 v[129:130], v[139:140], -v[129:130]
	buffer_store_dword v129, off, s[0:3], 0 offset:472
	buffer_store_dword v130, off, s[0:3], 0 offset:476
	s_and_saveexec_b64 s[4:5], vcc
	s_cbranch_execz .LBB126_269
; %bb.268:
	buffer_load_dword v129, off, s[0:3], 0 offset:464
	buffer_load_dword v130, off, s[0:3], 0 offset:468
	s_waitcnt vmcnt(0)
	ds_write_b64 v127, v[129:130]
	buffer_store_dword v128, off, s[0:3], 0 offset:464
	buffer_store_dword v128, off, s[0:3], 0 offset:468
.LBB126_269:
	s_or_b64 exec, exec, s[4:5]
	s_waitcnt lgkmcnt(0)
	; wave barrier
	buffer_load_dword v137, off, s[0:3], 0 offset:472
	buffer_load_dword v138, off, s[0:3], 0 offset:476
	;; [unrolled: 1-line block ×10, first 2 shown]
	ds_read2_b64 v[129:132], v128 offset0:123 offset1:124
	ds_read2_b64 v[133:136], v128 offset0:125 offset1:126
	v_cmp_lt_u32_e32 vcc, 57, v0
	s_waitcnt vmcnt(8) lgkmcnt(1)
	v_fma_f64 v[128:129], v[137:138], v[129:130], 0
	s_waitcnt vmcnt(6)
	v_fma_f64 v[128:129], v[139:140], v[131:132], v[128:129]
	s_waitcnt vmcnt(4) lgkmcnt(0)
	v_fma_f64 v[128:129], v[141:142], v[133:134], v[128:129]
	s_waitcnt vmcnt(2)
	v_fma_f64 v[128:129], v[143:144], v[135:136], v[128:129]
	s_waitcnt vmcnt(0)
	v_add_f64 v[128:129], v[145:146], -v[128:129]
	buffer_store_dword v128, off, s[0:3], 0 offset:464
	buffer_store_dword v129, off, s[0:3], 0 offset:468
	s_and_saveexec_b64 s[4:5], vcc
	s_cbranch_execz .LBB126_271
; %bb.270:
	buffer_load_dword v128, off, s[0:3], 0 offset:456
	buffer_load_dword v129, off, s[0:3], 0 offset:460
	v_mov_b32_e32 v130, 0
	buffer_store_dword v130, off, s[0:3], 0 offset:456
	buffer_store_dword v130, off, s[0:3], 0 offset:460
	s_waitcnt vmcnt(2)
	ds_write_b64 v127, v[128:129]
.LBB126_271:
	s_or_b64 exec, exec, s[4:5]
	s_waitcnt lgkmcnt(0)
	; wave barrier
	buffer_load_dword v137, off, s[0:3], 0 offset:464
	buffer_load_dword v138, off, s[0:3], 0 offset:468
	;; [unrolled: 1-line block ×12, first 2 shown]
	v_mov_b32_e32 v128, 0
	ds_read_b128 v[129:132], v128 offset:976
	ds_read_b128 v[133:136], v128 offset:992
	v_cmp_lt_u32_e32 vcc, 56, v0
	s_waitcnt vmcnt(10) lgkmcnt(1)
	v_fma_f64 v[129:130], v[137:138], v[129:130], 0
	s_waitcnt vmcnt(8)
	v_fma_f64 v[129:130], v[139:140], v[131:132], v[129:130]
	ds_read_b64 v[131:132], v128 offset:1008
	s_waitcnt vmcnt(6) lgkmcnt(1)
	v_fma_f64 v[129:130], v[141:142], v[133:134], v[129:130]
	s_waitcnt vmcnt(4)
	v_fma_f64 v[129:130], v[143:144], v[135:136], v[129:130]
	s_waitcnt vmcnt(2) lgkmcnt(0)
	v_fma_f64 v[129:130], v[145:146], v[131:132], v[129:130]
	s_waitcnt vmcnt(0)
	v_add_f64 v[129:130], v[147:148], -v[129:130]
	buffer_store_dword v129, off, s[0:3], 0 offset:456
	buffer_store_dword v130, off, s[0:3], 0 offset:460
	s_and_saveexec_b64 s[4:5], vcc
	s_cbranch_execz .LBB126_273
; %bb.272:
	buffer_load_dword v129, off, s[0:3], 0 offset:448
	buffer_load_dword v130, off, s[0:3], 0 offset:452
	s_waitcnt vmcnt(0)
	ds_write_b64 v127, v[129:130]
	buffer_store_dword v128, off, s[0:3], 0 offset:448
	buffer_store_dword v128, off, s[0:3], 0 offset:452
.LBB126_273:
	s_or_b64 exec, exec, s[4:5]
	s_waitcnt lgkmcnt(0)
	; wave barrier
	buffer_load_dword v137, off, s[0:3], 0 offset:456
	buffer_load_dword v138, off, s[0:3], 0 offset:460
	;; [unrolled: 1-line block ×14, first 2 shown]
	ds_read2_b64 v[129:132], v128 offset0:121 offset1:122
	ds_read2_b64 v[133:136], v128 offset0:123 offset1:124
	v_cmp_lt_u32_e32 vcc, 55, v0
	s_waitcnt vmcnt(12) lgkmcnt(1)
	v_fma_f64 v[129:130], v[137:138], v[129:130], 0
	s_waitcnt vmcnt(10)
	v_fma_f64 v[129:130], v[139:140], v[131:132], v[129:130]
	s_waitcnt vmcnt(8) lgkmcnt(0)
	v_fma_f64 v[129:130], v[141:142], v[133:134], v[129:130]
	s_waitcnt vmcnt(6)
	v_fma_f64 v[132:133], v[143:144], v[135:136], v[129:130]
	ds_read2_b64 v[128:131], v128 offset0:125 offset1:126
	s_waitcnt vmcnt(4) lgkmcnt(0)
	v_fma_f64 v[128:129], v[145:146], v[128:129], v[132:133]
	s_waitcnt vmcnt(2)
	v_fma_f64 v[128:129], v[147:148], v[130:131], v[128:129]
	s_waitcnt vmcnt(0)
	v_add_f64 v[128:129], v[149:150], -v[128:129]
	buffer_store_dword v128, off, s[0:3], 0 offset:448
	buffer_store_dword v129, off, s[0:3], 0 offset:452
	s_and_saveexec_b64 s[4:5], vcc
	s_cbranch_execz .LBB126_275
; %bb.274:
	buffer_load_dword v128, off, s[0:3], 0 offset:440
	buffer_load_dword v129, off, s[0:3], 0 offset:444
	v_mov_b32_e32 v130, 0
	buffer_store_dword v130, off, s[0:3], 0 offset:440
	buffer_store_dword v130, off, s[0:3], 0 offset:444
	s_waitcnt vmcnt(2)
	ds_write_b64 v127, v[128:129]
.LBB126_275:
	s_or_b64 exec, exec, s[4:5]
	s_waitcnt lgkmcnt(0)
	; wave barrier
	buffer_load_dword v137, off, s[0:3], 0 offset:448
	buffer_load_dword v138, off, s[0:3], 0 offset:452
	;; [unrolled: 1-line block ×16, first 2 shown]
	v_mov_b32_e32 v128, 0
	ds_read_b128 v[129:132], v128 offset:960
	ds_read_b128 v[133:136], v128 offset:976
	v_cmp_lt_u32_e32 vcc, 54, v0
	s_waitcnt vmcnt(14) lgkmcnt(1)
	v_fma_f64 v[129:130], v[137:138], v[129:130], 0
	s_waitcnt vmcnt(12)
	v_fma_f64 v[129:130], v[139:140], v[131:132], v[129:130]
	s_waitcnt vmcnt(10) lgkmcnt(0)
	v_fma_f64 v[129:130], v[141:142], v[133:134], v[129:130]
	s_waitcnt vmcnt(8)
	v_fma_f64 v[133:134], v[143:144], v[135:136], v[129:130]
	ds_read_b128 v[129:132], v128 offset:992
	ds_read_b64 v[135:136], v128 offset:1008
	s_waitcnt vmcnt(6) lgkmcnt(1)
	v_fma_f64 v[129:130], v[145:146], v[129:130], v[133:134]
	s_waitcnt vmcnt(4)
	v_fma_f64 v[129:130], v[147:148], v[131:132], v[129:130]
	s_waitcnt vmcnt(2) lgkmcnt(0)
	v_fma_f64 v[129:130], v[149:150], v[135:136], v[129:130]
	s_waitcnt vmcnt(0)
	v_add_f64 v[129:130], v[151:152], -v[129:130]
	buffer_store_dword v129, off, s[0:3], 0 offset:440
	buffer_store_dword v130, off, s[0:3], 0 offset:444
	s_and_saveexec_b64 s[4:5], vcc
	s_cbranch_execz .LBB126_277
; %bb.276:
	buffer_load_dword v129, off, s[0:3], 0 offset:432
	buffer_load_dword v130, off, s[0:3], 0 offset:436
	s_waitcnt vmcnt(0)
	ds_write_b64 v127, v[129:130]
	buffer_store_dword v128, off, s[0:3], 0 offset:432
	buffer_store_dword v128, off, s[0:3], 0 offset:436
.LBB126_277:
	s_or_b64 exec, exec, s[4:5]
	s_waitcnt lgkmcnt(0)
	; wave barrier
	buffer_load_dword v137, off, s[0:3], 0 offset:440
	buffer_load_dword v138, off, s[0:3], 0 offset:444
	;; [unrolled: 1-line block ×18, first 2 shown]
	ds_read2_b64 v[129:132], v128 offset0:119 offset1:120
	ds_read2_b64 v[133:136], v128 offset0:121 offset1:122
	v_cmp_lt_u32_e32 vcc, 53, v0
	s_waitcnt vmcnt(16) lgkmcnt(1)
	v_fma_f64 v[129:130], v[137:138], v[129:130], 0
	s_waitcnt vmcnt(14)
	v_fma_f64 v[129:130], v[139:140], v[131:132], v[129:130]
	s_waitcnt vmcnt(12) lgkmcnt(0)
	v_fma_f64 v[129:130], v[141:142], v[133:134], v[129:130]
	s_waitcnt vmcnt(10)
	v_fma_f64 v[137:138], v[143:144], v[135:136], v[129:130]
	ds_read2_b64 v[129:132], v128 offset0:123 offset1:124
	ds_read2_b64 v[133:136], v128 offset0:125 offset1:126
	s_waitcnt vmcnt(8) lgkmcnt(1)
	v_fma_f64 v[128:129], v[145:146], v[129:130], v[137:138]
	s_waitcnt vmcnt(6)
	v_fma_f64 v[128:129], v[147:148], v[131:132], v[128:129]
	s_waitcnt vmcnt(4) lgkmcnt(0)
	v_fma_f64 v[128:129], v[149:150], v[133:134], v[128:129]
	s_waitcnt vmcnt(2)
	v_fma_f64 v[128:129], v[151:152], v[135:136], v[128:129]
	s_waitcnt vmcnt(0)
	v_add_f64 v[128:129], v[153:154], -v[128:129]
	buffer_store_dword v128, off, s[0:3], 0 offset:432
	buffer_store_dword v129, off, s[0:3], 0 offset:436
	s_and_saveexec_b64 s[4:5], vcc
	s_cbranch_execz .LBB126_279
; %bb.278:
	buffer_load_dword v128, off, s[0:3], 0 offset:424
	buffer_load_dword v129, off, s[0:3], 0 offset:428
	v_mov_b32_e32 v130, 0
	buffer_store_dword v130, off, s[0:3], 0 offset:424
	buffer_store_dword v130, off, s[0:3], 0 offset:428
	s_waitcnt vmcnt(2)
	ds_write_b64 v127, v[128:129]
.LBB126_279:
	s_or_b64 exec, exec, s[4:5]
	s_waitcnt lgkmcnt(0)
	; wave barrier
	buffer_load_dword v137, off, s[0:3], 0 offset:432
	buffer_load_dword v138, off, s[0:3], 0 offset:436
	buffer_load_dword v139, off, s[0:3], 0 offset:440
	buffer_load_dword v140, off, s[0:3], 0 offset:444
	buffer_load_dword v141, off, s[0:3], 0 offset:448
	buffer_load_dword v142, off, s[0:3], 0 offset:452
	buffer_load_dword v143, off, s[0:3], 0 offset:456
	buffer_load_dword v144, off, s[0:3], 0 offset:460
	buffer_load_dword v145, off, s[0:3], 0 offset:464
	buffer_load_dword v146, off, s[0:3], 0 offset:468
	buffer_load_dword v147, off, s[0:3], 0 offset:472
	buffer_load_dword v148, off, s[0:3], 0 offset:476
	buffer_load_dword v149, off, s[0:3], 0 offset:480
	buffer_load_dword v150, off, s[0:3], 0 offset:484
	buffer_load_dword v152, off, s[0:3], 0 offset:492
	buffer_load_dword v153, off, s[0:3], 0 offset:496
	buffer_load_dword v151, off, s[0:3], 0 offset:488
	buffer_load_dword v154, off, s[0:3], 0 offset:500
	buffer_load_dword v155, off, s[0:3], 0 offset:424
	buffer_load_dword v156, off, s[0:3], 0 offset:428
	v_mov_b32_e32 v128, 0
	ds_read_b128 v[129:132], v128 offset:944
	ds_read_b128 v[133:136], v128 offset:960
	v_cmp_lt_u32_e32 vcc, 52, v0
	s_waitcnt vmcnt(18) lgkmcnt(1)
	v_fma_f64 v[129:130], v[137:138], v[129:130], 0
	s_waitcnt vmcnt(16)
	v_fma_f64 v[129:130], v[139:140], v[131:132], v[129:130]
	s_waitcnt vmcnt(14) lgkmcnt(0)
	v_fma_f64 v[129:130], v[141:142], v[133:134], v[129:130]
	s_waitcnt vmcnt(12)
	v_fma_f64 v[137:138], v[143:144], v[135:136], v[129:130]
	ds_read_b128 v[129:132], v128 offset:976
	ds_read_b128 v[133:136], v128 offset:992
	s_waitcnt vmcnt(10) lgkmcnt(1)
	v_fma_f64 v[129:130], v[145:146], v[129:130], v[137:138]
	s_waitcnt vmcnt(8)
	v_fma_f64 v[129:130], v[147:148], v[131:132], v[129:130]
	ds_read_b64 v[131:132], v128 offset:1008
	s_waitcnt vmcnt(6) lgkmcnt(1)
	v_fma_f64 v[129:130], v[149:150], v[133:134], v[129:130]
	s_waitcnt vmcnt(3)
	v_fma_f64 v[129:130], v[151:152], v[135:136], v[129:130]
	s_waitcnt vmcnt(2) lgkmcnt(0)
	v_fma_f64 v[129:130], v[153:154], v[131:132], v[129:130]
	s_waitcnt vmcnt(0)
	v_add_f64 v[129:130], v[155:156], -v[129:130]
	buffer_store_dword v129, off, s[0:3], 0 offset:424
	buffer_store_dword v130, off, s[0:3], 0 offset:428
	s_and_saveexec_b64 s[4:5], vcc
	s_cbranch_execz .LBB126_281
; %bb.280:
	buffer_load_dword v129, off, s[0:3], 0 offset:416
	buffer_load_dword v130, off, s[0:3], 0 offset:420
	s_waitcnt vmcnt(0)
	ds_write_b64 v127, v[129:130]
	buffer_store_dword v128, off, s[0:3], 0 offset:416
	buffer_store_dword v128, off, s[0:3], 0 offset:420
.LBB126_281:
	s_or_b64 exec, exec, s[4:5]
	s_waitcnt lgkmcnt(0)
	; wave barrier
	buffer_load_dword v137, off, s[0:3], 0 offset:424
	buffer_load_dword v138, off, s[0:3], 0 offset:428
	;; [unrolled: 1-line block ×20, first 2 shown]
	ds_read2_b64 v[129:132], v128 offset0:117 offset1:118
	buffer_load_dword v157, off, s[0:3], 0 offset:416
	buffer_load_dword v158, off, s[0:3], 0 offset:420
	ds_read2_b64 v[133:136], v128 offset0:119 offset1:120
	v_cmp_lt_u32_e32 vcc, 51, v0
	s_waitcnt vmcnt(20) lgkmcnt(1)
	v_fma_f64 v[129:130], v[137:138], v[129:130], 0
	s_waitcnt vmcnt(18)
	v_fma_f64 v[129:130], v[139:140], v[131:132], v[129:130]
	s_waitcnt vmcnt(16) lgkmcnt(0)
	v_fma_f64 v[129:130], v[141:142], v[133:134], v[129:130]
	s_waitcnt vmcnt(14)
	v_fma_f64 v[137:138], v[143:144], v[135:136], v[129:130]
	ds_read2_b64 v[129:132], v128 offset0:121 offset1:122
	ds_read2_b64 v[133:136], v128 offset0:123 offset1:124
	s_waitcnt vmcnt(12) lgkmcnt(1)
	v_fma_f64 v[129:130], v[145:146], v[129:130], v[137:138]
	s_waitcnt vmcnt(10)
	v_fma_f64 v[129:130], v[147:148], v[131:132], v[129:130]
	s_waitcnt vmcnt(8) lgkmcnt(0)
	v_fma_f64 v[129:130], v[149:150], v[133:134], v[129:130]
	s_waitcnt vmcnt(4)
	v_fma_f64 v[132:133], v[151:152], v[135:136], v[129:130]
	ds_read2_b64 v[128:131], v128 offset0:125 offset1:126
	s_waitcnt vmcnt(3) lgkmcnt(0)
	v_fma_f64 v[128:129], v[155:156], v[128:129], v[132:133]
	s_waitcnt vmcnt(2)
	v_fma_f64 v[128:129], v[153:154], v[130:131], v[128:129]
	s_waitcnt vmcnt(0)
	v_add_f64 v[128:129], v[157:158], -v[128:129]
	buffer_store_dword v128, off, s[0:3], 0 offset:416
	buffer_store_dword v129, off, s[0:3], 0 offset:420
	s_and_saveexec_b64 s[4:5], vcc
	s_cbranch_execz .LBB126_283
; %bb.282:
	buffer_load_dword v128, off, s[0:3], 0 offset:408
	buffer_load_dword v129, off, s[0:3], 0 offset:412
	v_mov_b32_e32 v130, 0
	buffer_store_dword v130, off, s[0:3], 0 offset:408
	buffer_store_dword v130, off, s[0:3], 0 offset:412
	s_waitcnt vmcnt(2)
	ds_write_b64 v127, v[128:129]
.LBB126_283:
	s_or_b64 exec, exec, s[4:5]
	s_waitcnt lgkmcnt(0)
	; wave barrier
	buffer_load_dword v137, off, s[0:3], 0 offset:416
	buffer_load_dword v138, off, s[0:3], 0 offset:420
	;; [unrolled: 1-line block ×21, first 2 shown]
	v_mov_b32_e32 v128, 0
	ds_read_b128 v[129:132], v128 offset:928
	ds_read_b128 v[133:136], v128 offset:944
	buffer_load_dword v154, off, s[0:3], 0 offset:500
	v_cmp_lt_u32_e32 vcc, 50, v0
	s_waitcnt vmcnt(20) lgkmcnt(1)
	v_fma_f64 v[129:130], v[137:138], v[129:130], 0
	buffer_load_dword v137, off, s[0:3], 0 offset:408
	buffer_load_dword v138, off, s[0:3], 0 offset:412
	s_waitcnt vmcnt(20)
	v_fma_f64 v[129:130], v[139:140], v[131:132], v[129:130]
	s_waitcnt vmcnt(18) lgkmcnt(0)
	v_fma_f64 v[129:130], v[141:142], v[133:134], v[129:130]
	s_waitcnt vmcnt(16)
	v_fma_f64 v[139:140], v[143:144], v[135:136], v[129:130]
	ds_read_b128 v[129:132], v128 offset:960
	ds_read_b128 v[133:136], v128 offset:976
	s_waitcnt vmcnt(14) lgkmcnt(1)
	v_fma_f64 v[129:130], v[145:146], v[129:130], v[139:140]
	s_waitcnt vmcnt(12)
	v_fma_f64 v[129:130], v[147:148], v[131:132], v[129:130]
	s_waitcnt vmcnt(10) lgkmcnt(0)
	v_fma_f64 v[129:130], v[149:150], v[133:134], v[129:130]
	s_waitcnt vmcnt(5)
	v_fma_f64 v[133:134], v[151:152], v[135:136], v[129:130]
	ds_read_b128 v[129:132], v128 offset:992
	ds_read_b64 v[135:136], v128 offset:1008
	s_waitcnt vmcnt(4) lgkmcnt(1)
	v_fma_f64 v[129:130], v[157:158], v[129:130], v[133:134]
	s_waitcnt vmcnt(3)
	v_fma_f64 v[129:130], v[155:156], v[131:132], v[129:130]
	s_waitcnt vmcnt(2) lgkmcnt(0)
	v_fma_f64 v[129:130], v[153:154], v[135:136], v[129:130]
	s_waitcnt vmcnt(0)
	v_add_f64 v[129:130], v[137:138], -v[129:130]
	buffer_store_dword v130, off, s[0:3], 0 offset:412
	buffer_store_dword v129, off, s[0:3], 0 offset:408
	s_and_saveexec_b64 s[4:5], vcc
	s_cbranch_execz .LBB126_285
; %bb.284:
	buffer_load_dword v129, off, s[0:3], 0 offset:400
	buffer_load_dword v130, off, s[0:3], 0 offset:404
	s_waitcnt vmcnt(0)
	ds_write_b64 v127, v[129:130]
	buffer_store_dword v128, off, s[0:3], 0 offset:400
	buffer_store_dword v128, off, s[0:3], 0 offset:404
.LBB126_285:
	s_or_b64 exec, exec, s[4:5]
	s_waitcnt lgkmcnt(0)
	; wave barrier
	buffer_load_dword v137, off, s[0:3], 0 offset:408
	buffer_load_dword v138, off, s[0:3], 0 offset:412
	;; [unrolled: 1-line block ×21, first 2 shown]
	ds_read2_b64 v[129:132], v128 offset0:115 offset1:116
	ds_read2_b64 v[133:136], v128 offset0:117 offset1:118
	buffer_load_dword v154, off, s[0:3], 0 offset:492
	v_cmp_lt_u32_e32 vcc, 49, v0
	s_waitcnt vmcnt(20) lgkmcnt(1)
	v_fma_f64 v[129:130], v[137:138], v[129:130], 0
	buffer_load_dword v138, off, s[0:3], 0 offset:500
	buffer_load_dword v137, off, s[0:3], 0 offset:496
	s_waitcnt vmcnt(20)
	v_fma_f64 v[129:130], v[139:140], v[131:132], v[129:130]
	buffer_load_dword v139, off, s[0:3], 0 offset:400
	buffer_load_dword v140, off, s[0:3], 0 offset:404
	s_waitcnt vmcnt(20) lgkmcnt(0)
	v_fma_f64 v[129:130], v[141:142], v[133:134], v[129:130]
	s_waitcnt vmcnt(18)
	v_fma_f64 v[141:142], v[143:144], v[135:136], v[129:130]
	ds_read2_b64 v[129:132], v128 offset0:119 offset1:120
	ds_read2_b64 v[133:136], v128 offset0:121 offset1:122
	s_waitcnt vmcnt(16) lgkmcnt(1)
	v_fma_f64 v[129:130], v[145:146], v[129:130], v[141:142]
	s_waitcnt vmcnt(14)
	v_fma_f64 v[129:130], v[147:148], v[131:132], v[129:130]
	s_waitcnt vmcnt(12) lgkmcnt(0)
	v_fma_f64 v[129:130], v[149:150], v[133:134], v[129:130]
	s_waitcnt vmcnt(7)
	v_fma_f64 v[141:142], v[151:152], v[135:136], v[129:130]
	ds_read2_b64 v[129:132], v128 offset0:123 offset1:124
	ds_read2_b64 v[133:136], v128 offset0:125 offset1:126
	s_waitcnt vmcnt(6) lgkmcnt(1)
	v_fma_f64 v[128:129], v[157:158], v[129:130], v[141:142]
	s_waitcnt vmcnt(5)
	v_fma_f64 v[128:129], v[155:156], v[131:132], v[128:129]
	s_waitcnt vmcnt(4) lgkmcnt(0)
	v_fma_f64 v[128:129], v[153:154], v[133:134], v[128:129]
	s_waitcnt vmcnt(2)
	v_fma_f64 v[128:129], v[137:138], v[135:136], v[128:129]
	s_waitcnt vmcnt(0)
	v_add_f64 v[128:129], v[139:140], -v[128:129]
	buffer_store_dword v129, off, s[0:3], 0 offset:404
	buffer_store_dword v128, off, s[0:3], 0 offset:400
	s_and_saveexec_b64 s[4:5], vcc
	s_cbranch_execz .LBB126_287
; %bb.286:
	buffer_load_dword v128, off, s[0:3], 0 offset:392
	buffer_load_dword v129, off, s[0:3], 0 offset:396
	v_mov_b32_e32 v130, 0
	buffer_store_dword v130, off, s[0:3], 0 offset:392
	buffer_store_dword v130, off, s[0:3], 0 offset:396
	s_waitcnt vmcnt(2)
	ds_write_b64 v127, v[128:129]
.LBB126_287:
	s_or_b64 exec, exec, s[4:5]
	s_waitcnt lgkmcnt(0)
	; wave barrier
	buffer_load_dword v137, off, s[0:3], 0 offset:400
	buffer_load_dword v138, off, s[0:3], 0 offset:404
	;; [unrolled: 1-line block ×21, first 2 shown]
	v_mov_b32_e32 v128, 0
	ds_read_b128 v[129:132], v128 offset:912
	ds_read_b128 v[133:136], v128 offset:928
	buffer_load_dword v154, off, s[0:3], 0 offset:484
	v_cmp_lt_u32_e32 vcc, 48, v0
	s_waitcnt vmcnt(20) lgkmcnt(1)
	v_fma_f64 v[129:130], v[137:138], v[129:130], 0
	s_waitcnt vmcnt(18)
	v_fma_f64 v[129:130], v[139:140], v[131:132], v[129:130]
	buffer_load_dword v138, off, s[0:3], 0 offset:492
	buffer_load_dword v139, off, s[0:3], 0 offset:496
	;; [unrolled: 1-line block ×4, first 2 shown]
	s_waitcnt vmcnt(20) lgkmcnt(0)
	v_fma_f64 v[129:130], v[141:142], v[133:134], v[129:130]
	buffer_load_dword v141, off, s[0:3], 0 offset:392
	buffer_load_dword v142, off, s[0:3], 0 offset:396
	s_waitcnt vmcnt(20)
	v_fma_f64 v[143:144], v[143:144], v[135:136], v[129:130]
	ds_read_b128 v[129:132], v128 offset:944
	ds_read_b128 v[133:136], v128 offset:960
	s_waitcnt vmcnt(18) lgkmcnt(1)
	v_fma_f64 v[129:130], v[145:146], v[129:130], v[143:144]
	s_waitcnt vmcnt(16)
	v_fma_f64 v[129:130], v[147:148], v[131:132], v[129:130]
	s_waitcnt vmcnt(14) lgkmcnt(0)
	v_fma_f64 v[129:130], v[149:150], v[133:134], v[129:130]
	s_waitcnt vmcnt(9)
	v_fma_f64 v[143:144], v[151:152], v[135:136], v[129:130]
	ds_read_b128 v[129:132], v128 offset:976
	ds_read_b128 v[133:136], v128 offset:992
	s_waitcnt vmcnt(8) lgkmcnt(1)
	v_fma_f64 v[129:130], v[157:158], v[129:130], v[143:144]
	s_waitcnt vmcnt(7)
	v_fma_f64 v[129:130], v[155:156], v[131:132], v[129:130]
	ds_read_b64 v[131:132], v128 offset:1008
	s_waitcnt vmcnt(6) lgkmcnt(1)
	v_fma_f64 v[129:130], v[153:154], v[133:134], v[129:130]
	s_waitcnt vmcnt(3)
	v_fma_f64 v[129:130], v[137:138], v[135:136], v[129:130]
	s_waitcnt vmcnt(2) lgkmcnt(0)
	v_fma_f64 v[129:130], v[139:140], v[131:132], v[129:130]
	s_waitcnt vmcnt(0)
	v_add_f64 v[129:130], v[141:142], -v[129:130]
	buffer_store_dword v130, off, s[0:3], 0 offset:396
	buffer_store_dword v129, off, s[0:3], 0 offset:392
	s_and_saveexec_b64 s[4:5], vcc
	s_cbranch_execz .LBB126_289
; %bb.288:
	buffer_load_dword v129, off, s[0:3], 0 offset:384
	buffer_load_dword v130, off, s[0:3], 0 offset:388
	s_waitcnt vmcnt(0)
	ds_write_b64 v127, v[129:130]
	buffer_store_dword v128, off, s[0:3], 0 offset:384
	buffer_store_dword v128, off, s[0:3], 0 offset:388
.LBB126_289:
	s_or_b64 exec, exec, s[4:5]
	s_waitcnt lgkmcnt(0)
	; wave barrier
	buffer_load_dword v137, off, s[0:3], 0 offset:392
	buffer_load_dword v138, off, s[0:3], 0 offset:396
	;; [unrolled: 1-line block ×22, first 2 shown]
	ds_read2_b64 v[129:132], v128 offset0:113 offset1:114
	ds_read2_b64 v[133:136], v128 offset0:115 offset1:116
	v_cmp_lt_u32_e32 vcc, 47, v0
	s_waitcnt vmcnt(20) lgkmcnt(1)
	v_fma_f64 v[129:130], v[137:138], v[129:130], 0
	s_waitcnt vmcnt(18)
	v_fma_f64 v[129:130], v[139:140], v[131:132], v[129:130]
	buffer_load_dword v138, off, s[0:3], 0 offset:484
	buffer_load_dword v139, off, s[0:3], 0 offset:496
	;; [unrolled: 1-line block ×6, first 2 shown]
	s_waitcnt vmcnt(22) lgkmcnt(0)
	v_fma_f64 v[129:130], v[141:142], v[133:134], v[129:130]
	s_waitcnt vmcnt(20)
	v_fma_f64 v[141:142], v[143:144], v[135:136], v[129:130]
	ds_read2_b64 v[129:132], v128 offset0:117 offset1:118
	buffer_load_dword v143, off, s[0:3], 0 offset:384
	buffer_load_dword v144, off, s[0:3], 0 offset:388
	ds_read2_b64 v[133:136], v128 offset0:119 offset1:120
	s_waitcnt vmcnt(20) lgkmcnt(1)
	v_fma_f64 v[129:130], v[145:146], v[129:130], v[141:142]
	s_waitcnt vmcnt(18)
	v_fma_f64 v[129:130], v[147:148], v[131:132], v[129:130]
	s_waitcnt vmcnt(16) lgkmcnt(0)
	v_fma_f64 v[129:130], v[149:150], v[133:134], v[129:130]
	s_waitcnt vmcnt(11)
	v_fma_f64 v[141:142], v[151:152], v[135:136], v[129:130]
	ds_read2_b64 v[129:132], v128 offset0:121 offset1:122
	ds_read2_b64 v[133:136], v128 offset0:123 offset1:124
	s_waitcnt vmcnt(10) lgkmcnt(1)
	v_fma_f64 v[129:130], v[157:158], v[129:130], v[141:142]
	s_waitcnt vmcnt(9)
	v_fma_f64 v[129:130], v[155:156], v[131:132], v[129:130]
	s_waitcnt vmcnt(8) lgkmcnt(0)
	v_fma_f64 v[129:130], v[153:154], v[133:134], v[129:130]
	s_waitcnt vmcnt(4)
	v_fma_f64 v[132:133], v[137:138], v[135:136], v[129:130]
	ds_read2_b64 v[128:131], v128 offset0:125 offset1:126
	s_waitcnt vmcnt(3) lgkmcnt(0)
	v_fma_f64 v[128:129], v[159:160], v[128:129], v[132:133]
	s_waitcnt vmcnt(2)
	v_fma_f64 v[128:129], v[139:140], v[130:131], v[128:129]
	s_waitcnt vmcnt(0)
	v_add_f64 v[128:129], v[143:144], -v[128:129]
	buffer_store_dword v129, off, s[0:3], 0 offset:388
	buffer_store_dword v128, off, s[0:3], 0 offset:384
	s_and_saveexec_b64 s[4:5], vcc
	s_cbranch_execz .LBB126_291
; %bb.290:
	buffer_load_dword v128, off, s[0:3], 0 offset:376
	buffer_load_dword v129, off, s[0:3], 0 offset:380
	v_mov_b32_e32 v130, 0
	buffer_store_dword v130, off, s[0:3], 0 offset:376
	buffer_store_dword v130, off, s[0:3], 0 offset:380
	s_waitcnt vmcnt(2)
	ds_write_b64 v127, v[128:129]
.LBB126_291:
	s_or_b64 exec, exec, s[4:5]
	s_waitcnt lgkmcnt(0)
	; wave barrier
	buffer_load_dword v137, off, s[0:3], 0 offset:384
	buffer_load_dword v138, off, s[0:3], 0 offset:388
	;; [unrolled: 1-line block ×22, first 2 shown]
	v_mov_b32_e32 v128, 0
	ds_read_b128 v[129:132], v128 offset:896
	ds_read_b128 v[133:136], v128 offset:912
	v_cmp_lt_u32_e32 vcc, 46, v0
	s_waitcnt vmcnt(20) lgkmcnt(1)
	v_fma_f64 v[129:130], v[137:138], v[129:130], 0
	s_waitcnt vmcnt(18)
	v_fma_f64 v[129:130], v[139:140], v[131:132], v[129:130]
	buffer_load_dword v138, off, s[0:3], 0 offset:476
	buffer_load_dword v139, off, s[0:3], 0 offset:496
	;; [unrolled: 1-line block ×8, first 2 shown]
	s_waitcnt vmcnt(24) lgkmcnt(0)
	v_fma_f64 v[129:130], v[141:142], v[133:134], v[129:130]
	s_waitcnt vmcnt(22)
	v_fma_f64 v[141:142], v[143:144], v[135:136], v[129:130]
	ds_read_b128 v[129:132], v128 offset:928
	ds_read_b128 v[133:136], v128 offset:944
	s_waitcnt vmcnt(20) lgkmcnt(1)
	v_fma_f64 v[129:130], v[145:146], v[129:130], v[141:142]
	buffer_load_dword v141, off, s[0:3], 0 offset:376
	buffer_load_dword v142, off, s[0:3], 0 offset:380
	s_waitcnt vmcnt(20)
	v_fma_f64 v[129:130], v[147:148], v[131:132], v[129:130]
	s_waitcnt vmcnt(18) lgkmcnt(0)
	v_fma_f64 v[129:130], v[149:150], v[133:134], v[129:130]
	s_waitcnt vmcnt(13)
	v_fma_f64 v[143:144], v[151:152], v[135:136], v[129:130]
	ds_read_b128 v[129:132], v128 offset:960
	ds_read_b128 v[133:136], v128 offset:976
	s_waitcnt vmcnt(12) lgkmcnt(1)
	v_fma_f64 v[129:130], v[157:158], v[129:130], v[143:144]
	s_waitcnt vmcnt(11)
	v_fma_f64 v[129:130], v[155:156], v[131:132], v[129:130]
	s_waitcnt vmcnt(10) lgkmcnt(0)
	v_fma_f64 v[129:130], v[153:154], v[133:134], v[129:130]
	s_waitcnt vmcnt(5)
	v_fma_f64 v[133:134], v[137:138], v[135:136], v[129:130]
	ds_read_b128 v[129:132], v128 offset:992
	ds_read_b64 v[135:136], v128 offset:1008
	s_waitcnt vmcnt(4) lgkmcnt(1)
	v_fma_f64 v[129:130], v[161:162], v[129:130], v[133:134]
	s_waitcnt vmcnt(3)
	v_fma_f64 v[129:130], v[159:160], v[131:132], v[129:130]
	s_waitcnt vmcnt(2) lgkmcnt(0)
	v_fma_f64 v[129:130], v[139:140], v[135:136], v[129:130]
	s_waitcnt vmcnt(0)
	v_add_f64 v[129:130], v[141:142], -v[129:130]
	buffer_store_dword v130, off, s[0:3], 0 offset:380
	buffer_store_dword v129, off, s[0:3], 0 offset:376
	s_and_saveexec_b64 s[4:5], vcc
	s_cbranch_execz .LBB126_293
; %bb.292:
	buffer_load_dword v129, off, s[0:3], 0 offset:368
	buffer_load_dword v130, off, s[0:3], 0 offset:372
	s_waitcnt vmcnt(0)
	ds_write_b64 v127, v[129:130]
	buffer_store_dword v128, off, s[0:3], 0 offset:368
	buffer_store_dword v128, off, s[0:3], 0 offset:372
.LBB126_293:
	s_or_b64 exec, exec, s[4:5]
	s_waitcnt lgkmcnt(0)
	; wave barrier
	buffer_load_dword v137, off, s[0:3], 0 offset:376
	buffer_load_dword v138, off, s[0:3], 0 offset:380
	;; [unrolled: 1-line block ×22, first 2 shown]
	ds_read2_b64 v[129:132], v128 offset0:111 offset1:112
	ds_read2_b64 v[133:136], v128 offset0:113 offset1:114
	v_cmp_lt_u32_e32 vcc, 45, v0
	s_waitcnt vmcnt(20) lgkmcnt(1)
	v_fma_f64 v[129:130], v[137:138], v[129:130], 0
	s_waitcnt vmcnt(18)
	v_fma_f64 v[129:130], v[139:140], v[131:132], v[129:130]
	buffer_load_dword v138, off, s[0:3], 0 offset:468
	buffer_load_dword v139, off, s[0:3], 0 offset:488
	;; [unrolled: 1-line block ×8, first 2 shown]
	s_waitcnt vmcnt(24) lgkmcnt(0)
	v_fma_f64 v[129:130], v[141:142], v[133:134], v[129:130]
	s_waitcnt vmcnt(22)
	v_fma_f64 v[141:142], v[143:144], v[135:136], v[129:130]
	ds_read2_b64 v[129:132], v128 offset0:115 offset1:116
	ds_read2_b64 v[133:136], v128 offset0:117 offset1:118
	s_waitcnt vmcnt(20) lgkmcnt(1)
	v_fma_f64 v[129:130], v[145:146], v[129:130], v[141:142]
	buffer_load_dword v142, off, s[0:3], 0 offset:500
	buffer_load_dword v141, off, s[0:3], 0 offset:496
	;; [unrolled: 1-line block ×4, first 2 shown]
	s_waitcnt vmcnt(22)
	v_fma_f64 v[129:130], v[147:148], v[131:132], v[129:130]
	s_waitcnt vmcnt(20) lgkmcnt(0)
	v_fma_f64 v[129:130], v[149:150], v[133:134], v[129:130]
	s_waitcnt vmcnt(15)
	v_fma_f64 v[145:146], v[151:152], v[135:136], v[129:130]
	ds_read2_b64 v[129:132], v128 offset0:119 offset1:120
	ds_read2_b64 v[133:136], v128 offset0:121 offset1:122
	s_waitcnt vmcnt(14) lgkmcnt(1)
	v_fma_f64 v[129:130], v[157:158], v[129:130], v[145:146]
	s_waitcnt vmcnt(13)
	v_fma_f64 v[129:130], v[155:156], v[131:132], v[129:130]
	s_waitcnt vmcnt(12) lgkmcnt(0)
	v_fma_f64 v[129:130], v[153:154], v[133:134], v[129:130]
	s_waitcnt vmcnt(7)
	v_fma_f64 v[137:138], v[137:138], v[135:136], v[129:130]
	ds_read2_b64 v[129:132], v128 offset0:123 offset1:124
	ds_read2_b64 v[133:136], v128 offset0:125 offset1:126
	s_waitcnt vmcnt(6) lgkmcnt(1)
	v_fma_f64 v[128:129], v[161:162], v[129:130], v[137:138]
	s_waitcnt vmcnt(5)
	v_fma_f64 v[128:129], v[159:160], v[131:132], v[128:129]
	s_waitcnt vmcnt(4) lgkmcnt(0)
	v_fma_f64 v[128:129], v[139:140], v[133:134], v[128:129]
	s_waitcnt vmcnt(2)
	v_fma_f64 v[128:129], v[141:142], v[135:136], v[128:129]
	s_waitcnt vmcnt(0)
	v_add_f64 v[128:129], v[143:144], -v[128:129]
	buffer_store_dword v129, off, s[0:3], 0 offset:372
	buffer_store_dword v128, off, s[0:3], 0 offset:368
	s_and_saveexec_b64 s[4:5], vcc
	s_cbranch_execz .LBB126_295
; %bb.294:
	buffer_load_dword v128, off, s[0:3], 0 offset:360
	buffer_load_dword v129, off, s[0:3], 0 offset:364
	v_mov_b32_e32 v130, 0
	buffer_store_dword v130, off, s[0:3], 0 offset:360
	buffer_store_dword v130, off, s[0:3], 0 offset:364
	s_waitcnt vmcnt(2)
	ds_write_b64 v127, v[128:129]
.LBB126_295:
	s_or_b64 exec, exec, s[4:5]
	s_waitcnt lgkmcnt(0)
	; wave barrier
	buffer_load_dword v137, off, s[0:3], 0 offset:368
	buffer_load_dword v138, off, s[0:3], 0 offset:372
	;; [unrolled: 1-line block ×22, first 2 shown]
	v_mov_b32_e32 v128, 0
	ds_read_b128 v[129:132], v128 offset:880
	ds_read_b128 v[133:136], v128 offset:896
	v_cmp_lt_u32_e32 vcc, 44, v0
	s_waitcnt vmcnt(20) lgkmcnt(1)
	v_fma_f64 v[129:130], v[137:138], v[129:130], 0
	s_waitcnt vmcnt(18)
	v_fma_f64 v[129:130], v[139:140], v[131:132], v[129:130]
	buffer_load_dword v138, off, s[0:3], 0 offset:460
	buffer_load_dword v139, off, s[0:3], 0 offset:480
	;; [unrolled: 1-line block ×7, first 2 shown]
	s_waitcnt vmcnt(23) lgkmcnt(0)
	v_fma_f64 v[129:130], v[141:142], v[133:134], v[129:130]
	s_waitcnt vmcnt(21)
	v_fma_f64 v[140:141], v[143:144], v[135:136], v[129:130]
	ds_read_b128 v[129:132], v128 offset:912
	ds_read_b128 v[133:136], v128 offset:928
	s_waitcnt vmcnt(19) lgkmcnt(1)
	v_fma_f64 v[129:130], v[145:146], v[129:130], v[140:141]
	buffer_load_dword v140, off, s[0:3], 0 offset:484
	buffer_load_dword v142, off, s[0:3], 0 offset:492
	;; [unrolled: 1-line block ×7, first 2 shown]
	s_waitcnt vmcnt(24)
	v_fma_f64 v[129:130], v[147:148], v[131:132], v[129:130]
	s_waitcnt vmcnt(22) lgkmcnt(0)
	v_fma_f64 v[129:130], v[149:150], v[133:134], v[129:130]
	s_waitcnt vmcnt(17)
	v_fma_f64 v[147:148], v[151:152], v[135:136], v[129:130]
	ds_read_b128 v[129:132], v128 offset:944
	ds_read_b128 v[133:136], v128 offset:960
	s_waitcnt vmcnt(16) lgkmcnt(1)
	v_fma_f64 v[129:130], v[157:158], v[129:130], v[147:148]
	s_waitcnt vmcnt(15)
	v_fma_f64 v[129:130], v[155:156], v[131:132], v[129:130]
	s_waitcnt vmcnt(14) lgkmcnt(0)
	v_fma_f64 v[129:130], v[153:154], v[133:134], v[129:130]
	s_waitcnt vmcnt(9)
	v_fma_f64 v[137:138], v[137:138], v[135:136], v[129:130]
	ds_read_b128 v[129:132], v128 offset:976
	ds_read_b128 v[133:136], v128 offset:992
	s_waitcnt vmcnt(8) lgkmcnt(1)
	v_fma_f64 v[129:130], v[161:162], v[129:130], v[137:138]
	s_waitcnt vmcnt(7)
	v_fma_f64 v[129:130], v[159:160], v[131:132], v[129:130]
	ds_read_b64 v[131:132], v128 offset:1008
	s_waitcnt vmcnt(6) lgkmcnt(1)
	v_fma_f64 v[129:130], v[139:140], v[133:134], v[129:130]
	s_waitcnt vmcnt(3)
	v_fma_f64 v[129:130], v[141:142], v[135:136], v[129:130]
	s_waitcnt vmcnt(2) lgkmcnt(0)
	v_fma_f64 v[129:130], v[143:144], v[131:132], v[129:130]
	s_waitcnt vmcnt(0)
	v_add_f64 v[129:130], v[145:146], -v[129:130]
	buffer_store_dword v130, off, s[0:3], 0 offset:364
	buffer_store_dword v129, off, s[0:3], 0 offset:360
	s_and_saveexec_b64 s[4:5], vcc
	s_cbranch_execz .LBB126_297
; %bb.296:
	buffer_load_dword v129, off, s[0:3], 0 offset:352
	buffer_load_dword v130, off, s[0:3], 0 offset:356
	s_waitcnt vmcnt(0)
	ds_write_b64 v127, v[129:130]
	buffer_store_dword v128, off, s[0:3], 0 offset:352
	buffer_store_dword v128, off, s[0:3], 0 offset:356
.LBB126_297:
	s_or_b64 exec, exec, s[4:5]
	s_waitcnt lgkmcnt(0)
	; wave barrier
	buffer_load_dword v137, off, s[0:3], 0 offset:360
	buffer_load_dword v138, off, s[0:3], 0 offset:364
	;; [unrolled: 1-line block ×22, first 2 shown]
	ds_read2_b64 v[129:132], v128 offset0:109 offset1:110
	ds_read2_b64 v[133:136], v128 offset0:111 offset1:112
	v_cmp_lt_u32_e32 vcc, 43, v0
	s_waitcnt vmcnt(20) lgkmcnt(1)
	v_fma_f64 v[129:130], v[137:138], v[129:130], 0
	s_waitcnt vmcnt(18)
	v_fma_f64 v[129:130], v[139:140], v[131:132], v[129:130]
	buffer_load_dword v138, off, s[0:3], 0 offset:452
	buffer_load_dword v139, off, s[0:3], 0 offset:472
	buffer_load_dword v159, off, s[0:3], 0 offset:464
	buffer_load_dword v161, off, s[0:3], 0 offset:456
	buffer_load_dword v137, off, s[0:3], 0 offset:448
	buffer_load_dword v162, off, s[0:3], 0 offset:460
	buffer_load_dword v160, off, s[0:3], 0 offset:468
	s_waitcnt vmcnt(23) lgkmcnt(0)
	v_fma_f64 v[129:130], v[141:142], v[133:134], v[129:130]
	s_waitcnt vmcnt(21)
	v_fma_f64 v[140:141], v[143:144], v[135:136], v[129:130]
	ds_read2_b64 v[129:132], v128 offset0:113 offset1:114
	ds_read2_b64 v[133:136], v128 offset0:115 offset1:116
	s_waitcnt vmcnt(19) lgkmcnt(1)
	v_fma_f64 v[129:130], v[145:146], v[129:130], v[140:141]
	buffer_load_dword v140, off, s[0:3], 0 offset:476
	buffer_load_dword v142, off, s[0:3], 0 offset:484
	;; [unrolled: 1-line block ×7, first 2 shown]
	s_waitcnt vmcnt(24)
	v_fma_f64 v[129:130], v[147:148], v[131:132], v[129:130]
	s_waitcnt vmcnt(22) lgkmcnt(0)
	v_fma_f64 v[129:130], v[149:150], v[133:134], v[129:130]
	s_waitcnt vmcnt(17)
	v_fma_f64 v[147:148], v[151:152], v[135:136], v[129:130]
	ds_read2_b64 v[129:132], v128 offset0:117 offset1:118
	buffer_load_dword v149, off, s[0:3], 0 offset:352
	buffer_load_dword v150, off, s[0:3], 0 offset:356
	ds_read2_b64 v[133:136], v128 offset0:119 offset1:120
	s_waitcnt vmcnt(18) lgkmcnt(1)
	v_fma_f64 v[129:130], v[157:158], v[129:130], v[147:148]
	s_waitcnt vmcnt(17)
	v_fma_f64 v[129:130], v[155:156], v[131:132], v[129:130]
	s_waitcnt vmcnt(16) lgkmcnt(0)
	v_fma_f64 v[129:130], v[153:154], v[133:134], v[129:130]
	s_waitcnt vmcnt(11)
	v_fma_f64 v[137:138], v[137:138], v[135:136], v[129:130]
	ds_read2_b64 v[129:132], v128 offset0:121 offset1:122
	ds_read2_b64 v[133:136], v128 offset0:123 offset1:124
	s_waitcnt vmcnt(10) lgkmcnt(1)
	v_fma_f64 v[129:130], v[161:162], v[129:130], v[137:138]
	s_waitcnt vmcnt(9)
	v_fma_f64 v[129:130], v[159:160], v[131:132], v[129:130]
	s_waitcnt vmcnt(8) lgkmcnt(0)
	v_fma_f64 v[129:130], v[139:140], v[133:134], v[129:130]
	s_waitcnt vmcnt(4)
	v_fma_f64 v[132:133], v[141:142], v[135:136], v[129:130]
	ds_read2_b64 v[128:131], v128 offset0:125 offset1:126
	s_waitcnt vmcnt(3) lgkmcnt(0)
	v_fma_f64 v[128:129], v[145:146], v[128:129], v[132:133]
	s_waitcnt vmcnt(2)
	v_fma_f64 v[128:129], v[143:144], v[130:131], v[128:129]
	s_waitcnt vmcnt(0)
	v_add_f64 v[128:129], v[149:150], -v[128:129]
	buffer_store_dword v129, off, s[0:3], 0 offset:356
	buffer_store_dword v128, off, s[0:3], 0 offset:352
	s_and_saveexec_b64 s[4:5], vcc
	s_cbranch_execz .LBB126_299
; %bb.298:
	buffer_load_dword v128, off, s[0:3], 0 offset:344
	buffer_load_dword v129, off, s[0:3], 0 offset:348
	v_mov_b32_e32 v130, 0
	buffer_store_dword v130, off, s[0:3], 0 offset:344
	buffer_store_dword v130, off, s[0:3], 0 offset:348
	s_waitcnt vmcnt(2)
	ds_write_b64 v127, v[128:129]
.LBB126_299:
	s_or_b64 exec, exec, s[4:5]
	s_waitcnt lgkmcnt(0)
	; wave barrier
	buffer_load_dword v137, off, s[0:3], 0 offset:352
	buffer_load_dword v138, off, s[0:3], 0 offset:356
	buffer_load_dword v139, off, s[0:3], 0 offset:360
	buffer_load_dword v140, off, s[0:3], 0 offset:364
	buffer_load_dword v141, off, s[0:3], 0 offset:368
	buffer_load_dword v142, off, s[0:3], 0 offset:372
	buffer_load_dword v143, off, s[0:3], 0 offset:376
	buffer_load_dword v144, off, s[0:3], 0 offset:380
	buffer_load_dword v145, off, s[0:3], 0 offset:384
	buffer_load_dword v146, off, s[0:3], 0 offset:388
	buffer_load_dword v147, off, s[0:3], 0 offset:392
	buffer_load_dword v148, off, s[0:3], 0 offset:396
	buffer_load_dword v149, off, s[0:3], 0 offset:400
	buffer_load_dword v150, off, s[0:3], 0 offset:404
	buffer_load_dword v152, off, s[0:3], 0 offset:412
	buffer_load_dword v153, off, s[0:3], 0 offset:432
	buffer_load_dword v155, off, s[0:3], 0 offset:424
	buffer_load_dword v157, off, s[0:3], 0 offset:416
	buffer_load_dword v151, off, s[0:3], 0 offset:408
	buffer_load_dword v158, off, s[0:3], 0 offset:420
	buffer_load_dword v156, off, s[0:3], 0 offset:428
	buffer_load_dword v154, off, s[0:3], 0 offset:436
	v_mov_b32_e32 v128, 0
	ds_read_b128 v[129:132], v128 offset:864
	ds_read_b128 v[133:136], v128 offset:880
	v_cmp_lt_u32_e32 vcc, 42, v0
	s_waitcnt vmcnt(20) lgkmcnt(1)
	v_fma_f64 v[129:130], v[137:138], v[129:130], 0
	s_waitcnt vmcnt(18)
	v_fma_f64 v[129:130], v[139:140], v[131:132], v[129:130]
	buffer_load_dword v138, off, s[0:3], 0 offset:444
	buffer_load_dword v139, off, s[0:3], 0 offset:464
	;; [unrolled: 1-line block ×7, first 2 shown]
	s_waitcnt vmcnt(23) lgkmcnt(0)
	v_fma_f64 v[129:130], v[141:142], v[133:134], v[129:130]
	s_waitcnt vmcnt(21)
	v_fma_f64 v[140:141], v[143:144], v[135:136], v[129:130]
	ds_read_b128 v[129:132], v128 offset:896
	ds_read_b128 v[133:136], v128 offset:912
	s_waitcnt vmcnt(19) lgkmcnt(1)
	v_fma_f64 v[129:130], v[145:146], v[129:130], v[140:141]
	buffer_load_dword v140, off, s[0:3], 0 offset:468
	s_waitcnt vmcnt(18)
	v_fma_f64 v[129:130], v[147:148], v[131:132], v[129:130]
	buffer_load_dword v142, off, s[0:3], 0 offset:476
	buffer_load_dword v143, off, s[0:3], 0 offset:496
	;; [unrolled: 1-line block ×8, first 2 shown]
	s_waitcnt vmcnt(24) lgkmcnt(0)
	v_fma_f64 v[129:130], v[149:150], v[133:134], v[129:130]
	s_waitcnt vmcnt(19)
	v_fma_f64 v[149:150], v[151:152], v[135:136], v[129:130]
	ds_read_b128 v[129:132], v128 offset:928
	ds_read_b128 v[133:136], v128 offset:944
	s_waitcnt vmcnt(18) lgkmcnt(1)
	v_fma_f64 v[129:130], v[157:158], v[129:130], v[149:150]
	buffer_load_dword v149, off, s[0:3], 0 offset:344
	buffer_load_dword v150, off, s[0:3], 0 offset:348
	s_waitcnt vmcnt(19)
	v_fma_f64 v[129:130], v[155:156], v[131:132], v[129:130]
	s_waitcnt vmcnt(18) lgkmcnt(0)
	v_fma_f64 v[129:130], v[153:154], v[133:134], v[129:130]
	s_waitcnt vmcnt(13)
	v_fma_f64 v[137:138], v[137:138], v[135:136], v[129:130]
	ds_read_b128 v[129:132], v128 offset:960
	ds_read_b128 v[133:136], v128 offset:976
	s_waitcnt vmcnt(12) lgkmcnt(1)
	v_fma_f64 v[129:130], v[161:162], v[129:130], v[137:138]
	s_waitcnt vmcnt(11)
	v_fma_f64 v[129:130], v[159:160], v[131:132], v[129:130]
	s_waitcnt vmcnt(10) lgkmcnt(0)
	v_fma_f64 v[129:130], v[139:140], v[133:134], v[129:130]
	s_waitcnt vmcnt(5)
	v_fma_f64 v[133:134], v[141:142], v[135:136], v[129:130]
	ds_read_b128 v[129:132], v128 offset:992
	ds_read_b64 v[135:136], v128 offset:1008
	s_waitcnt vmcnt(4) lgkmcnt(1)
	v_fma_f64 v[129:130], v[147:148], v[129:130], v[133:134]
	s_waitcnt vmcnt(3)
	v_fma_f64 v[129:130], v[145:146], v[131:132], v[129:130]
	s_waitcnt vmcnt(2) lgkmcnt(0)
	v_fma_f64 v[129:130], v[143:144], v[135:136], v[129:130]
	s_waitcnt vmcnt(0)
	v_add_f64 v[129:130], v[149:150], -v[129:130]
	buffer_store_dword v130, off, s[0:3], 0 offset:348
	buffer_store_dword v129, off, s[0:3], 0 offset:344
	s_and_saveexec_b64 s[4:5], vcc
	s_cbranch_execz .LBB126_301
; %bb.300:
	buffer_load_dword v129, off, s[0:3], 0 offset:336
	buffer_load_dword v130, off, s[0:3], 0 offset:340
	s_waitcnt vmcnt(0)
	ds_write_b64 v127, v[129:130]
	buffer_store_dword v128, off, s[0:3], 0 offset:336
	buffer_store_dword v128, off, s[0:3], 0 offset:340
.LBB126_301:
	s_or_b64 exec, exec, s[4:5]
	s_waitcnt lgkmcnt(0)
	; wave barrier
	buffer_load_dword v137, off, s[0:3], 0 offset:344
	buffer_load_dword v138, off, s[0:3], 0 offset:348
	;; [unrolled: 1-line block ×22, first 2 shown]
	ds_read2_b64 v[129:132], v128 offset0:107 offset1:108
	ds_read2_b64 v[133:136], v128 offset0:109 offset1:110
	v_cmp_lt_u32_e32 vcc, 41, v0
	s_waitcnt vmcnt(20) lgkmcnt(1)
	v_fma_f64 v[129:130], v[137:138], v[129:130], 0
	s_waitcnt vmcnt(18)
	v_fma_f64 v[129:130], v[139:140], v[131:132], v[129:130]
	buffer_load_dword v138, off, s[0:3], 0 offset:436
	buffer_load_dword v139, off, s[0:3], 0 offset:456
	;; [unrolled: 1-line block ×7, first 2 shown]
	s_waitcnt vmcnt(23) lgkmcnt(0)
	v_fma_f64 v[129:130], v[141:142], v[133:134], v[129:130]
	s_waitcnt vmcnt(21)
	v_fma_f64 v[140:141], v[143:144], v[135:136], v[129:130]
	ds_read2_b64 v[129:132], v128 offset0:111 offset1:112
	ds_read2_b64 v[133:136], v128 offset0:113 offset1:114
	s_waitcnt vmcnt(19) lgkmcnt(1)
	v_fma_f64 v[129:130], v[145:146], v[129:130], v[140:141]
	buffer_load_dword v140, off, s[0:3], 0 offset:460
	s_waitcnt vmcnt(18)
	v_fma_f64 v[129:130], v[147:148], v[131:132], v[129:130]
	buffer_load_dword v142, off, s[0:3], 0 offset:468
	buffer_load_dword v143, off, s[0:3], 0 offset:488
	buffer_load_dword v145, off, s[0:3], 0 offset:480
	buffer_load_dword v147, off, s[0:3], 0 offset:472
	buffer_load_dword v141, off, s[0:3], 0 offset:464
	buffer_load_dword v148, off, s[0:3], 0 offset:476
	buffer_load_dword v146, off, s[0:3], 0 offset:484
	buffer_load_dword v144, off, s[0:3], 0 offset:492
	s_waitcnt vmcnt(24) lgkmcnt(0)
	v_fma_f64 v[129:130], v[149:150], v[133:134], v[129:130]
	s_waitcnt vmcnt(19)
	v_fma_f64 v[149:150], v[151:152], v[135:136], v[129:130]
	ds_read2_b64 v[129:132], v128 offset0:115 offset1:116
	ds_read2_b64 v[133:136], v128 offset0:117 offset1:118
	s_waitcnt vmcnt(18) lgkmcnt(1)
	v_fma_f64 v[129:130], v[157:158], v[129:130], v[149:150]
	buffer_load_dword v150, off, s[0:3], 0 offset:500
	buffer_load_dword v149, off, s[0:3], 0 offset:496
	;; [unrolled: 1-line block ×4, first 2 shown]
	s_waitcnt vmcnt(21)
	v_fma_f64 v[129:130], v[155:156], v[131:132], v[129:130]
	s_waitcnt vmcnt(20) lgkmcnt(0)
	v_fma_f64 v[129:130], v[153:154], v[133:134], v[129:130]
	s_waitcnt vmcnt(15)
	v_fma_f64 v[137:138], v[137:138], v[135:136], v[129:130]
	ds_read2_b64 v[129:132], v128 offset0:119 offset1:120
	ds_read2_b64 v[133:136], v128 offset0:121 offset1:122
	s_waitcnt vmcnt(14) lgkmcnt(1)
	v_fma_f64 v[129:130], v[161:162], v[129:130], v[137:138]
	s_waitcnt vmcnt(13)
	v_fma_f64 v[129:130], v[159:160], v[131:132], v[129:130]
	s_waitcnt vmcnt(12) lgkmcnt(0)
	v_fma_f64 v[129:130], v[139:140], v[133:134], v[129:130]
	s_waitcnt vmcnt(7)
	v_fma_f64 v[137:138], v[141:142], v[135:136], v[129:130]
	ds_read2_b64 v[129:132], v128 offset0:123 offset1:124
	ds_read2_b64 v[133:136], v128 offset0:125 offset1:126
	s_waitcnt vmcnt(6) lgkmcnt(1)
	v_fma_f64 v[128:129], v[147:148], v[129:130], v[137:138]
	s_waitcnt vmcnt(5)
	v_fma_f64 v[128:129], v[145:146], v[131:132], v[128:129]
	s_waitcnt vmcnt(4) lgkmcnt(0)
	v_fma_f64 v[128:129], v[143:144], v[133:134], v[128:129]
	s_waitcnt vmcnt(2)
	v_fma_f64 v[128:129], v[149:150], v[135:136], v[128:129]
	s_waitcnt vmcnt(0)
	v_add_f64 v[128:129], v[151:152], -v[128:129]
	buffer_store_dword v129, off, s[0:3], 0 offset:340
	buffer_store_dword v128, off, s[0:3], 0 offset:336
	s_and_saveexec_b64 s[4:5], vcc
	s_cbranch_execz .LBB126_303
; %bb.302:
	buffer_load_dword v128, off, s[0:3], 0 offset:328
	buffer_load_dword v129, off, s[0:3], 0 offset:332
	v_mov_b32_e32 v130, 0
	buffer_store_dword v130, off, s[0:3], 0 offset:328
	buffer_store_dword v130, off, s[0:3], 0 offset:332
	s_waitcnt vmcnt(2)
	ds_write_b64 v127, v[128:129]
.LBB126_303:
	s_or_b64 exec, exec, s[4:5]
	s_waitcnt lgkmcnt(0)
	; wave barrier
	buffer_load_dword v137, off, s[0:3], 0 offset:336
	buffer_load_dword v138, off, s[0:3], 0 offset:340
	;; [unrolled: 1-line block ×21, first 2 shown]
	v_mov_b32_e32 v128, 0
	ds_read_b128 v[129:132], v128 offset:848
	ds_read_b128 v[133:136], v128 offset:864
	buffer_load_dword v154, off, s[0:3], 0 offset:420
	v_cmp_lt_u32_e32 vcc, 40, v0
	s_waitcnt vmcnt(20) lgkmcnt(1)
	v_fma_f64 v[129:130], v[137:138], v[129:130], 0
	s_waitcnt vmcnt(18)
	v_fma_f64 v[129:130], v[139:140], v[131:132], v[129:130]
	buffer_load_dword v138, off, s[0:3], 0 offset:428
	buffer_load_dword v139, off, s[0:3], 0 offset:448
	;; [unrolled: 1-line block ×7, first 2 shown]
	s_waitcnt vmcnt(23) lgkmcnt(0)
	v_fma_f64 v[129:130], v[141:142], v[133:134], v[129:130]
	s_waitcnt vmcnt(21)
	v_fma_f64 v[140:141], v[143:144], v[135:136], v[129:130]
	ds_read_b128 v[129:132], v128 offset:880
	ds_read_b128 v[133:136], v128 offset:896
	s_waitcnt vmcnt(19) lgkmcnt(1)
	v_fma_f64 v[129:130], v[145:146], v[129:130], v[140:141]
	buffer_load_dword v140, off, s[0:3], 0 offset:452
	s_waitcnt vmcnt(18)
	v_fma_f64 v[129:130], v[147:148], v[131:132], v[129:130]
	buffer_load_dword v142, off, s[0:3], 0 offset:460
	buffer_load_dword v143, off, s[0:3], 0 offset:480
	;; [unrolled: 1-line block ×7, first 2 shown]
	s_waitcnt vmcnt(23) lgkmcnt(0)
	v_fma_f64 v[129:130], v[149:150], v[133:134], v[129:130]
	s_waitcnt vmcnt(18)
	v_fma_f64 v[149:150], v[151:152], v[135:136], v[129:130]
	ds_read_b128 v[129:132], v128 offset:912
	ds_read_b128 v[133:136], v128 offset:928
	buffer_load_dword v144, off, s[0:3], 0 offset:484
	s_waitcnt vmcnt(18) lgkmcnt(1)
	v_fma_f64 v[129:130], v[157:158], v[129:130], v[149:150]
	buffer_load_dword v150, off, s[0:3], 0 offset:492
	buffer_load_dword v151, off, s[0:3], 0 offset:496
	;; [unrolled: 1-line block ×4, first 2 shown]
	s_waitcnt vmcnt(21)
	v_fma_f64 v[129:130], v[155:156], v[131:132], v[129:130]
	s_waitcnt vmcnt(20) lgkmcnt(0)
	v_fma_f64 v[129:130], v[153:154], v[133:134], v[129:130]
	buffer_load_dword v153, off, s[0:3], 0 offset:328
	buffer_load_dword v154, off, s[0:3], 0 offset:332
	s_waitcnt vmcnt(17)
	v_fma_f64 v[137:138], v[137:138], v[135:136], v[129:130]
	ds_read_b128 v[129:132], v128 offset:944
	ds_read_b128 v[133:136], v128 offset:960
	s_waitcnt vmcnt(16) lgkmcnt(1)
	v_fma_f64 v[129:130], v[161:162], v[129:130], v[137:138]
	s_waitcnt vmcnt(15)
	v_fma_f64 v[129:130], v[159:160], v[131:132], v[129:130]
	s_waitcnt vmcnt(14) lgkmcnt(0)
	v_fma_f64 v[129:130], v[139:140], v[133:134], v[129:130]
	s_waitcnt vmcnt(9)
	v_fma_f64 v[137:138], v[141:142], v[135:136], v[129:130]
	ds_read_b128 v[129:132], v128 offset:976
	ds_read_b128 v[133:136], v128 offset:992
	s_waitcnt vmcnt(8) lgkmcnt(1)
	v_fma_f64 v[129:130], v[147:148], v[129:130], v[137:138]
	s_waitcnt vmcnt(7)
	v_fma_f64 v[129:130], v[145:146], v[131:132], v[129:130]
	ds_read_b64 v[131:132], v128 offset:1008
	s_waitcnt vmcnt(6) lgkmcnt(1)
	v_fma_f64 v[129:130], v[143:144], v[133:134], v[129:130]
	s_waitcnt vmcnt(3)
	v_fma_f64 v[129:130], v[149:150], v[135:136], v[129:130]
	s_waitcnt vmcnt(2) lgkmcnt(0)
	v_fma_f64 v[129:130], v[151:152], v[131:132], v[129:130]
	s_waitcnt vmcnt(0)
	v_add_f64 v[129:130], v[153:154], -v[129:130]
	buffer_store_dword v130, off, s[0:3], 0 offset:332
	buffer_store_dword v129, off, s[0:3], 0 offset:328
	s_and_saveexec_b64 s[4:5], vcc
	s_cbranch_execz .LBB126_305
; %bb.304:
	buffer_load_dword v129, off, s[0:3], 0 offset:320
	buffer_load_dword v130, off, s[0:3], 0 offset:324
	s_waitcnt vmcnt(0)
	ds_write_b64 v127, v[129:130]
	buffer_store_dword v128, off, s[0:3], 0 offset:320
	buffer_store_dword v128, off, s[0:3], 0 offset:324
.LBB126_305:
	s_or_b64 exec, exec, s[4:5]
	s_waitcnt lgkmcnt(0)
	; wave barrier
	buffer_load_dword v137, off, s[0:3], 0 offset:328
	buffer_load_dword v138, off, s[0:3], 0 offset:332
	;; [unrolled: 1-line block ×21, first 2 shown]
	ds_read2_b64 v[129:132], v128 offset0:105 offset1:106
	ds_read2_b64 v[133:136], v128 offset0:107 offset1:108
	buffer_load_dword v154, off, s[0:3], 0 offset:412
	v_cmp_lt_u32_e32 vcc, 39, v0
	s_waitcnt vmcnt(20) lgkmcnt(1)
	v_fma_f64 v[129:130], v[137:138], v[129:130], 0
	s_waitcnt vmcnt(18)
	v_fma_f64 v[129:130], v[139:140], v[131:132], v[129:130]
	buffer_load_dword v138, off, s[0:3], 0 offset:420
	buffer_load_dword v139, off, s[0:3], 0 offset:440
	;; [unrolled: 1-line block ×7, first 2 shown]
	s_waitcnt vmcnt(23) lgkmcnt(0)
	v_fma_f64 v[129:130], v[141:142], v[133:134], v[129:130]
	s_waitcnt vmcnt(21)
	v_fma_f64 v[140:141], v[143:144], v[135:136], v[129:130]
	ds_read2_b64 v[129:132], v128 offset0:109 offset1:110
	ds_read2_b64 v[133:136], v128 offset0:111 offset1:112
	s_waitcnt vmcnt(19) lgkmcnt(1)
	v_fma_f64 v[129:130], v[145:146], v[129:130], v[140:141]
	buffer_load_dword v140, off, s[0:3], 0 offset:444
	s_waitcnt vmcnt(18)
	v_fma_f64 v[129:130], v[147:148], v[131:132], v[129:130]
	buffer_load_dword v142, off, s[0:3], 0 offset:452
	buffer_load_dword v143, off, s[0:3], 0 offset:472
	;; [unrolled: 1-line block ×8, first 2 shown]
	s_waitcnt vmcnt(24) lgkmcnt(0)
	v_fma_f64 v[129:130], v[149:150], v[133:134], v[129:130]
	s_waitcnt vmcnt(19)
	v_fma_f64 v[149:150], v[151:152], v[135:136], v[129:130]
	ds_read2_b64 v[129:132], v128 offset0:113 offset1:114
	ds_read2_b64 v[133:136], v128 offset0:115 offset1:116
	s_waitcnt vmcnt(18) lgkmcnt(1)
	v_fma_f64 v[129:130], v[157:158], v[129:130], v[149:150]
	s_waitcnt vmcnt(17)
	v_fma_f64 v[129:130], v[155:156], v[131:132], v[129:130]
	buffer_load_dword v150, off, s[0:3], 0 offset:484
	buffer_load_dword v151, off, s[0:3], 0 offset:496
	;; [unrolled: 1-line block ×6, first 2 shown]
	s_waitcnt vmcnt(22) lgkmcnt(0)
	v_fma_f64 v[129:130], v[153:154], v[133:134], v[129:130]
	s_waitcnt vmcnt(17)
	v_fma_f64 v[137:138], v[137:138], v[135:136], v[129:130]
	ds_read2_b64 v[129:132], v128 offset0:117 offset1:118
	buffer_load_dword v153, off, s[0:3], 0 offset:320
	buffer_load_dword v154, off, s[0:3], 0 offset:324
	ds_read2_b64 v[133:136], v128 offset0:119 offset1:120
	s_waitcnt vmcnt(18) lgkmcnt(1)
	v_fma_f64 v[129:130], v[161:162], v[129:130], v[137:138]
	s_waitcnt vmcnt(17)
	v_fma_f64 v[129:130], v[159:160], v[131:132], v[129:130]
	s_waitcnt vmcnt(16) lgkmcnt(0)
	v_fma_f64 v[129:130], v[139:140], v[133:134], v[129:130]
	s_waitcnt vmcnt(11)
	v_fma_f64 v[137:138], v[141:142], v[135:136], v[129:130]
	ds_read2_b64 v[129:132], v128 offset0:121 offset1:122
	ds_read2_b64 v[133:136], v128 offset0:123 offset1:124
	s_waitcnt vmcnt(10) lgkmcnt(1)
	v_fma_f64 v[129:130], v[147:148], v[129:130], v[137:138]
	s_waitcnt vmcnt(9)
	v_fma_f64 v[129:130], v[145:146], v[131:132], v[129:130]
	s_waitcnt vmcnt(8) lgkmcnt(0)
	v_fma_f64 v[129:130], v[143:144], v[133:134], v[129:130]
	s_waitcnt vmcnt(4)
	v_fma_f64 v[132:133], v[149:150], v[135:136], v[129:130]
	ds_read2_b64 v[128:131], v128 offset0:125 offset1:126
	s_waitcnt vmcnt(3) lgkmcnt(0)
	v_fma_f64 v[128:129], v[155:156], v[128:129], v[132:133]
	s_waitcnt vmcnt(2)
	v_fma_f64 v[128:129], v[151:152], v[130:131], v[128:129]
	s_waitcnt vmcnt(0)
	v_add_f64 v[128:129], v[153:154], -v[128:129]
	buffer_store_dword v129, off, s[0:3], 0 offset:324
	buffer_store_dword v128, off, s[0:3], 0 offset:320
	s_and_saveexec_b64 s[4:5], vcc
	s_cbranch_execz .LBB126_307
; %bb.306:
	buffer_load_dword v128, off, s[0:3], 0 offset:312
	buffer_load_dword v129, off, s[0:3], 0 offset:316
	v_mov_b32_e32 v130, 0
	buffer_store_dword v130, off, s[0:3], 0 offset:312
	buffer_store_dword v130, off, s[0:3], 0 offset:316
	s_waitcnt vmcnt(2)
	ds_write_b64 v127, v[128:129]
.LBB126_307:
	s_or_b64 exec, exec, s[4:5]
	s_waitcnt lgkmcnt(0)
	; wave barrier
	buffer_load_dword v137, off, s[0:3], 0 offset:320
	buffer_load_dword v138, off, s[0:3], 0 offset:324
	;; [unrolled: 1-line block ×21, first 2 shown]
	v_mov_b32_e32 v128, 0
	ds_read_b128 v[129:132], v128 offset:832
	ds_read_b128 v[133:136], v128 offset:848
	buffer_load_dword v154, off, s[0:3], 0 offset:404
	v_cmp_lt_u32_e32 vcc, 38, v0
	s_waitcnt vmcnt(20) lgkmcnt(1)
	v_fma_f64 v[129:130], v[137:138], v[129:130], 0
	s_waitcnt vmcnt(18)
	v_fma_f64 v[129:130], v[139:140], v[131:132], v[129:130]
	buffer_load_dword v138, off, s[0:3], 0 offset:412
	buffer_load_dword v139, off, s[0:3], 0 offset:432
	;; [unrolled: 1-line block ×7, first 2 shown]
	s_waitcnt vmcnt(23) lgkmcnt(0)
	v_fma_f64 v[129:130], v[141:142], v[133:134], v[129:130]
	s_waitcnt vmcnt(21)
	v_fma_f64 v[140:141], v[143:144], v[135:136], v[129:130]
	ds_read_b128 v[129:132], v128 offset:864
	ds_read_b128 v[133:136], v128 offset:880
	s_waitcnt vmcnt(19) lgkmcnt(1)
	v_fma_f64 v[129:130], v[145:146], v[129:130], v[140:141]
	buffer_load_dword v140, off, s[0:3], 0 offset:436
	s_waitcnt vmcnt(18)
	v_fma_f64 v[129:130], v[147:148], v[131:132], v[129:130]
	buffer_load_dword v142, off, s[0:3], 0 offset:444
	buffer_load_dword v143, off, s[0:3], 0 offset:464
	;; [unrolled: 1-line block ×8, first 2 shown]
	s_waitcnt vmcnt(24) lgkmcnt(0)
	v_fma_f64 v[129:130], v[149:150], v[133:134], v[129:130]
	s_waitcnt vmcnt(19)
	v_fma_f64 v[149:150], v[151:152], v[135:136], v[129:130]
	ds_read_b128 v[129:132], v128 offset:896
	ds_read_b128 v[133:136], v128 offset:912
	s_waitcnt vmcnt(18) lgkmcnt(1)
	v_fma_f64 v[129:130], v[157:158], v[129:130], v[149:150]
	s_waitcnt vmcnt(17)
	v_fma_f64 v[129:130], v[155:156], v[131:132], v[129:130]
	buffer_load_dword v150, off, s[0:3], 0 offset:476
	buffer_load_dword v151, off, s[0:3], 0 offset:496
	;; [unrolled: 1-line block ×8, first 2 shown]
	s_waitcnt vmcnt(24) lgkmcnt(0)
	v_fma_f64 v[129:130], v[153:154], v[133:134], v[129:130]
	s_waitcnt vmcnt(19)
	v_fma_f64 v[137:138], v[137:138], v[135:136], v[129:130]
	ds_read_b128 v[129:132], v128 offset:928
	ds_read_b128 v[133:136], v128 offset:944
	s_waitcnt vmcnt(18) lgkmcnt(1)
	v_fma_f64 v[129:130], v[161:162], v[129:130], v[137:138]
	buffer_load_dword v137, off, s[0:3], 0 offset:312
	buffer_load_dword v138, off, s[0:3], 0 offset:316
	s_waitcnt vmcnt(19)
	v_fma_f64 v[129:130], v[159:160], v[131:132], v[129:130]
	s_waitcnt vmcnt(18) lgkmcnt(0)
	v_fma_f64 v[129:130], v[139:140], v[133:134], v[129:130]
	s_waitcnt vmcnt(13)
	v_fma_f64 v[139:140], v[141:142], v[135:136], v[129:130]
	ds_read_b128 v[129:132], v128 offset:960
	ds_read_b128 v[133:136], v128 offset:976
	s_waitcnt vmcnt(12) lgkmcnt(1)
	v_fma_f64 v[129:130], v[147:148], v[129:130], v[139:140]
	s_waitcnt vmcnt(11)
	v_fma_f64 v[129:130], v[145:146], v[131:132], v[129:130]
	s_waitcnt vmcnt(10) lgkmcnt(0)
	v_fma_f64 v[129:130], v[143:144], v[133:134], v[129:130]
	s_waitcnt vmcnt(5)
	v_fma_f64 v[133:134], v[149:150], v[135:136], v[129:130]
	ds_read_b128 v[129:132], v128 offset:992
	ds_read_b64 v[135:136], v128 offset:1008
	s_waitcnt vmcnt(4) lgkmcnt(1)
	v_fma_f64 v[129:130], v[157:158], v[129:130], v[133:134]
	s_waitcnt vmcnt(3)
	v_fma_f64 v[129:130], v[155:156], v[131:132], v[129:130]
	s_waitcnt vmcnt(2) lgkmcnt(0)
	v_fma_f64 v[129:130], v[151:152], v[135:136], v[129:130]
	s_waitcnt vmcnt(0)
	v_add_f64 v[129:130], v[137:138], -v[129:130]
	buffer_store_dword v130, off, s[0:3], 0 offset:316
	buffer_store_dword v129, off, s[0:3], 0 offset:312
	s_and_saveexec_b64 s[4:5], vcc
	s_cbranch_execz .LBB126_309
; %bb.308:
	buffer_load_dword v129, off, s[0:3], 0 offset:304
	buffer_load_dword v130, off, s[0:3], 0 offset:308
	s_waitcnt vmcnt(0)
	ds_write_b64 v127, v[129:130]
	buffer_store_dword v128, off, s[0:3], 0 offset:304
	buffer_store_dword v128, off, s[0:3], 0 offset:308
.LBB126_309:
	s_or_b64 exec, exec, s[4:5]
	s_waitcnt lgkmcnt(0)
	; wave barrier
	buffer_load_dword v137, off, s[0:3], 0 offset:312
	buffer_load_dword v138, off, s[0:3], 0 offset:316
	;; [unrolled: 1-line block ×21, first 2 shown]
	ds_read2_b64 v[129:132], v128 offset0:103 offset1:104
	ds_read2_b64 v[133:136], v128 offset0:105 offset1:106
	buffer_load_dword v154, off, s[0:3], 0 offset:396
	v_cmp_lt_u32_e32 vcc, 37, v0
	s_waitcnt vmcnt(20) lgkmcnt(1)
	v_fma_f64 v[129:130], v[137:138], v[129:130], 0
	s_waitcnt vmcnt(18)
	v_fma_f64 v[129:130], v[139:140], v[131:132], v[129:130]
	buffer_load_dword v138, off, s[0:3], 0 offset:404
	buffer_load_dword v139, off, s[0:3], 0 offset:424
	;; [unrolled: 1-line block ×7, first 2 shown]
	s_waitcnt vmcnt(23) lgkmcnt(0)
	v_fma_f64 v[129:130], v[141:142], v[133:134], v[129:130]
	s_waitcnt vmcnt(21)
	v_fma_f64 v[140:141], v[143:144], v[135:136], v[129:130]
	ds_read2_b64 v[129:132], v128 offset0:107 offset1:108
	ds_read2_b64 v[133:136], v128 offset0:109 offset1:110
	s_waitcnt vmcnt(19) lgkmcnt(1)
	v_fma_f64 v[129:130], v[145:146], v[129:130], v[140:141]
	buffer_load_dword v140, off, s[0:3], 0 offset:428
	s_waitcnt vmcnt(18)
	v_fma_f64 v[129:130], v[147:148], v[131:132], v[129:130]
	buffer_load_dword v142, off, s[0:3], 0 offset:436
	buffer_load_dword v143, off, s[0:3], 0 offset:456
	;; [unrolled: 1-line block ×8, first 2 shown]
	s_waitcnt vmcnt(24) lgkmcnt(0)
	v_fma_f64 v[129:130], v[149:150], v[133:134], v[129:130]
	s_waitcnt vmcnt(19)
	v_fma_f64 v[149:150], v[151:152], v[135:136], v[129:130]
	ds_read2_b64 v[129:132], v128 offset0:111 offset1:112
	ds_read2_b64 v[133:136], v128 offset0:113 offset1:114
	s_waitcnt vmcnt(18) lgkmcnt(1)
	v_fma_f64 v[129:130], v[157:158], v[129:130], v[149:150]
	s_waitcnt vmcnt(17)
	v_fma_f64 v[129:130], v[155:156], v[131:132], v[129:130]
	buffer_load_dword v150, off, s[0:3], 0 offset:468
	buffer_load_dword v151, off, s[0:3], 0 offset:488
	buffer_load_dword v155, off, s[0:3], 0 offset:480
	buffer_load_dword v157, off, s[0:3], 0 offset:472
	buffer_load_dword v149, off, s[0:3], 0 offset:464
	buffer_load_dword v158, off, s[0:3], 0 offset:476
	buffer_load_dword v156, off, s[0:3], 0 offset:484
	buffer_load_dword v152, off, s[0:3], 0 offset:492
	s_waitcnt vmcnt(24) lgkmcnt(0)
	v_fma_f64 v[129:130], v[153:154], v[133:134], v[129:130]
	s_waitcnt vmcnt(19)
	v_fma_f64 v[137:138], v[137:138], v[135:136], v[129:130]
	ds_read2_b64 v[129:132], v128 offset0:115 offset1:116
	ds_read2_b64 v[133:136], v128 offset0:117 offset1:118
	s_waitcnt vmcnt(18) lgkmcnt(1)
	v_fma_f64 v[129:130], v[161:162], v[129:130], v[137:138]
	buffer_load_dword v138, off, s[0:3], 0 offset:500
	buffer_load_dword v137, off, s[0:3], 0 offset:496
	buffer_load_dword v153, off, s[0:3], 0 offset:304
	buffer_load_dword v154, off, s[0:3], 0 offset:308
	s_waitcnt vmcnt(21)
	v_fma_f64 v[129:130], v[159:160], v[131:132], v[129:130]
	s_waitcnt vmcnt(20) lgkmcnt(0)
	v_fma_f64 v[129:130], v[139:140], v[133:134], v[129:130]
	s_waitcnt vmcnt(15)
	v_fma_f64 v[139:140], v[141:142], v[135:136], v[129:130]
	ds_read2_b64 v[129:132], v128 offset0:119 offset1:120
	ds_read2_b64 v[133:136], v128 offset0:121 offset1:122
	s_waitcnt vmcnt(14) lgkmcnt(1)
	v_fma_f64 v[129:130], v[147:148], v[129:130], v[139:140]
	s_waitcnt vmcnt(13)
	v_fma_f64 v[129:130], v[145:146], v[131:132], v[129:130]
	s_waitcnt vmcnt(12) lgkmcnt(0)
	v_fma_f64 v[129:130], v[143:144], v[133:134], v[129:130]
	s_waitcnt vmcnt(7)
	v_fma_f64 v[139:140], v[149:150], v[135:136], v[129:130]
	ds_read2_b64 v[129:132], v128 offset0:123 offset1:124
	ds_read2_b64 v[133:136], v128 offset0:125 offset1:126
	s_waitcnt vmcnt(6) lgkmcnt(1)
	v_fma_f64 v[128:129], v[157:158], v[129:130], v[139:140]
	s_waitcnt vmcnt(5)
	v_fma_f64 v[128:129], v[155:156], v[131:132], v[128:129]
	s_waitcnt vmcnt(4) lgkmcnt(0)
	v_fma_f64 v[128:129], v[151:152], v[133:134], v[128:129]
	s_waitcnt vmcnt(2)
	v_fma_f64 v[128:129], v[137:138], v[135:136], v[128:129]
	s_waitcnt vmcnt(0)
	v_add_f64 v[128:129], v[153:154], -v[128:129]
	buffer_store_dword v129, off, s[0:3], 0 offset:308
	buffer_store_dword v128, off, s[0:3], 0 offset:304
	s_and_saveexec_b64 s[4:5], vcc
	s_cbranch_execz .LBB126_311
; %bb.310:
	buffer_load_dword v128, off, s[0:3], 0 offset:296
	buffer_load_dword v129, off, s[0:3], 0 offset:300
	v_mov_b32_e32 v130, 0
	buffer_store_dword v130, off, s[0:3], 0 offset:296
	buffer_store_dword v130, off, s[0:3], 0 offset:300
	s_waitcnt vmcnt(2)
	ds_write_b64 v127, v[128:129]
.LBB126_311:
	s_or_b64 exec, exec, s[4:5]
	s_waitcnt lgkmcnt(0)
	; wave barrier
	buffer_load_dword v137, off, s[0:3], 0 offset:304
	buffer_load_dword v138, off, s[0:3], 0 offset:308
	;; [unrolled: 1-line block ×21, first 2 shown]
	v_mov_b32_e32 v128, 0
	ds_read_b128 v[129:132], v128 offset:816
	ds_read_b128 v[133:136], v128 offset:832
	buffer_load_dword v154, off, s[0:3], 0 offset:388
	v_cmp_lt_u32_e32 vcc, 36, v0
	s_waitcnt vmcnt(20) lgkmcnt(1)
	v_fma_f64 v[129:130], v[137:138], v[129:130], 0
	s_waitcnt vmcnt(18)
	v_fma_f64 v[129:130], v[139:140], v[131:132], v[129:130]
	buffer_load_dword v138, off, s[0:3], 0 offset:396
	buffer_load_dword v139, off, s[0:3], 0 offset:416
	;; [unrolled: 1-line block ×7, first 2 shown]
	s_waitcnt vmcnt(23) lgkmcnt(0)
	v_fma_f64 v[129:130], v[141:142], v[133:134], v[129:130]
	s_waitcnt vmcnt(21)
	v_fma_f64 v[140:141], v[143:144], v[135:136], v[129:130]
	ds_read_b128 v[129:132], v128 offset:848
	ds_read_b128 v[133:136], v128 offset:864
	s_waitcnt vmcnt(19) lgkmcnt(1)
	v_fma_f64 v[129:130], v[145:146], v[129:130], v[140:141]
	buffer_load_dword v140, off, s[0:3], 0 offset:420
	s_waitcnt vmcnt(18)
	v_fma_f64 v[129:130], v[147:148], v[131:132], v[129:130]
	buffer_load_dword v142, off, s[0:3], 0 offset:428
	buffer_load_dword v143, off, s[0:3], 0 offset:448
	;; [unrolled: 1-line block ×8, first 2 shown]
	s_waitcnt vmcnt(24) lgkmcnt(0)
	v_fma_f64 v[129:130], v[149:150], v[133:134], v[129:130]
	s_waitcnt vmcnt(19)
	v_fma_f64 v[149:150], v[151:152], v[135:136], v[129:130]
	ds_read_b128 v[129:132], v128 offset:880
	ds_read_b128 v[133:136], v128 offset:896
	s_waitcnt vmcnt(18) lgkmcnt(1)
	v_fma_f64 v[129:130], v[157:158], v[129:130], v[149:150]
	s_waitcnt vmcnt(17)
	v_fma_f64 v[129:130], v[155:156], v[131:132], v[129:130]
	buffer_load_dword v150, off, s[0:3], 0 offset:460
	buffer_load_dword v151, off, s[0:3], 0 offset:480
	;; [unrolled: 1-line block ×7, first 2 shown]
	s_waitcnt vmcnt(23) lgkmcnt(0)
	v_fma_f64 v[129:130], v[153:154], v[133:134], v[129:130]
	s_waitcnt vmcnt(18)
	v_fma_f64 v[137:138], v[137:138], v[135:136], v[129:130]
	ds_read_b128 v[129:132], v128 offset:912
	ds_read_b128 v[133:136], v128 offset:928
	buffer_load_dword v152, off, s[0:3], 0 offset:484
	s_waitcnt vmcnt(18) lgkmcnt(1)
	v_fma_f64 v[129:130], v[161:162], v[129:130], v[137:138]
	buffer_load_dword v138, off, s[0:3], 0 offset:492
	buffer_load_dword v153, off, s[0:3], 0 offset:496
	;; [unrolled: 1-line block ×4, first 2 shown]
	s_waitcnt vmcnt(21)
	v_fma_f64 v[129:130], v[159:160], v[131:132], v[129:130]
	s_waitcnt vmcnt(20) lgkmcnt(0)
	v_fma_f64 v[129:130], v[139:140], v[133:134], v[129:130]
	buffer_load_dword v139, off, s[0:3], 0 offset:296
	buffer_load_dword v140, off, s[0:3], 0 offset:300
	s_waitcnt vmcnt(17)
	v_fma_f64 v[141:142], v[141:142], v[135:136], v[129:130]
	ds_read_b128 v[129:132], v128 offset:944
	ds_read_b128 v[133:136], v128 offset:960
	s_waitcnt vmcnt(16) lgkmcnt(1)
	v_fma_f64 v[129:130], v[147:148], v[129:130], v[141:142]
	s_waitcnt vmcnt(15)
	v_fma_f64 v[129:130], v[145:146], v[131:132], v[129:130]
	s_waitcnt vmcnt(14) lgkmcnt(0)
	v_fma_f64 v[129:130], v[143:144], v[133:134], v[129:130]
	s_waitcnt vmcnt(9)
	v_fma_f64 v[141:142], v[149:150], v[135:136], v[129:130]
	ds_read_b128 v[129:132], v128 offset:976
	ds_read_b128 v[133:136], v128 offset:992
	s_waitcnt vmcnt(8) lgkmcnt(1)
	v_fma_f64 v[129:130], v[157:158], v[129:130], v[141:142]
	s_waitcnt vmcnt(7)
	v_fma_f64 v[129:130], v[155:156], v[131:132], v[129:130]
	ds_read_b64 v[131:132], v128 offset:1008
	s_waitcnt vmcnt(6) lgkmcnt(1)
	v_fma_f64 v[129:130], v[151:152], v[133:134], v[129:130]
	s_waitcnt vmcnt(3)
	v_fma_f64 v[129:130], v[137:138], v[135:136], v[129:130]
	s_waitcnt vmcnt(2) lgkmcnt(0)
	v_fma_f64 v[129:130], v[153:154], v[131:132], v[129:130]
	s_waitcnt vmcnt(0)
	v_add_f64 v[129:130], v[139:140], -v[129:130]
	buffer_store_dword v130, off, s[0:3], 0 offset:300
	buffer_store_dword v129, off, s[0:3], 0 offset:296
	s_and_saveexec_b64 s[4:5], vcc
	s_cbranch_execz .LBB126_313
; %bb.312:
	buffer_load_dword v129, off, s[0:3], 0 offset:288
	buffer_load_dword v130, off, s[0:3], 0 offset:292
	s_waitcnt vmcnt(0)
	ds_write_b64 v127, v[129:130]
	buffer_store_dword v128, off, s[0:3], 0 offset:288
	buffer_store_dword v128, off, s[0:3], 0 offset:292
.LBB126_313:
	s_or_b64 exec, exec, s[4:5]
	s_waitcnt lgkmcnt(0)
	; wave barrier
	buffer_load_dword v137, off, s[0:3], 0 offset:296
	buffer_load_dword v138, off, s[0:3], 0 offset:300
	;; [unrolled: 1-line block ×22, first 2 shown]
	ds_read2_b64 v[129:132], v128 offset0:101 offset1:102
	ds_read2_b64 v[133:136], v128 offset0:103 offset1:104
	v_cmp_lt_u32_e32 vcc, 35, v0
	s_waitcnt vmcnt(20) lgkmcnt(1)
	v_fma_f64 v[129:130], v[137:138], v[129:130], 0
	s_waitcnt vmcnt(18)
	v_fma_f64 v[129:130], v[139:140], v[131:132], v[129:130]
	buffer_load_dword v138, off, s[0:3], 0 offset:388
	buffer_load_dword v139, off, s[0:3], 0 offset:408
	;; [unrolled: 1-line block ×7, first 2 shown]
	s_waitcnt vmcnt(23) lgkmcnt(0)
	v_fma_f64 v[129:130], v[141:142], v[133:134], v[129:130]
	s_waitcnt vmcnt(21)
	v_fma_f64 v[140:141], v[143:144], v[135:136], v[129:130]
	ds_read2_b64 v[129:132], v128 offset0:105 offset1:106
	ds_read2_b64 v[133:136], v128 offset0:107 offset1:108
	s_waitcnt vmcnt(19) lgkmcnt(1)
	v_fma_f64 v[129:130], v[145:146], v[129:130], v[140:141]
	buffer_load_dword v140, off, s[0:3], 0 offset:412
	s_waitcnt vmcnt(18)
	v_fma_f64 v[129:130], v[147:148], v[131:132], v[129:130]
	buffer_load_dword v142, off, s[0:3], 0 offset:420
	buffer_load_dword v143, off, s[0:3], 0 offset:440
	;; [unrolled: 1-line block ×8, first 2 shown]
	s_waitcnt vmcnt(24) lgkmcnt(0)
	v_fma_f64 v[129:130], v[149:150], v[133:134], v[129:130]
	s_waitcnt vmcnt(19)
	v_fma_f64 v[149:150], v[151:152], v[135:136], v[129:130]
	ds_read2_b64 v[129:132], v128 offset0:109 offset1:110
	ds_read2_b64 v[133:136], v128 offset0:111 offset1:112
	s_waitcnt vmcnt(18) lgkmcnt(1)
	v_fma_f64 v[129:130], v[157:158], v[129:130], v[149:150]
	s_waitcnt vmcnt(17)
	v_fma_f64 v[129:130], v[155:156], v[131:132], v[129:130]
	buffer_load_dword v150, off, s[0:3], 0 offset:452
	buffer_load_dword v151, off, s[0:3], 0 offset:472
	;; [unrolled: 1-line block ×8, first 2 shown]
	s_waitcnt vmcnt(24) lgkmcnt(0)
	v_fma_f64 v[129:130], v[153:154], v[133:134], v[129:130]
	s_waitcnt vmcnt(19)
	v_fma_f64 v[137:138], v[137:138], v[135:136], v[129:130]
	ds_read2_b64 v[129:132], v128 offset0:113 offset1:114
	ds_read2_b64 v[133:136], v128 offset0:115 offset1:116
	s_waitcnt vmcnt(18) lgkmcnt(1)
	v_fma_f64 v[129:130], v[161:162], v[129:130], v[137:138]
	s_waitcnt vmcnt(17)
	v_fma_f64 v[129:130], v[159:160], v[131:132], v[129:130]
	buffer_load_dword v138, off, s[0:3], 0 offset:484
	buffer_load_dword v153, off, s[0:3], 0 offset:496
	;; [unrolled: 1-line block ×6, first 2 shown]
	s_waitcnt vmcnt(22) lgkmcnt(0)
	v_fma_f64 v[129:130], v[139:140], v[133:134], v[129:130]
	s_waitcnt vmcnt(17)
	v_fma_f64 v[139:140], v[141:142], v[135:136], v[129:130]
	ds_read2_b64 v[129:132], v128 offset0:117 offset1:118
	buffer_load_dword v141, off, s[0:3], 0 offset:288
	buffer_load_dword v142, off, s[0:3], 0 offset:292
	ds_read2_b64 v[133:136], v128 offset0:119 offset1:120
	s_waitcnt vmcnt(18) lgkmcnt(1)
	v_fma_f64 v[129:130], v[147:148], v[129:130], v[139:140]
	s_waitcnt vmcnt(17)
	v_fma_f64 v[129:130], v[145:146], v[131:132], v[129:130]
	s_waitcnt vmcnt(16) lgkmcnt(0)
	v_fma_f64 v[129:130], v[143:144], v[133:134], v[129:130]
	s_waitcnt vmcnt(11)
	v_fma_f64 v[139:140], v[149:150], v[135:136], v[129:130]
	ds_read2_b64 v[129:132], v128 offset0:121 offset1:122
	ds_read2_b64 v[133:136], v128 offset0:123 offset1:124
	s_waitcnt vmcnt(10) lgkmcnt(1)
	v_fma_f64 v[129:130], v[157:158], v[129:130], v[139:140]
	s_waitcnt vmcnt(9)
	v_fma_f64 v[129:130], v[155:156], v[131:132], v[129:130]
	s_waitcnt vmcnt(8) lgkmcnt(0)
	v_fma_f64 v[129:130], v[151:152], v[133:134], v[129:130]
	s_waitcnt vmcnt(4)
	v_fma_f64 v[132:133], v[137:138], v[135:136], v[129:130]
	ds_read2_b64 v[128:131], v128 offset0:125 offset1:126
	s_waitcnt vmcnt(3) lgkmcnt(0)
	v_fma_f64 v[128:129], v[159:160], v[128:129], v[132:133]
	s_waitcnt vmcnt(2)
	v_fma_f64 v[128:129], v[153:154], v[130:131], v[128:129]
	s_waitcnt vmcnt(0)
	v_add_f64 v[128:129], v[141:142], -v[128:129]
	buffer_store_dword v129, off, s[0:3], 0 offset:292
	buffer_store_dword v128, off, s[0:3], 0 offset:288
	s_and_saveexec_b64 s[4:5], vcc
	s_cbranch_execz .LBB126_315
; %bb.314:
	buffer_load_dword v128, off, s[0:3], 0 offset:280
	buffer_load_dword v129, off, s[0:3], 0 offset:284
	v_mov_b32_e32 v130, 0
	buffer_store_dword v130, off, s[0:3], 0 offset:280
	buffer_store_dword v130, off, s[0:3], 0 offset:284
	s_waitcnt vmcnt(2)
	ds_write_b64 v127, v[128:129]
.LBB126_315:
	s_or_b64 exec, exec, s[4:5]
	s_waitcnt lgkmcnt(0)
	; wave barrier
	buffer_load_dword v137, off, s[0:3], 0 offset:288
	buffer_load_dword v138, off, s[0:3], 0 offset:292
	;; [unrolled: 1-line block ×22, first 2 shown]
	v_mov_b32_e32 v128, 0
	ds_read_b128 v[129:132], v128 offset:800
	ds_read_b128 v[133:136], v128 offset:816
	v_cmp_lt_u32_e32 vcc, 34, v0
	s_waitcnt vmcnt(20) lgkmcnt(1)
	v_fma_f64 v[129:130], v[137:138], v[129:130], 0
	s_waitcnt vmcnt(18)
	v_fma_f64 v[129:130], v[139:140], v[131:132], v[129:130]
	buffer_load_dword v138, off, s[0:3], 0 offset:380
	buffer_load_dword v139, off, s[0:3], 0 offset:400
	;; [unrolled: 1-line block ×7, first 2 shown]
	s_waitcnt vmcnt(23) lgkmcnt(0)
	v_fma_f64 v[129:130], v[141:142], v[133:134], v[129:130]
	s_waitcnt vmcnt(21)
	v_fma_f64 v[140:141], v[143:144], v[135:136], v[129:130]
	ds_read_b128 v[129:132], v128 offset:832
	ds_read_b128 v[133:136], v128 offset:848
	s_waitcnt vmcnt(19) lgkmcnt(1)
	v_fma_f64 v[129:130], v[145:146], v[129:130], v[140:141]
	buffer_load_dword v140, off, s[0:3], 0 offset:404
	s_waitcnt vmcnt(18)
	v_fma_f64 v[129:130], v[147:148], v[131:132], v[129:130]
	buffer_load_dword v142, off, s[0:3], 0 offset:412
	buffer_load_dword v143, off, s[0:3], 0 offset:432
	buffer_load_dword v145, off, s[0:3], 0 offset:424
	buffer_load_dword v147, off, s[0:3], 0 offset:416
	buffer_load_dword v141, off, s[0:3], 0 offset:408
	buffer_load_dword v148, off, s[0:3], 0 offset:420
	buffer_load_dword v146, off, s[0:3], 0 offset:428
	buffer_load_dword v144, off, s[0:3], 0 offset:436
	s_waitcnt vmcnt(24) lgkmcnt(0)
	v_fma_f64 v[129:130], v[149:150], v[133:134], v[129:130]
	s_waitcnt vmcnt(19)
	v_fma_f64 v[149:150], v[151:152], v[135:136], v[129:130]
	ds_read_b128 v[129:132], v128 offset:864
	ds_read_b128 v[133:136], v128 offset:880
	s_waitcnt vmcnt(18) lgkmcnt(1)
	v_fma_f64 v[129:130], v[157:158], v[129:130], v[149:150]
	s_waitcnt vmcnt(17)
	v_fma_f64 v[129:130], v[155:156], v[131:132], v[129:130]
	buffer_load_dword v150, off, s[0:3], 0 offset:444
	buffer_load_dword v151, off, s[0:3], 0 offset:464
	buffer_load_dword v155, off, s[0:3], 0 offset:456
	buffer_load_dword v157, off, s[0:3], 0 offset:448
	buffer_load_dword v149, off, s[0:3], 0 offset:440
	buffer_load_dword v158, off, s[0:3], 0 offset:452
	buffer_load_dword v156, off, s[0:3], 0 offset:460
	buffer_load_dword v152, off, s[0:3], 0 offset:468
	s_waitcnt vmcnt(24) lgkmcnt(0)
	v_fma_f64 v[129:130], v[153:154], v[133:134], v[129:130]
	s_waitcnt vmcnt(19)
	v_fma_f64 v[137:138], v[137:138], v[135:136], v[129:130]
	ds_read_b128 v[129:132], v128 offset:896
	ds_read_b128 v[133:136], v128 offset:912
	s_waitcnt vmcnt(18) lgkmcnt(1)
	v_fma_f64 v[129:130], v[161:162], v[129:130], v[137:138]
	;; [unrolled: 18-line block ×3, first 2 shown]
	buffer_load_dword v139, off, s[0:3], 0 offset:280
	buffer_load_dword v140, off, s[0:3], 0 offset:284
	s_waitcnt vmcnt(19)
	v_fma_f64 v[129:130], v[145:146], v[131:132], v[129:130]
	s_waitcnt vmcnt(18) lgkmcnt(0)
	v_fma_f64 v[129:130], v[143:144], v[133:134], v[129:130]
	s_waitcnt vmcnt(13)
	v_fma_f64 v[141:142], v[149:150], v[135:136], v[129:130]
	ds_read_b128 v[129:132], v128 offset:960
	ds_read_b128 v[133:136], v128 offset:976
	s_waitcnt vmcnt(12) lgkmcnt(1)
	v_fma_f64 v[129:130], v[157:158], v[129:130], v[141:142]
	s_waitcnt vmcnt(11)
	v_fma_f64 v[129:130], v[155:156], v[131:132], v[129:130]
	s_waitcnt vmcnt(10) lgkmcnt(0)
	v_fma_f64 v[129:130], v[151:152], v[133:134], v[129:130]
	s_waitcnt vmcnt(5)
	v_fma_f64 v[133:134], v[137:138], v[135:136], v[129:130]
	ds_read_b128 v[129:132], v128 offset:992
	ds_read_b64 v[135:136], v128 offset:1008
	s_waitcnt vmcnt(4) lgkmcnt(1)
	v_fma_f64 v[129:130], v[161:162], v[129:130], v[133:134]
	s_waitcnt vmcnt(3)
	v_fma_f64 v[129:130], v[159:160], v[131:132], v[129:130]
	s_waitcnt vmcnt(2) lgkmcnt(0)
	v_fma_f64 v[129:130], v[153:154], v[135:136], v[129:130]
	s_waitcnt vmcnt(0)
	v_add_f64 v[129:130], v[139:140], -v[129:130]
	buffer_store_dword v130, off, s[0:3], 0 offset:284
	buffer_store_dword v129, off, s[0:3], 0 offset:280
	s_and_saveexec_b64 s[4:5], vcc
	s_cbranch_execz .LBB126_317
; %bb.316:
	buffer_load_dword v129, off, s[0:3], 0 offset:272
	buffer_load_dword v130, off, s[0:3], 0 offset:276
	s_waitcnt vmcnt(0)
	ds_write_b64 v127, v[129:130]
	buffer_store_dword v128, off, s[0:3], 0 offset:272
	buffer_store_dword v128, off, s[0:3], 0 offset:276
.LBB126_317:
	s_or_b64 exec, exec, s[4:5]
	s_waitcnt lgkmcnt(0)
	; wave barrier
	buffer_load_dword v137, off, s[0:3], 0 offset:280
	buffer_load_dword v138, off, s[0:3], 0 offset:284
	;; [unrolled: 1-line block ×22, first 2 shown]
	ds_read2_b64 v[129:132], v128 offset0:99 offset1:100
	ds_read2_b64 v[133:136], v128 offset0:101 offset1:102
	v_cmp_lt_u32_e32 vcc, 33, v0
	s_waitcnt vmcnt(20) lgkmcnt(1)
	v_fma_f64 v[129:130], v[137:138], v[129:130], 0
	s_waitcnt vmcnt(18)
	v_fma_f64 v[129:130], v[139:140], v[131:132], v[129:130]
	buffer_load_dword v138, off, s[0:3], 0 offset:372
	buffer_load_dword v139, off, s[0:3], 0 offset:392
	buffer_load_dword v159, off, s[0:3], 0 offset:384
	buffer_load_dword v161, off, s[0:3], 0 offset:376
	buffer_load_dword v137, off, s[0:3], 0 offset:368
	buffer_load_dword v162, off, s[0:3], 0 offset:380
	buffer_load_dword v160, off, s[0:3], 0 offset:388
	s_waitcnt vmcnt(23) lgkmcnt(0)
	v_fma_f64 v[129:130], v[141:142], v[133:134], v[129:130]
	s_waitcnt vmcnt(21)
	v_fma_f64 v[140:141], v[143:144], v[135:136], v[129:130]
	ds_read2_b64 v[129:132], v128 offset0:103 offset1:104
	ds_read2_b64 v[133:136], v128 offset0:105 offset1:106
	s_waitcnt vmcnt(19) lgkmcnt(1)
	v_fma_f64 v[129:130], v[145:146], v[129:130], v[140:141]
	buffer_load_dword v140, off, s[0:3], 0 offset:396
	s_waitcnt vmcnt(18)
	v_fma_f64 v[129:130], v[147:148], v[131:132], v[129:130]
	buffer_load_dword v142, off, s[0:3], 0 offset:404
	buffer_load_dword v143, off, s[0:3], 0 offset:424
	buffer_load_dword v145, off, s[0:3], 0 offset:416
	buffer_load_dword v147, off, s[0:3], 0 offset:408
	buffer_load_dword v141, off, s[0:3], 0 offset:400
	buffer_load_dword v148, off, s[0:3], 0 offset:412
	buffer_load_dword v146, off, s[0:3], 0 offset:420
	buffer_load_dword v144, off, s[0:3], 0 offset:428
	s_waitcnt vmcnt(24) lgkmcnt(0)
	v_fma_f64 v[129:130], v[149:150], v[133:134], v[129:130]
	s_waitcnt vmcnt(19)
	v_fma_f64 v[149:150], v[151:152], v[135:136], v[129:130]
	ds_read2_b64 v[129:132], v128 offset0:107 offset1:108
	ds_read2_b64 v[133:136], v128 offset0:109 offset1:110
	s_waitcnt vmcnt(18) lgkmcnt(1)
	v_fma_f64 v[129:130], v[157:158], v[129:130], v[149:150]
	s_waitcnt vmcnt(17)
	v_fma_f64 v[129:130], v[155:156], v[131:132], v[129:130]
	buffer_load_dword v150, off, s[0:3], 0 offset:436
	buffer_load_dword v151, off, s[0:3], 0 offset:456
	buffer_load_dword v155, off, s[0:3], 0 offset:448
	buffer_load_dword v157, off, s[0:3], 0 offset:440
	buffer_load_dword v149, off, s[0:3], 0 offset:432
	buffer_load_dword v158, off, s[0:3], 0 offset:444
	buffer_load_dword v156, off, s[0:3], 0 offset:452
	buffer_load_dword v152, off, s[0:3], 0 offset:460
	s_waitcnt vmcnt(24) lgkmcnt(0)
	v_fma_f64 v[129:130], v[153:154], v[133:134], v[129:130]
	s_waitcnt vmcnt(19)
	v_fma_f64 v[137:138], v[137:138], v[135:136], v[129:130]
	ds_read2_b64 v[129:132], v128 offset0:111 offset1:112
	ds_read2_b64 v[133:136], v128 offset0:113 offset1:114
	s_waitcnt vmcnt(18) lgkmcnt(1)
	v_fma_f64 v[129:130], v[161:162], v[129:130], v[137:138]
	;; [unrolled: 18-line block ×3, first 2 shown]
	buffer_load_dword v140, off, s[0:3], 0 offset:500
	buffer_load_dword v139, off, s[0:3], 0 offset:496
	;; [unrolled: 1-line block ×4, first 2 shown]
	s_waitcnt vmcnt(21)
	v_fma_f64 v[129:130], v[145:146], v[131:132], v[129:130]
	s_waitcnt vmcnt(20) lgkmcnt(0)
	v_fma_f64 v[129:130], v[143:144], v[133:134], v[129:130]
	s_waitcnt vmcnt(15)
	v_fma_f64 v[143:144], v[149:150], v[135:136], v[129:130]
	ds_read2_b64 v[129:132], v128 offset0:119 offset1:120
	ds_read2_b64 v[133:136], v128 offset0:121 offset1:122
	s_waitcnt vmcnt(14) lgkmcnt(1)
	v_fma_f64 v[129:130], v[157:158], v[129:130], v[143:144]
	s_waitcnt vmcnt(13)
	v_fma_f64 v[129:130], v[155:156], v[131:132], v[129:130]
	s_waitcnt vmcnt(12) lgkmcnt(0)
	v_fma_f64 v[129:130], v[151:152], v[133:134], v[129:130]
	s_waitcnt vmcnt(7)
	v_fma_f64 v[137:138], v[137:138], v[135:136], v[129:130]
	ds_read2_b64 v[129:132], v128 offset0:123 offset1:124
	ds_read2_b64 v[133:136], v128 offset0:125 offset1:126
	s_waitcnt vmcnt(6) lgkmcnt(1)
	v_fma_f64 v[128:129], v[161:162], v[129:130], v[137:138]
	s_waitcnt vmcnt(5)
	v_fma_f64 v[128:129], v[159:160], v[131:132], v[128:129]
	s_waitcnt vmcnt(4) lgkmcnt(0)
	v_fma_f64 v[128:129], v[153:154], v[133:134], v[128:129]
	s_waitcnt vmcnt(2)
	v_fma_f64 v[128:129], v[139:140], v[135:136], v[128:129]
	s_waitcnt vmcnt(0)
	v_add_f64 v[128:129], v[141:142], -v[128:129]
	buffer_store_dword v129, off, s[0:3], 0 offset:276
	buffer_store_dword v128, off, s[0:3], 0 offset:272
	s_and_saveexec_b64 s[4:5], vcc
	s_cbranch_execz .LBB126_319
; %bb.318:
	buffer_load_dword v128, off, s[0:3], 0 offset:264
	buffer_load_dword v129, off, s[0:3], 0 offset:268
	v_mov_b32_e32 v130, 0
	buffer_store_dword v130, off, s[0:3], 0 offset:264
	buffer_store_dword v130, off, s[0:3], 0 offset:268
	s_waitcnt vmcnt(2)
	ds_write_b64 v127, v[128:129]
.LBB126_319:
	s_or_b64 exec, exec, s[4:5]
	s_waitcnt lgkmcnt(0)
	; wave barrier
	buffer_load_dword v137, off, s[0:3], 0 offset:272
	buffer_load_dword v138, off, s[0:3], 0 offset:276
	;; [unrolled: 1-line block ×22, first 2 shown]
	v_mov_b32_e32 v128, 0
	ds_read_b128 v[129:132], v128 offset:784
	ds_read_b128 v[133:136], v128 offset:800
	v_cmp_lt_u32_e32 vcc, 32, v0
	s_waitcnt vmcnt(20) lgkmcnt(1)
	v_fma_f64 v[129:130], v[137:138], v[129:130], 0
	s_waitcnt vmcnt(18)
	v_fma_f64 v[129:130], v[139:140], v[131:132], v[129:130]
	buffer_load_dword v138, off, s[0:3], 0 offset:364
	buffer_load_dword v139, off, s[0:3], 0 offset:384
	;; [unrolled: 1-line block ×7, first 2 shown]
	s_waitcnt vmcnt(23) lgkmcnt(0)
	v_fma_f64 v[129:130], v[141:142], v[133:134], v[129:130]
	s_waitcnt vmcnt(21)
	v_fma_f64 v[140:141], v[143:144], v[135:136], v[129:130]
	ds_read_b128 v[129:132], v128 offset:816
	ds_read_b128 v[133:136], v128 offset:832
	s_waitcnt vmcnt(19) lgkmcnt(1)
	v_fma_f64 v[129:130], v[145:146], v[129:130], v[140:141]
	buffer_load_dword v140, off, s[0:3], 0 offset:388
	s_waitcnt vmcnt(18)
	v_fma_f64 v[129:130], v[147:148], v[131:132], v[129:130]
	buffer_load_dword v142, off, s[0:3], 0 offset:396
	buffer_load_dword v143, off, s[0:3], 0 offset:416
	;; [unrolled: 1-line block ×7, first 2 shown]
	s_waitcnt vmcnt(23) lgkmcnt(0)
	v_fma_f64 v[129:130], v[149:150], v[133:134], v[129:130]
	s_waitcnt vmcnt(18)
	v_fma_f64 v[149:150], v[151:152], v[135:136], v[129:130]
	ds_read_b128 v[129:132], v128 offset:848
	ds_read_b128 v[133:136], v128 offset:864
	buffer_load_dword v144, off, s[0:3], 0 offset:420
	s_waitcnt vmcnt(18) lgkmcnt(1)
	v_fma_f64 v[129:130], v[157:158], v[129:130], v[149:150]
	s_waitcnt vmcnt(17)
	v_fma_f64 v[129:130], v[155:156], v[131:132], v[129:130]
	buffer_load_dword v150, off, s[0:3], 0 offset:428
	buffer_load_dword v151, off, s[0:3], 0 offset:448
	;; [unrolled: 1-line block ×8, first 2 shown]
	s_waitcnt vmcnt(24) lgkmcnt(0)
	v_fma_f64 v[129:130], v[153:154], v[133:134], v[129:130]
	s_waitcnt vmcnt(19)
	v_fma_f64 v[137:138], v[137:138], v[135:136], v[129:130]
	ds_read_b128 v[129:132], v128 offset:880
	ds_read_b128 v[133:136], v128 offset:896
	s_waitcnt vmcnt(18) lgkmcnt(1)
	v_fma_f64 v[129:130], v[161:162], v[129:130], v[137:138]
	s_waitcnt vmcnt(17)
	v_fma_f64 v[129:130], v[159:160], v[131:132], v[129:130]
	buffer_load_dword v138, off, s[0:3], 0 offset:460
	buffer_load_dword v153, off, s[0:3], 0 offset:480
	;; [unrolled: 1-line block ×7, first 2 shown]
	s_waitcnt vmcnt(23) lgkmcnt(0)
	v_fma_f64 v[129:130], v[139:140], v[133:134], v[129:130]
	s_waitcnt vmcnt(18)
	v_fma_f64 v[139:140], v[141:142], v[135:136], v[129:130]
	ds_read_b128 v[129:132], v128 offset:912
	ds_read_b128 v[133:136], v128 offset:928
	buffer_load_dword v154, off, s[0:3], 0 offset:484
	s_waitcnt vmcnt(18) lgkmcnt(1)
	v_fma_f64 v[129:130], v[147:148], v[129:130], v[139:140]
	buffer_load_dword v140, off, s[0:3], 0 offset:492
	buffer_load_dword v141, off, s[0:3], 0 offset:496
	;; [unrolled: 1-line block ×4, first 2 shown]
	s_waitcnt vmcnt(21)
	v_fma_f64 v[129:130], v[145:146], v[131:132], v[129:130]
	s_waitcnt vmcnt(20) lgkmcnt(0)
	v_fma_f64 v[129:130], v[143:144], v[133:134], v[129:130]
	buffer_load_dword v143, off, s[0:3], 0 offset:264
	buffer_load_dword v144, off, s[0:3], 0 offset:268
	s_waitcnt vmcnt(17)
	v_fma_f64 v[145:146], v[149:150], v[135:136], v[129:130]
	ds_read_b128 v[129:132], v128 offset:944
	ds_read_b128 v[133:136], v128 offset:960
	s_waitcnt vmcnt(16) lgkmcnt(1)
	v_fma_f64 v[129:130], v[157:158], v[129:130], v[145:146]
	s_waitcnt vmcnt(15)
	v_fma_f64 v[129:130], v[155:156], v[131:132], v[129:130]
	s_waitcnt vmcnt(14) lgkmcnt(0)
	v_fma_f64 v[129:130], v[151:152], v[133:134], v[129:130]
	s_waitcnt vmcnt(9)
	v_fma_f64 v[137:138], v[137:138], v[135:136], v[129:130]
	ds_read_b128 v[129:132], v128 offset:976
	ds_read_b128 v[133:136], v128 offset:992
	s_waitcnt vmcnt(8) lgkmcnt(1)
	v_fma_f64 v[129:130], v[161:162], v[129:130], v[137:138]
	s_waitcnt vmcnt(7)
	v_fma_f64 v[129:130], v[159:160], v[131:132], v[129:130]
	ds_read_b64 v[131:132], v128 offset:1008
	s_waitcnt vmcnt(6) lgkmcnt(1)
	v_fma_f64 v[129:130], v[153:154], v[133:134], v[129:130]
	s_waitcnt vmcnt(3)
	v_fma_f64 v[129:130], v[139:140], v[135:136], v[129:130]
	s_waitcnt vmcnt(2) lgkmcnt(0)
	v_fma_f64 v[129:130], v[141:142], v[131:132], v[129:130]
	s_waitcnt vmcnt(0)
	v_add_f64 v[129:130], v[143:144], -v[129:130]
	buffer_store_dword v130, off, s[0:3], 0 offset:268
	buffer_store_dword v129, off, s[0:3], 0 offset:264
	s_and_saveexec_b64 s[4:5], vcc
	s_cbranch_execz .LBB126_321
; %bb.320:
	buffer_load_dword v129, off, s[0:3], 0 offset:256
	buffer_load_dword v130, off, s[0:3], 0 offset:260
	s_waitcnt vmcnt(0)
	ds_write_b64 v127, v[129:130]
	buffer_store_dword v128, off, s[0:3], 0 offset:256
	buffer_store_dword v128, off, s[0:3], 0 offset:260
.LBB126_321:
	s_or_b64 exec, exec, s[4:5]
	s_waitcnt lgkmcnt(0)
	; wave barrier
	buffer_load_dword v137, off, s[0:3], 0 offset:264
	buffer_load_dword v138, off, s[0:3], 0 offset:268
	;; [unrolled: 1-line block ×22, first 2 shown]
	ds_read2_b64 v[129:132], v128 offset0:97 offset1:98
	ds_read2_b64 v[133:136], v128 offset0:99 offset1:100
	v_cmp_lt_u32_e32 vcc, 31, v0
	s_waitcnt vmcnt(20) lgkmcnt(1)
	v_fma_f64 v[129:130], v[137:138], v[129:130], 0
	s_waitcnt vmcnt(18)
	v_fma_f64 v[129:130], v[139:140], v[131:132], v[129:130]
	buffer_load_dword v138, off, s[0:3], 0 offset:356
	buffer_load_dword v139, off, s[0:3], 0 offset:376
	;; [unrolled: 1-line block ×7, first 2 shown]
	s_waitcnt vmcnt(23) lgkmcnt(0)
	v_fma_f64 v[129:130], v[141:142], v[133:134], v[129:130]
	s_waitcnt vmcnt(21)
	v_fma_f64 v[140:141], v[143:144], v[135:136], v[129:130]
	ds_read2_b64 v[129:132], v128 offset0:101 offset1:102
	ds_read2_b64 v[133:136], v128 offset0:103 offset1:104
	s_waitcnt vmcnt(19) lgkmcnt(1)
	v_fma_f64 v[129:130], v[145:146], v[129:130], v[140:141]
	buffer_load_dword v140, off, s[0:3], 0 offset:380
	s_waitcnt vmcnt(18)
	v_fma_f64 v[129:130], v[147:148], v[131:132], v[129:130]
	buffer_load_dword v142, off, s[0:3], 0 offset:388
	buffer_load_dword v143, off, s[0:3], 0 offset:408
	buffer_load_dword v145, off, s[0:3], 0 offset:400
	buffer_load_dword v147, off, s[0:3], 0 offset:392
	buffer_load_dword v141, off, s[0:3], 0 offset:384
	buffer_load_dword v148, off, s[0:3], 0 offset:396
	buffer_load_dword v146, off, s[0:3], 0 offset:404
	s_waitcnt vmcnt(23) lgkmcnt(0)
	v_fma_f64 v[129:130], v[149:150], v[133:134], v[129:130]
	s_waitcnt vmcnt(18)
	v_fma_f64 v[149:150], v[151:152], v[135:136], v[129:130]
	ds_read2_b64 v[129:132], v128 offset0:105 offset1:106
	ds_read2_b64 v[133:136], v128 offset0:107 offset1:108
	buffer_load_dword v144, off, s[0:3], 0 offset:412
	s_waitcnt vmcnt(18) lgkmcnt(1)
	v_fma_f64 v[129:130], v[157:158], v[129:130], v[149:150]
	s_waitcnt vmcnt(17)
	v_fma_f64 v[129:130], v[155:156], v[131:132], v[129:130]
	buffer_load_dword v150, off, s[0:3], 0 offset:420
	buffer_load_dword v151, off, s[0:3], 0 offset:440
	;; [unrolled: 1-line block ×8, first 2 shown]
	s_waitcnt vmcnt(24) lgkmcnt(0)
	v_fma_f64 v[129:130], v[153:154], v[133:134], v[129:130]
	s_waitcnt vmcnt(19)
	v_fma_f64 v[137:138], v[137:138], v[135:136], v[129:130]
	ds_read2_b64 v[129:132], v128 offset0:109 offset1:110
	ds_read2_b64 v[133:136], v128 offset0:111 offset1:112
	s_waitcnt vmcnt(18) lgkmcnt(1)
	v_fma_f64 v[129:130], v[161:162], v[129:130], v[137:138]
	s_waitcnt vmcnt(17)
	v_fma_f64 v[129:130], v[159:160], v[131:132], v[129:130]
	buffer_load_dword v138, off, s[0:3], 0 offset:452
	buffer_load_dword v153, off, s[0:3], 0 offset:472
	;; [unrolled: 1-line block ×8, first 2 shown]
	s_waitcnt vmcnt(24) lgkmcnt(0)
	v_fma_f64 v[129:130], v[139:140], v[133:134], v[129:130]
	s_waitcnt vmcnt(19)
	v_fma_f64 v[139:140], v[141:142], v[135:136], v[129:130]
	ds_read2_b64 v[129:132], v128 offset0:113 offset1:114
	ds_read2_b64 v[133:136], v128 offset0:115 offset1:116
	s_waitcnt vmcnt(18) lgkmcnt(1)
	v_fma_f64 v[129:130], v[147:148], v[129:130], v[139:140]
	s_waitcnt vmcnt(17)
	v_fma_f64 v[129:130], v[145:146], v[131:132], v[129:130]
	buffer_load_dword v140, off, s[0:3], 0 offset:484
	buffer_load_dword v141, off, s[0:3], 0 offset:496
	;; [unrolled: 1-line block ×6, first 2 shown]
	s_waitcnt vmcnt(22) lgkmcnt(0)
	v_fma_f64 v[129:130], v[143:144], v[133:134], v[129:130]
	s_waitcnt vmcnt(17)
	v_fma_f64 v[143:144], v[149:150], v[135:136], v[129:130]
	ds_read2_b64 v[129:132], v128 offset0:117 offset1:118
	buffer_load_dword v147, off, s[0:3], 0 offset:256
	buffer_load_dword v148, off, s[0:3], 0 offset:260
	ds_read2_b64 v[133:136], v128 offset0:119 offset1:120
	s_waitcnt vmcnt(18) lgkmcnt(1)
	v_fma_f64 v[129:130], v[157:158], v[129:130], v[143:144]
	s_waitcnt vmcnt(17)
	v_fma_f64 v[129:130], v[155:156], v[131:132], v[129:130]
	s_waitcnt vmcnt(16) lgkmcnt(0)
	v_fma_f64 v[129:130], v[151:152], v[133:134], v[129:130]
	s_waitcnt vmcnt(11)
	v_fma_f64 v[137:138], v[137:138], v[135:136], v[129:130]
	ds_read2_b64 v[129:132], v128 offset0:121 offset1:122
	ds_read2_b64 v[133:136], v128 offset0:123 offset1:124
	s_waitcnt vmcnt(10) lgkmcnt(1)
	v_fma_f64 v[129:130], v[161:162], v[129:130], v[137:138]
	s_waitcnt vmcnt(9)
	v_fma_f64 v[129:130], v[159:160], v[131:132], v[129:130]
	s_waitcnt vmcnt(8) lgkmcnt(0)
	v_fma_f64 v[129:130], v[153:154], v[133:134], v[129:130]
	s_waitcnt vmcnt(4)
	v_fma_f64 v[132:133], v[139:140], v[135:136], v[129:130]
	ds_read2_b64 v[128:131], v128 offset0:125 offset1:126
	s_waitcnt vmcnt(3) lgkmcnt(0)
	v_fma_f64 v[128:129], v[145:146], v[128:129], v[132:133]
	s_waitcnt vmcnt(2)
	v_fma_f64 v[128:129], v[141:142], v[130:131], v[128:129]
	s_waitcnt vmcnt(0)
	v_add_f64 v[128:129], v[147:148], -v[128:129]
	buffer_store_dword v129, off, s[0:3], 0 offset:260
	buffer_store_dword v128, off, s[0:3], 0 offset:256
	s_and_saveexec_b64 s[4:5], vcc
	s_cbranch_execz .LBB126_323
; %bb.322:
	buffer_load_dword v128, off, s[0:3], 0 offset:248
	buffer_load_dword v129, off, s[0:3], 0 offset:252
	v_mov_b32_e32 v130, 0
	buffer_store_dword v130, off, s[0:3], 0 offset:248
	buffer_store_dword v130, off, s[0:3], 0 offset:252
	s_waitcnt vmcnt(2)
	ds_write_b64 v127, v[128:129]
.LBB126_323:
	s_or_b64 exec, exec, s[4:5]
	s_waitcnt lgkmcnt(0)
	; wave barrier
	buffer_load_dword v137, off, s[0:3], 0 offset:256
	buffer_load_dword v138, off, s[0:3], 0 offset:260
	buffer_load_dword v139, off, s[0:3], 0 offset:264
	buffer_load_dword v140, off, s[0:3], 0 offset:268
	buffer_load_dword v141, off, s[0:3], 0 offset:272
	buffer_load_dword v142, off, s[0:3], 0 offset:276
	buffer_load_dword v143, off, s[0:3], 0 offset:280
	buffer_load_dword v144, off, s[0:3], 0 offset:284
	buffer_load_dword v145, off, s[0:3], 0 offset:288
	buffer_load_dword v146, off, s[0:3], 0 offset:292
	buffer_load_dword v147, off, s[0:3], 0 offset:296
	buffer_load_dword v148, off, s[0:3], 0 offset:300
	buffer_load_dword v149, off, s[0:3], 0 offset:304
	buffer_load_dword v150, off, s[0:3], 0 offset:308
	buffer_load_dword v152, off, s[0:3], 0 offset:316
	buffer_load_dword v153, off, s[0:3], 0 offset:336
	buffer_load_dword v155, off, s[0:3], 0 offset:328
	buffer_load_dword v157, off, s[0:3], 0 offset:320
	buffer_load_dword v151, off, s[0:3], 0 offset:312
	buffer_load_dword v158, off, s[0:3], 0 offset:324
	buffer_load_dword v156, off, s[0:3], 0 offset:332
	buffer_load_dword v154, off, s[0:3], 0 offset:340
	v_mov_b32_e32 v128, 0
	ds_read_b128 v[129:132], v128 offset:768
	ds_read_b128 v[133:136], v128 offset:784
	v_cmp_lt_u32_e32 vcc, 30, v0
	s_waitcnt vmcnt(20) lgkmcnt(1)
	v_fma_f64 v[129:130], v[137:138], v[129:130], 0
	s_waitcnt vmcnt(18)
	v_fma_f64 v[129:130], v[139:140], v[131:132], v[129:130]
	buffer_load_dword v138, off, s[0:3], 0 offset:348
	buffer_load_dword v139, off, s[0:3], 0 offset:368
	;; [unrolled: 1-line block ×7, first 2 shown]
	s_waitcnt vmcnt(23) lgkmcnt(0)
	v_fma_f64 v[129:130], v[141:142], v[133:134], v[129:130]
	s_waitcnt vmcnt(21)
	v_fma_f64 v[140:141], v[143:144], v[135:136], v[129:130]
	ds_read_b128 v[129:132], v128 offset:800
	ds_read_b128 v[133:136], v128 offset:816
	s_waitcnt vmcnt(19) lgkmcnt(1)
	v_fma_f64 v[129:130], v[145:146], v[129:130], v[140:141]
	buffer_load_dword v140, off, s[0:3], 0 offset:372
	s_waitcnt vmcnt(18)
	v_fma_f64 v[129:130], v[147:148], v[131:132], v[129:130]
	buffer_load_dword v142, off, s[0:3], 0 offset:380
	buffer_load_dword v143, off, s[0:3], 0 offset:400
	;; [unrolled: 1-line block ×7, first 2 shown]
	s_waitcnt vmcnt(23) lgkmcnt(0)
	v_fma_f64 v[129:130], v[149:150], v[133:134], v[129:130]
	s_waitcnt vmcnt(18)
	v_fma_f64 v[149:150], v[151:152], v[135:136], v[129:130]
	ds_read_b128 v[129:132], v128 offset:832
	ds_read_b128 v[133:136], v128 offset:848
	buffer_load_dword v144, off, s[0:3], 0 offset:404
	s_waitcnt vmcnt(18) lgkmcnt(1)
	v_fma_f64 v[129:130], v[157:158], v[129:130], v[149:150]
	s_waitcnt vmcnt(17)
	v_fma_f64 v[129:130], v[155:156], v[131:132], v[129:130]
	buffer_load_dword v150, off, s[0:3], 0 offset:412
	buffer_load_dword v151, off, s[0:3], 0 offset:432
	buffer_load_dword v155, off, s[0:3], 0 offset:424
	buffer_load_dword v157, off, s[0:3], 0 offset:416
	buffer_load_dword v149, off, s[0:3], 0 offset:408
	buffer_load_dword v158, off, s[0:3], 0 offset:420
	buffer_load_dword v156, off, s[0:3], 0 offset:428
	buffer_load_dword v152, off, s[0:3], 0 offset:436
	s_waitcnt vmcnt(24) lgkmcnt(0)
	v_fma_f64 v[129:130], v[153:154], v[133:134], v[129:130]
	s_waitcnt vmcnt(19)
	v_fma_f64 v[137:138], v[137:138], v[135:136], v[129:130]
	ds_read_b128 v[129:132], v128 offset:864
	ds_read_b128 v[133:136], v128 offset:880
	s_waitcnt vmcnt(18) lgkmcnt(1)
	v_fma_f64 v[129:130], v[161:162], v[129:130], v[137:138]
	s_waitcnt vmcnt(17)
	v_fma_f64 v[129:130], v[159:160], v[131:132], v[129:130]
	buffer_load_dword v138, off, s[0:3], 0 offset:444
	buffer_load_dword v153, off, s[0:3], 0 offset:464
	buffer_load_dword v159, off, s[0:3], 0 offset:456
	buffer_load_dword v161, off, s[0:3], 0 offset:448
	buffer_load_dword v137, off, s[0:3], 0 offset:440
	buffer_load_dword v162, off, s[0:3], 0 offset:452
	buffer_load_dword v160, off, s[0:3], 0 offset:460
	buffer_load_dword v154, off, s[0:3], 0 offset:468
	s_waitcnt vmcnt(24) lgkmcnt(0)
	v_fma_f64 v[129:130], v[139:140], v[133:134], v[129:130]
	s_waitcnt vmcnt(19)
	v_fma_f64 v[139:140], v[141:142], v[135:136], v[129:130]
	ds_read_b128 v[129:132], v128 offset:896
	ds_read_b128 v[133:136], v128 offset:912
	;; [unrolled: 18-line block ×3, first 2 shown]
	s_waitcnt vmcnt(18) lgkmcnt(1)
	v_fma_f64 v[129:130], v[157:158], v[129:130], v[143:144]
	buffer_load_dword v143, off, s[0:3], 0 offset:248
	buffer_load_dword v144, off, s[0:3], 0 offset:252
	s_waitcnt vmcnt(19)
	v_fma_f64 v[129:130], v[155:156], v[131:132], v[129:130]
	s_waitcnt vmcnt(18) lgkmcnt(0)
	v_fma_f64 v[129:130], v[151:152], v[133:134], v[129:130]
	s_waitcnt vmcnt(13)
	v_fma_f64 v[137:138], v[137:138], v[135:136], v[129:130]
	ds_read_b128 v[129:132], v128 offset:960
	ds_read_b128 v[133:136], v128 offset:976
	s_waitcnt vmcnt(12) lgkmcnt(1)
	v_fma_f64 v[129:130], v[161:162], v[129:130], v[137:138]
	s_waitcnt vmcnt(11)
	v_fma_f64 v[129:130], v[159:160], v[131:132], v[129:130]
	s_waitcnt vmcnt(10) lgkmcnt(0)
	v_fma_f64 v[129:130], v[153:154], v[133:134], v[129:130]
	s_waitcnt vmcnt(5)
	v_fma_f64 v[133:134], v[139:140], v[135:136], v[129:130]
	ds_read_b128 v[129:132], v128 offset:992
	ds_read_b64 v[135:136], v128 offset:1008
	s_waitcnt vmcnt(4) lgkmcnt(1)
	v_fma_f64 v[129:130], v[147:148], v[129:130], v[133:134]
	s_waitcnt vmcnt(3)
	v_fma_f64 v[129:130], v[145:146], v[131:132], v[129:130]
	s_waitcnt vmcnt(2) lgkmcnt(0)
	v_fma_f64 v[129:130], v[141:142], v[135:136], v[129:130]
	s_waitcnt vmcnt(0)
	v_add_f64 v[129:130], v[143:144], -v[129:130]
	buffer_store_dword v130, off, s[0:3], 0 offset:252
	buffer_store_dword v129, off, s[0:3], 0 offset:248
	s_and_saveexec_b64 s[4:5], vcc
	s_cbranch_execz .LBB126_325
; %bb.324:
	buffer_load_dword v129, off, s[0:3], 0 offset:240
	buffer_load_dword v130, off, s[0:3], 0 offset:244
	s_waitcnt vmcnt(0)
	ds_write_b64 v127, v[129:130]
	buffer_store_dword v128, off, s[0:3], 0 offset:240
	buffer_store_dword v128, off, s[0:3], 0 offset:244
.LBB126_325:
	s_or_b64 exec, exec, s[4:5]
	s_waitcnt lgkmcnt(0)
	; wave barrier
	buffer_load_dword v137, off, s[0:3], 0 offset:248
	buffer_load_dword v138, off, s[0:3], 0 offset:252
	;; [unrolled: 1-line block ×22, first 2 shown]
	ds_read2_b64 v[129:132], v128 offset0:95 offset1:96
	ds_read2_b64 v[133:136], v128 offset0:97 offset1:98
	v_cmp_lt_u32_e32 vcc, 29, v0
	s_waitcnt vmcnt(20) lgkmcnt(1)
	v_fma_f64 v[129:130], v[137:138], v[129:130], 0
	s_waitcnt vmcnt(18)
	v_fma_f64 v[129:130], v[139:140], v[131:132], v[129:130]
	buffer_load_dword v138, off, s[0:3], 0 offset:340
	buffer_load_dword v139, off, s[0:3], 0 offset:360
	buffer_load_dword v159, off, s[0:3], 0 offset:352
	buffer_load_dword v161, off, s[0:3], 0 offset:344
	buffer_load_dword v137, off, s[0:3], 0 offset:336
	buffer_load_dword v162, off, s[0:3], 0 offset:348
	buffer_load_dword v160, off, s[0:3], 0 offset:356
	s_waitcnt vmcnt(23) lgkmcnt(0)
	v_fma_f64 v[129:130], v[141:142], v[133:134], v[129:130]
	s_waitcnt vmcnt(21)
	v_fma_f64 v[140:141], v[143:144], v[135:136], v[129:130]
	ds_read2_b64 v[129:132], v128 offset0:99 offset1:100
	ds_read2_b64 v[133:136], v128 offset0:101 offset1:102
	s_waitcnt vmcnt(19) lgkmcnt(1)
	v_fma_f64 v[129:130], v[145:146], v[129:130], v[140:141]
	buffer_load_dword v140, off, s[0:3], 0 offset:364
	s_waitcnt vmcnt(18)
	v_fma_f64 v[129:130], v[147:148], v[131:132], v[129:130]
	buffer_load_dword v142, off, s[0:3], 0 offset:372
	buffer_load_dword v143, off, s[0:3], 0 offset:392
	;; [unrolled: 1-line block ×7, first 2 shown]
	s_waitcnt vmcnt(23) lgkmcnt(0)
	v_fma_f64 v[129:130], v[149:150], v[133:134], v[129:130]
	s_waitcnt vmcnt(18)
	v_fma_f64 v[149:150], v[151:152], v[135:136], v[129:130]
	ds_read2_b64 v[129:132], v128 offset0:103 offset1:104
	ds_read2_b64 v[133:136], v128 offset0:105 offset1:106
	buffer_load_dword v144, off, s[0:3], 0 offset:396
	s_waitcnt vmcnt(18) lgkmcnt(1)
	v_fma_f64 v[129:130], v[157:158], v[129:130], v[149:150]
	s_waitcnt vmcnt(17)
	v_fma_f64 v[129:130], v[155:156], v[131:132], v[129:130]
	buffer_load_dword v150, off, s[0:3], 0 offset:404
	buffer_load_dword v151, off, s[0:3], 0 offset:424
	buffer_load_dword v155, off, s[0:3], 0 offset:416
	buffer_load_dword v157, off, s[0:3], 0 offset:408
	buffer_load_dword v149, off, s[0:3], 0 offset:400
	buffer_load_dword v158, off, s[0:3], 0 offset:412
	buffer_load_dword v156, off, s[0:3], 0 offset:420
	buffer_load_dword v152, off, s[0:3], 0 offset:428
	s_waitcnt vmcnt(24) lgkmcnt(0)
	v_fma_f64 v[129:130], v[153:154], v[133:134], v[129:130]
	s_waitcnt vmcnt(19)
	v_fma_f64 v[137:138], v[137:138], v[135:136], v[129:130]
	ds_read2_b64 v[129:132], v128 offset0:107 offset1:108
	ds_read2_b64 v[133:136], v128 offset0:109 offset1:110
	s_waitcnt vmcnt(18) lgkmcnt(1)
	v_fma_f64 v[129:130], v[161:162], v[129:130], v[137:138]
	s_waitcnt vmcnt(17)
	v_fma_f64 v[129:130], v[159:160], v[131:132], v[129:130]
	buffer_load_dword v138, off, s[0:3], 0 offset:436
	buffer_load_dword v153, off, s[0:3], 0 offset:456
	buffer_load_dword v159, off, s[0:3], 0 offset:448
	buffer_load_dword v161, off, s[0:3], 0 offset:440
	buffer_load_dword v137, off, s[0:3], 0 offset:432
	buffer_load_dword v162, off, s[0:3], 0 offset:444
	buffer_load_dword v160, off, s[0:3], 0 offset:452
	buffer_load_dword v154, off, s[0:3], 0 offset:460
	s_waitcnt vmcnt(24) lgkmcnt(0)
	v_fma_f64 v[129:130], v[139:140], v[133:134], v[129:130]
	s_waitcnt vmcnt(19)
	v_fma_f64 v[139:140], v[141:142], v[135:136], v[129:130]
	ds_read2_b64 v[129:132], v128 offset0:111 offset1:112
	ds_read2_b64 v[133:136], v128 offset0:113 offset1:114
	;; [unrolled: 18-line block ×3, first 2 shown]
	s_waitcnt vmcnt(18) lgkmcnt(1)
	v_fma_f64 v[129:130], v[157:158], v[129:130], v[143:144]
	buffer_load_dword v144, off, s[0:3], 0 offset:500
	buffer_load_dword v143, off, s[0:3], 0 offset:496
	buffer_load_dword v149, off, s[0:3], 0 offset:240
	buffer_load_dword v150, off, s[0:3], 0 offset:244
	s_waitcnt vmcnt(21)
	v_fma_f64 v[129:130], v[155:156], v[131:132], v[129:130]
	s_waitcnt vmcnt(20) lgkmcnt(0)
	v_fma_f64 v[129:130], v[151:152], v[133:134], v[129:130]
	s_waitcnt vmcnt(15)
	v_fma_f64 v[137:138], v[137:138], v[135:136], v[129:130]
	ds_read2_b64 v[129:132], v128 offset0:119 offset1:120
	ds_read2_b64 v[133:136], v128 offset0:121 offset1:122
	s_waitcnt vmcnt(14) lgkmcnt(1)
	v_fma_f64 v[129:130], v[161:162], v[129:130], v[137:138]
	s_waitcnt vmcnt(13)
	v_fma_f64 v[129:130], v[159:160], v[131:132], v[129:130]
	s_waitcnt vmcnt(12) lgkmcnt(0)
	v_fma_f64 v[129:130], v[153:154], v[133:134], v[129:130]
	s_waitcnt vmcnt(7)
	v_fma_f64 v[137:138], v[139:140], v[135:136], v[129:130]
	ds_read2_b64 v[129:132], v128 offset0:123 offset1:124
	ds_read2_b64 v[133:136], v128 offset0:125 offset1:126
	s_waitcnt vmcnt(6) lgkmcnt(1)
	v_fma_f64 v[128:129], v[147:148], v[129:130], v[137:138]
	s_waitcnt vmcnt(5)
	v_fma_f64 v[128:129], v[145:146], v[131:132], v[128:129]
	s_waitcnt vmcnt(4) lgkmcnt(0)
	v_fma_f64 v[128:129], v[141:142], v[133:134], v[128:129]
	s_waitcnt vmcnt(2)
	v_fma_f64 v[128:129], v[143:144], v[135:136], v[128:129]
	s_waitcnt vmcnt(0)
	v_add_f64 v[128:129], v[149:150], -v[128:129]
	buffer_store_dword v129, off, s[0:3], 0 offset:244
	buffer_store_dword v128, off, s[0:3], 0 offset:240
	s_and_saveexec_b64 s[4:5], vcc
	s_cbranch_execz .LBB126_327
; %bb.326:
	buffer_load_dword v128, off, s[0:3], 0 offset:232
	buffer_load_dword v129, off, s[0:3], 0 offset:236
	v_mov_b32_e32 v130, 0
	buffer_store_dword v130, off, s[0:3], 0 offset:232
	buffer_store_dword v130, off, s[0:3], 0 offset:236
	s_waitcnt vmcnt(2)
	ds_write_b64 v127, v[128:129]
.LBB126_327:
	s_or_b64 exec, exec, s[4:5]
	s_waitcnt lgkmcnt(0)
	; wave barrier
	buffer_load_dword v137, off, s[0:3], 0 offset:240
	buffer_load_dword v138, off, s[0:3], 0 offset:244
	;; [unrolled: 1-line block ×21, first 2 shown]
	v_mov_b32_e32 v128, 0
	ds_read_b128 v[129:132], v128 offset:752
	ds_read_b128 v[133:136], v128 offset:768
	buffer_load_dword v154, off, s[0:3], 0 offset:324
	v_cmp_lt_u32_e32 vcc, 28, v0
	s_waitcnt vmcnt(20) lgkmcnt(1)
	v_fma_f64 v[129:130], v[137:138], v[129:130], 0
	s_waitcnt vmcnt(18)
	v_fma_f64 v[129:130], v[139:140], v[131:132], v[129:130]
	buffer_load_dword v138, off, s[0:3], 0 offset:332
	buffer_load_dword v139, off, s[0:3], 0 offset:352
	;; [unrolled: 1-line block ×7, first 2 shown]
	s_waitcnt vmcnt(23) lgkmcnt(0)
	v_fma_f64 v[129:130], v[141:142], v[133:134], v[129:130]
	s_waitcnt vmcnt(21)
	v_fma_f64 v[140:141], v[143:144], v[135:136], v[129:130]
	ds_read_b128 v[129:132], v128 offset:784
	ds_read_b128 v[133:136], v128 offset:800
	s_waitcnt vmcnt(19) lgkmcnt(1)
	v_fma_f64 v[129:130], v[145:146], v[129:130], v[140:141]
	buffer_load_dword v140, off, s[0:3], 0 offset:356
	s_waitcnt vmcnt(18)
	v_fma_f64 v[129:130], v[147:148], v[131:132], v[129:130]
	buffer_load_dword v142, off, s[0:3], 0 offset:364
	buffer_load_dword v143, off, s[0:3], 0 offset:384
	;; [unrolled: 1-line block ×7, first 2 shown]
	s_waitcnt vmcnt(23) lgkmcnt(0)
	v_fma_f64 v[129:130], v[149:150], v[133:134], v[129:130]
	s_waitcnt vmcnt(18)
	v_fma_f64 v[149:150], v[151:152], v[135:136], v[129:130]
	ds_read_b128 v[129:132], v128 offset:816
	ds_read_b128 v[133:136], v128 offset:832
	buffer_load_dword v144, off, s[0:3], 0 offset:388
	s_waitcnt vmcnt(18) lgkmcnt(1)
	v_fma_f64 v[129:130], v[157:158], v[129:130], v[149:150]
	s_waitcnt vmcnt(17)
	v_fma_f64 v[129:130], v[155:156], v[131:132], v[129:130]
	buffer_load_dword v150, off, s[0:3], 0 offset:396
	buffer_load_dword v151, off, s[0:3], 0 offset:416
	;; [unrolled: 1-line block ×7, first 2 shown]
	s_waitcnt vmcnt(23) lgkmcnt(0)
	v_fma_f64 v[129:130], v[153:154], v[133:134], v[129:130]
	s_waitcnt vmcnt(18)
	v_fma_f64 v[137:138], v[137:138], v[135:136], v[129:130]
	ds_read_b128 v[129:132], v128 offset:848
	ds_read_b128 v[133:136], v128 offset:864
	buffer_load_dword v152, off, s[0:3], 0 offset:420
	s_waitcnt vmcnt(18) lgkmcnt(1)
	v_fma_f64 v[129:130], v[161:162], v[129:130], v[137:138]
	s_waitcnt vmcnt(17)
	v_fma_f64 v[129:130], v[159:160], v[131:132], v[129:130]
	buffer_load_dword v138, off, s[0:3], 0 offset:428
	buffer_load_dword v153, off, s[0:3], 0 offset:448
	;; [unrolled: 1-line block ×8, first 2 shown]
	s_waitcnt vmcnt(24) lgkmcnt(0)
	v_fma_f64 v[129:130], v[139:140], v[133:134], v[129:130]
	s_waitcnt vmcnt(19)
	v_fma_f64 v[139:140], v[141:142], v[135:136], v[129:130]
	ds_read_b128 v[129:132], v128 offset:880
	ds_read_b128 v[133:136], v128 offset:896
	s_waitcnt vmcnt(18) lgkmcnt(1)
	v_fma_f64 v[129:130], v[147:148], v[129:130], v[139:140]
	s_waitcnt vmcnt(17)
	v_fma_f64 v[129:130], v[145:146], v[131:132], v[129:130]
	buffer_load_dword v140, off, s[0:3], 0 offset:460
	buffer_load_dword v141, off, s[0:3], 0 offset:480
	;; [unrolled: 1-line block ×7, first 2 shown]
	s_waitcnt vmcnt(23) lgkmcnt(0)
	v_fma_f64 v[129:130], v[143:144], v[133:134], v[129:130]
	s_waitcnt vmcnt(18)
	v_fma_f64 v[142:143], v[149:150], v[135:136], v[129:130]
	ds_read_b128 v[129:132], v128 offset:912
	ds_read_b128 v[133:136], v128 offset:928
	s_waitcnt vmcnt(17) lgkmcnt(1)
	v_fma_f64 v[129:130], v[157:158], v[129:130], v[142:143]
	buffer_load_dword v142, off, s[0:3], 0 offset:484
	buffer_load_dword v144, off, s[0:3], 0 offset:492
	;; [unrolled: 1-line block ×5, first 2 shown]
	s_waitcnt vmcnt(21)
	v_fma_f64 v[129:130], v[155:156], v[131:132], v[129:130]
	s_waitcnt vmcnt(20) lgkmcnt(0)
	v_fma_f64 v[129:130], v[151:152], v[133:134], v[129:130]
	buffer_load_dword v151, off, s[0:3], 0 offset:232
	buffer_load_dword v152, off, s[0:3], 0 offset:236
	s_waitcnt vmcnt(17)
	v_fma_f64 v[137:138], v[137:138], v[135:136], v[129:130]
	ds_read_b128 v[129:132], v128 offset:944
	ds_read_b128 v[133:136], v128 offset:960
	s_waitcnt vmcnt(16) lgkmcnt(1)
	v_fma_f64 v[129:130], v[161:162], v[129:130], v[137:138]
	s_waitcnt vmcnt(15)
	v_fma_f64 v[129:130], v[159:160], v[131:132], v[129:130]
	s_waitcnt vmcnt(14) lgkmcnt(0)
	v_fma_f64 v[129:130], v[153:154], v[133:134], v[129:130]
	s_waitcnt vmcnt(9)
	v_fma_f64 v[137:138], v[139:140], v[135:136], v[129:130]
	ds_read_b128 v[129:132], v128 offset:976
	ds_read_b128 v[133:136], v128 offset:992
	s_waitcnt vmcnt(8) lgkmcnt(1)
	v_fma_f64 v[129:130], v[147:148], v[129:130], v[137:138]
	s_waitcnt vmcnt(7)
	v_fma_f64 v[129:130], v[145:146], v[131:132], v[129:130]
	ds_read_b64 v[131:132], v128 offset:1008
	s_waitcnt vmcnt(6) lgkmcnt(1)
	v_fma_f64 v[129:130], v[141:142], v[133:134], v[129:130]
	s_waitcnt vmcnt(3)
	v_fma_f64 v[129:130], v[143:144], v[135:136], v[129:130]
	s_waitcnt vmcnt(2) lgkmcnt(0)
	v_fma_f64 v[129:130], v[149:150], v[131:132], v[129:130]
	s_waitcnt vmcnt(0)
	v_add_f64 v[129:130], v[151:152], -v[129:130]
	buffer_store_dword v130, off, s[0:3], 0 offset:236
	buffer_store_dword v129, off, s[0:3], 0 offset:232
	s_and_saveexec_b64 s[4:5], vcc
	s_cbranch_execz .LBB126_329
; %bb.328:
	buffer_load_dword v129, off, s[0:3], 0 offset:224
	buffer_load_dword v130, off, s[0:3], 0 offset:228
	s_waitcnt vmcnt(0)
	ds_write_b64 v127, v[129:130]
	buffer_store_dword v128, off, s[0:3], 0 offset:224
	buffer_store_dword v128, off, s[0:3], 0 offset:228
.LBB126_329:
	s_or_b64 exec, exec, s[4:5]
	s_waitcnt lgkmcnt(0)
	; wave barrier
	buffer_load_dword v137, off, s[0:3], 0 offset:232
	buffer_load_dword v138, off, s[0:3], 0 offset:236
	;; [unrolled: 1-line block ×21, first 2 shown]
	ds_read2_b64 v[129:132], v128 offset0:93 offset1:94
	ds_read2_b64 v[133:136], v128 offset0:95 offset1:96
	buffer_load_dword v154, off, s[0:3], 0 offset:316
	v_cmp_lt_u32_e32 vcc, 27, v0
	s_waitcnt vmcnt(20) lgkmcnt(1)
	v_fma_f64 v[129:130], v[137:138], v[129:130], 0
	s_waitcnt vmcnt(18)
	v_fma_f64 v[129:130], v[139:140], v[131:132], v[129:130]
	buffer_load_dword v138, off, s[0:3], 0 offset:324
	buffer_load_dword v139, off, s[0:3], 0 offset:344
	;; [unrolled: 1-line block ×7, first 2 shown]
	s_waitcnt vmcnt(23) lgkmcnt(0)
	v_fma_f64 v[129:130], v[141:142], v[133:134], v[129:130]
	s_waitcnt vmcnt(21)
	v_fma_f64 v[140:141], v[143:144], v[135:136], v[129:130]
	ds_read2_b64 v[129:132], v128 offset0:97 offset1:98
	ds_read2_b64 v[133:136], v128 offset0:99 offset1:100
	s_waitcnt vmcnt(19) lgkmcnt(1)
	v_fma_f64 v[129:130], v[145:146], v[129:130], v[140:141]
	buffer_load_dword v140, off, s[0:3], 0 offset:348
	s_waitcnt vmcnt(18)
	v_fma_f64 v[129:130], v[147:148], v[131:132], v[129:130]
	buffer_load_dword v142, off, s[0:3], 0 offset:356
	buffer_load_dword v143, off, s[0:3], 0 offset:376
	;; [unrolled: 1-line block ×8, first 2 shown]
	s_waitcnt vmcnt(24) lgkmcnt(0)
	v_fma_f64 v[129:130], v[149:150], v[133:134], v[129:130]
	s_waitcnt vmcnt(19)
	v_fma_f64 v[149:150], v[151:152], v[135:136], v[129:130]
	ds_read2_b64 v[129:132], v128 offset0:101 offset1:102
	ds_read2_b64 v[133:136], v128 offset0:103 offset1:104
	s_waitcnt vmcnt(18) lgkmcnt(1)
	v_fma_f64 v[129:130], v[157:158], v[129:130], v[149:150]
	s_waitcnt vmcnt(17)
	v_fma_f64 v[129:130], v[155:156], v[131:132], v[129:130]
	buffer_load_dword v150, off, s[0:3], 0 offset:388
	buffer_load_dword v151, off, s[0:3], 0 offset:408
	;; [unrolled: 1-line block ×7, first 2 shown]
	s_waitcnt vmcnt(23) lgkmcnt(0)
	v_fma_f64 v[129:130], v[153:154], v[133:134], v[129:130]
	s_waitcnt vmcnt(18)
	v_fma_f64 v[137:138], v[137:138], v[135:136], v[129:130]
	ds_read2_b64 v[129:132], v128 offset0:105 offset1:106
	ds_read2_b64 v[133:136], v128 offset0:107 offset1:108
	buffer_load_dword v152, off, s[0:3], 0 offset:412
	s_waitcnt vmcnt(18) lgkmcnt(1)
	v_fma_f64 v[129:130], v[161:162], v[129:130], v[137:138]
	s_waitcnt vmcnt(17)
	v_fma_f64 v[129:130], v[159:160], v[131:132], v[129:130]
	buffer_load_dword v138, off, s[0:3], 0 offset:420
	buffer_load_dword v153, off, s[0:3], 0 offset:440
	buffer_load_dword v159, off, s[0:3], 0 offset:432
	buffer_load_dword v161, off, s[0:3], 0 offset:424
	buffer_load_dword v137, off, s[0:3], 0 offset:416
	buffer_load_dword v162, off, s[0:3], 0 offset:428
	buffer_load_dword v160, off, s[0:3], 0 offset:436
	buffer_load_dword v154, off, s[0:3], 0 offset:444
	s_waitcnt vmcnt(24) lgkmcnt(0)
	v_fma_f64 v[129:130], v[139:140], v[133:134], v[129:130]
	s_waitcnt vmcnt(19)
	v_fma_f64 v[139:140], v[141:142], v[135:136], v[129:130]
	ds_read2_b64 v[129:132], v128 offset0:109 offset1:110
	ds_read2_b64 v[133:136], v128 offset0:111 offset1:112
	s_waitcnt vmcnt(18) lgkmcnt(1)
	v_fma_f64 v[129:130], v[147:148], v[129:130], v[139:140]
	s_waitcnt vmcnt(17)
	v_fma_f64 v[129:130], v[145:146], v[131:132], v[129:130]
	buffer_load_dword v140, off, s[0:3], 0 offset:452
	buffer_load_dword v141, off, s[0:3], 0 offset:472
	;; [unrolled: 1-line block ×7, first 2 shown]
	s_waitcnt vmcnt(23) lgkmcnt(0)
	v_fma_f64 v[129:130], v[143:144], v[133:134], v[129:130]
	s_waitcnt vmcnt(18)
	v_fma_f64 v[142:143], v[149:150], v[135:136], v[129:130]
	ds_read2_b64 v[129:132], v128 offset0:113 offset1:114
	ds_read2_b64 v[133:136], v128 offset0:115 offset1:116
	s_waitcnt vmcnt(17) lgkmcnt(1)
	v_fma_f64 v[129:130], v[157:158], v[129:130], v[142:143]
	buffer_load_dword v142, off, s[0:3], 0 offset:476
	s_waitcnt vmcnt(17)
	v_fma_f64 v[129:130], v[155:156], v[131:132], v[129:130]
	buffer_load_dword v144, off, s[0:3], 0 offset:484
	buffer_load_dword v149, off, s[0:3], 0 offset:496
	;; [unrolled: 1-line block ×6, first 2 shown]
	s_waitcnt vmcnt(22) lgkmcnt(0)
	v_fma_f64 v[129:130], v[151:152], v[133:134], v[129:130]
	s_waitcnt vmcnt(17)
	v_fma_f64 v[137:138], v[137:138], v[135:136], v[129:130]
	ds_read2_b64 v[129:132], v128 offset0:117 offset1:118
	buffer_load_dword v151, off, s[0:3], 0 offset:224
	buffer_load_dword v152, off, s[0:3], 0 offset:228
	ds_read2_b64 v[133:136], v128 offset0:119 offset1:120
	s_waitcnt vmcnt(18) lgkmcnt(1)
	v_fma_f64 v[129:130], v[161:162], v[129:130], v[137:138]
	s_waitcnt vmcnt(17)
	v_fma_f64 v[129:130], v[159:160], v[131:132], v[129:130]
	s_waitcnt vmcnt(16) lgkmcnt(0)
	v_fma_f64 v[129:130], v[153:154], v[133:134], v[129:130]
	s_waitcnt vmcnt(11)
	v_fma_f64 v[137:138], v[139:140], v[135:136], v[129:130]
	ds_read2_b64 v[129:132], v128 offset0:121 offset1:122
	ds_read2_b64 v[133:136], v128 offset0:123 offset1:124
	s_waitcnt vmcnt(10) lgkmcnt(1)
	v_fma_f64 v[129:130], v[147:148], v[129:130], v[137:138]
	s_waitcnt vmcnt(9)
	v_fma_f64 v[129:130], v[145:146], v[131:132], v[129:130]
	s_waitcnt vmcnt(8) lgkmcnt(0)
	v_fma_f64 v[129:130], v[141:142], v[133:134], v[129:130]
	s_waitcnt vmcnt(4)
	v_fma_f64 v[132:133], v[143:144], v[135:136], v[129:130]
	ds_read2_b64 v[128:131], v128 offset0:125 offset1:126
	s_waitcnt vmcnt(3) lgkmcnt(0)
	v_fma_f64 v[128:129], v[155:156], v[128:129], v[132:133]
	s_waitcnt vmcnt(2)
	v_fma_f64 v[128:129], v[149:150], v[130:131], v[128:129]
	s_waitcnt vmcnt(0)
	v_add_f64 v[128:129], v[151:152], -v[128:129]
	buffer_store_dword v129, off, s[0:3], 0 offset:228
	buffer_store_dword v128, off, s[0:3], 0 offset:224
	s_and_saveexec_b64 s[4:5], vcc
	s_cbranch_execz .LBB126_331
; %bb.330:
	buffer_load_dword v128, off, s[0:3], 0 offset:216
	buffer_load_dword v129, off, s[0:3], 0 offset:220
	v_mov_b32_e32 v130, 0
	buffer_store_dword v130, off, s[0:3], 0 offset:216
	buffer_store_dword v130, off, s[0:3], 0 offset:220
	s_waitcnt vmcnt(2)
	ds_write_b64 v127, v[128:129]
.LBB126_331:
	s_or_b64 exec, exec, s[4:5]
	s_waitcnt lgkmcnt(0)
	; wave barrier
	buffer_load_dword v137, off, s[0:3], 0 offset:224
	buffer_load_dword v138, off, s[0:3], 0 offset:228
	buffer_load_dword v139, off, s[0:3], 0 offset:232
	buffer_load_dword v140, off, s[0:3], 0 offset:236
	buffer_load_dword v141, off, s[0:3], 0 offset:240
	buffer_load_dword v142, off, s[0:3], 0 offset:244
	buffer_load_dword v143, off, s[0:3], 0 offset:248
	buffer_load_dword v144, off, s[0:3], 0 offset:252
	buffer_load_dword v145, off, s[0:3], 0 offset:256
	buffer_load_dword v146, off, s[0:3], 0 offset:260
	buffer_load_dword v147, off, s[0:3], 0 offset:264
	buffer_load_dword v148, off, s[0:3], 0 offset:268
	buffer_load_dword v149, off, s[0:3], 0 offset:272
	buffer_load_dword v150, off, s[0:3], 0 offset:276
	buffer_load_dword v152, off, s[0:3], 0 offset:284
	buffer_load_dword v153, off, s[0:3], 0 offset:304
	buffer_load_dword v155, off, s[0:3], 0 offset:296
	buffer_load_dword v157, off, s[0:3], 0 offset:288
	buffer_load_dword v151, off, s[0:3], 0 offset:280
	buffer_load_dword v158, off, s[0:3], 0 offset:292
	buffer_load_dword v156, off, s[0:3], 0 offset:300
	v_mov_b32_e32 v128, 0
	ds_read_b128 v[129:132], v128 offset:736
	ds_read_b128 v[133:136], v128 offset:752
	buffer_load_dword v154, off, s[0:3], 0 offset:308
	v_cmp_lt_u32_e32 vcc, 26, v0
	s_waitcnt vmcnt(20) lgkmcnt(1)
	v_fma_f64 v[129:130], v[137:138], v[129:130], 0
	s_waitcnt vmcnt(18)
	v_fma_f64 v[129:130], v[139:140], v[131:132], v[129:130]
	buffer_load_dword v138, off, s[0:3], 0 offset:316
	buffer_load_dword v139, off, s[0:3], 0 offset:336
	buffer_load_dword v159, off, s[0:3], 0 offset:328
	buffer_load_dword v161, off, s[0:3], 0 offset:320
	buffer_load_dword v137, off, s[0:3], 0 offset:312
	buffer_load_dword v162, off, s[0:3], 0 offset:324
	buffer_load_dword v160, off, s[0:3], 0 offset:332
	s_waitcnt vmcnt(23) lgkmcnt(0)
	v_fma_f64 v[129:130], v[141:142], v[133:134], v[129:130]
	s_waitcnt vmcnt(21)
	v_fma_f64 v[140:141], v[143:144], v[135:136], v[129:130]
	ds_read_b128 v[129:132], v128 offset:768
	ds_read_b128 v[133:136], v128 offset:784
	s_waitcnt vmcnt(19) lgkmcnt(1)
	v_fma_f64 v[129:130], v[145:146], v[129:130], v[140:141]
	buffer_load_dword v140, off, s[0:3], 0 offset:340
	s_waitcnt vmcnt(18)
	v_fma_f64 v[129:130], v[147:148], v[131:132], v[129:130]
	buffer_load_dword v142, off, s[0:3], 0 offset:348
	buffer_load_dword v143, off, s[0:3], 0 offset:368
	;; [unrolled: 1-line block ×8, first 2 shown]
	s_waitcnt vmcnt(24) lgkmcnt(0)
	v_fma_f64 v[129:130], v[149:150], v[133:134], v[129:130]
	s_waitcnt vmcnt(19)
	v_fma_f64 v[149:150], v[151:152], v[135:136], v[129:130]
	ds_read_b128 v[129:132], v128 offset:800
	ds_read_b128 v[133:136], v128 offset:816
	s_waitcnt vmcnt(18) lgkmcnt(1)
	v_fma_f64 v[129:130], v[157:158], v[129:130], v[149:150]
	s_waitcnt vmcnt(17)
	v_fma_f64 v[129:130], v[155:156], v[131:132], v[129:130]
	buffer_load_dword v150, off, s[0:3], 0 offset:380
	buffer_load_dword v151, off, s[0:3], 0 offset:400
	;; [unrolled: 1-line block ×7, first 2 shown]
	s_waitcnt vmcnt(23) lgkmcnt(0)
	v_fma_f64 v[129:130], v[153:154], v[133:134], v[129:130]
	s_waitcnt vmcnt(18)
	v_fma_f64 v[137:138], v[137:138], v[135:136], v[129:130]
	ds_read_b128 v[129:132], v128 offset:832
	ds_read_b128 v[133:136], v128 offset:848
	buffer_load_dword v152, off, s[0:3], 0 offset:404
	s_waitcnt vmcnt(18) lgkmcnt(1)
	v_fma_f64 v[129:130], v[161:162], v[129:130], v[137:138]
	s_waitcnt vmcnt(17)
	v_fma_f64 v[129:130], v[159:160], v[131:132], v[129:130]
	buffer_load_dword v138, off, s[0:3], 0 offset:412
	buffer_load_dword v153, off, s[0:3], 0 offset:432
	;; [unrolled: 1-line block ×8, first 2 shown]
	s_waitcnt vmcnt(24) lgkmcnt(0)
	v_fma_f64 v[129:130], v[139:140], v[133:134], v[129:130]
	s_waitcnt vmcnt(19)
	v_fma_f64 v[139:140], v[141:142], v[135:136], v[129:130]
	ds_read_b128 v[129:132], v128 offset:864
	ds_read_b128 v[133:136], v128 offset:880
	s_waitcnt vmcnt(18) lgkmcnt(1)
	v_fma_f64 v[129:130], v[147:148], v[129:130], v[139:140]
	s_waitcnt vmcnt(17)
	v_fma_f64 v[129:130], v[145:146], v[131:132], v[129:130]
	buffer_load_dword v140, off, s[0:3], 0 offset:444
	buffer_load_dword v141, off, s[0:3], 0 offset:464
	;; [unrolled: 1-line block ×7, first 2 shown]
	s_waitcnt vmcnt(23) lgkmcnt(0)
	v_fma_f64 v[129:130], v[143:144], v[133:134], v[129:130]
	s_waitcnt vmcnt(18)
	v_fma_f64 v[142:143], v[149:150], v[135:136], v[129:130]
	ds_read_b128 v[129:132], v128 offset:896
	ds_read_b128 v[133:136], v128 offset:912
	s_waitcnt vmcnt(17) lgkmcnt(1)
	v_fma_f64 v[129:130], v[157:158], v[129:130], v[142:143]
	buffer_load_dword v142, off, s[0:3], 0 offset:468
	s_waitcnt vmcnt(17)
	v_fma_f64 v[129:130], v[155:156], v[131:132], v[129:130]
	buffer_load_dword v144, off, s[0:3], 0 offset:476
	buffer_load_dword v149, off, s[0:3], 0 offset:496
	;; [unrolled: 1-line block ×8, first 2 shown]
	s_waitcnt vmcnt(24) lgkmcnt(0)
	v_fma_f64 v[129:130], v[151:152], v[133:134], v[129:130]
	s_waitcnt vmcnt(19)
	v_fma_f64 v[137:138], v[137:138], v[135:136], v[129:130]
	ds_read_b128 v[129:132], v128 offset:928
	ds_read_b128 v[133:136], v128 offset:944
	s_waitcnt vmcnt(18) lgkmcnt(1)
	v_fma_f64 v[129:130], v[161:162], v[129:130], v[137:138]
	buffer_load_dword v137, off, s[0:3], 0 offset:216
	buffer_load_dword v138, off, s[0:3], 0 offset:220
	s_waitcnt vmcnt(19)
	v_fma_f64 v[129:130], v[159:160], v[131:132], v[129:130]
	s_waitcnt vmcnt(18) lgkmcnt(0)
	v_fma_f64 v[129:130], v[153:154], v[133:134], v[129:130]
	s_waitcnt vmcnt(13)
	v_fma_f64 v[139:140], v[139:140], v[135:136], v[129:130]
	ds_read_b128 v[129:132], v128 offset:960
	ds_read_b128 v[133:136], v128 offset:976
	s_waitcnt vmcnt(12) lgkmcnt(1)
	v_fma_f64 v[129:130], v[147:148], v[129:130], v[139:140]
	s_waitcnt vmcnt(11)
	v_fma_f64 v[129:130], v[145:146], v[131:132], v[129:130]
	s_waitcnt vmcnt(10) lgkmcnt(0)
	v_fma_f64 v[129:130], v[141:142], v[133:134], v[129:130]
	s_waitcnt vmcnt(5)
	v_fma_f64 v[133:134], v[143:144], v[135:136], v[129:130]
	ds_read_b128 v[129:132], v128 offset:992
	ds_read_b64 v[135:136], v128 offset:1008
	s_waitcnt vmcnt(4) lgkmcnt(1)
	v_fma_f64 v[129:130], v[157:158], v[129:130], v[133:134]
	s_waitcnt vmcnt(3)
	v_fma_f64 v[129:130], v[155:156], v[131:132], v[129:130]
	s_waitcnt vmcnt(2) lgkmcnt(0)
	v_fma_f64 v[129:130], v[149:150], v[135:136], v[129:130]
	s_waitcnt vmcnt(0)
	v_add_f64 v[129:130], v[137:138], -v[129:130]
	buffer_store_dword v130, off, s[0:3], 0 offset:220
	buffer_store_dword v129, off, s[0:3], 0 offset:216
	s_and_saveexec_b64 s[4:5], vcc
	s_cbranch_execz .LBB126_333
; %bb.332:
	buffer_load_dword v129, off, s[0:3], 0 offset:208
	buffer_load_dword v130, off, s[0:3], 0 offset:212
	s_waitcnt vmcnt(0)
	ds_write_b64 v127, v[129:130]
	buffer_store_dword v128, off, s[0:3], 0 offset:208
	buffer_store_dword v128, off, s[0:3], 0 offset:212
.LBB126_333:
	s_or_b64 exec, exec, s[4:5]
	s_waitcnt lgkmcnt(0)
	; wave barrier
	buffer_load_dword v137, off, s[0:3], 0 offset:216
	buffer_load_dword v138, off, s[0:3], 0 offset:220
	;; [unrolled: 1-line block ×21, first 2 shown]
	ds_read2_b64 v[129:132], v128 offset0:91 offset1:92
	ds_read2_b64 v[133:136], v128 offset0:93 offset1:94
	buffer_load_dword v154, off, s[0:3], 0 offset:300
	v_cmp_lt_u32_e32 vcc, 25, v0
	s_waitcnt vmcnt(20) lgkmcnt(1)
	v_fma_f64 v[129:130], v[137:138], v[129:130], 0
	s_waitcnt vmcnt(18)
	v_fma_f64 v[129:130], v[139:140], v[131:132], v[129:130]
	buffer_load_dword v138, off, s[0:3], 0 offset:308
	buffer_load_dword v139, off, s[0:3], 0 offset:328
	;; [unrolled: 1-line block ×7, first 2 shown]
	s_waitcnt vmcnt(23) lgkmcnt(0)
	v_fma_f64 v[129:130], v[141:142], v[133:134], v[129:130]
	s_waitcnt vmcnt(21)
	v_fma_f64 v[140:141], v[143:144], v[135:136], v[129:130]
	ds_read2_b64 v[129:132], v128 offset0:95 offset1:96
	ds_read2_b64 v[133:136], v128 offset0:97 offset1:98
	s_waitcnt vmcnt(19) lgkmcnt(1)
	v_fma_f64 v[129:130], v[145:146], v[129:130], v[140:141]
	buffer_load_dword v140, off, s[0:3], 0 offset:332
	s_waitcnt vmcnt(18)
	v_fma_f64 v[129:130], v[147:148], v[131:132], v[129:130]
	buffer_load_dword v142, off, s[0:3], 0 offset:340
	buffer_load_dword v143, off, s[0:3], 0 offset:360
	;; [unrolled: 1-line block ×8, first 2 shown]
	s_waitcnt vmcnt(24) lgkmcnt(0)
	v_fma_f64 v[129:130], v[149:150], v[133:134], v[129:130]
	s_waitcnt vmcnt(19)
	v_fma_f64 v[149:150], v[151:152], v[135:136], v[129:130]
	ds_read2_b64 v[129:132], v128 offset0:99 offset1:100
	ds_read2_b64 v[133:136], v128 offset0:101 offset1:102
	s_waitcnt vmcnt(18) lgkmcnt(1)
	v_fma_f64 v[129:130], v[157:158], v[129:130], v[149:150]
	s_waitcnt vmcnt(17)
	v_fma_f64 v[129:130], v[155:156], v[131:132], v[129:130]
	buffer_load_dword v150, off, s[0:3], 0 offset:372
	buffer_load_dword v151, off, s[0:3], 0 offset:392
	;; [unrolled: 1-line block ×7, first 2 shown]
	s_waitcnt vmcnt(23) lgkmcnt(0)
	v_fma_f64 v[129:130], v[153:154], v[133:134], v[129:130]
	s_waitcnt vmcnt(18)
	v_fma_f64 v[137:138], v[137:138], v[135:136], v[129:130]
	ds_read2_b64 v[129:132], v128 offset0:103 offset1:104
	ds_read2_b64 v[133:136], v128 offset0:105 offset1:106
	buffer_load_dword v152, off, s[0:3], 0 offset:396
	s_waitcnt vmcnt(18) lgkmcnt(1)
	v_fma_f64 v[129:130], v[161:162], v[129:130], v[137:138]
	s_waitcnt vmcnt(17)
	v_fma_f64 v[129:130], v[159:160], v[131:132], v[129:130]
	buffer_load_dword v138, off, s[0:3], 0 offset:404
	buffer_load_dword v153, off, s[0:3], 0 offset:424
	buffer_load_dword v159, off, s[0:3], 0 offset:416
	buffer_load_dword v161, off, s[0:3], 0 offset:408
	buffer_load_dword v137, off, s[0:3], 0 offset:400
	buffer_load_dword v162, off, s[0:3], 0 offset:412
	buffer_load_dword v160, off, s[0:3], 0 offset:420
	buffer_load_dword v154, off, s[0:3], 0 offset:428
	s_waitcnt vmcnt(24) lgkmcnt(0)
	v_fma_f64 v[129:130], v[139:140], v[133:134], v[129:130]
	s_waitcnt vmcnt(19)
	v_fma_f64 v[139:140], v[141:142], v[135:136], v[129:130]
	ds_read2_b64 v[129:132], v128 offset0:107 offset1:108
	ds_read2_b64 v[133:136], v128 offset0:109 offset1:110
	s_waitcnt vmcnt(18) lgkmcnt(1)
	v_fma_f64 v[129:130], v[147:148], v[129:130], v[139:140]
	s_waitcnt vmcnt(17)
	v_fma_f64 v[129:130], v[145:146], v[131:132], v[129:130]
	buffer_load_dword v140, off, s[0:3], 0 offset:436
	buffer_load_dword v141, off, s[0:3], 0 offset:456
	;; [unrolled: 1-line block ×7, first 2 shown]
	s_waitcnt vmcnt(23) lgkmcnt(0)
	v_fma_f64 v[129:130], v[143:144], v[133:134], v[129:130]
	s_waitcnt vmcnt(18)
	v_fma_f64 v[142:143], v[149:150], v[135:136], v[129:130]
	ds_read2_b64 v[129:132], v128 offset0:111 offset1:112
	ds_read2_b64 v[133:136], v128 offset0:113 offset1:114
	s_waitcnt vmcnt(17) lgkmcnt(1)
	v_fma_f64 v[129:130], v[157:158], v[129:130], v[142:143]
	buffer_load_dword v142, off, s[0:3], 0 offset:460
	s_waitcnt vmcnt(17)
	v_fma_f64 v[129:130], v[155:156], v[131:132], v[129:130]
	buffer_load_dword v144, off, s[0:3], 0 offset:468
	buffer_load_dword v149, off, s[0:3], 0 offset:488
	;; [unrolled: 1-line block ×8, first 2 shown]
	s_waitcnt vmcnt(24) lgkmcnt(0)
	v_fma_f64 v[129:130], v[151:152], v[133:134], v[129:130]
	s_waitcnt vmcnt(19)
	v_fma_f64 v[137:138], v[137:138], v[135:136], v[129:130]
	ds_read2_b64 v[129:132], v128 offset0:115 offset1:116
	ds_read2_b64 v[133:136], v128 offset0:117 offset1:118
	s_waitcnt vmcnt(18) lgkmcnt(1)
	v_fma_f64 v[129:130], v[161:162], v[129:130], v[137:138]
	buffer_load_dword v138, off, s[0:3], 0 offset:500
	buffer_load_dword v137, off, s[0:3], 0 offset:496
	;; [unrolled: 1-line block ×4, first 2 shown]
	s_waitcnt vmcnt(21)
	v_fma_f64 v[129:130], v[159:160], v[131:132], v[129:130]
	s_waitcnt vmcnt(20) lgkmcnt(0)
	v_fma_f64 v[129:130], v[153:154], v[133:134], v[129:130]
	s_waitcnt vmcnt(15)
	v_fma_f64 v[139:140], v[139:140], v[135:136], v[129:130]
	ds_read2_b64 v[129:132], v128 offset0:119 offset1:120
	ds_read2_b64 v[133:136], v128 offset0:121 offset1:122
	s_waitcnt vmcnt(14) lgkmcnt(1)
	v_fma_f64 v[129:130], v[147:148], v[129:130], v[139:140]
	s_waitcnt vmcnt(13)
	v_fma_f64 v[129:130], v[145:146], v[131:132], v[129:130]
	s_waitcnt vmcnt(12) lgkmcnt(0)
	v_fma_f64 v[129:130], v[141:142], v[133:134], v[129:130]
	s_waitcnt vmcnt(7)
	v_fma_f64 v[139:140], v[143:144], v[135:136], v[129:130]
	ds_read2_b64 v[129:132], v128 offset0:123 offset1:124
	ds_read2_b64 v[133:136], v128 offset0:125 offset1:126
	s_waitcnt vmcnt(6) lgkmcnt(1)
	v_fma_f64 v[128:129], v[157:158], v[129:130], v[139:140]
	s_waitcnt vmcnt(5)
	v_fma_f64 v[128:129], v[155:156], v[131:132], v[128:129]
	s_waitcnt vmcnt(4) lgkmcnt(0)
	v_fma_f64 v[128:129], v[149:150], v[133:134], v[128:129]
	s_waitcnt vmcnt(2)
	v_fma_f64 v[128:129], v[137:138], v[135:136], v[128:129]
	s_waitcnt vmcnt(0)
	v_add_f64 v[128:129], v[151:152], -v[128:129]
	buffer_store_dword v129, off, s[0:3], 0 offset:212
	buffer_store_dword v128, off, s[0:3], 0 offset:208
	s_and_saveexec_b64 s[4:5], vcc
	s_cbranch_execz .LBB126_335
; %bb.334:
	buffer_load_dword v128, off, s[0:3], 0 offset:200
	buffer_load_dword v129, off, s[0:3], 0 offset:204
	v_mov_b32_e32 v130, 0
	buffer_store_dword v130, off, s[0:3], 0 offset:200
	buffer_store_dword v130, off, s[0:3], 0 offset:204
	s_waitcnt vmcnt(2)
	ds_write_b64 v127, v[128:129]
.LBB126_335:
	s_or_b64 exec, exec, s[4:5]
	s_waitcnt lgkmcnt(0)
	; wave barrier
	buffer_load_dword v137, off, s[0:3], 0 offset:208
	buffer_load_dword v138, off, s[0:3], 0 offset:212
	;; [unrolled: 1-line block ×21, first 2 shown]
	v_mov_b32_e32 v128, 0
	ds_read_b128 v[129:132], v128 offset:720
	ds_read_b128 v[133:136], v128 offset:736
	buffer_load_dword v154, off, s[0:3], 0 offset:292
	v_cmp_lt_u32_e32 vcc, 24, v0
	s_waitcnt vmcnt(20) lgkmcnt(1)
	v_fma_f64 v[129:130], v[137:138], v[129:130], 0
	s_waitcnt vmcnt(18)
	v_fma_f64 v[129:130], v[139:140], v[131:132], v[129:130]
	buffer_load_dword v138, off, s[0:3], 0 offset:300
	buffer_load_dword v139, off, s[0:3], 0 offset:320
	;; [unrolled: 1-line block ×7, first 2 shown]
	s_waitcnt vmcnt(23) lgkmcnt(0)
	v_fma_f64 v[129:130], v[141:142], v[133:134], v[129:130]
	s_waitcnt vmcnt(21)
	v_fma_f64 v[140:141], v[143:144], v[135:136], v[129:130]
	ds_read_b128 v[129:132], v128 offset:752
	ds_read_b128 v[133:136], v128 offset:768
	s_waitcnt vmcnt(19) lgkmcnt(1)
	v_fma_f64 v[129:130], v[145:146], v[129:130], v[140:141]
	buffer_load_dword v140, off, s[0:3], 0 offset:324
	s_waitcnt vmcnt(18)
	v_fma_f64 v[129:130], v[147:148], v[131:132], v[129:130]
	buffer_load_dword v142, off, s[0:3], 0 offset:332
	buffer_load_dword v143, off, s[0:3], 0 offset:352
	buffer_load_dword v145, off, s[0:3], 0 offset:344
	buffer_load_dword v147, off, s[0:3], 0 offset:336
	buffer_load_dword v141, off, s[0:3], 0 offset:328
	buffer_load_dword v148, off, s[0:3], 0 offset:340
	buffer_load_dword v146, off, s[0:3], 0 offset:348
	buffer_load_dword v144, off, s[0:3], 0 offset:356
	s_waitcnt vmcnt(24) lgkmcnt(0)
	v_fma_f64 v[129:130], v[149:150], v[133:134], v[129:130]
	s_waitcnt vmcnt(19)
	v_fma_f64 v[149:150], v[151:152], v[135:136], v[129:130]
	ds_read_b128 v[129:132], v128 offset:784
	ds_read_b128 v[133:136], v128 offset:800
	s_waitcnt vmcnt(18) lgkmcnt(1)
	v_fma_f64 v[129:130], v[157:158], v[129:130], v[149:150]
	s_waitcnt vmcnt(17)
	v_fma_f64 v[129:130], v[155:156], v[131:132], v[129:130]
	buffer_load_dword v150, off, s[0:3], 0 offset:364
	buffer_load_dword v151, off, s[0:3], 0 offset:384
	;; [unrolled: 1-line block ×7, first 2 shown]
	s_waitcnt vmcnt(23) lgkmcnt(0)
	v_fma_f64 v[129:130], v[153:154], v[133:134], v[129:130]
	s_waitcnt vmcnt(18)
	v_fma_f64 v[137:138], v[137:138], v[135:136], v[129:130]
	ds_read_b128 v[129:132], v128 offset:816
	ds_read_b128 v[133:136], v128 offset:832
	buffer_load_dword v152, off, s[0:3], 0 offset:388
	s_waitcnt vmcnt(18) lgkmcnt(1)
	v_fma_f64 v[129:130], v[161:162], v[129:130], v[137:138]
	s_waitcnt vmcnt(17)
	v_fma_f64 v[129:130], v[159:160], v[131:132], v[129:130]
	buffer_load_dword v138, off, s[0:3], 0 offset:396
	buffer_load_dword v153, off, s[0:3], 0 offset:416
	;; [unrolled: 1-line block ×7, first 2 shown]
	s_waitcnt vmcnt(23) lgkmcnt(0)
	v_fma_f64 v[129:130], v[139:140], v[133:134], v[129:130]
	s_waitcnt vmcnt(18)
	v_fma_f64 v[139:140], v[141:142], v[135:136], v[129:130]
	ds_read_b128 v[129:132], v128 offset:848
	ds_read_b128 v[133:136], v128 offset:864
	buffer_load_dword v154, off, s[0:3], 0 offset:420
	s_waitcnt vmcnt(18) lgkmcnt(1)
	v_fma_f64 v[129:130], v[147:148], v[129:130], v[139:140]
	s_waitcnt vmcnt(17)
	v_fma_f64 v[129:130], v[145:146], v[131:132], v[129:130]
	buffer_load_dword v140, off, s[0:3], 0 offset:428
	buffer_load_dword v141, off, s[0:3], 0 offset:448
	;; [unrolled: 1-line block ×7, first 2 shown]
	s_waitcnt vmcnt(23) lgkmcnt(0)
	v_fma_f64 v[129:130], v[143:144], v[133:134], v[129:130]
	s_waitcnt vmcnt(18)
	v_fma_f64 v[142:143], v[149:150], v[135:136], v[129:130]
	ds_read_b128 v[129:132], v128 offset:880
	ds_read_b128 v[133:136], v128 offset:896
	s_waitcnt vmcnt(17) lgkmcnt(1)
	v_fma_f64 v[129:130], v[157:158], v[129:130], v[142:143]
	buffer_load_dword v142, off, s[0:3], 0 offset:452
	s_waitcnt vmcnt(17)
	v_fma_f64 v[129:130], v[155:156], v[131:132], v[129:130]
	buffer_load_dword v144, off, s[0:3], 0 offset:460
	buffer_load_dword v149, off, s[0:3], 0 offset:480
	;; [unrolled: 1-line block ×7, first 2 shown]
	s_waitcnt vmcnt(23) lgkmcnt(0)
	v_fma_f64 v[129:130], v[151:152], v[133:134], v[129:130]
	s_waitcnt vmcnt(18)
	v_fma_f64 v[137:138], v[137:138], v[135:136], v[129:130]
	ds_read_b128 v[129:132], v128 offset:912
	ds_read_b128 v[133:136], v128 offset:928
	buffer_load_dword v150, off, s[0:3], 0 offset:484
	s_waitcnt vmcnt(18) lgkmcnt(1)
	v_fma_f64 v[129:130], v[161:162], v[129:130], v[137:138]
	buffer_load_dword v138, off, s[0:3], 0 offset:492
	buffer_load_dword v151, off, s[0:3], 0 offset:496
	;; [unrolled: 1-line block ×4, first 2 shown]
	s_waitcnt vmcnt(21)
	v_fma_f64 v[129:130], v[159:160], v[131:132], v[129:130]
	s_waitcnt vmcnt(20) lgkmcnt(0)
	v_fma_f64 v[129:130], v[153:154], v[133:134], v[129:130]
	buffer_load_dword v153, off, s[0:3], 0 offset:200
	buffer_load_dword v154, off, s[0:3], 0 offset:204
	s_waitcnt vmcnt(17)
	v_fma_f64 v[139:140], v[139:140], v[135:136], v[129:130]
	ds_read_b128 v[129:132], v128 offset:944
	ds_read_b128 v[133:136], v128 offset:960
	s_waitcnt vmcnt(16) lgkmcnt(1)
	v_fma_f64 v[129:130], v[147:148], v[129:130], v[139:140]
	s_waitcnt vmcnt(15)
	v_fma_f64 v[129:130], v[145:146], v[131:132], v[129:130]
	s_waitcnt vmcnt(14) lgkmcnt(0)
	v_fma_f64 v[129:130], v[141:142], v[133:134], v[129:130]
	s_waitcnt vmcnt(9)
	v_fma_f64 v[139:140], v[143:144], v[135:136], v[129:130]
	ds_read_b128 v[129:132], v128 offset:976
	ds_read_b128 v[133:136], v128 offset:992
	s_waitcnt vmcnt(8) lgkmcnt(1)
	v_fma_f64 v[129:130], v[157:158], v[129:130], v[139:140]
	s_waitcnt vmcnt(7)
	v_fma_f64 v[129:130], v[155:156], v[131:132], v[129:130]
	ds_read_b64 v[131:132], v128 offset:1008
	s_waitcnt vmcnt(6) lgkmcnt(1)
	v_fma_f64 v[129:130], v[149:150], v[133:134], v[129:130]
	s_waitcnt vmcnt(3)
	v_fma_f64 v[129:130], v[137:138], v[135:136], v[129:130]
	s_waitcnt vmcnt(2) lgkmcnt(0)
	v_fma_f64 v[129:130], v[151:152], v[131:132], v[129:130]
	s_waitcnt vmcnt(0)
	v_add_f64 v[129:130], v[153:154], -v[129:130]
	buffer_store_dword v130, off, s[0:3], 0 offset:204
	buffer_store_dword v129, off, s[0:3], 0 offset:200
	s_and_saveexec_b64 s[4:5], vcc
	s_cbranch_execz .LBB126_337
; %bb.336:
	buffer_load_dword v129, off, s[0:3], 0 offset:192
	buffer_load_dword v130, off, s[0:3], 0 offset:196
	s_waitcnt vmcnt(0)
	ds_write_b64 v127, v[129:130]
	buffer_store_dword v128, off, s[0:3], 0 offset:192
	buffer_store_dword v128, off, s[0:3], 0 offset:196
.LBB126_337:
	s_or_b64 exec, exec, s[4:5]
	s_waitcnt lgkmcnt(0)
	; wave barrier
	buffer_load_dword v137, off, s[0:3], 0 offset:200
	buffer_load_dword v138, off, s[0:3], 0 offset:204
	;; [unrolled: 1-line block ×22, first 2 shown]
	ds_read2_b64 v[129:132], v128 offset0:89 offset1:90
	ds_read2_b64 v[133:136], v128 offset0:91 offset1:92
	v_cmp_lt_u32_e32 vcc, 23, v0
	s_waitcnt vmcnt(20) lgkmcnt(1)
	v_fma_f64 v[129:130], v[137:138], v[129:130], 0
	s_waitcnt vmcnt(18)
	v_fma_f64 v[129:130], v[139:140], v[131:132], v[129:130]
	buffer_load_dword v138, off, s[0:3], 0 offset:292
	buffer_load_dword v139, off, s[0:3], 0 offset:312
	;; [unrolled: 1-line block ×7, first 2 shown]
	s_waitcnt vmcnt(23) lgkmcnt(0)
	v_fma_f64 v[129:130], v[141:142], v[133:134], v[129:130]
	s_waitcnt vmcnt(21)
	v_fma_f64 v[140:141], v[143:144], v[135:136], v[129:130]
	ds_read2_b64 v[129:132], v128 offset0:93 offset1:94
	ds_read2_b64 v[133:136], v128 offset0:95 offset1:96
	s_waitcnt vmcnt(19) lgkmcnt(1)
	v_fma_f64 v[129:130], v[145:146], v[129:130], v[140:141]
	buffer_load_dword v140, off, s[0:3], 0 offset:316
	s_waitcnt vmcnt(18)
	v_fma_f64 v[129:130], v[147:148], v[131:132], v[129:130]
	buffer_load_dword v142, off, s[0:3], 0 offset:324
	buffer_load_dword v143, off, s[0:3], 0 offset:344
	;; [unrolled: 1-line block ×8, first 2 shown]
	s_waitcnt vmcnt(24) lgkmcnt(0)
	v_fma_f64 v[129:130], v[149:150], v[133:134], v[129:130]
	s_waitcnt vmcnt(19)
	v_fma_f64 v[149:150], v[151:152], v[135:136], v[129:130]
	ds_read2_b64 v[129:132], v128 offset0:97 offset1:98
	ds_read2_b64 v[133:136], v128 offset0:99 offset1:100
	s_waitcnt vmcnt(18) lgkmcnt(1)
	v_fma_f64 v[129:130], v[157:158], v[129:130], v[149:150]
	s_waitcnt vmcnt(17)
	v_fma_f64 v[129:130], v[155:156], v[131:132], v[129:130]
	buffer_load_dword v150, off, s[0:3], 0 offset:356
	buffer_load_dword v151, off, s[0:3], 0 offset:376
	;; [unrolled: 1-line block ×8, first 2 shown]
	s_waitcnt vmcnt(24) lgkmcnt(0)
	v_fma_f64 v[129:130], v[153:154], v[133:134], v[129:130]
	s_waitcnt vmcnt(19)
	v_fma_f64 v[137:138], v[137:138], v[135:136], v[129:130]
	ds_read2_b64 v[129:132], v128 offset0:101 offset1:102
	ds_read2_b64 v[133:136], v128 offset0:103 offset1:104
	s_waitcnt vmcnt(18) lgkmcnt(1)
	v_fma_f64 v[129:130], v[161:162], v[129:130], v[137:138]
	s_waitcnt vmcnt(17)
	v_fma_f64 v[129:130], v[159:160], v[131:132], v[129:130]
	buffer_load_dword v138, off, s[0:3], 0 offset:388
	buffer_load_dword v153, off, s[0:3], 0 offset:408
	;; [unrolled: 1-line block ×7, first 2 shown]
	s_waitcnt vmcnt(23) lgkmcnt(0)
	v_fma_f64 v[129:130], v[139:140], v[133:134], v[129:130]
	s_waitcnt vmcnt(18)
	v_fma_f64 v[139:140], v[141:142], v[135:136], v[129:130]
	ds_read2_b64 v[129:132], v128 offset0:105 offset1:106
	ds_read2_b64 v[133:136], v128 offset0:107 offset1:108
	buffer_load_dword v154, off, s[0:3], 0 offset:412
	s_waitcnt vmcnt(18) lgkmcnt(1)
	v_fma_f64 v[129:130], v[147:148], v[129:130], v[139:140]
	s_waitcnt vmcnt(17)
	v_fma_f64 v[129:130], v[145:146], v[131:132], v[129:130]
	buffer_load_dword v140, off, s[0:3], 0 offset:420
	buffer_load_dword v141, off, s[0:3], 0 offset:440
	;; [unrolled: 1-line block ×7, first 2 shown]
	s_waitcnt vmcnt(23) lgkmcnt(0)
	v_fma_f64 v[129:130], v[143:144], v[133:134], v[129:130]
	s_waitcnt vmcnt(18)
	v_fma_f64 v[142:143], v[149:150], v[135:136], v[129:130]
	ds_read2_b64 v[129:132], v128 offset0:109 offset1:110
	ds_read2_b64 v[133:136], v128 offset0:111 offset1:112
	s_waitcnt vmcnt(17) lgkmcnt(1)
	v_fma_f64 v[129:130], v[157:158], v[129:130], v[142:143]
	buffer_load_dword v142, off, s[0:3], 0 offset:444
	s_waitcnt vmcnt(17)
	v_fma_f64 v[129:130], v[155:156], v[131:132], v[129:130]
	buffer_load_dword v144, off, s[0:3], 0 offset:452
	buffer_load_dword v149, off, s[0:3], 0 offset:472
	;; [unrolled: 1-line block ×8, first 2 shown]
	s_waitcnt vmcnt(24) lgkmcnt(0)
	v_fma_f64 v[129:130], v[151:152], v[133:134], v[129:130]
	s_waitcnt vmcnt(19)
	v_fma_f64 v[137:138], v[137:138], v[135:136], v[129:130]
	ds_read2_b64 v[129:132], v128 offset0:113 offset1:114
	ds_read2_b64 v[133:136], v128 offset0:115 offset1:116
	s_waitcnt vmcnt(18) lgkmcnt(1)
	v_fma_f64 v[129:130], v[161:162], v[129:130], v[137:138]
	s_waitcnt vmcnt(17)
	v_fma_f64 v[129:130], v[159:160], v[131:132], v[129:130]
	buffer_load_dword v138, off, s[0:3], 0 offset:484
	buffer_load_dword v151, off, s[0:3], 0 offset:496
	;; [unrolled: 1-line block ×6, first 2 shown]
	s_waitcnt vmcnt(22) lgkmcnt(0)
	v_fma_f64 v[129:130], v[153:154], v[133:134], v[129:130]
	s_waitcnt vmcnt(17)
	v_fma_f64 v[139:140], v[139:140], v[135:136], v[129:130]
	ds_read2_b64 v[129:132], v128 offset0:117 offset1:118
	buffer_load_dword v153, off, s[0:3], 0 offset:192
	buffer_load_dword v154, off, s[0:3], 0 offset:196
	ds_read2_b64 v[133:136], v128 offset0:119 offset1:120
	s_waitcnt vmcnt(18) lgkmcnt(1)
	v_fma_f64 v[129:130], v[147:148], v[129:130], v[139:140]
	s_waitcnt vmcnt(17)
	v_fma_f64 v[129:130], v[145:146], v[131:132], v[129:130]
	s_waitcnt vmcnt(16) lgkmcnt(0)
	v_fma_f64 v[129:130], v[141:142], v[133:134], v[129:130]
	s_waitcnt vmcnt(11)
	v_fma_f64 v[139:140], v[143:144], v[135:136], v[129:130]
	ds_read2_b64 v[129:132], v128 offset0:121 offset1:122
	ds_read2_b64 v[133:136], v128 offset0:123 offset1:124
	s_waitcnt vmcnt(10) lgkmcnt(1)
	v_fma_f64 v[129:130], v[157:158], v[129:130], v[139:140]
	s_waitcnt vmcnt(9)
	v_fma_f64 v[129:130], v[155:156], v[131:132], v[129:130]
	s_waitcnt vmcnt(8) lgkmcnt(0)
	v_fma_f64 v[129:130], v[149:150], v[133:134], v[129:130]
	s_waitcnt vmcnt(4)
	v_fma_f64 v[132:133], v[137:138], v[135:136], v[129:130]
	ds_read2_b64 v[128:131], v128 offset0:125 offset1:126
	s_waitcnt vmcnt(3) lgkmcnt(0)
	v_fma_f64 v[128:129], v[159:160], v[128:129], v[132:133]
	s_waitcnt vmcnt(2)
	v_fma_f64 v[128:129], v[151:152], v[130:131], v[128:129]
	s_waitcnt vmcnt(0)
	v_add_f64 v[128:129], v[153:154], -v[128:129]
	buffer_store_dword v129, off, s[0:3], 0 offset:196
	buffer_store_dword v128, off, s[0:3], 0 offset:192
	s_and_saveexec_b64 s[4:5], vcc
	s_cbranch_execz .LBB126_339
; %bb.338:
	buffer_load_dword v128, off, s[0:3], 0 offset:184
	buffer_load_dword v129, off, s[0:3], 0 offset:188
	v_mov_b32_e32 v130, 0
	buffer_store_dword v130, off, s[0:3], 0 offset:184
	buffer_store_dword v130, off, s[0:3], 0 offset:188
	s_waitcnt vmcnt(2)
	ds_write_b64 v127, v[128:129]
.LBB126_339:
	s_or_b64 exec, exec, s[4:5]
	s_waitcnt lgkmcnt(0)
	; wave barrier
	buffer_load_dword v137, off, s[0:3], 0 offset:192
	buffer_load_dword v138, off, s[0:3], 0 offset:196
	;; [unrolled: 1-line block ×22, first 2 shown]
	v_mov_b32_e32 v128, 0
	ds_read_b128 v[129:132], v128 offset:704
	ds_read_b128 v[133:136], v128 offset:720
	v_cmp_lt_u32_e32 vcc, 22, v0
	s_waitcnt vmcnt(20) lgkmcnt(1)
	v_fma_f64 v[129:130], v[137:138], v[129:130], 0
	s_waitcnt vmcnt(18)
	v_fma_f64 v[129:130], v[139:140], v[131:132], v[129:130]
	buffer_load_dword v138, off, s[0:3], 0 offset:284
	buffer_load_dword v139, off, s[0:3], 0 offset:304
	buffer_load_dword v159, off, s[0:3], 0 offset:296
	buffer_load_dword v161, off, s[0:3], 0 offset:288
	buffer_load_dword v137, off, s[0:3], 0 offset:280
	buffer_load_dword v162, off, s[0:3], 0 offset:292
	buffer_load_dword v160, off, s[0:3], 0 offset:300
	s_waitcnt vmcnt(23) lgkmcnt(0)
	v_fma_f64 v[129:130], v[141:142], v[133:134], v[129:130]
	s_waitcnt vmcnt(21)
	v_fma_f64 v[140:141], v[143:144], v[135:136], v[129:130]
	ds_read_b128 v[129:132], v128 offset:736
	ds_read_b128 v[133:136], v128 offset:752
	s_waitcnt vmcnt(19) lgkmcnt(1)
	v_fma_f64 v[129:130], v[145:146], v[129:130], v[140:141]
	buffer_load_dword v140, off, s[0:3], 0 offset:308
	s_waitcnt vmcnt(18)
	v_fma_f64 v[129:130], v[147:148], v[131:132], v[129:130]
	buffer_load_dword v142, off, s[0:3], 0 offset:316
	buffer_load_dword v143, off, s[0:3], 0 offset:336
	;; [unrolled: 1-line block ×8, first 2 shown]
	s_waitcnt vmcnt(24) lgkmcnt(0)
	v_fma_f64 v[129:130], v[149:150], v[133:134], v[129:130]
	s_waitcnt vmcnt(19)
	v_fma_f64 v[149:150], v[151:152], v[135:136], v[129:130]
	ds_read_b128 v[129:132], v128 offset:768
	ds_read_b128 v[133:136], v128 offset:784
	s_waitcnt vmcnt(18) lgkmcnt(1)
	v_fma_f64 v[129:130], v[157:158], v[129:130], v[149:150]
	s_waitcnt vmcnt(17)
	v_fma_f64 v[129:130], v[155:156], v[131:132], v[129:130]
	buffer_load_dword v150, off, s[0:3], 0 offset:348
	buffer_load_dword v151, off, s[0:3], 0 offset:368
	;; [unrolled: 1-line block ×8, first 2 shown]
	s_waitcnt vmcnt(24) lgkmcnt(0)
	v_fma_f64 v[129:130], v[153:154], v[133:134], v[129:130]
	s_waitcnt vmcnt(19)
	v_fma_f64 v[137:138], v[137:138], v[135:136], v[129:130]
	ds_read_b128 v[129:132], v128 offset:800
	ds_read_b128 v[133:136], v128 offset:816
	s_waitcnt vmcnt(18) lgkmcnt(1)
	v_fma_f64 v[129:130], v[161:162], v[129:130], v[137:138]
	s_waitcnt vmcnt(17)
	v_fma_f64 v[129:130], v[159:160], v[131:132], v[129:130]
	buffer_load_dword v138, off, s[0:3], 0 offset:380
	buffer_load_dword v153, off, s[0:3], 0 offset:400
	;; [unrolled: 1-line block ×7, first 2 shown]
	s_waitcnt vmcnt(23) lgkmcnt(0)
	v_fma_f64 v[129:130], v[139:140], v[133:134], v[129:130]
	s_waitcnt vmcnt(18)
	v_fma_f64 v[139:140], v[141:142], v[135:136], v[129:130]
	ds_read_b128 v[129:132], v128 offset:832
	ds_read_b128 v[133:136], v128 offset:848
	buffer_load_dword v154, off, s[0:3], 0 offset:404
	s_waitcnt vmcnt(18) lgkmcnt(1)
	v_fma_f64 v[129:130], v[147:148], v[129:130], v[139:140]
	s_waitcnt vmcnt(17)
	v_fma_f64 v[129:130], v[145:146], v[131:132], v[129:130]
	buffer_load_dword v140, off, s[0:3], 0 offset:412
	buffer_load_dword v141, off, s[0:3], 0 offset:432
	;; [unrolled: 1-line block ×7, first 2 shown]
	s_waitcnt vmcnt(23) lgkmcnt(0)
	v_fma_f64 v[129:130], v[143:144], v[133:134], v[129:130]
	s_waitcnt vmcnt(18)
	v_fma_f64 v[142:143], v[149:150], v[135:136], v[129:130]
	ds_read_b128 v[129:132], v128 offset:864
	ds_read_b128 v[133:136], v128 offset:880
	s_waitcnt vmcnt(17) lgkmcnt(1)
	v_fma_f64 v[129:130], v[157:158], v[129:130], v[142:143]
	buffer_load_dword v142, off, s[0:3], 0 offset:436
	s_waitcnt vmcnt(17)
	v_fma_f64 v[129:130], v[155:156], v[131:132], v[129:130]
	buffer_load_dword v144, off, s[0:3], 0 offset:444
	buffer_load_dword v149, off, s[0:3], 0 offset:464
	;; [unrolled: 1-line block ×8, first 2 shown]
	s_waitcnt vmcnt(24) lgkmcnt(0)
	v_fma_f64 v[129:130], v[151:152], v[133:134], v[129:130]
	s_waitcnt vmcnt(19)
	v_fma_f64 v[137:138], v[137:138], v[135:136], v[129:130]
	ds_read_b128 v[129:132], v128 offset:896
	ds_read_b128 v[133:136], v128 offset:912
	s_waitcnt vmcnt(18) lgkmcnt(1)
	v_fma_f64 v[129:130], v[161:162], v[129:130], v[137:138]
	s_waitcnt vmcnt(17)
	v_fma_f64 v[129:130], v[159:160], v[131:132], v[129:130]
	buffer_load_dword v138, off, s[0:3], 0 offset:476
	buffer_load_dword v151, off, s[0:3], 0 offset:496
	buffer_load_dword v159, off, s[0:3], 0 offset:488
	buffer_load_dword v161, off, s[0:3], 0 offset:480
	buffer_load_dword v137, off, s[0:3], 0 offset:472
	buffer_load_dword v162, off, s[0:3], 0 offset:484
	buffer_load_dword v160, off, s[0:3], 0 offset:492
	buffer_load_dword v152, off, s[0:3], 0 offset:500
	s_waitcnt vmcnt(24) lgkmcnt(0)
	v_fma_f64 v[129:130], v[153:154], v[133:134], v[129:130]
	s_waitcnt vmcnt(19)
	v_fma_f64 v[139:140], v[139:140], v[135:136], v[129:130]
	ds_read_b128 v[129:132], v128 offset:928
	ds_read_b128 v[133:136], v128 offset:944
	s_waitcnt vmcnt(18) lgkmcnt(1)
	v_fma_f64 v[129:130], v[147:148], v[129:130], v[139:140]
	buffer_load_dword v139, off, s[0:3], 0 offset:184
	buffer_load_dword v140, off, s[0:3], 0 offset:188
	s_waitcnt vmcnt(19)
	v_fma_f64 v[129:130], v[145:146], v[131:132], v[129:130]
	s_waitcnt vmcnt(18) lgkmcnt(0)
	v_fma_f64 v[129:130], v[141:142], v[133:134], v[129:130]
	s_waitcnt vmcnt(13)
	v_fma_f64 v[141:142], v[143:144], v[135:136], v[129:130]
	ds_read_b128 v[129:132], v128 offset:960
	ds_read_b128 v[133:136], v128 offset:976
	s_waitcnt vmcnt(12) lgkmcnt(1)
	v_fma_f64 v[129:130], v[157:158], v[129:130], v[141:142]
	s_waitcnt vmcnt(11)
	v_fma_f64 v[129:130], v[155:156], v[131:132], v[129:130]
	s_waitcnt vmcnt(10) lgkmcnt(0)
	v_fma_f64 v[129:130], v[149:150], v[133:134], v[129:130]
	s_waitcnt vmcnt(5)
	v_fma_f64 v[133:134], v[137:138], v[135:136], v[129:130]
	ds_read_b128 v[129:132], v128 offset:992
	ds_read_b64 v[135:136], v128 offset:1008
	s_waitcnt vmcnt(4) lgkmcnt(1)
	v_fma_f64 v[129:130], v[161:162], v[129:130], v[133:134]
	s_waitcnt vmcnt(3)
	v_fma_f64 v[129:130], v[159:160], v[131:132], v[129:130]
	s_waitcnt vmcnt(2) lgkmcnt(0)
	v_fma_f64 v[129:130], v[151:152], v[135:136], v[129:130]
	s_waitcnt vmcnt(0)
	v_add_f64 v[129:130], v[139:140], -v[129:130]
	buffer_store_dword v130, off, s[0:3], 0 offset:188
	buffer_store_dword v129, off, s[0:3], 0 offset:184
	s_and_saveexec_b64 s[4:5], vcc
	s_cbranch_execz .LBB126_341
; %bb.340:
	buffer_load_dword v129, off, s[0:3], 0 offset:176
	buffer_load_dword v130, off, s[0:3], 0 offset:180
	s_waitcnt vmcnt(0)
	ds_write_b64 v127, v[129:130]
	buffer_store_dword v128, off, s[0:3], 0 offset:176
	buffer_store_dword v128, off, s[0:3], 0 offset:180
.LBB126_341:
	s_or_b64 exec, exec, s[4:5]
	s_waitcnt lgkmcnt(0)
	; wave barrier
	buffer_load_dword v137, off, s[0:3], 0 offset:184
	buffer_load_dword v138, off, s[0:3], 0 offset:188
	;; [unrolled: 1-line block ×22, first 2 shown]
	ds_read2_b64 v[129:132], v128 offset0:87 offset1:88
	ds_read2_b64 v[133:136], v128 offset0:89 offset1:90
	v_cmp_lt_u32_e32 vcc, 21, v0
	s_waitcnt vmcnt(20) lgkmcnt(1)
	v_fma_f64 v[129:130], v[137:138], v[129:130], 0
	s_waitcnt vmcnt(18)
	v_fma_f64 v[129:130], v[139:140], v[131:132], v[129:130]
	buffer_load_dword v138, off, s[0:3], 0 offset:276
	buffer_load_dword v139, off, s[0:3], 0 offset:296
	;; [unrolled: 1-line block ×7, first 2 shown]
	s_waitcnt vmcnt(23) lgkmcnt(0)
	v_fma_f64 v[129:130], v[141:142], v[133:134], v[129:130]
	s_waitcnt vmcnt(21)
	v_fma_f64 v[140:141], v[143:144], v[135:136], v[129:130]
	ds_read2_b64 v[129:132], v128 offset0:91 offset1:92
	ds_read2_b64 v[133:136], v128 offset0:93 offset1:94
	s_waitcnt vmcnt(19) lgkmcnt(1)
	v_fma_f64 v[129:130], v[145:146], v[129:130], v[140:141]
	buffer_load_dword v140, off, s[0:3], 0 offset:300
	s_waitcnt vmcnt(18)
	v_fma_f64 v[129:130], v[147:148], v[131:132], v[129:130]
	buffer_load_dword v142, off, s[0:3], 0 offset:308
	buffer_load_dword v143, off, s[0:3], 0 offset:328
	;; [unrolled: 1-line block ×8, first 2 shown]
	s_waitcnt vmcnt(24) lgkmcnt(0)
	v_fma_f64 v[129:130], v[149:150], v[133:134], v[129:130]
	s_waitcnt vmcnt(19)
	v_fma_f64 v[149:150], v[151:152], v[135:136], v[129:130]
	ds_read2_b64 v[129:132], v128 offset0:95 offset1:96
	ds_read2_b64 v[133:136], v128 offset0:97 offset1:98
	s_waitcnt vmcnt(18) lgkmcnt(1)
	v_fma_f64 v[129:130], v[157:158], v[129:130], v[149:150]
	s_waitcnt vmcnt(17)
	v_fma_f64 v[129:130], v[155:156], v[131:132], v[129:130]
	buffer_load_dword v150, off, s[0:3], 0 offset:340
	buffer_load_dword v151, off, s[0:3], 0 offset:360
	;; [unrolled: 1-line block ×8, first 2 shown]
	s_waitcnt vmcnt(24) lgkmcnt(0)
	v_fma_f64 v[129:130], v[153:154], v[133:134], v[129:130]
	s_waitcnt vmcnt(19)
	v_fma_f64 v[137:138], v[137:138], v[135:136], v[129:130]
	ds_read2_b64 v[129:132], v128 offset0:99 offset1:100
	ds_read2_b64 v[133:136], v128 offset0:101 offset1:102
	s_waitcnt vmcnt(18) lgkmcnt(1)
	v_fma_f64 v[129:130], v[161:162], v[129:130], v[137:138]
	s_waitcnt vmcnt(17)
	v_fma_f64 v[129:130], v[159:160], v[131:132], v[129:130]
	buffer_load_dword v138, off, s[0:3], 0 offset:372
	buffer_load_dword v153, off, s[0:3], 0 offset:392
	;; [unrolled: 1-line block ×7, first 2 shown]
	s_waitcnt vmcnt(23) lgkmcnt(0)
	v_fma_f64 v[129:130], v[139:140], v[133:134], v[129:130]
	s_waitcnt vmcnt(18)
	v_fma_f64 v[139:140], v[141:142], v[135:136], v[129:130]
	ds_read2_b64 v[129:132], v128 offset0:103 offset1:104
	ds_read2_b64 v[133:136], v128 offset0:105 offset1:106
	buffer_load_dword v154, off, s[0:3], 0 offset:396
	s_waitcnt vmcnt(18) lgkmcnt(1)
	v_fma_f64 v[129:130], v[147:148], v[129:130], v[139:140]
	s_waitcnt vmcnt(17)
	v_fma_f64 v[129:130], v[145:146], v[131:132], v[129:130]
	buffer_load_dword v140, off, s[0:3], 0 offset:404
	buffer_load_dword v141, off, s[0:3], 0 offset:424
	;; [unrolled: 1-line block ×7, first 2 shown]
	s_waitcnt vmcnt(23) lgkmcnt(0)
	v_fma_f64 v[129:130], v[143:144], v[133:134], v[129:130]
	s_waitcnt vmcnt(18)
	v_fma_f64 v[142:143], v[149:150], v[135:136], v[129:130]
	ds_read2_b64 v[129:132], v128 offset0:107 offset1:108
	ds_read2_b64 v[133:136], v128 offset0:109 offset1:110
	s_waitcnt vmcnt(17) lgkmcnt(1)
	v_fma_f64 v[129:130], v[157:158], v[129:130], v[142:143]
	buffer_load_dword v142, off, s[0:3], 0 offset:428
	s_waitcnt vmcnt(17)
	v_fma_f64 v[129:130], v[155:156], v[131:132], v[129:130]
	buffer_load_dword v144, off, s[0:3], 0 offset:436
	buffer_load_dword v149, off, s[0:3], 0 offset:456
	;; [unrolled: 1-line block ×8, first 2 shown]
	s_waitcnt vmcnt(24) lgkmcnt(0)
	v_fma_f64 v[129:130], v[151:152], v[133:134], v[129:130]
	s_waitcnt vmcnt(19)
	v_fma_f64 v[137:138], v[137:138], v[135:136], v[129:130]
	ds_read2_b64 v[129:132], v128 offset0:111 offset1:112
	ds_read2_b64 v[133:136], v128 offset0:113 offset1:114
	s_waitcnt vmcnt(18) lgkmcnt(1)
	v_fma_f64 v[129:130], v[161:162], v[129:130], v[137:138]
	s_waitcnt vmcnt(17)
	v_fma_f64 v[129:130], v[159:160], v[131:132], v[129:130]
	buffer_load_dword v138, off, s[0:3], 0 offset:468
	buffer_load_dword v151, off, s[0:3], 0 offset:488
	buffer_load_dword v159, off, s[0:3], 0 offset:480
	buffer_load_dword v161, off, s[0:3], 0 offset:472
	buffer_load_dword v137, off, s[0:3], 0 offset:464
	buffer_load_dword v162, off, s[0:3], 0 offset:476
	buffer_load_dword v160, off, s[0:3], 0 offset:484
	buffer_load_dword v152, off, s[0:3], 0 offset:492
	s_waitcnt vmcnt(24) lgkmcnt(0)
	v_fma_f64 v[129:130], v[153:154], v[133:134], v[129:130]
	s_waitcnt vmcnt(19)
	v_fma_f64 v[139:140], v[139:140], v[135:136], v[129:130]
	ds_read2_b64 v[129:132], v128 offset0:115 offset1:116
	ds_read2_b64 v[133:136], v128 offset0:117 offset1:118
	s_waitcnt vmcnt(18) lgkmcnt(1)
	v_fma_f64 v[129:130], v[147:148], v[129:130], v[139:140]
	buffer_load_dword v140, off, s[0:3], 0 offset:500
	buffer_load_dword v139, off, s[0:3], 0 offset:496
	s_waitcnt vmcnt(19)
	v_fma_f64 v[129:130], v[145:146], v[131:132], v[129:130]
	buffer_load_dword v145, off, s[0:3], 0 offset:176
	buffer_load_dword v146, off, s[0:3], 0 offset:180
	s_waitcnt vmcnt(20) lgkmcnt(0)
	v_fma_f64 v[129:130], v[141:142], v[133:134], v[129:130]
	s_waitcnt vmcnt(15)
	v_fma_f64 v[141:142], v[143:144], v[135:136], v[129:130]
	ds_read2_b64 v[129:132], v128 offset0:119 offset1:120
	ds_read2_b64 v[133:136], v128 offset0:121 offset1:122
	s_waitcnt vmcnt(14) lgkmcnt(1)
	v_fma_f64 v[129:130], v[157:158], v[129:130], v[141:142]
	s_waitcnt vmcnt(13)
	v_fma_f64 v[129:130], v[155:156], v[131:132], v[129:130]
	s_waitcnt vmcnt(12) lgkmcnt(0)
	v_fma_f64 v[129:130], v[149:150], v[133:134], v[129:130]
	s_waitcnt vmcnt(7)
	v_fma_f64 v[137:138], v[137:138], v[135:136], v[129:130]
	ds_read2_b64 v[129:132], v128 offset0:123 offset1:124
	ds_read2_b64 v[133:136], v128 offset0:125 offset1:126
	s_waitcnt vmcnt(6) lgkmcnt(1)
	v_fma_f64 v[128:129], v[161:162], v[129:130], v[137:138]
	s_waitcnt vmcnt(5)
	v_fma_f64 v[128:129], v[159:160], v[131:132], v[128:129]
	s_waitcnt vmcnt(4) lgkmcnt(0)
	v_fma_f64 v[128:129], v[151:152], v[133:134], v[128:129]
	s_waitcnt vmcnt(2)
	v_fma_f64 v[128:129], v[139:140], v[135:136], v[128:129]
	s_waitcnt vmcnt(0)
	v_add_f64 v[128:129], v[145:146], -v[128:129]
	buffer_store_dword v129, off, s[0:3], 0 offset:180
	buffer_store_dword v128, off, s[0:3], 0 offset:176
	s_and_saveexec_b64 s[4:5], vcc
	s_cbranch_execz .LBB126_343
; %bb.342:
	buffer_load_dword v128, off, s[0:3], 0 offset:168
	buffer_load_dword v129, off, s[0:3], 0 offset:172
	v_mov_b32_e32 v130, 0
	buffer_store_dword v130, off, s[0:3], 0 offset:168
	buffer_store_dword v130, off, s[0:3], 0 offset:172
	s_waitcnt vmcnt(2)
	ds_write_b64 v127, v[128:129]
.LBB126_343:
	s_or_b64 exec, exec, s[4:5]
	s_waitcnt lgkmcnt(0)
	; wave barrier
	buffer_load_dword v137, off, s[0:3], 0 offset:176
	buffer_load_dword v138, off, s[0:3], 0 offset:180
	;; [unrolled: 1-line block ×22, first 2 shown]
	v_mov_b32_e32 v128, 0
	ds_read_b128 v[129:132], v128 offset:688
	ds_read_b128 v[133:136], v128 offset:704
	v_cmp_lt_u32_e32 vcc, 20, v0
	s_waitcnt vmcnt(20) lgkmcnt(1)
	v_fma_f64 v[129:130], v[137:138], v[129:130], 0
	s_waitcnt vmcnt(18)
	v_fma_f64 v[129:130], v[139:140], v[131:132], v[129:130]
	buffer_load_dword v138, off, s[0:3], 0 offset:268
	buffer_load_dword v139, off, s[0:3], 0 offset:288
	;; [unrolled: 1-line block ×7, first 2 shown]
	s_waitcnt vmcnt(23) lgkmcnt(0)
	v_fma_f64 v[129:130], v[141:142], v[133:134], v[129:130]
	s_waitcnt vmcnt(21)
	v_fma_f64 v[140:141], v[143:144], v[135:136], v[129:130]
	ds_read_b128 v[129:132], v128 offset:720
	ds_read_b128 v[133:136], v128 offset:736
	s_waitcnt vmcnt(19) lgkmcnt(1)
	v_fma_f64 v[129:130], v[145:146], v[129:130], v[140:141]
	buffer_load_dword v140, off, s[0:3], 0 offset:292
	s_waitcnt vmcnt(18)
	v_fma_f64 v[129:130], v[147:148], v[131:132], v[129:130]
	buffer_load_dword v142, off, s[0:3], 0 offset:300
	buffer_load_dword v143, off, s[0:3], 0 offset:320
	;; [unrolled: 1-line block ×7, first 2 shown]
	s_waitcnt vmcnt(23) lgkmcnt(0)
	v_fma_f64 v[129:130], v[149:150], v[133:134], v[129:130]
	s_waitcnt vmcnt(18)
	v_fma_f64 v[149:150], v[151:152], v[135:136], v[129:130]
	ds_read_b128 v[129:132], v128 offset:752
	ds_read_b128 v[133:136], v128 offset:768
	buffer_load_dword v144, off, s[0:3], 0 offset:324
	s_waitcnt vmcnt(18) lgkmcnt(1)
	v_fma_f64 v[129:130], v[157:158], v[129:130], v[149:150]
	s_waitcnt vmcnt(17)
	v_fma_f64 v[129:130], v[155:156], v[131:132], v[129:130]
	buffer_load_dword v150, off, s[0:3], 0 offset:332
	buffer_load_dword v151, off, s[0:3], 0 offset:352
	;; [unrolled: 1-line block ×8, first 2 shown]
	s_waitcnt vmcnt(24) lgkmcnt(0)
	v_fma_f64 v[129:130], v[153:154], v[133:134], v[129:130]
	s_waitcnt vmcnt(19)
	v_fma_f64 v[137:138], v[137:138], v[135:136], v[129:130]
	ds_read_b128 v[129:132], v128 offset:784
	ds_read_b128 v[133:136], v128 offset:800
	s_waitcnt vmcnt(18) lgkmcnt(1)
	v_fma_f64 v[129:130], v[161:162], v[129:130], v[137:138]
	s_waitcnt vmcnt(17)
	v_fma_f64 v[129:130], v[159:160], v[131:132], v[129:130]
	buffer_load_dword v138, off, s[0:3], 0 offset:364
	buffer_load_dword v153, off, s[0:3], 0 offset:384
	;; [unrolled: 1-line block ×7, first 2 shown]
	s_waitcnt vmcnt(23) lgkmcnt(0)
	v_fma_f64 v[129:130], v[139:140], v[133:134], v[129:130]
	s_waitcnt vmcnt(18)
	v_fma_f64 v[139:140], v[141:142], v[135:136], v[129:130]
	ds_read_b128 v[129:132], v128 offset:816
	ds_read_b128 v[133:136], v128 offset:832
	buffer_load_dword v154, off, s[0:3], 0 offset:388
	s_waitcnt vmcnt(18) lgkmcnt(1)
	v_fma_f64 v[129:130], v[147:148], v[129:130], v[139:140]
	s_waitcnt vmcnt(17)
	v_fma_f64 v[129:130], v[145:146], v[131:132], v[129:130]
	buffer_load_dword v140, off, s[0:3], 0 offset:396
	buffer_load_dword v141, off, s[0:3], 0 offset:416
	;; [unrolled: 1-line block ×7, first 2 shown]
	s_waitcnt vmcnt(23) lgkmcnt(0)
	v_fma_f64 v[129:130], v[143:144], v[133:134], v[129:130]
	s_waitcnt vmcnt(18)
	v_fma_f64 v[142:143], v[149:150], v[135:136], v[129:130]
	ds_read_b128 v[129:132], v128 offset:848
	ds_read_b128 v[133:136], v128 offset:864
	s_waitcnt vmcnt(17) lgkmcnt(1)
	v_fma_f64 v[129:130], v[157:158], v[129:130], v[142:143]
	buffer_load_dword v142, off, s[0:3], 0 offset:420
	s_waitcnt vmcnt(17)
	v_fma_f64 v[129:130], v[155:156], v[131:132], v[129:130]
	buffer_load_dword v144, off, s[0:3], 0 offset:428
	buffer_load_dword v149, off, s[0:3], 0 offset:448
	buffer_load_dword v155, off, s[0:3], 0 offset:440
	buffer_load_dword v157, off, s[0:3], 0 offset:432
	buffer_load_dword v143, off, s[0:3], 0 offset:424
	buffer_load_dword v158, off, s[0:3], 0 offset:436
	buffer_load_dword v156, off, s[0:3], 0 offset:444
	buffer_load_dword v150, off, s[0:3], 0 offset:452
	s_waitcnt vmcnt(24) lgkmcnt(0)
	v_fma_f64 v[129:130], v[151:152], v[133:134], v[129:130]
	s_waitcnt vmcnt(19)
	v_fma_f64 v[137:138], v[137:138], v[135:136], v[129:130]
	ds_read_b128 v[129:132], v128 offset:880
	ds_read_b128 v[133:136], v128 offset:896
	s_waitcnt vmcnt(18) lgkmcnt(1)
	v_fma_f64 v[129:130], v[161:162], v[129:130], v[137:138]
	s_waitcnt vmcnt(17)
	v_fma_f64 v[129:130], v[159:160], v[131:132], v[129:130]
	buffer_load_dword v138, off, s[0:3], 0 offset:460
	buffer_load_dword v151, off, s[0:3], 0 offset:480
	;; [unrolled: 1-line block ×7, first 2 shown]
	s_waitcnt vmcnt(23) lgkmcnt(0)
	v_fma_f64 v[129:130], v[153:154], v[133:134], v[129:130]
	s_waitcnt vmcnt(18)
	v_fma_f64 v[139:140], v[139:140], v[135:136], v[129:130]
	ds_read_b128 v[129:132], v128 offset:912
	ds_read_b128 v[133:136], v128 offset:928
	buffer_load_dword v152, off, s[0:3], 0 offset:484
	s_waitcnt vmcnt(18) lgkmcnt(1)
	v_fma_f64 v[129:130], v[147:148], v[129:130], v[139:140]
	s_waitcnt vmcnt(17)
	v_fma_f64 v[129:130], v[145:146], v[131:132], v[129:130]
	buffer_load_dword v140, off, s[0:3], 0 offset:492
	buffer_load_dword v145, off, s[0:3], 0 offset:496
	;; [unrolled: 1-line block ×4, first 2 shown]
	s_waitcnt vmcnt(20) lgkmcnt(0)
	v_fma_f64 v[129:130], v[141:142], v[133:134], v[129:130]
	buffer_load_dword v141, off, s[0:3], 0 offset:168
	buffer_load_dword v142, off, s[0:3], 0 offset:172
	s_waitcnt vmcnt(17)
	v_fma_f64 v[143:144], v[143:144], v[135:136], v[129:130]
	ds_read_b128 v[129:132], v128 offset:944
	ds_read_b128 v[133:136], v128 offset:960
	s_waitcnt vmcnt(16) lgkmcnt(1)
	v_fma_f64 v[129:130], v[157:158], v[129:130], v[143:144]
	s_waitcnt vmcnt(15)
	v_fma_f64 v[129:130], v[155:156], v[131:132], v[129:130]
	s_waitcnt vmcnt(14) lgkmcnt(0)
	v_fma_f64 v[129:130], v[149:150], v[133:134], v[129:130]
	s_waitcnt vmcnt(9)
	v_fma_f64 v[137:138], v[137:138], v[135:136], v[129:130]
	ds_read_b128 v[129:132], v128 offset:976
	ds_read_b128 v[133:136], v128 offset:992
	s_waitcnt vmcnt(8) lgkmcnt(1)
	v_fma_f64 v[129:130], v[161:162], v[129:130], v[137:138]
	s_waitcnt vmcnt(7)
	v_fma_f64 v[129:130], v[159:160], v[131:132], v[129:130]
	ds_read_b64 v[131:132], v128 offset:1008
	s_waitcnt vmcnt(6) lgkmcnt(1)
	v_fma_f64 v[129:130], v[151:152], v[133:134], v[129:130]
	s_waitcnt vmcnt(3)
	v_fma_f64 v[129:130], v[139:140], v[135:136], v[129:130]
	s_waitcnt vmcnt(2) lgkmcnt(0)
	v_fma_f64 v[129:130], v[145:146], v[131:132], v[129:130]
	s_waitcnt vmcnt(0)
	v_add_f64 v[129:130], v[141:142], -v[129:130]
	buffer_store_dword v130, off, s[0:3], 0 offset:172
	buffer_store_dword v129, off, s[0:3], 0 offset:168
	s_and_saveexec_b64 s[4:5], vcc
	s_cbranch_execz .LBB126_345
; %bb.344:
	buffer_load_dword v129, off, s[0:3], 0 offset:160
	buffer_load_dword v130, off, s[0:3], 0 offset:164
	s_waitcnt vmcnt(0)
	ds_write_b64 v127, v[129:130]
	buffer_store_dword v128, off, s[0:3], 0 offset:160
	buffer_store_dword v128, off, s[0:3], 0 offset:164
.LBB126_345:
	s_or_b64 exec, exec, s[4:5]
	s_waitcnt lgkmcnt(0)
	; wave barrier
	buffer_load_dword v137, off, s[0:3], 0 offset:168
	buffer_load_dword v138, off, s[0:3], 0 offset:172
	;; [unrolled: 1-line block ×22, first 2 shown]
	ds_read2_b64 v[129:132], v128 offset0:85 offset1:86
	ds_read2_b64 v[133:136], v128 offset0:87 offset1:88
	v_cmp_lt_u32_e32 vcc, 19, v0
	s_waitcnt vmcnt(20) lgkmcnt(1)
	v_fma_f64 v[129:130], v[137:138], v[129:130], 0
	s_waitcnt vmcnt(18)
	v_fma_f64 v[129:130], v[139:140], v[131:132], v[129:130]
	buffer_load_dword v138, off, s[0:3], 0 offset:260
	buffer_load_dword v139, off, s[0:3], 0 offset:280
	;; [unrolled: 1-line block ×7, first 2 shown]
	s_waitcnt vmcnt(23) lgkmcnt(0)
	v_fma_f64 v[129:130], v[141:142], v[133:134], v[129:130]
	s_waitcnt vmcnt(21)
	v_fma_f64 v[140:141], v[143:144], v[135:136], v[129:130]
	ds_read2_b64 v[129:132], v128 offset0:89 offset1:90
	ds_read2_b64 v[133:136], v128 offset0:91 offset1:92
	s_waitcnt vmcnt(19) lgkmcnt(1)
	v_fma_f64 v[129:130], v[145:146], v[129:130], v[140:141]
	buffer_load_dword v140, off, s[0:3], 0 offset:284
	s_waitcnt vmcnt(18)
	v_fma_f64 v[129:130], v[147:148], v[131:132], v[129:130]
	buffer_load_dword v142, off, s[0:3], 0 offset:292
	buffer_load_dword v143, off, s[0:3], 0 offset:312
	;; [unrolled: 1-line block ×7, first 2 shown]
	s_waitcnt vmcnt(23) lgkmcnt(0)
	v_fma_f64 v[129:130], v[149:150], v[133:134], v[129:130]
	s_waitcnt vmcnt(18)
	v_fma_f64 v[149:150], v[151:152], v[135:136], v[129:130]
	ds_read2_b64 v[129:132], v128 offset0:93 offset1:94
	ds_read2_b64 v[133:136], v128 offset0:95 offset1:96
	buffer_load_dword v144, off, s[0:3], 0 offset:316
	s_waitcnt vmcnt(18) lgkmcnt(1)
	v_fma_f64 v[129:130], v[157:158], v[129:130], v[149:150]
	s_waitcnt vmcnt(17)
	v_fma_f64 v[129:130], v[155:156], v[131:132], v[129:130]
	buffer_load_dword v150, off, s[0:3], 0 offset:324
	buffer_load_dword v151, off, s[0:3], 0 offset:344
	;; [unrolled: 1-line block ×8, first 2 shown]
	s_waitcnt vmcnt(24) lgkmcnt(0)
	v_fma_f64 v[129:130], v[153:154], v[133:134], v[129:130]
	s_waitcnt vmcnt(19)
	v_fma_f64 v[137:138], v[137:138], v[135:136], v[129:130]
	ds_read2_b64 v[129:132], v128 offset0:97 offset1:98
	ds_read2_b64 v[133:136], v128 offset0:99 offset1:100
	s_waitcnt vmcnt(18) lgkmcnt(1)
	v_fma_f64 v[129:130], v[161:162], v[129:130], v[137:138]
	s_waitcnt vmcnt(17)
	v_fma_f64 v[129:130], v[159:160], v[131:132], v[129:130]
	buffer_load_dword v138, off, s[0:3], 0 offset:356
	buffer_load_dword v153, off, s[0:3], 0 offset:376
	;; [unrolled: 1-line block ×8, first 2 shown]
	s_waitcnt vmcnt(24) lgkmcnt(0)
	v_fma_f64 v[129:130], v[139:140], v[133:134], v[129:130]
	s_waitcnt vmcnt(19)
	v_fma_f64 v[139:140], v[141:142], v[135:136], v[129:130]
	ds_read2_b64 v[129:132], v128 offset0:101 offset1:102
	ds_read2_b64 v[133:136], v128 offset0:103 offset1:104
	s_waitcnt vmcnt(18) lgkmcnt(1)
	v_fma_f64 v[129:130], v[147:148], v[129:130], v[139:140]
	s_waitcnt vmcnt(17)
	v_fma_f64 v[129:130], v[145:146], v[131:132], v[129:130]
	buffer_load_dword v140, off, s[0:3], 0 offset:388
	buffer_load_dword v141, off, s[0:3], 0 offset:408
	buffer_load_dword v145, off, s[0:3], 0 offset:400
	buffer_load_dword v147, off, s[0:3], 0 offset:392
	buffer_load_dword v139, off, s[0:3], 0 offset:384
	buffer_load_dword v148, off, s[0:3], 0 offset:396
	buffer_load_dword v146, off, s[0:3], 0 offset:404
	s_waitcnt vmcnt(23) lgkmcnt(0)
	v_fma_f64 v[129:130], v[143:144], v[133:134], v[129:130]
	s_waitcnt vmcnt(18)
	v_fma_f64 v[142:143], v[149:150], v[135:136], v[129:130]
	ds_read2_b64 v[129:132], v128 offset0:105 offset1:106
	ds_read2_b64 v[133:136], v128 offset0:107 offset1:108
	s_waitcnt vmcnt(17) lgkmcnt(1)
	v_fma_f64 v[129:130], v[157:158], v[129:130], v[142:143]
	buffer_load_dword v142, off, s[0:3], 0 offset:412
	s_waitcnt vmcnt(17)
	v_fma_f64 v[129:130], v[155:156], v[131:132], v[129:130]
	buffer_load_dword v144, off, s[0:3], 0 offset:420
	buffer_load_dword v149, off, s[0:3], 0 offset:440
	;; [unrolled: 1-line block ×8, first 2 shown]
	s_waitcnt vmcnt(24) lgkmcnt(0)
	v_fma_f64 v[129:130], v[151:152], v[133:134], v[129:130]
	s_waitcnt vmcnt(19)
	v_fma_f64 v[137:138], v[137:138], v[135:136], v[129:130]
	ds_read2_b64 v[129:132], v128 offset0:109 offset1:110
	ds_read2_b64 v[133:136], v128 offset0:111 offset1:112
	s_waitcnt vmcnt(18) lgkmcnt(1)
	v_fma_f64 v[129:130], v[161:162], v[129:130], v[137:138]
	s_waitcnt vmcnt(17)
	v_fma_f64 v[129:130], v[159:160], v[131:132], v[129:130]
	buffer_load_dword v138, off, s[0:3], 0 offset:452
	buffer_load_dword v151, off, s[0:3], 0 offset:472
	;; [unrolled: 1-line block ×8, first 2 shown]
	s_waitcnt vmcnt(24) lgkmcnt(0)
	v_fma_f64 v[129:130], v[153:154], v[133:134], v[129:130]
	s_waitcnt vmcnt(19)
	v_fma_f64 v[139:140], v[139:140], v[135:136], v[129:130]
	ds_read2_b64 v[129:132], v128 offset0:113 offset1:114
	ds_read2_b64 v[133:136], v128 offset0:115 offset1:116
	s_waitcnt vmcnt(18) lgkmcnt(1)
	v_fma_f64 v[129:130], v[147:148], v[129:130], v[139:140]
	s_waitcnt vmcnt(17)
	v_fma_f64 v[129:130], v[145:146], v[131:132], v[129:130]
	buffer_load_dword v140, off, s[0:3], 0 offset:484
	buffer_load_dword v145, off, s[0:3], 0 offset:496
	;; [unrolled: 1-line block ×6, first 2 shown]
	s_waitcnt vmcnt(22) lgkmcnt(0)
	v_fma_f64 v[129:130], v[141:142], v[133:134], v[129:130]
	s_waitcnt vmcnt(17)
	v_fma_f64 v[141:142], v[143:144], v[135:136], v[129:130]
	ds_read2_b64 v[129:132], v128 offset0:117 offset1:118
	buffer_load_dword v143, off, s[0:3], 0 offset:160
	buffer_load_dword v144, off, s[0:3], 0 offset:164
	ds_read2_b64 v[133:136], v128 offset0:119 offset1:120
	s_waitcnt vmcnt(18) lgkmcnt(1)
	v_fma_f64 v[129:130], v[157:158], v[129:130], v[141:142]
	s_waitcnt vmcnt(17)
	v_fma_f64 v[129:130], v[155:156], v[131:132], v[129:130]
	s_waitcnt vmcnt(16) lgkmcnt(0)
	v_fma_f64 v[129:130], v[149:150], v[133:134], v[129:130]
	s_waitcnt vmcnt(11)
	v_fma_f64 v[137:138], v[137:138], v[135:136], v[129:130]
	ds_read2_b64 v[129:132], v128 offset0:121 offset1:122
	ds_read2_b64 v[133:136], v128 offset0:123 offset1:124
	s_waitcnt vmcnt(10) lgkmcnt(1)
	v_fma_f64 v[129:130], v[161:162], v[129:130], v[137:138]
	s_waitcnt vmcnt(9)
	v_fma_f64 v[129:130], v[159:160], v[131:132], v[129:130]
	s_waitcnt vmcnt(8) lgkmcnt(0)
	v_fma_f64 v[129:130], v[151:152], v[133:134], v[129:130]
	s_waitcnt vmcnt(4)
	v_fma_f64 v[132:133], v[139:140], v[135:136], v[129:130]
	ds_read2_b64 v[128:131], v128 offset0:125 offset1:126
	s_waitcnt vmcnt(3) lgkmcnt(0)
	v_fma_f64 v[128:129], v[147:148], v[128:129], v[132:133]
	s_waitcnt vmcnt(2)
	v_fma_f64 v[128:129], v[145:146], v[130:131], v[128:129]
	s_waitcnt vmcnt(0)
	v_add_f64 v[128:129], v[143:144], -v[128:129]
	buffer_store_dword v129, off, s[0:3], 0 offset:164
	buffer_store_dword v128, off, s[0:3], 0 offset:160
	s_and_saveexec_b64 s[4:5], vcc
	s_cbranch_execz .LBB126_347
; %bb.346:
	buffer_load_dword v128, off, s[0:3], 0 offset:152
	buffer_load_dword v129, off, s[0:3], 0 offset:156
	v_mov_b32_e32 v130, 0
	buffer_store_dword v130, off, s[0:3], 0 offset:152
	buffer_store_dword v130, off, s[0:3], 0 offset:156
	s_waitcnt vmcnt(2)
	ds_write_b64 v127, v[128:129]
.LBB126_347:
	s_or_b64 exec, exec, s[4:5]
	s_waitcnt lgkmcnt(0)
	; wave barrier
	buffer_load_dword v137, off, s[0:3], 0 offset:160
	buffer_load_dword v138, off, s[0:3], 0 offset:164
	;; [unrolled: 1-line block ×22, first 2 shown]
	v_mov_b32_e32 v128, 0
	ds_read_b128 v[129:132], v128 offset:672
	ds_read_b128 v[133:136], v128 offset:688
	v_cmp_lt_u32_e32 vcc, 18, v0
	s_waitcnt vmcnt(20) lgkmcnt(1)
	v_fma_f64 v[129:130], v[137:138], v[129:130], 0
	s_waitcnt vmcnt(18)
	v_fma_f64 v[129:130], v[139:140], v[131:132], v[129:130]
	buffer_load_dword v138, off, s[0:3], 0 offset:252
	buffer_load_dword v139, off, s[0:3], 0 offset:272
	;; [unrolled: 1-line block ×7, first 2 shown]
	s_waitcnt vmcnt(23) lgkmcnt(0)
	v_fma_f64 v[129:130], v[141:142], v[133:134], v[129:130]
	s_waitcnt vmcnt(21)
	v_fma_f64 v[140:141], v[143:144], v[135:136], v[129:130]
	ds_read_b128 v[129:132], v128 offset:704
	ds_read_b128 v[133:136], v128 offset:720
	s_waitcnt vmcnt(19) lgkmcnt(1)
	v_fma_f64 v[129:130], v[145:146], v[129:130], v[140:141]
	buffer_load_dword v140, off, s[0:3], 0 offset:276
	s_waitcnt vmcnt(18)
	v_fma_f64 v[129:130], v[147:148], v[131:132], v[129:130]
	buffer_load_dword v142, off, s[0:3], 0 offset:284
	buffer_load_dword v143, off, s[0:3], 0 offset:304
	;; [unrolled: 1-line block ×7, first 2 shown]
	s_waitcnt vmcnt(23) lgkmcnt(0)
	v_fma_f64 v[129:130], v[149:150], v[133:134], v[129:130]
	s_waitcnt vmcnt(18)
	v_fma_f64 v[149:150], v[151:152], v[135:136], v[129:130]
	ds_read_b128 v[129:132], v128 offset:736
	ds_read_b128 v[133:136], v128 offset:752
	buffer_load_dword v144, off, s[0:3], 0 offset:308
	s_waitcnt vmcnt(18) lgkmcnt(1)
	v_fma_f64 v[129:130], v[157:158], v[129:130], v[149:150]
	s_waitcnt vmcnt(17)
	v_fma_f64 v[129:130], v[155:156], v[131:132], v[129:130]
	buffer_load_dword v150, off, s[0:3], 0 offset:316
	buffer_load_dword v151, off, s[0:3], 0 offset:336
	;; [unrolled: 1-line block ×8, first 2 shown]
	s_waitcnt vmcnt(24) lgkmcnt(0)
	v_fma_f64 v[129:130], v[153:154], v[133:134], v[129:130]
	s_waitcnt vmcnt(19)
	v_fma_f64 v[137:138], v[137:138], v[135:136], v[129:130]
	ds_read_b128 v[129:132], v128 offset:768
	ds_read_b128 v[133:136], v128 offset:784
	s_waitcnt vmcnt(18) lgkmcnt(1)
	v_fma_f64 v[129:130], v[161:162], v[129:130], v[137:138]
	s_waitcnt vmcnt(17)
	v_fma_f64 v[129:130], v[159:160], v[131:132], v[129:130]
	buffer_load_dword v138, off, s[0:3], 0 offset:348
	buffer_load_dword v153, off, s[0:3], 0 offset:368
	;; [unrolled: 1-line block ×8, first 2 shown]
	s_waitcnt vmcnt(24) lgkmcnt(0)
	v_fma_f64 v[129:130], v[139:140], v[133:134], v[129:130]
	s_waitcnt vmcnt(19)
	v_fma_f64 v[139:140], v[141:142], v[135:136], v[129:130]
	ds_read_b128 v[129:132], v128 offset:800
	ds_read_b128 v[133:136], v128 offset:816
	s_waitcnt vmcnt(18) lgkmcnt(1)
	v_fma_f64 v[129:130], v[147:148], v[129:130], v[139:140]
	s_waitcnt vmcnt(17)
	v_fma_f64 v[129:130], v[145:146], v[131:132], v[129:130]
	buffer_load_dword v140, off, s[0:3], 0 offset:380
	buffer_load_dword v141, off, s[0:3], 0 offset:400
	buffer_load_dword v145, off, s[0:3], 0 offset:392
	buffer_load_dword v147, off, s[0:3], 0 offset:384
	buffer_load_dword v139, off, s[0:3], 0 offset:376
	buffer_load_dword v148, off, s[0:3], 0 offset:388
	buffer_load_dword v146, off, s[0:3], 0 offset:396
	s_waitcnt vmcnt(23) lgkmcnt(0)
	v_fma_f64 v[129:130], v[143:144], v[133:134], v[129:130]
	s_waitcnt vmcnt(18)
	v_fma_f64 v[142:143], v[149:150], v[135:136], v[129:130]
	ds_read_b128 v[129:132], v128 offset:832
	ds_read_b128 v[133:136], v128 offset:848
	s_waitcnt vmcnt(17) lgkmcnt(1)
	v_fma_f64 v[129:130], v[157:158], v[129:130], v[142:143]
	buffer_load_dword v142, off, s[0:3], 0 offset:404
	s_waitcnt vmcnt(17)
	v_fma_f64 v[129:130], v[155:156], v[131:132], v[129:130]
	buffer_load_dword v144, off, s[0:3], 0 offset:412
	buffer_load_dword v149, off, s[0:3], 0 offset:432
	buffer_load_dword v155, off, s[0:3], 0 offset:424
	buffer_load_dword v157, off, s[0:3], 0 offset:416
	buffer_load_dword v143, off, s[0:3], 0 offset:408
	buffer_load_dword v158, off, s[0:3], 0 offset:420
	buffer_load_dword v156, off, s[0:3], 0 offset:428
	buffer_load_dword v150, off, s[0:3], 0 offset:436
	s_waitcnt vmcnt(24) lgkmcnt(0)
	v_fma_f64 v[129:130], v[151:152], v[133:134], v[129:130]
	s_waitcnt vmcnt(19)
	v_fma_f64 v[137:138], v[137:138], v[135:136], v[129:130]
	ds_read_b128 v[129:132], v128 offset:864
	ds_read_b128 v[133:136], v128 offset:880
	s_waitcnt vmcnt(18) lgkmcnt(1)
	v_fma_f64 v[129:130], v[161:162], v[129:130], v[137:138]
	s_waitcnt vmcnt(17)
	v_fma_f64 v[129:130], v[159:160], v[131:132], v[129:130]
	buffer_load_dword v138, off, s[0:3], 0 offset:444
	buffer_load_dword v151, off, s[0:3], 0 offset:464
	buffer_load_dword v159, off, s[0:3], 0 offset:456
	buffer_load_dword v161, off, s[0:3], 0 offset:448
	buffer_load_dword v137, off, s[0:3], 0 offset:440
	buffer_load_dword v162, off, s[0:3], 0 offset:452
	buffer_load_dword v160, off, s[0:3], 0 offset:460
	buffer_load_dword v152, off, s[0:3], 0 offset:468
	s_waitcnt vmcnt(24) lgkmcnt(0)
	v_fma_f64 v[129:130], v[153:154], v[133:134], v[129:130]
	s_waitcnt vmcnt(19)
	v_fma_f64 v[139:140], v[139:140], v[135:136], v[129:130]
	ds_read_b128 v[129:132], v128 offset:896
	ds_read_b128 v[133:136], v128 offset:912
	s_waitcnt vmcnt(18) lgkmcnt(1)
	v_fma_f64 v[129:130], v[147:148], v[129:130], v[139:140]
	;; [unrolled: 18-line block ×3, first 2 shown]
	buffer_load_dword v141, off, s[0:3], 0 offset:152
	buffer_load_dword v142, off, s[0:3], 0 offset:156
	s_waitcnt vmcnt(19)
	v_fma_f64 v[129:130], v[155:156], v[131:132], v[129:130]
	s_waitcnt vmcnt(18) lgkmcnt(0)
	v_fma_f64 v[129:130], v[149:150], v[133:134], v[129:130]
	s_waitcnt vmcnt(13)
	v_fma_f64 v[137:138], v[137:138], v[135:136], v[129:130]
	ds_read_b128 v[129:132], v128 offset:960
	ds_read_b128 v[133:136], v128 offset:976
	s_waitcnt vmcnt(12) lgkmcnt(1)
	v_fma_f64 v[129:130], v[161:162], v[129:130], v[137:138]
	s_waitcnt vmcnt(11)
	v_fma_f64 v[129:130], v[159:160], v[131:132], v[129:130]
	s_waitcnt vmcnt(10) lgkmcnt(0)
	v_fma_f64 v[129:130], v[151:152], v[133:134], v[129:130]
	s_waitcnt vmcnt(5)
	v_fma_f64 v[133:134], v[139:140], v[135:136], v[129:130]
	ds_read_b128 v[129:132], v128 offset:992
	ds_read_b64 v[135:136], v128 offset:1008
	s_waitcnt vmcnt(4) lgkmcnt(1)
	v_fma_f64 v[129:130], v[153:154], v[129:130], v[133:134]
	s_waitcnt vmcnt(3)
	v_fma_f64 v[129:130], v[147:148], v[131:132], v[129:130]
	s_waitcnt vmcnt(2) lgkmcnt(0)
	v_fma_f64 v[129:130], v[145:146], v[135:136], v[129:130]
	s_waitcnt vmcnt(0)
	v_add_f64 v[129:130], v[141:142], -v[129:130]
	buffer_store_dword v130, off, s[0:3], 0 offset:156
	buffer_store_dword v129, off, s[0:3], 0 offset:152
	s_and_saveexec_b64 s[4:5], vcc
	s_cbranch_execz .LBB126_349
; %bb.348:
	buffer_load_dword v129, off, s[0:3], 0 offset:144
	buffer_load_dword v130, off, s[0:3], 0 offset:148
	s_waitcnt vmcnt(0)
	ds_write_b64 v127, v[129:130]
	buffer_store_dword v128, off, s[0:3], 0 offset:144
	buffer_store_dword v128, off, s[0:3], 0 offset:148
.LBB126_349:
	s_or_b64 exec, exec, s[4:5]
	s_waitcnt lgkmcnt(0)
	; wave barrier
	buffer_load_dword v137, off, s[0:3], 0 offset:152
	buffer_load_dword v138, off, s[0:3], 0 offset:156
	;; [unrolled: 1-line block ×22, first 2 shown]
	ds_read2_b64 v[129:132], v128 offset0:83 offset1:84
	ds_read2_b64 v[133:136], v128 offset0:85 offset1:86
	v_cmp_lt_u32_e32 vcc, 17, v0
	s_waitcnt vmcnt(20) lgkmcnt(1)
	v_fma_f64 v[129:130], v[137:138], v[129:130], 0
	s_waitcnt vmcnt(18)
	v_fma_f64 v[129:130], v[139:140], v[131:132], v[129:130]
	buffer_load_dword v138, off, s[0:3], 0 offset:244
	buffer_load_dword v139, off, s[0:3], 0 offset:264
	;; [unrolled: 1-line block ×7, first 2 shown]
	s_waitcnt vmcnt(23) lgkmcnt(0)
	v_fma_f64 v[129:130], v[141:142], v[133:134], v[129:130]
	s_waitcnt vmcnt(21)
	v_fma_f64 v[140:141], v[143:144], v[135:136], v[129:130]
	ds_read2_b64 v[129:132], v128 offset0:87 offset1:88
	ds_read2_b64 v[133:136], v128 offset0:89 offset1:90
	s_waitcnt vmcnt(19) lgkmcnt(1)
	v_fma_f64 v[129:130], v[145:146], v[129:130], v[140:141]
	buffer_load_dword v140, off, s[0:3], 0 offset:268
	s_waitcnt vmcnt(18)
	v_fma_f64 v[129:130], v[147:148], v[131:132], v[129:130]
	buffer_load_dword v142, off, s[0:3], 0 offset:276
	buffer_load_dword v143, off, s[0:3], 0 offset:296
	;; [unrolled: 1-line block ×7, first 2 shown]
	s_waitcnt vmcnt(23) lgkmcnt(0)
	v_fma_f64 v[129:130], v[149:150], v[133:134], v[129:130]
	s_waitcnt vmcnt(18)
	v_fma_f64 v[149:150], v[151:152], v[135:136], v[129:130]
	ds_read2_b64 v[129:132], v128 offset0:91 offset1:92
	ds_read2_b64 v[133:136], v128 offset0:93 offset1:94
	buffer_load_dword v144, off, s[0:3], 0 offset:300
	s_waitcnt vmcnt(18) lgkmcnt(1)
	v_fma_f64 v[129:130], v[157:158], v[129:130], v[149:150]
	s_waitcnt vmcnt(17)
	v_fma_f64 v[129:130], v[155:156], v[131:132], v[129:130]
	buffer_load_dword v150, off, s[0:3], 0 offset:308
	buffer_load_dword v151, off, s[0:3], 0 offset:328
	;; [unrolled: 1-line block ×8, first 2 shown]
	s_waitcnt vmcnt(24) lgkmcnt(0)
	v_fma_f64 v[129:130], v[153:154], v[133:134], v[129:130]
	s_waitcnt vmcnt(19)
	v_fma_f64 v[137:138], v[137:138], v[135:136], v[129:130]
	ds_read2_b64 v[129:132], v128 offset0:95 offset1:96
	ds_read2_b64 v[133:136], v128 offset0:97 offset1:98
	s_waitcnt vmcnt(18) lgkmcnt(1)
	v_fma_f64 v[129:130], v[161:162], v[129:130], v[137:138]
	s_waitcnt vmcnt(17)
	v_fma_f64 v[129:130], v[159:160], v[131:132], v[129:130]
	buffer_load_dword v138, off, s[0:3], 0 offset:340
	buffer_load_dword v153, off, s[0:3], 0 offset:360
	;; [unrolled: 1-line block ×8, first 2 shown]
	s_waitcnt vmcnt(24) lgkmcnt(0)
	v_fma_f64 v[129:130], v[139:140], v[133:134], v[129:130]
	s_waitcnt vmcnt(19)
	v_fma_f64 v[139:140], v[141:142], v[135:136], v[129:130]
	ds_read2_b64 v[129:132], v128 offset0:99 offset1:100
	ds_read2_b64 v[133:136], v128 offset0:101 offset1:102
	s_waitcnt vmcnt(18) lgkmcnt(1)
	v_fma_f64 v[129:130], v[147:148], v[129:130], v[139:140]
	s_waitcnt vmcnt(17)
	v_fma_f64 v[129:130], v[145:146], v[131:132], v[129:130]
	buffer_load_dword v140, off, s[0:3], 0 offset:372
	buffer_load_dword v141, off, s[0:3], 0 offset:392
	;; [unrolled: 1-line block ×7, first 2 shown]
	s_waitcnt vmcnt(23) lgkmcnt(0)
	v_fma_f64 v[129:130], v[143:144], v[133:134], v[129:130]
	s_waitcnt vmcnt(18)
	v_fma_f64 v[142:143], v[149:150], v[135:136], v[129:130]
	ds_read2_b64 v[129:132], v128 offset0:103 offset1:104
	ds_read2_b64 v[133:136], v128 offset0:105 offset1:106
	s_waitcnt vmcnt(17) lgkmcnt(1)
	v_fma_f64 v[129:130], v[157:158], v[129:130], v[142:143]
	buffer_load_dword v142, off, s[0:3], 0 offset:396
	s_waitcnt vmcnt(17)
	v_fma_f64 v[129:130], v[155:156], v[131:132], v[129:130]
	buffer_load_dword v144, off, s[0:3], 0 offset:404
	buffer_load_dword v149, off, s[0:3], 0 offset:424
	buffer_load_dword v155, off, s[0:3], 0 offset:416
	buffer_load_dword v157, off, s[0:3], 0 offset:408
	buffer_load_dword v143, off, s[0:3], 0 offset:400
	buffer_load_dword v158, off, s[0:3], 0 offset:412
	buffer_load_dword v156, off, s[0:3], 0 offset:420
	buffer_load_dword v150, off, s[0:3], 0 offset:428
	s_waitcnt vmcnt(24) lgkmcnt(0)
	v_fma_f64 v[129:130], v[151:152], v[133:134], v[129:130]
	s_waitcnt vmcnt(19)
	v_fma_f64 v[137:138], v[137:138], v[135:136], v[129:130]
	ds_read2_b64 v[129:132], v128 offset0:107 offset1:108
	ds_read2_b64 v[133:136], v128 offset0:109 offset1:110
	s_waitcnt vmcnt(18) lgkmcnt(1)
	v_fma_f64 v[129:130], v[161:162], v[129:130], v[137:138]
	s_waitcnt vmcnt(17)
	v_fma_f64 v[129:130], v[159:160], v[131:132], v[129:130]
	buffer_load_dword v138, off, s[0:3], 0 offset:436
	buffer_load_dword v151, off, s[0:3], 0 offset:456
	buffer_load_dword v159, off, s[0:3], 0 offset:448
	buffer_load_dword v161, off, s[0:3], 0 offset:440
	buffer_load_dword v137, off, s[0:3], 0 offset:432
	buffer_load_dword v162, off, s[0:3], 0 offset:444
	buffer_load_dword v160, off, s[0:3], 0 offset:452
	buffer_load_dword v152, off, s[0:3], 0 offset:460
	s_waitcnt vmcnt(24) lgkmcnt(0)
	v_fma_f64 v[129:130], v[153:154], v[133:134], v[129:130]
	s_waitcnt vmcnt(19)
	v_fma_f64 v[139:140], v[139:140], v[135:136], v[129:130]
	ds_read2_b64 v[129:132], v128 offset0:111 offset1:112
	ds_read2_b64 v[133:136], v128 offset0:113 offset1:114
	s_waitcnt vmcnt(18) lgkmcnt(1)
	v_fma_f64 v[129:130], v[147:148], v[129:130], v[139:140]
	;; [unrolled: 18-line block ×3, first 2 shown]
	buffer_load_dword v142, off, s[0:3], 0 offset:500
	buffer_load_dword v141, off, s[0:3], 0 offset:496
	;; [unrolled: 1-line block ×4, first 2 shown]
	s_waitcnt vmcnt(21)
	v_fma_f64 v[129:130], v[155:156], v[131:132], v[129:130]
	s_waitcnt vmcnt(20) lgkmcnt(0)
	v_fma_f64 v[129:130], v[149:150], v[133:134], v[129:130]
	s_waitcnt vmcnt(15)
	v_fma_f64 v[137:138], v[137:138], v[135:136], v[129:130]
	ds_read2_b64 v[129:132], v128 offset0:119 offset1:120
	ds_read2_b64 v[133:136], v128 offset0:121 offset1:122
	s_waitcnt vmcnt(14) lgkmcnt(1)
	v_fma_f64 v[129:130], v[161:162], v[129:130], v[137:138]
	s_waitcnt vmcnt(13)
	v_fma_f64 v[129:130], v[159:160], v[131:132], v[129:130]
	s_waitcnt vmcnt(12) lgkmcnt(0)
	v_fma_f64 v[129:130], v[151:152], v[133:134], v[129:130]
	s_waitcnt vmcnt(7)
	v_fma_f64 v[137:138], v[139:140], v[135:136], v[129:130]
	ds_read2_b64 v[129:132], v128 offset0:123 offset1:124
	ds_read2_b64 v[133:136], v128 offset0:125 offset1:126
	s_waitcnt vmcnt(6) lgkmcnt(1)
	v_fma_f64 v[128:129], v[153:154], v[129:130], v[137:138]
	s_waitcnt vmcnt(5)
	v_fma_f64 v[128:129], v[147:148], v[131:132], v[128:129]
	s_waitcnt vmcnt(4) lgkmcnt(0)
	v_fma_f64 v[128:129], v[145:146], v[133:134], v[128:129]
	s_waitcnt vmcnt(2)
	v_fma_f64 v[128:129], v[141:142], v[135:136], v[128:129]
	s_waitcnt vmcnt(0)
	v_add_f64 v[128:129], v[143:144], -v[128:129]
	buffer_store_dword v129, off, s[0:3], 0 offset:148
	buffer_store_dword v128, off, s[0:3], 0 offset:144
	s_and_saveexec_b64 s[4:5], vcc
	s_cbranch_execz .LBB126_351
; %bb.350:
	buffer_load_dword v128, off, s[0:3], 0 offset:136
	buffer_load_dword v129, off, s[0:3], 0 offset:140
	v_mov_b32_e32 v130, 0
	buffer_store_dword v130, off, s[0:3], 0 offset:136
	buffer_store_dword v130, off, s[0:3], 0 offset:140
	s_waitcnt vmcnt(2)
	ds_write_b64 v127, v[128:129]
.LBB126_351:
	s_or_b64 exec, exec, s[4:5]
	s_waitcnt lgkmcnt(0)
	; wave barrier
	buffer_load_dword v137, off, s[0:3], 0 offset:144
	buffer_load_dword v138, off, s[0:3], 0 offset:148
	;; [unrolled: 1-line block ×21, first 2 shown]
	v_mov_b32_e32 v128, 0
	ds_read_b128 v[129:132], v128 offset:656
	ds_read_b128 v[133:136], v128 offset:672
	buffer_load_dword v154, off, s[0:3], 0 offset:228
	v_cmp_lt_u32_e32 vcc, 16, v0
	s_waitcnt vmcnt(20) lgkmcnt(1)
	v_fma_f64 v[129:130], v[137:138], v[129:130], 0
	s_waitcnt vmcnt(18)
	v_fma_f64 v[129:130], v[139:140], v[131:132], v[129:130]
	buffer_load_dword v138, off, s[0:3], 0 offset:236
	buffer_load_dword v139, off, s[0:3], 0 offset:256
	;; [unrolled: 1-line block ×7, first 2 shown]
	s_waitcnt vmcnt(23) lgkmcnt(0)
	v_fma_f64 v[129:130], v[141:142], v[133:134], v[129:130]
	s_waitcnt vmcnt(21)
	v_fma_f64 v[140:141], v[143:144], v[135:136], v[129:130]
	ds_read_b128 v[129:132], v128 offset:688
	ds_read_b128 v[133:136], v128 offset:704
	s_waitcnt vmcnt(19) lgkmcnt(1)
	v_fma_f64 v[129:130], v[145:146], v[129:130], v[140:141]
	buffer_load_dword v140, off, s[0:3], 0 offset:260
	s_waitcnt vmcnt(18)
	v_fma_f64 v[129:130], v[147:148], v[131:132], v[129:130]
	buffer_load_dword v142, off, s[0:3], 0 offset:268
	buffer_load_dword v143, off, s[0:3], 0 offset:288
	;; [unrolled: 1-line block ×7, first 2 shown]
	s_waitcnt vmcnt(23) lgkmcnt(0)
	v_fma_f64 v[129:130], v[149:150], v[133:134], v[129:130]
	s_waitcnt vmcnt(18)
	v_fma_f64 v[149:150], v[151:152], v[135:136], v[129:130]
	ds_read_b128 v[129:132], v128 offset:720
	ds_read_b128 v[133:136], v128 offset:736
	buffer_load_dword v144, off, s[0:3], 0 offset:292
	s_waitcnt vmcnt(18) lgkmcnt(1)
	v_fma_f64 v[129:130], v[157:158], v[129:130], v[149:150]
	s_waitcnt vmcnt(17)
	v_fma_f64 v[129:130], v[155:156], v[131:132], v[129:130]
	buffer_load_dword v150, off, s[0:3], 0 offset:300
	buffer_load_dword v151, off, s[0:3], 0 offset:320
	;; [unrolled: 1-line block ×7, first 2 shown]
	s_waitcnt vmcnt(23) lgkmcnt(0)
	v_fma_f64 v[129:130], v[153:154], v[133:134], v[129:130]
	s_waitcnt vmcnt(18)
	v_fma_f64 v[137:138], v[137:138], v[135:136], v[129:130]
	ds_read_b128 v[129:132], v128 offset:752
	ds_read_b128 v[133:136], v128 offset:768
	buffer_load_dword v152, off, s[0:3], 0 offset:324
	s_waitcnt vmcnt(18) lgkmcnt(1)
	v_fma_f64 v[129:130], v[161:162], v[129:130], v[137:138]
	s_waitcnt vmcnt(17)
	v_fma_f64 v[129:130], v[159:160], v[131:132], v[129:130]
	buffer_load_dword v138, off, s[0:3], 0 offset:332
	buffer_load_dword v153, off, s[0:3], 0 offset:352
	;; [unrolled: 1-line block ×8, first 2 shown]
	s_waitcnt vmcnt(24) lgkmcnt(0)
	v_fma_f64 v[129:130], v[139:140], v[133:134], v[129:130]
	s_waitcnt vmcnt(19)
	v_fma_f64 v[139:140], v[141:142], v[135:136], v[129:130]
	ds_read_b128 v[129:132], v128 offset:784
	ds_read_b128 v[133:136], v128 offset:800
	s_waitcnt vmcnt(18) lgkmcnt(1)
	v_fma_f64 v[129:130], v[147:148], v[129:130], v[139:140]
	s_waitcnt vmcnt(17)
	v_fma_f64 v[129:130], v[145:146], v[131:132], v[129:130]
	buffer_load_dword v140, off, s[0:3], 0 offset:364
	buffer_load_dword v141, off, s[0:3], 0 offset:384
	;; [unrolled: 1-line block ×7, first 2 shown]
	s_waitcnt vmcnt(23) lgkmcnt(0)
	v_fma_f64 v[129:130], v[143:144], v[133:134], v[129:130]
	s_waitcnt vmcnt(18)
	v_fma_f64 v[142:143], v[149:150], v[135:136], v[129:130]
	ds_read_b128 v[129:132], v128 offset:816
	ds_read_b128 v[133:136], v128 offset:832
	s_waitcnt vmcnt(17) lgkmcnt(1)
	v_fma_f64 v[129:130], v[157:158], v[129:130], v[142:143]
	buffer_load_dword v142, off, s[0:3], 0 offset:388
	s_waitcnt vmcnt(17)
	v_fma_f64 v[129:130], v[155:156], v[131:132], v[129:130]
	buffer_load_dword v144, off, s[0:3], 0 offset:396
	buffer_load_dword v149, off, s[0:3], 0 offset:416
	;; [unrolled: 1-line block ×7, first 2 shown]
	s_waitcnt vmcnt(23) lgkmcnt(0)
	v_fma_f64 v[129:130], v[151:152], v[133:134], v[129:130]
	s_waitcnt vmcnt(18)
	v_fma_f64 v[137:138], v[137:138], v[135:136], v[129:130]
	ds_read_b128 v[129:132], v128 offset:848
	ds_read_b128 v[133:136], v128 offset:864
	buffer_load_dword v150, off, s[0:3], 0 offset:420
	s_waitcnt vmcnt(18) lgkmcnt(1)
	v_fma_f64 v[129:130], v[161:162], v[129:130], v[137:138]
	s_waitcnt vmcnt(17)
	v_fma_f64 v[129:130], v[159:160], v[131:132], v[129:130]
	buffer_load_dword v138, off, s[0:3], 0 offset:428
	buffer_load_dword v151, off, s[0:3], 0 offset:448
	;; [unrolled: 1-line block ×8, first 2 shown]
	s_waitcnt vmcnt(24) lgkmcnt(0)
	v_fma_f64 v[129:130], v[153:154], v[133:134], v[129:130]
	s_waitcnt vmcnt(19)
	v_fma_f64 v[139:140], v[139:140], v[135:136], v[129:130]
	ds_read_b128 v[129:132], v128 offset:880
	ds_read_b128 v[133:136], v128 offset:896
	s_waitcnt vmcnt(18) lgkmcnt(1)
	v_fma_f64 v[129:130], v[147:148], v[129:130], v[139:140]
	s_waitcnt vmcnt(17)
	v_fma_f64 v[129:130], v[145:146], v[131:132], v[129:130]
	buffer_load_dword v140, off, s[0:3], 0 offset:460
	buffer_load_dword v145, off, s[0:3], 0 offset:480
	;; [unrolled: 1-line block ×7, first 2 shown]
	s_waitcnt vmcnt(23) lgkmcnt(0)
	v_fma_f64 v[129:130], v[141:142], v[133:134], v[129:130]
	s_waitcnt vmcnt(18)
	v_fma_f64 v[141:142], v[143:144], v[135:136], v[129:130]
	ds_read_b128 v[129:132], v128 offset:912
	ds_read_b128 v[133:136], v128 offset:928
	buffer_load_dword v146, off, s[0:3], 0 offset:484
	s_waitcnt vmcnt(18) lgkmcnt(1)
	v_fma_f64 v[129:130], v[157:158], v[129:130], v[141:142]
	buffer_load_dword v142, off, s[0:3], 0 offset:492
	buffer_load_dword v143, off, s[0:3], 0 offset:496
	;; [unrolled: 1-line block ×4, first 2 shown]
	s_waitcnt vmcnt(21)
	v_fma_f64 v[129:130], v[155:156], v[131:132], v[129:130]
	s_waitcnt vmcnt(20) lgkmcnt(0)
	v_fma_f64 v[129:130], v[149:150], v[133:134], v[129:130]
	buffer_load_dword v149, off, s[0:3], 0 offset:136
	buffer_load_dword v150, off, s[0:3], 0 offset:140
	s_waitcnt vmcnt(17)
	v_fma_f64 v[137:138], v[137:138], v[135:136], v[129:130]
	ds_read_b128 v[129:132], v128 offset:944
	ds_read_b128 v[133:136], v128 offset:960
	s_waitcnt vmcnt(16) lgkmcnt(1)
	v_fma_f64 v[129:130], v[161:162], v[129:130], v[137:138]
	s_waitcnt vmcnt(15)
	v_fma_f64 v[129:130], v[159:160], v[131:132], v[129:130]
	s_waitcnt vmcnt(14) lgkmcnt(0)
	v_fma_f64 v[129:130], v[151:152], v[133:134], v[129:130]
	s_waitcnt vmcnt(9)
	v_fma_f64 v[137:138], v[139:140], v[135:136], v[129:130]
	ds_read_b128 v[129:132], v128 offset:976
	ds_read_b128 v[133:136], v128 offset:992
	s_waitcnt vmcnt(8) lgkmcnt(1)
	v_fma_f64 v[129:130], v[153:154], v[129:130], v[137:138]
	s_waitcnt vmcnt(7)
	v_fma_f64 v[129:130], v[147:148], v[131:132], v[129:130]
	ds_read_b64 v[131:132], v128 offset:1008
	s_waitcnt vmcnt(6) lgkmcnt(1)
	v_fma_f64 v[129:130], v[145:146], v[133:134], v[129:130]
	s_waitcnt vmcnt(3)
	v_fma_f64 v[129:130], v[141:142], v[135:136], v[129:130]
	s_waitcnt vmcnt(2) lgkmcnt(0)
	v_fma_f64 v[129:130], v[143:144], v[131:132], v[129:130]
	s_waitcnt vmcnt(0)
	v_add_f64 v[129:130], v[149:150], -v[129:130]
	buffer_store_dword v130, off, s[0:3], 0 offset:140
	buffer_store_dword v129, off, s[0:3], 0 offset:136
	s_and_saveexec_b64 s[4:5], vcc
	s_cbranch_execz .LBB126_353
; %bb.352:
	buffer_load_dword v129, off, s[0:3], 0 offset:128
	buffer_load_dword v130, off, s[0:3], 0 offset:132
	s_waitcnt vmcnt(0)
	ds_write_b64 v127, v[129:130]
	buffer_store_dword v128, off, s[0:3], 0 offset:128
	buffer_store_dword v128, off, s[0:3], 0 offset:132
.LBB126_353:
	s_or_b64 exec, exec, s[4:5]
	s_waitcnt lgkmcnt(0)
	; wave barrier
	buffer_load_dword v137, off, s[0:3], 0 offset:136
	buffer_load_dword v138, off, s[0:3], 0 offset:140
	;; [unrolled: 1-line block ×21, first 2 shown]
	ds_read2_b64 v[129:132], v128 offset0:81 offset1:82
	ds_read2_b64 v[133:136], v128 offset0:83 offset1:84
	buffer_load_dword v154, off, s[0:3], 0 offset:220
	v_cmp_lt_u32_e32 vcc, 15, v0
	s_waitcnt vmcnt(20) lgkmcnt(1)
	v_fma_f64 v[129:130], v[137:138], v[129:130], 0
	s_waitcnt vmcnt(18)
	v_fma_f64 v[129:130], v[139:140], v[131:132], v[129:130]
	buffer_load_dword v138, off, s[0:3], 0 offset:228
	buffer_load_dword v139, off, s[0:3], 0 offset:248
	;; [unrolled: 1-line block ×7, first 2 shown]
	s_waitcnt vmcnt(23) lgkmcnt(0)
	v_fma_f64 v[129:130], v[141:142], v[133:134], v[129:130]
	s_waitcnt vmcnt(21)
	v_fma_f64 v[140:141], v[143:144], v[135:136], v[129:130]
	ds_read2_b64 v[129:132], v128 offset0:85 offset1:86
	ds_read2_b64 v[133:136], v128 offset0:87 offset1:88
	s_waitcnt vmcnt(19) lgkmcnt(1)
	v_fma_f64 v[129:130], v[145:146], v[129:130], v[140:141]
	buffer_load_dword v140, off, s[0:3], 0 offset:252
	s_waitcnt vmcnt(18)
	v_fma_f64 v[129:130], v[147:148], v[131:132], v[129:130]
	buffer_load_dword v142, off, s[0:3], 0 offset:260
	buffer_load_dword v143, off, s[0:3], 0 offset:280
	;; [unrolled: 1-line block ×8, first 2 shown]
	s_waitcnt vmcnt(24) lgkmcnt(0)
	v_fma_f64 v[129:130], v[149:150], v[133:134], v[129:130]
	s_waitcnt vmcnt(19)
	v_fma_f64 v[149:150], v[151:152], v[135:136], v[129:130]
	ds_read2_b64 v[129:132], v128 offset0:89 offset1:90
	ds_read2_b64 v[133:136], v128 offset0:91 offset1:92
	s_waitcnt vmcnt(18) lgkmcnt(1)
	v_fma_f64 v[129:130], v[157:158], v[129:130], v[149:150]
	s_waitcnt vmcnt(17)
	v_fma_f64 v[129:130], v[155:156], v[131:132], v[129:130]
	buffer_load_dword v150, off, s[0:3], 0 offset:292
	buffer_load_dword v151, off, s[0:3], 0 offset:312
	;; [unrolled: 1-line block ×7, first 2 shown]
	s_waitcnt vmcnt(23) lgkmcnt(0)
	v_fma_f64 v[129:130], v[153:154], v[133:134], v[129:130]
	s_waitcnt vmcnt(18)
	v_fma_f64 v[137:138], v[137:138], v[135:136], v[129:130]
	ds_read2_b64 v[129:132], v128 offset0:93 offset1:94
	ds_read2_b64 v[133:136], v128 offset0:95 offset1:96
	buffer_load_dword v152, off, s[0:3], 0 offset:316
	s_waitcnt vmcnt(18) lgkmcnt(1)
	v_fma_f64 v[129:130], v[161:162], v[129:130], v[137:138]
	s_waitcnt vmcnt(17)
	v_fma_f64 v[129:130], v[159:160], v[131:132], v[129:130]
	buffer_load_dword v138, off, s[0:3], 0 offset:324
	buffer_load_dword v153, off, s[0:3], 0 offset:344
	buffer_load_dword v159, off, s[0:3], 0 offset:336
	buffer_load_dword v161, off, s[0:3], 0 offset:328
	buffer_load_dword v137, off, s[0:3], 0 offset:320
	buffer_load_dword v162, off, s[0:3], 0 offset:332
	buffer_load_dword v160, off, s[0:3], 0 offset:340
	buffer_load_dword v154, off, s[0:3], 0 offset:348
	s_waitcnt vmcnt(24) lgkmcnt(0)
	v_fma_f64 v[129:130], v[139:140], v[133:134], v[129:130]
	s_waitcnt vmcnt(19)
	v_fma_f64 v[139:140], v[141:142], v[135:136], v[129:130]
	ds_read2_b64 v[129:132], v128 offset0:97 offset1:98
	ds_read2_b64 v[133:136], v128 offset0:99 offset1:100
	s_waitcnt vmcnt(18) lgkmcnt(1)
	v_fma_f64 v[129:130], v[147:148], v[129:130], v[139:140]
	s_waitcnt vmcnt(17)
	v_fma_f64 v[129:130], v[145:146], v[131:132], v[129:130]
	buffer_load_dword v140, off, s[0:3], 0 offset:356
	buffer_load_dword v141, off, s[0:3], 0 offset:376
	;; [unrolled: 1-line block ×7, first 2 shown]
	s_waitcnt vmcnt(23) lgkmcnt(0)
	v_fma_f64 v[129:130], v[143:144], v[133:134], v[129:130]
	s_waitcnt vmcnt(18)
	v_fma_f64 v[142:143], v[149:150], v[135:136], v[129:130]
	ds_read2_b64 v[129:132], v128 offset0:101 offset1:102
	ds_read2_b64 v[133:136], v128 offset0:103 offset1:104
	s_waitcnt vmcnt(17) lgkmcnt(1)
	v_fma_f64 v[129:130], v[157:158], v[129:130], v[142:143]
	buffer_load_dword v142, off, s[0:3], 0 offset:380
	s_waitcnt vmcnt(17)
	v_fma_f64 v[129:130], v[155:156], v[131:132], v[129:130]
	buffer_load_dword v144, off, s[0:3], 0 offset:388
	buffer_load_dword v149, off, s[0:3], 0 offset:408
	;; [unrolled: 1-line block ×7, first 2 shown]
	s_waitcnt vmcnt(23) lgkmcnt(0)
	v_fma_f64 v[129:130], v[151:152], v[133:134], v[129:130]
	s_waitcnt vmcnt(18)
	v_fma_f64 v[137:138], v[137:138], v[135:136], v[129:130]
	ds_read2_b64 v[129:132], v128 offset0:105 offset1:106
	ds_read2_b64 v[133:136], v128 offset0:107 offset1:108
	buffer_load_dword v150, off, s[0:3], 0 offset:412
	s_waitcnt vmcnt(18) lgkmcnt(1)
	v_fma_f64 v[129:130], v[161:162], v[129:130], v[137:138]
	s_waitcnt vmcnt(17)
	v_fma_f64 v[129:130], v[159:160], v[131:132], v[129:130]
	buffer_load_dword v138, off, s[0:3], 0 offset:420
	buffer_load_dword v151, off, s[0:3], 0 offset:440
	;; [unrolled: 1-line block ×8, first 2 shown]
	s_waitcnt vmcnt(24) lgkmcnt(0)
	v_fma_f64 v[129:130], v[153:154], v[133:134], v[129:130]
	s_waitcnt vmcnt(19)
	v_fma_f64 v[139:140], v[139:140], v[135:136], v[129:130]
	ds_read2_b64 v[129:132], v128 offset0:109 offset1:110
	ds_read2_b64 v[133:136], v128 offset0:111 offset1:112
	s_waitcnt vmcnt(18) lgkmcnt(1)
	v_fma_f64 v[129:130], v[147:148], v[129:130], v[139:140]
	s_waitcnt vmcnt(17)
	v_fma_f64 v[129:130], v[145:146], v[131:132], v[129:130]
	buffer_load_dword v140, off, s[0:3], 0 offset:452
	buffer_load_dword v145, off, s[0:3], 0 offset:472
	;; [unrolled: 1-line block ×8, first 2 shown]
	s_waitcnt vmcnt(24) lgkmcnt(0)
	v_fma_f64 v[129:130], v[141:142], v[133:134], v[129:130]
	s_waitcnt vmcnt(19)
	v_fma_f64 v[141:142], v[143:144], v[135:136], v[129:130]
	ds_read2_b64 v[129:132], v128 offset0:113 offset1:114
	ds_read2_b64 v[133:136], v128 offset0:115 offset1:116
	s_waitcnt vmcnt(18) lgkmcnt(1)
	v_fma_f64 v[129:130], v[157:158], v[129:130], v[141:142]
	s_waitcnt vmcnt(17)
	v_fma_f64 v[129:130], v[155:156], v[131:132], v[129:130]
	buffer_load_dword v142, off, s[0:3], 0 offset:484
	buffer_load_dword v143, off, s[0:3], 0 offset:496
	buffer_load_dword v155, off, s[0:3], 0 offset:488
	buffer_load_dword v141, off, s[0:3], 0 offset:480
	buffer_load_dword v156, off, s[0:3], 0 offset:492
	buffer_load_dword v144, off, s[0:3], 0 offset:500
	s_waitcnt vmcnt(22) lgkmcnt(0)
	v_fma_f64 v[129:130], v[149:150], v[133:134], v[129:130]
	s_waitcnt vmcnt(17)
	v_fma_f64 v[137:138], v[137:138], v[135:136], v[129:130]
	ds_read2_b64 v[129:132], v128 offset0:117 offset1:118
	buffer_load_dword v149, off, s[0:3], 0 offset:128
	buffer_load_dword v150, off, s[0:3], 0 offset:132
	ds_read2_b64 v[133:136], v128 offset0:119 offset1:120
	s_waitcnt vmcnt(18) lgkmcnt(1)
	v_fma_f64 v[129:130], v[161:162], v[129:130], v[137:138]
	s_waitcnt vmcnt(17)
	v_fma_f64 v[129:130], v[159:160], v[131:132], v[129:130]
	s_waitcnt vmcnt(16) lgkmcnt(0)
	v_fma_f64 v[129:130], v[151:152], v[133:134], v[129:130]
	s_waitcnt vmcnt(11)
	v_fma_f64 v[137:138], v[139:140], v[135:136], v[129:130]
	ds_read2_b64 v[129:132], v128 offset0:121 offset1:122
	ds_read2_b64 v[133:136], v128 offset0:123 offset1:124
	s_waitcnt vmcnt(10) lgkmcnt(1)
	v_fma_f64 v[129:130], v[153:154], v[129:130], v[137:138]
	s_waitcnt vmcnt(9)
	v_fma_f64 v[129:130], v[147:148], v[131:132], v[129:130]
	s_waitcnt vmcnt(8) lgkmcnt(0)
	v_fma_f64 v[129:130], v[145:146], v[133:134], v[129:130]
	s_waitcnt vmcnt(4)
	v_fma_f64 v[132:133], v[141:142], v[135:136], v[129:130]
	ds_read2_b64 v[128:131], v128 offset0:125 offset1:126
	s_waitcnt vmcnt(3) lgkmcnt(0)
	v_fma_f64 v[128:129], v[155:156], v[128:129], v[132:133]
	s_waitcnt vmcnt(2)
	v_fma_f64 v[128:129], v[143:144], v[130:131], v[128:129]
	s_waitcnt vmcnt(0)
	v_add_f64 v[128:129], v[149:150], -v[128:129]
	buffer_store_dword v129, off, s[0:3], 0 offset:132
	buffer_store_dword v128, off, s[0:3], 0 offset:128
	s_and_saveexec_b64 s[4:5], vcc
	s_cbranch_execz .LBB126_355
; %bb.354:
	buffer_load_dword v128, off, s[0:3], 0 offset:120
	buffer_load_dword v129, off, s[0:3], 0 offset:124
	v_mov_b32_e32 v130, 0
	buffer_store_dword v130, off, s[0:3], 0 offset:120
	buffer_store_dword v130, off, s[0:3], 0 offset:124
	s_waitcnt vmcnt(2)
	ds_write_b64 v127, v[128:129]
.LBB126_355:
	s_or_b64 exec, exec, s[4:5]
	s_waitcnt lgkmcnt(0)
	; wave barrier
	buffer_load_dword v137, off, s[0:3], 0 offset:128
	buffer_load_dword v138, off, s[0:3], 0 offset:132
	;; [unrolled: 1-line block ×21, first 2 shown]
	v_mov_b32_e32 v128, 0
	ds_read_b128 v[129:132], v128 offset:640
	ds_read_b128 v[133:136], v128 offset:656
	buffer_load_dword v154, off, s[0:3], 0 offset:212
	v_cmp_lt_u32_e32 vcc, 14, v0
	s_waitcnt vmcnt(20) lgkmcnt(1)
	v_fma_f64 v[129:130], v[137:138], v[129:130], 0
	s_waitcnt vmcnt(18)
	v_fma_f64 v[129:130], v[139:140], v[131:132], v[129:130]
	buffer_load_dword v138, off, s[0:3], 0 offset:220
	buffer_load_dword v139, off, s[0:3], 0 offset:240
	;; [unrolled: 1-line block ×7, first 2 shown]
	s_waitcnt vmcnt(23) lgkmcnt(0)
	v_fma_f64 v[129:130], v[141:142], v[133:134], v[129:130]
	s_waitcnt vmcnt(21)
	v_fma_f64 v[140:141], v[143:144], v[135:136], v[129:130]
	ds_read_b128 v[129:132], v128 offset:672
	ds_read_b128 v[133:136], v128 offset:688
	s_waitcnt vmcnt(19) lgkmcnt(1)
	v_fma_f64 v[129:130], v[145:146], v[129:130], v[140:141]
	buffer_load_dword v140, off, s[0:3], 0 offset:244
	s_waitcnt vmcnt(18)
	v_fma_f64 v[129:130], v[147:148], v[131:132], v[129:130]
	buffer_load_dword v142, off, s[0:3], 0 offset:252
	buffer_load_dword v143, off, s[0:3], 0 offset:272
	;; [unrolled: 1-line block ×8, first 2 shown]
	s_waitcnt vmcnt(24) lgkmcnt(0)
	v_fma_f64 v[129:130], v[149:150], v[133:134], v[129:130]
	s_waitcnt vmcnt(19)
	v_fma_f64 v[149:150], v[151:152], v[135:136], v[129:130]
	ds_read_b128 v[129:132], v128 offset:704
	ds_read_b128 v[133:136], v128 offset:720
	s_waitcnt vmcnt(18) lgkmcnt(1)
	v_fma_f64 v[129:130], v[157:158], v[129:130], v[149:150]
	s_waitcnt vmcnt(17)
	v_fma_f64 v[129:130], v[155:156], v[131:132], v[129:130]
	buffer_load_dword v150, off, s[0:3], 0 offset:284
	buffer_load_dword v151, off, s[0:3], 0 offset:304
	;; [unrolled: 1-line block ×7, first 2 shown]
	s_waitcnt vmcnt(23) lgkmcnt(0)
	v_fma_f64 v[129:130], v[153:154], v[133:134], v[129:130]
	s_waitcnt vmcnt(18)
	v_fma_f64 v[137:138], v[137:138], v[135:136], v[129:130]
	ds_read_b128 v[129:132], v128 offset:736
	ds_read_b128 v[133:136], v128 offset:752
	buffer_load_dword v152, off, s[0:3], 0 offset:308
	s_waitcnt vmcnt(18) lgkmcnt(1)
	v_fma_f64 v[129:130], v[161:162], v[129:130], v[137:138]
	s_waitcnt vmcnt(17)
	v_fma_f64 v[129:130], v[159:160], v[131:132], v[129:130]
	buffer_load_dword v138, off, s[0:3], 0 offset:316
	buffer_load_dword v153, off, s[0:3], 0 offset:336
	buffer_load_dword v159, off, s[0:3], 0 offset:328
	buffer_load_dword v161, off, s[0:3], 0 offset:320
	buffer_load_dword v137, off, s[0:3], 0 offset:312
	buffer_load_dword v162, off, s[0:3], 0 offset:324
	buffer_load_dword v160, off, s[0:3], 0 offset:332
	buffer_load_dword v154, off, s[0:3], 0 offset:340
	s_waitcnt vmcnt(24) lgkmcnt(0)
	v_fma_f64 v[129:130], v[139:140], v[133:134], v[129:130]
	s_waitcnt vmcnt(19)
	v_fma_f64 v[139:140], v[141:142], v[135:136], v[129:130]
	ds_read_b128 v[129:132], v128 offset:768
	ds_read_b128 v[133:136], v128 offset:784
	s_waitcnt vmcnt(18) lgkmcnt(1)
	v_fma_f64 v[129:130], v[147:148], v[129:130], v[139:140]
	s_waitcnt vmcnt(17)
	v_fma_f64 v[129:130], v[145:146], v[131:132], v[129:130]
	buffer_load_dword v140, off, s[0:3], 0 offset:348
	buffer_load_dword v141, off, s[0:3], 0 offset:368
	;; [unrolled: 1-line block ×7, first 2 shown]
	s_waitcnt vmcnt(23) lgkmcnt(0)
	v_fma_f64 v[129:130], v[143:144], v[133:134], v[129:130]
	s_waitcnt vmcnt(18)
	v_fma_f64 v[142:143], v[149:150], v[135:136], v[129:130]
	ds_read_b128 v[129:132], v128 offset:800
	ds_read_b128 v[133:136], v128 offset:816
	s_waitcnt vmcnt(17) lgkmcnt(1)
	v_fma_f64 v[129:130], v[157:158], v[129:130], v[142:143]
	buffer_load_dword v142, off, s[0:3], 0 offset:372
	s_waitcnt vmcnt(17)
	v_fma_f64 v[129:130], v[155:156], v[131:132], v[129:130]
	buffer_load_dword v144, off, s[0:3], 0 offset:380
	buffer_load_dword v149, off, s[0:3], 0 offset:400
	;; [unrolled: 1-line block ×7, first 2 shown]
	s_waitcnt vmcnt(23) lgkmcnt(0)
	v_fma_f64 v[129:130], v[151:152], v[133:134], v[129:130]
	s_waitcnt vmcnt(18)
	v_fma_f64 v[137:138], v[137:138], v[135:136], v[129:130]
	ds_read_b128 v[129:132], v128 offset:832
	ds_read_b128 v[133:136], v128 offset:848
	buffer_load_dword v150, off, s[0:3], 0 offset:404
	s_waitcnt vmcnt(18) lgkmcnt(1)
	v_fma_f64 v[129:130], v[161:162], v[129:130], v[137:138]
	s_waitcnt vmcnt(17)
	v_fma_f64 v[129:130], v[159:160], v[131:132], v[129:130]
	buffer_load_dword v138, off, s[0:3], 0 offset:412
	buffer_load_dword v151, off, s[0:3], 0 offset:432
	buffer_load_dword v159, off, s[0:3], 0 offset:424
	buffer_load_dword v161, off, s[0:3], 0 offset:416
	buffer_load_dword v137, off, s[0:3], 0 offset:408
	buffer_load_dword v162, off, s[0:3], 0 offset:420
	buffer_load_dword v160, off, s[0:3], 0 offset:428
	buffer_load_dword v152, off, s[0:3], 0 offset:436
	s_waitcnt vmcnt(24) lgkmcnt(0)
	v_fma_f64 v[129:130], v[153:154], v[133:134], v[129:130]
	s_waitcnt vmcnt(19)
	v_fma_f64 v[139:140], v[139:140], v[135:136], v[129:130]
	ds_read_b128 v[129:132], v128 offset:864
	ds_read_b128 v[133:136], v128 offset:880
	s_waitcnt vmcnt(18) lgkmcnt(1)
	v_fma_f64 v[129:130], v[147:148], v[129:130], v[139:140]
	s_waitcnt vmcnt(17)
	v_fma_f64 v[129:130], v[145:146], v[131:132], v[129:130]
	buffer_load_dword v140, off, s[0:3], 0 offset:444
	buffer_load_dword v145, off, s[0:3], 0 offset:464
	buffer_load_dword v147, off, s[0:3], 0 offset:456
	buffer_load_dword v153, off, s[0:3], 0 offset:448
	buffer_load_dword v139, off, s[0:3], 0 offset:440
	buffer_load_dword v154, off, s[0:3], 0 offset:452
	buffer_load_dword v148, off, s[0:3], 0 offset:460
	buffer_load_dword v146, off, s[0:3], 0 offset:468
	s_waitcnt vmcnt(24) lgkmcnt(0)
	v_fma_f64 v[129:130], v[141:142], v[133:134], v[129:130]
	s_waitcnt vmcnt(19)
	v_fma_f64 v[141:142], v[143:144], v[135:136], v[129:130]
	ds_read_b128 v[129:132], v128 offset:896
	ds_read_b128 v[133:136], v128 offset:912
	;; [unrolled: 18-line block ×3, first 2 shown]
	s_waitcnt vmcnt(18) lgkmcnt(1)
	v_fma_f64 v[129:130], v[161:162], v[129:130], v[137:138]
	buffer_load_dword v137, off, s[0:3], 0 offset:120
	buffer_load_dword v138, off, s[0:3], 0 offset:124
	s_waitcnt vmcnt(19)
	v_fma_f64 v[129:130], v[159:160], v[131:132], v[129:130]
	s_waitcnt vmcnt(18) lgkmcnt(0)
	v_fma_f64 v[129:130], v[151:152], v[133:134], v[129:130]
	s_waitcnt vmcnt(13)
	v_fma_f64 v[139:140], v[139:140], v[135:136], v[129:130]
	ds_read_b128 v[129:132], v128 offset:960
	ds_read_b128 v[133:136], v128 offset:976
	s_waitcnt vmcnt(12) lgkmcnt(1)
	v_fma_f64 v[129:130], v[153:154], v[129:130], v[139:140]
	s_waitcnt vmcnt(11)
	v_fma_f64 v[129:130], v[147:148], v[131:132], v[129:130]
	s_waitcnt vmcnt(10) lgkmcnt(0)
	v_fma_f64 v[129:130], v[145:146], v[133:134], v[129:130]
	s_waitcnt vmcnt(5)
	v_fma_f64 v[133:134], v[141:142], v[135:136], v[129:130]
	ds_read_b128 v[129:132], v128 offset:992
	ds_read_b64 v[135:136], v128 offset:1008
	s_waitcnt vmcnt(4) lgkmcnt(1)
	v_fma_f64 v[129:130], v[157:158], v[129:130], v[133:134]
	s_waitcnt vmcnt(3)
	v_fma_f64 v[129:130], v[155:156], v[131:132], v[129:130]
	s_waitcnt vmcnt(2) lgkmcnt(0)
	v_fma_f64 v[129:130], v[143:144], v[135:136], v[129:130]
	s_waitcnt vmcnt(0)
	v_add_f64 v[129:130], v[137:138], -v[129:130]
	buffer_store_dword v130, off, s[0:3], 0 offset:124
	buffer_store_dword v129, off, s[0:3], 0 offset:120
	s_and_saveexec_b64 s[4:5], vcc
	s_cbranch_execz .LBB126_357
; %bb.356:
	buffer_load_dword v129, off, s[0:3], 0 offset:112
	buffer_load_dword v130, off, s[0:3], 0 offset:116
	s_waitcnt vmcnt(0)
	ds_write_b64 v127, v[129:130]
	buffer_store_dword v128, off, s[0:3], 0 offset:112
	buffer_store_dword v128, off, s[0:3], 0 offset:116
.LBB126_357:
	s_or_b64 exec, exec, s[4:5]
	s_waitcnt lgkmcnt(0)
	; wave barrier
	buffer_load_dword v137, off, s[0:3], 0 offset:120
	buffer_load_dword v138, off, s[0:3], 0 offset:124
	;; [unrolled: 1-line block ×21, first 2 shown]
	ds_read2_b64 v[129:132], v128 offset0:79 offset1:80
	ds_read2_b64 v[133:136], v128 offset0:81 offset1:82
	buffer_load_dword v154, off, s[0:3], 0 offset:204
	v_cmp_lt_u32_e32 vcc, 13, v0
	s_waitcnt vmcnt(20) lgkmcnt(1)
	v_fma_f64 v[129:130], v[137:138], v[129:130], 0
	s_waitcnt vmcnt(18)
	v_fma_f64 v[129:130], v[139:140], v[131:132], v[129:130]
	buffer_load_dword v138, off, s[0:3], 0 offset:212
	buffer_load_dword v139, off, s[0:3], 0 offset:232
	;; [unrolled: 1-line block ×7, first 2 shown]
	s_waitcnt vmcnt(23) lgkmcnt(0)
	v_fma_f64 v[129:130], v[141:142], v[133:134], v[129:130]
	s_waitcnt vmcnt(21)
	v_fma_f64 v[140:141], v[143:144], v[135:136], v[129:130]
	ds_read2_b64 v[129:132], v128 offset0:83 offset1:84
	ds_read2_b64 v[133:136], v128 offset0:85 offset1:86
	s_waitcnt vmcnt(19) lgkmcnt(1)
	v_fma_f64 v[129:130], v[145:146], v[129:130], v[140:141]
	buffer_load_dword v140, off, s[0:3], 0 offset:236
	s_waitcnt vmcnt(18)
	v_fma_f64 v[129:130], v[147:148], v[131:132], v[129:130]
	buffer_load_dword v142, off, s[0:3], 0 offset:244
	buffer_load_dword v143, off, s[0:3], 0 offset:264
	;; [unrolled: 1-line block ×8, first 2 shown]
	s_waitcnt vmcnt(24) lgkmcnt(0)
	v_fma_f64 v[129:130], v[149:150], v[133:134], v[129:130]
	s_waitcnt vmcnt(19)
	v_fma_f64 v[149:150], v[151:152], v[135:136], v[129:130]
	ds_read2_b64 v[129:132], v128 offset0:87 offset1:88
	ds_read2_b64 v[133:136], v128 offset0:89 offset1:90
	s_waitcnt vmcnt(18) lgkmcnt(1)
	v_fma_f64 v[129:130], v[157:158], v[129:130], v[149:150]
	s_waitcnt vmcnt(17)
	v_fma_f64 v[129:130], v[155:156], v[131:132], v[129:130]
	buffer_load_dword v150, off, s[0:3], 0 offset:276
	buffer_load_dword v151, off, s[0:3], 0 offset:296
	;; [unrolled: 1-line block ×7, first 2 shown]
	s_waitcnt vmcnt(23) lgkmcnt(0)
	v_fma_f64 v[129:130], v[153:154], v[133:134], v[129:130]
	s_waitcnt vmcnt(18)
	v_fma_f64 v[137:138], v[137:138], v[135:136], v[129:130]
	ds_read2_b64 v[129:132], v128 offset0:91 offset1:92
	ds_read2_b64 v[133:136], v128 offset0:93 offset1:94
	buffer_load_dword v152, off, s[0:3], 0 offset:300
	s_waitcnt vmcnt(18) lgkmcnt(1)
	v_fma_f64 v[129:130], v[161:162], v[129:130], v[137:138]
	s_waitcnt vmcnt(17)
	v_fma_f64 v[129:130], v[159:160], v[131:132], v[129:130]
	buffer_load_dword v138, off, s[0:3], 0 offset:308
	buffer_load_dword v153, off, s[0:3], 0 offset:328
	;; [unrolled: 1-line block ×8, first 2 shown]
	s_waitcnt vmcnt(24) lgkmcnt(0)
	v_fma_f64 v[129:130], v[139:140], v[133:134], v[129:130]
	s_waitcnt vmcnt(19)
	v_fma_f64 v[139:140], v[141:142], v[135:136], v[129:130]
	ds_read2_b64 v[129:132], v128 offset0:95 offset1:96
	ds_read2_b64 v[133:136], v128 offset0:97 offset1:98
	s_waitcnt vmcnt(18) lgkmcnt(1)
	v_fma_f64 v[129:130], v[147:148], v[129:130], v[139:140]
	s_waitcnt vmcnt(17)
	v_fma_f64 v[129:130], v[145:146], v[131:132], v[129:130]
	buffer_load_dword v140, off, s[0:3], 0 offset:340
	buffer_load_dword v141, off, s[0:3], 0 offset:360
	;; [unrolled: 1-line block ×7, first 2 shown]
	s_waitcnt vmcnt(23) lgkmcnt(0)
	v_fma_f64 v[129:130], v[143:144], v[133:134], v[129:130]
	s_waitcnt vmcnt(18)
	v_fma_f64 v[142:143], v[149:150], v[135:136], v[129:130]
	ds_read2_b64 v[129:132], v128 offset0:99 offset1:100
	ds_read2_b64 v[133:136], v128 offset0:101 offset1:102
	s_waitcnt vmcnt(17) lgkmcnt(1)
	v_fma_f64 v[129:130], v[157:158], v[129:130], v[142:143]
	buffer_load_dword v142, off, s[0:3], 0 offset:364
	s_waitcnt vmcnt(17)
	v_fma_f64 v[129:130], v[155:156], v[131:132], v[129:130]
	buffer_load_dword v144, off, s[0:3], 0 offset:372
	buffer_load_dword v149, off, s[0:3], 0 offset:392
	;; [unrolled: 1-line block ×7, first 2 shown]
	s_waitcnt vmcnt(23) lgkmcnt(0)
	v_fma_f64 v[129:130], v[151:152], v[133:134], v[129:130]
	s_waitcnt vmcnt(18)
	v_fma_f64 v[137:138], v[137:138], v[135:136], v[129:130]
	ds_read2_b64 v[129:132], v128 offset0:103 offset1:104
	ds_read2_b64 v[133:136], v128 offset0:105 offset1:106
	buffer_load_dword v150, off, s[0:3], 0 offset:396
	s_waitcnt vmcnt(18) lgkmcnt(1)
	v_fma_f64 v[129:130], v[161:162], v[129:130], v[137:138]
	s_waitcnt vmcnt(17)
	v_fma_f64 v[129:130], v[159:160], v[131:132], v[129:130]
	buffer_load_dword v138, off, s[0:3], 0 offset:404
	buffer_load_dword v151, off, s[0:3], 0 offset:424
	buffer_load_dword v159, off, s[0:3], 0 offset:416
	buffer_load_dword v161, off, s[0:3], 0 offset:408
	buffer_load_dword v137, off, s[0:3], 0 offset:400
	buffer_load_dword v162, off, s[0:3], 0 offset:412
	buffer_load_dword v160, off, s[0:3], 0 offset:420
	buffer_load_dword v152, off, s[0:3], 0 offset:428
	s_waitcnt vmcnt(24) lgkmcnt(0)
	v_fma_f64 v[129:130], v[153:154], v[133:134], v[129:130]
	s_waitcnt vmcnt(19)
	v_fma_f64 v[139:140], v[139:140], v[135:136], v[129:130]
	ds_read2_b64 v[129:132], v128 offset0:107 offset1:108
	ds_read2_b64 v[133:136], v128 offset0:109 offset1:110
	s_waitcnt vmcnt(18) lgkmcnt(1)
	v_fma_f64 v[129:130], v[147:148], v[129:130], v[139:140]
	s_waitcnt vmcnt(17)
	v_fma_f64 v[129:130], v[145:146], v[131:132], v[129:130]
	buffer_load_dword v140, off, s[0:3], 0 offset:436
	buffer_load_dword v145, off, s[0:3], 0 offset:456
	buffer_load_dword v147, off, s[0:3], 0 offset:448
	buffer_load_dword v153, off, s[0:3], 0 offset:440
	buffer_load_dword v139, off, s[0:3], 0 offset:432
	buffer_load_dword v154, off, s[0:3], 0 offset:444
	buffer_load_dword v148, off, s[0:3], 0 offset:452
	buffer_load_dword v146, off, s[0:3], 0 offset:460
	s_waitcnt vmcnt(24) lgkmcnt(0)
	v_fma_f64 v[129:130], v[141:142], v[133:134], v[129:130]
	s_waitcnt vmcnt(19)
	v_fma_f64 v[141:142], v[143:144], v[135:136], v[129:130]
	ds_read2_b64 v[129:132], v128 offset0:111 offset1:112
	ds_read2_b64 v[133:136], v128 offset0:113 offset1:114
	;; [unrolled: 18-line block ×3, first 2 shown]
	s_waitcnt vmcnt(18) lgkmcnt(1)
	v_fma_f64 v[129:130], v[161:162], v[129:130], v[137:138]
	buffer_load_dword v138, off, s[0:3], 0 offset:500
	buffer_load_dword v137, off, s[0:3], 0 offset:496
	buffer_load_dword v149, off, s[0:3], 0 offset:112
	buffer_load_dword v150, off, s[0:3], 0 offset:116
	s_waitcnt vmcnt(21)
	v_fma_f64 v[129:130], v[159:160], v[131:132], v[129:130]
	s_waitcnt vmcnt(20) lgkmcnt(0)
	v_fma_f64 v[129:130], v[151:152], v[133:134], v[129:130]
	s_waitcnt vmcnt(15)
	v_fma_f64 v[139:140], v[139:140], v[135:136], v[129:130]
	ds_read2_b64 v[129:132], v128 offset0:119 offset1:120
	ds_read2_b64 v[133:136], v128 offset0:121 offset1:122
	s_waitcnt vmcnt(14) lgkmcnt(1)
	v_fma_f64 v[129:130], v[153:154], v[129:130], v[139:140]
	s_waitcnt vmcnt(13)
	v_fma_f64 v[129:130], v[147:148], v[131:132], v[129:130]
	s_waitcnt vmcnt(12) lgkmcnt(0)
	v_fma_f64 v[129:130], v[145:146], v[133:134], v[129:130]
	s_waitcnt vmcnt(7)
	v_fma_f64 v[139:140], v[141:142], v[135:136], v[129:130]
	ds_read2_b64 v[129:132], v128 offset0:123 offset1:124
	ds_read2_b64 v[133:136], v128 offset0:125 offset1:126
	s_waitcnt vmcnt(6) lgkmcnt(1)
	v_fma_f64 v[128:129], v[157:158], v[129:130], v[139:140]
	s_waitcnt vmcnt(5)
	v_fma_f64 v[128:129], v[155:156], v[131:132], v[128:129]
	s_waitcnt vmcnt(4) lgkmcnt(0)
	v_fma_f64 v[128:129], v[143:144], v[133:134], v[128:129]
	s_waitcnt vmcnt(2)
	v_fma_f64 v[128:129], v[137:138], v[135:136], v[128:129]
	s_waitcnt vmcnt(0)
	v_add_f64 v[128:129], v[149:150], -v[128:129]
	buffer_store_dword v129, off, s[0:3], 0 offset:116
	buffer_store_dword v128, off, s[0:3], 0 offset:112
	s_and_saveexec_b64 s[4:5], vcc
	s_cbranch_execz .LBB126_359
; %bb.358:
	buffer_load_dword v128, off, s[0:3], 0 offset:104
	buffer_load_dword v129, off, s[0:3], 0 offset:108
	v_mov_b32_e32 v130, 0
	buffer_store_dword v130, off, s[0:3], 0 offset:104
	buffer_store_dword v130, off, s[0:3], 0 offset:108
	s_waitcnt vmcnt(2)
	ds_write_b64 v127, v[128:129]
.LBB126_359:
	s_or_b64 exec, exec, s[4:5]
	s_waitcnt lgkmcnt(0)
	; wave barrier
	buffer_load_dword v137, off, s[0:3], 0 offset:112
	buffer_load_dword v138, off, s[0:3], 0 offset:116
	;; [unrolled: 1-line block ×21, first 2 shown]
	v_mov_b32_e32 v128, 0
	ds_read_b128 v[129:132], v128 offset:624
	ds_read_b128 v[133:136], v128 offset:640
	buffer_load_dword v154, off, s[0:3], 0 offset:196
	v_cmp_lt_u32_e32 vcc, 12, v0
	s_waitcnt vmcnt(20) lgkmcnt(1)
	v_fma_f64 v[129:130], v[137:138], v[129:130], 0
	s_waitcnt vmcnt(18)
	v_fma_f64 v[129:130], v[139:140], v[131:132], v[129:130]
	buffer_load_dword v138, off, s[0:3], 0 offset:204
	buffer_load_dword v139, off, s[0:3], 0 offset:224
	;; [unrolled: 1-line block ×7, first 2 shown]
	s_waitcnt vmcnt(23) lgkmcnt(0)
	v_fma_f64 v[129:130], v[141:142], v[133:134], v[129:130]
	s_waitcnt vmcnt(21)
	v_fma_f64 v[140:141], v[143:144], v[135:136], v[129:130]
	ds_read_b128 v[129:132], v128 offset:656
	ds_read_b128 v[133:136], v128 offset:672
	s_waitcnt vmcnt(19) lgkmcnt(1)
	v_fma_f64 v[129:130], v[145:146], v[129:130], v[140:141]
	buffer_load_dword v140, off, s[0:3], 0 offset:228
	s_waitcnt vmcnt(18)
	v_fma_f64 v[129:130], v[147:148], v[131:132], v[129:130]
	buffer_load_dword v142, off, s[0:3], 0 offset:236
	buffer_load_dword v143, off, s[0:3], 0 offset:256
	;; [unrolled: 1-line block ×8, first 2 shown]
	s_waitcnt vmcnt(24) lgkmcnt(0)
	v_fma_f64 v[129:130], v[149:150], v[133:134], v[129:130]
	s_waitcnt vmcnt(19)
	v_fma_f64 v[149:150], v[151:152], v[135:136], v[129:130]
	ds_read_b128 v[129:132], v128 offset:688
	ds_read_b128 v[133:136], v128 offset:704
	s_waitcnt vmcnt(18) lgkmcnt(1)
	v_fma_f64 v[129:130], v[157:158], v[129:130], v[149:150]
	s_waitcnt vmcnt(17)
	v_fma_f64 v[129:130], v[155:156], v[131:132], v[129:130]
	buffer_load_dword v150, off, s[0:3], 0 offset:268
	buffer_load_dword v151, off, s[0:3], 0 offset:288
	;; [unrolled: 1-line block ×7, first 2 shown]
	s_waitcnt vmcnt(23) lgkmcnt(0)
	v_fma_f64 v[129:130], v[153:154], v[133:134], v[129:130]
	s_waitcnt vmcnt(18)
	v_fma_f64 v[137:138], v[137:138], v[135:136], v[129:130]
	ds_read_b128 v[129:132], v128 offset:720
	ds_read_b128 v[133:136], v128 offset:736
	buffer_load_dword v152, off, s[0:3], 0 offset:292
	s_waitcnt vmcnt(18) lgkmcnt(1)
	v_fma_f64 v[129:130], v[161:162], v[129:130], v[137:138]
	s_waitcnt vmcnt(17)
	v_fma_f64 v[129:130], v[159:160], v[131:132], v[129:130]
	buffer_load_dword v138, off, s[0:3], 0 offset:300
	buffer_load_dword v153, off, s[0:3], 0 offset:320
	;; [unrolled: 1-line block ×7, first 2 shown]
	s_waitcnt vmcnt(23) lgkmcnt(0)
	v_fma_f64 v[129:130], v[139:140], v[133:134], v[129:130]
	s_waitcnt vmcnt(18)
	v_fma_f64 v[139:140], v[141:142], v[135:136], v[129:130]
	ds_read_b128 v[129:132], v128 offset:752
	ds_read_b128 v[133:136], v128 offset:768
	buffer_load_dword v154, off, s[0:3], 0 offset:324
	s_waitcnt vmcnt(18) lgkmcnt(1)
	v_fma_f64 v[129:130], v[147:148], v[129:130], v[139:140]
	s_waitcnt vmcnt(17)
	v_fma_f64 v[129:130], v[145:146], v[131:132], v[129:130]
	buffer_load_dword v140, off, s[0:3], 0 offset:332
	buffer_load_dword v141, off, s[0:3], 0 offset:352
	;; [unrolled: 1-line block ×7, first 2 shown]
	s_waitcnt vmcnt(23) lgkmcnt(0)
	v_fma_f64 v[129:130], v[143:144], v[133:134], v[129:130]
	s_waitcnt vmcnt(18)
	v_fma_f64 v[142:143], v[149:150], v[135:136], v[129:130]
	ds_read_b128 v[129:132], v128 offset:784
	ds_read_b128 v[133:136], v128 offset:800
	s_waitcnt vmcnt(17) lgkmcnt(1)
	v_fma_f64 v[129:130], v[157:158], v[129:130], v[142:143]
	buffer_load_dword v142, off, s[0:3], 0 offset:356
	s_waitcnt vmcnt(17)
	v_fma_f64 v[129:130], v[155:156], v[131:132], v[129:130]
	buffer_load_dword v144, off, s[0:3], 0 offset:364
	buffer_load_dword v149, off, s[0:3], 0 offset:384
	;; [unrolled: 1-line block ×7, first 2 shown]
	s_waitcnt vmcnt(23) lgkmcnt(0)
	v_fma_f64 v[129:130], v[151:152], v[133:134], v[129:130]
	s_waitcnt vmcnt(18)
	v_fma_f64 v[137:138], v[137:138], v[135:136], v[129:130]
	ds_read_b128 v[129:132], v128 offset:816
	ds_read_b128 v[133:136], v128 offset:832
	buffer_load_dword v150, off, s[0:3], 0 offset:388
	s_waitcnt vmcnt(18) lgkmcnt(1)
	v_fma_f64 v[129:130], v[161:162], v[129:130], v[137:138]
	s_waitcnt vmcnt(17)
	v_fma_f64 v[129:130], v[159:160], v[131:132], v[129:130]
	buffer_load_dword v138, off, s[0:3], 0 offset:396
	buffer_load_dword v151, off, s[0:3], 0 offset:416
	buffer_load_dword v159, off, s[0:3], 0 offset:408
	buffer_load_dword v161, off, s[0:3], 0 offset:400
	buffer_load_dword v137, off, s[0:3], 0 offset:392
	buffer_load_dword v162, off, s[0:3], 0 offset:404
	buffer_load_dword v160, off, s[0:3], 0 offset:412
	s_waitcnt vmcnt(23) lgkmcnt(0)
	v_fma_f64 v[129:130], v[153:154], v[133:134], v[129:130]
	s_waitcnt vmcnt(18)
	v_fma_f64 v[139:140], v[139:140], v[135:136], v[129:130]
	ds_read_b128 v[129:132], v128 offset:848
	ds_read_b128 v[133:136], v128 offset:864
	buffer_load_dword v152, off, s[0:3], 0 offset:420
	s_waitcnt vmcnt(18) lgkmcnt(1)
	v_fma_f64 v[129:130], v[147:148], v[129:130], v[139:140]
	s_waitcnt vmcnt(17)
	v_fma_f64 v[129:130], v[145:146], v[131:132], v[129:130]
	buffer_load_dword v140, off, s[0:3], 0 offset:428
	buffer_load_dword v145, off, s[0:3], 0 offset:448
	buffer_load_dword v147, off, s[0:3], 0 offset:440
	buffer_load_dword v153, off, s[0:3], 0 offset:432
	buffer_load_dword v139, off, s[0:3], 0 offset:424
	buffer_load_dword v154, off, s[0:3], 0 offset:436
	buffer_load_dword v148, off, s[0:3], 0 offset:444
	buffer_load_dword v146, off, s[0:3], 0 offset:452
	s_waitcnt vmcnt(24) lgkmcnt(0)
	v_fma_f64 v[129:130], v[141:142], v[133:134], v[129:130]
	s_waitcnt vmcnt(19)
	v_fma_f64 v[141:142], v[143:144], v[135:136], v[129:130]
	ds_read_b128 v[129:132], v128 offset:880
	ds_read_b128 v[133:136], v128 offset:896
	s_waitcnt vmcnt(18) lgkmcnt(1)
	v_fma_f64 v[129:130], v[157:158], v[129:130], v[141:142]
	s_waitcnt vmcnt(17)
	v_fma_f64 v[129:130], v[155:156], v[131:132], v[129:130]
	buffer_load_dword v142, off, s[0:3], 0 offset:460
	buffer_load_dword v143, off, s[0:3], 0 offset:480
	;; [unrolled: 1-line block ×7, first 2 shown]
	s_waitcnt vmcnt(23) lgkmcnt(0)
	v_fma_f64 v[129:130], v[149:150], v[133:134], v[129:130]
	s_waitcnt vmcnt(18)
	v_fma_f64 v[137:138], v[137:138], v[135:136], v[129:130]
	ds_read_b128 v[129:132], v128 offset:912
	ds_read_b128 v[133:136], v128 offset:928
	buffer_load_dword v144, off, s[0:3], 0 offset:484
	s_waitcnt vmcnt(18) lgkmcnt(1)
	v_fma_f64 v[129:130], v[161:162], v[129:130], v[137:138]
	buffer_load_dword v138, off, s[0:3], 0 offset:492
	buffer_load_dword v149, off, s[0:3], 0 offset:496
	;; [unrolled: 1-line block ×4, first 2 shown]
	s_waitcnt vmcnt(21)
	v_fma_f64 v[129:130], v[159:160], v[131:132], v[129:130]
	s_waitcnt vmcnt(20) lgkmcnt(0)
	v_fma_f64 v[129:130], v[151:152], v[133:134], v[129:130]
	buffer_load_dword v151, off, s[0:3], 0 offset:104
	buffer_load_dword v152, off, s[0:3], 0 offset:108
	s_waitcnt vmcnt(17)
	v_fma_f64 v[139:140], v[139:140], v[135:136], v[129:130]
	ds_read_b128 v[129:132], v128 offset:944
	ds_read_b128 v[133:136], v128 offset:960
	s_waitcnt vmcnt(16) lgkmcnt(1)
	v_fma_f64 v[129:130], v[153:154], v[129:130], v[139:140]
	s_waitcnt vmcnt(15)
	v_fma_f64 v[129:130], v[147:148], v[131:132], v[129:130]
	s_waitcnt vmcnt(14) lgkmcnt(0)
	v_fma_f64 v[129:130], v[145:146], v[133:134], v[129:130]
	s_waitcnt vmcnt(9)
	v_fma_f64 v[139:140], v[141:142], v[135:136], v[129:130]
	ds_read_b128 v[129:132], v128 offset:976
	ds_read_b128 v[133:136], v128 offset:992
	s_waitcnt vmcnt(8) lgkmcnt(1)
	v_fma_f64 v[129:130], v[157:158], v[129:130], v[139:140]
	s_waitcnt vmcnt(7)
	v_fma_f64 v[129:130], v[155:156], v[131:132], v[129:130]
	ds_read_b64 v[131:132], v128 offset:1008
	s_waitcnt vmcnt(6) lgkmcnt(1)
	v_fma_f64 v[129:130], v[143:144], v[133:134], v[129:130]
	s_waitcnt vmcnt(3)
	v_fma_f64 v[129:130], v[137:138], v[135:136], v[129:130]
	s_waitcnt vmcnt(2) lgkmcnt(0)
	v_fma_f64 v[129:130], v[149:150], v[131:132], v[129:130]
	s_waitcnt vmcnt(0)
	v_add_f64 v[129:130], v[151:152], -v[129:130]
	buffer_store_dword v130, off, s[0:3], 0 offset:108
	buffer_store_dword v129, off, s[0:3], 0 offset:104
	s_and_saveexec_b64 s[4:5], vcc
	s_cbranch_execz .LBB126_361
; %bb.360:
	buffer_load_dword v129, off, s[0:3], 0 offset:96
	buffer_load_dword v130, off, s[0:3], 0 offset:100
	s_waitcnt vmcnt(0)
	ds_write_b64 v127, v[129:130]
	buffer_store_dword v128, off, s[0:3], 0 offset:96
	buffer_store_dword v128, off, s[0:3], 0 offset:100
.LBB126_361:
	s_or_b64 exec, exec, s[4:5]
	s_waitcnt lgkmcnt(0)
	; wave barrier
	buffer_load_dword v137, off, s[0:3], 0 offset:104
	buffer_load_dword v138, off, s[0:3], 0 offset:108
	;; [unrolled: 1-line block ×22, first 2 shown]
	ds_read2_b64 v[129:132], v128 offset0:77 offset1:78
	ds_read2_b64 v[133:136], v128 offset0:79 offset1:80
	v_cmp_lt_u32_e32 vcc, 11, v0
	s_waitcnt vmcnt(20) lgkmcnt(1)
	v_fma_f64 v[129:130], v[137:138], v[129:130], 0
	s_waitcnt vmcnt(18)
	v_fma_f64 v[129:130], v[139:140], v[131:132], v[129:130]
	buffer_load_dword v138, off, s[0:3], 0 offset:196
	buffer_load_dword v139, off, s[0:3], 0 offset:216
	;; [unrolled: 1-line block ×7, first 2 shown]
	s_waitcnt vmcnt(23) lgkmcnt(0)
	v_fma_f64 v[129:130], v[141:142], v[133:134], v[129:130]
	s_waitcnt vmcnt(21)
	v_fma_f64 v[140:141], v[143:144], v[135:136], v[129:130]
	ds_read2_b64 v[129:132], v128 offset0:81 offset1:82
	ds_read2_b64 v[133:136], v128 offset0:83 offset1:84
	s_waitcnt vmcnt(19) lgkmcnt(1)
	v_fma_f64 v[129:130], v[145:146], v[129:130], v[140:141]
	buffer_load_dword v140, off, s[0:3], 0 offset:220
	s_waitcnt vmcnt(18)
	v_fma_f64 v[129:130], v[147:148], v[131:132], v[129:130]
	buffer_load_dword v142, off, s[0:3], 0 offset:228
	buffer_load_dword v143, off, s[0:3], 0 offset:248
	;; [unrolled: 1-line block ×8, first 2 shown]
	s_waitcnt vmcnt(24) lgkmcnt(0)
	v_fma_f64 v[129:130], v[149:150], v[133:134], v[129:130]
	s_waitcnt vmcnt(19)
	v_fma_f64 v[149:150], v[151:152], v[135:136], v[129:130]
	ds_read2_b64 v[129:132], v128 offset0:85 offset1:86
	ds_read2_b64 v[133:136], v128 offset0:87 offset1:88
	s_waitcnt vmcnt(18) lgkmcnt(1)
	v_fma_f64 v[129:130], v[157:158], v[129:130], v[149:150]
	s_waitcnt vmcnt(17)
	v_fma_f64 v[129:130], v[155:156], v[131:132], v[129:130]
	buffer_load_dword v150, off, s[0:3], 0 offset:260
	buffer_load_dword v151, off, s[0:3], 0 offset:280
	;; [unrolled: 1-line block ×8, first 2 shown]
	s_waitcnt vmcnt(24) lgkmcnt(0)
	v_fma_f64 v[129:130], v[153:154], v[133:134], v[129:130]
	s_waitcnt vmcnt(19)
	v_fma_f64 v[137:138], v[137:138], v[135:136], v[129:130]
	ds_read2_b64 v[129:132], v128 offset0:89 offset1:90
	ds_read2_b64 v[133:136], v128 offset0:91 offset1:92
	s_waitcnt vmcnt(18) lgkmcnt(1)
	v_fma_f64 v[129:130], v[161:162], v[129:130], v[137:138]
	s_waitcnt vmcnt(17)
	v_fma_f64 v[129:130], v[159:160], v[131:132], v[129:130]
	buffer_load_dword v138, off, s[0:3], 0 offset:292
	buffer_load_dword v153, off, s[0:3], 0 offset:312
	;; [unrolled: 1-line block ×7, first 2 shown]
	s_waitcnt vmcnt(23) lgkmcnt(0)
	v_fma_f64 v[129:130], v[139:140], v[133:134], v[129:130]
	s_waitcnt vmcnt(18)
	v_fma_f64 v[139:140], v[141:142], v[135:136], v[129:130]
	ds_read2_b64 v[129:132], v128 offset0:93 offset1:94
	ds_read2_b64 v[133:136], v128 offset0:95 offset1:96
	buffer_load_dword v154, off, s[0:3], 0 offset:316
	s_waitcnt vmcnt(18) lgkmcnt(1)
	v_fma_f64 v[129:130], v[147:148], v[129:130], v[139:140]
	s_waitcnt vmcnt(17)
	v_fma_f64 v[129:130], v[145:146], v[131:132], v[129:130]
	buffer_load_dword v140, off, s[0:3], 0 offset:324
	buffer_load_dword v141, off, s[0:3], 0 offset:344
	;; [unrolled: 1-line block ×7, first 2 shown]
	s_waitcnt vmcnt(23) lgkmcnt(0)
	v_fma_f64 v[129:130], v[143:144], v[133:134], v[129:130]
	s_waitcnt vmcnt(18)
	v_fma_f64 v[142:143], v[149:150], v[135:136], v[129:130]
	ds_read2_b64 v[129:132], v128 offset0:97 offset1:98
	ds_read2_b64 v[133:136], v128 offset0:99 offset1:100
	s_waitcnt vmcnt(17) lgkmcnt(1)
	v_fma_f64 v[129:130], v[157:158], v[129:130], v[142:143]
	buffer_load_dword v142, off, s[0:3], 0 offset:348
	s_waitcnt vmcnt(17)
	v_fma_f64 v[129:130], v[155:156], v[131:132], v[129:130]
	buffer_load_dword v144, off, s[0:3], 0 offset:356
	buffer_load_dword v149, off, s[0:3], 0 offset:376
	buffer_load_dword v155, off, s[0:3], 0 offset:368
	buffer_load_dword v157, off, s[0:3], 0 offset:360
	buffer_load_dword v143, off, s[0:3], 0 offset:352
	buffer_load_dword v158, off, s[0:3], 0 offset:364
	buffer_load_dword v156, off, s[0:3], 0 offset:372
	buffer_load_dword v150, off, s[0:3], 0 offset:380
	s_waitcnt vmcnt(24) lgkmcnt(0)
	v_fma_f64 v[129:130], v[151:152], v[133:134], v[129:130]
	s_waitcnt vmcnt(19)
	v_fma_f64 v[137:138], v[137:138], v[135:136], v[129:130]
	ds_read2_b64 v[129:132], v128 offset0:101 offset1:102
	ds_read2_b64 v[133:136], v128 offset0:103 offset1:104
	s_waitcnt vmcnt(18) lgkmcnt(1)
	v_fma_f64 v[129:130], v[161:162], v[129:130], v[137:138]
	s_waitcnt vmcnt(17)
	v_fma_f64 v[129:130], v[159:160], v[131:132], v[129:130]
	buffer_load_dword v138, off, s[0:3], 0 offset:388
	buffer_load_dword v151, off, s[0:3], 0 offset:408
	;; [unrolled: 1-line block ×7, first 2 shown]
	s_waitcnt vmcnt(23) lgkmcnt(0)
	v_fma_f64 v[129:130], v[153:154], v[133:134], v[129:130]
	s_waitcnt vmcnt(18)
	v_fma_f64 v[139:140], v[139:140], v[135:136], v[129:130]
	ds_read2_b64 v[129:132], v128 offset0:105 offset1:106
	ds_read2_b64 v[133:136], v128 offset0:107 offset1:108
	buffer_load_dword v152, off, s[0:3], 0 offset:412
	s_waitcnt vmcnt(18) lgkmcnt(1)
	v_fma_f64 v[129:130], v[147:148], v[129:130], v[139:140]
	s_waitcnt vmcnt(17)
	v_fma_f64 v[129:130], v[145:146], v[131:132], v[129:130]
	buffer_load_dword v140, off, s[0:3], 0 offset:420
	buffer_load_dword v145, off, s[0:3], 0 offset:440
	;; [unrolled: 1-line block ×8, first 2 shown]
	s_waitcnt vmcnt(24) lgkmcnt(0)
	v_fma_f64 v[129:130], v[141:142], v[133:134], v[129:130]
	s_waitcnt vmcnt(19)
	v_fma_f64 v[141:142], v[143:144], v[135:136], v[129:130]
	ds_read2_b64 v[129:132], v128 offset0:109 offset1:110
	ds_read2_b64 v[133:136], v128 offset0:111 offset1:112
	s_waitcnt vmcnt(18) lgkmcnt(1)
	v_fma_f64 v[129:130], v[157:158], v[129:130], v[141:142]
	s_waitcnt vmcnt(17)
	v_fma_f64 v[129:130], v[155:156], v[131:132], v[129:130]
	buffer_load_dword v142, off, s[0:3], 0 offset:452
	buffer_load_dword v143, off, s[0:3], 0 offset:472
	buffer_load_dword v155, off, s[0:3], 0 offset:464
	buffer_load_dword v157, off, s[0:3], 0 offset:456
	buffer_load_dword v141, off, s[0:3], 0 offset:448
	buffer_load_dword v158, off, s[0:3], 0 offset:460
	buffer_load_dword v156, off, s[0:3], 0 offset:468
	buffer_load_dword v144, off, s[0:3], 0 offset:476
	s_waitcnt vmcnt(24) lgkmcnt(0)
	v_fma_f64 v[129:130], v[149:150], v[133:134], v[129:130]
	s_waitcnt vmcnt(19)
	v_fma_f64 v[137:138], v[137:138], v[135:136], v[129:130]
	ds_read2_b64 v[129:132], v128 offset0:113 offset1:114
	ds_read2_b64 v[133:136], v128 offset0:115 offset1:116
	s_waitcnt vmcnt(18) lgkmcnt(1)
	v_fma_f64 v[129:130], v[161:162], v[129:130], v[137:138]
	s_waitcnt vmcnt(17)
	v_fma_f64 v[129:130], v[159:160], v[131:132], v[129:130]
	buffer_load_dword v138, off, s[0:3], 0 offset:484
	buffer_load_dword v149, off, s[0:3], 0 offset:496
	buffer_load_dword v159, off, s[0:3], 0 offset:488
	buffer_load_dword v137, off, s[0:3], 0 offset:480
	buffer_load_dword v160, off, s[0:3], 0 offset:492
	buffer_load_dword v150, off, s[0:3], 0 offset:500
	s_waitcnt vmcnt(22) lgkmcnt(0)
	v_fma_f64 v[129:130], v[151:152], v[133:134], v[129:130]
	s_waitcnt vmcnt(17)
	v_fma_f64 v[139:140], v[139:140], v[135:136], v[129:130]
	ds_read2_b64 v[129:132], v128 offset0:117 offset1:118
	buffer_load_dword v151, off, s[0:3], 0 offset:96
	buffer_load_dword v152, off, s[0:3], 0 offset:100
	ds_read2_b64 v[133:136], v128 offset0:119 offset1:120
	s_waitcnt vmcnt(18) lgkmcnt(1)
	v_fma_f64 v[129:130], v[153:154], v[129:130], v[139:140]
	s_waitcnt vmcnt(17)
	v_fma_f64 v[129:130], v[147:148], v[131:132], v[129:130]
	s_waitcnt vmcnt(16) lgkmcnt(0)
	v_fma_f64 v[129:130], v[145:146], v[133:134], v[129:130]
	s_waitcnt vmcnt(11)
	v_fma_f64 v[139:140], v[141:142], v[135:136], v[129:130]
	ds_read2_b64 v[129:132], v128 offset0:121 offset1:122
	ds_read2_b64 v[133:136], v128 offset0:123 offset1:124
	s_waitcnt vmcnt(10) lgkmcnt(1)
	v_fma_f64 v[129:130], v[157:158], v[129:130], v[139:140]
	s_waitcnt vmcnt(9)
	v_fma_f64 v[129:130], v[155:156], v[131:132], v[129:130]
	s_waitcnt vmcnt(8) lgkmcnt(0)
	v_fma_f64 v[129:130], v[143:144], v[133:134], v[129:130]
	s_waitcnt vmcnt(4)
	v_fma_f64 v[132:133], v[137:138], v[135:136], v[129:130]
	ds_read2_b64 v[128:131], v128 offset0:125 offset1:126
	s_waitcnt vmcnt(3) lgkmcnt(0)
	v_fma_f64 v[128:129], v[159:160], v[128:129], v[132:133]
	s_waitcnt vmcnt(2)
	v_fma_f64 v[128:129], v[149:150], v[130:131], v[128:129]
	s_waitcnt vmcnt(0)
	v_add_f64 v[128:129], v[151:152], -v[128:129]
	buffer_store_dword v129, off, s[0:3], 0 offset:100
	buffer_store_dword v128, off, s[0:3], 0 offset:96
	s_and_saveexec_b64 s[4:5], vcc
	s_cbranch_execz .LBB126_363
; %bb.362:
	buffer_load_dword v128, off, s[0:3], 0 offset:88
	buffer_load_dword v129, off, s[0:3], 0 offset:92
	v_mov_b32_e32 v130, 0
	buffer_store_dword v130, off, s[0:3], 0 offset:88
	buffer_store_dword v130, off, s[0:3], 0 offset:92
	s_waitcnt vmcnt(2)
	ds_write_b64 v127, v[128:129]
.LBB126_363:
	s_or_b64 exec, exec, s[4:5]
	s_waitcnt lgkmcnt(0)
	; wave barrier
	buffer_load_dword v137, off, s[0:3], 0 offset:96
	buffer_load_dword v138, off, s[0:3], 0 offset:100
	;; [unrolled: 1-line block ×22, first 2 shown]
	v_mov_b32_e32 v128, 0
	ds_read_b128 v[129:132], v128 offset:608
	ds_read_b128 v[133:136], v128 offset:624
	v_cmp_lt_u32_e32 vcc, 10, v0
	s_waitcnt vmcnt(20) lgkmcnt(1)
	v_fma_f64 v[129:130], v[137:138], v[129:130], 0
	s_waitcnt vmcnt(18)
	v_fma_f64 v[129:130], v[139:140], v[131:132], v[129:130]
	buffer_load_dword v138, off, s[0:3], 0 offset:188
	buffer_load_dword v139, off, s[0:3], 0 offset:208
	;; [unrolled: 1-line block ×7, first 2 shown]
	s_waitcnt vmcnt(23) lgkmcnt(0)
	v_fma_f64 v[129:130], v[141:142], v[133:134], v[129:130]
	s_waitcnt vmcnt(21)
	v_fma_f64 v[140:141], v[143:144], v[135:136], v[129:130]
	ds_read_b128 v[129:132], v128 offset:640
	ds_read_b128 v[133:136], v128 offset:656
	s_waitcnt vmcnt(19) lgkmcnt(1)
	v_fma_f64 v[129:130], v[145:146], v[129:130], v[140:141]
	buffer_load_dword v140, off, s[0:3], 0 offset:212
	s_waitcnt vmcnt(18)
	v_fma_f64 v[129:130], v[147:148], v[131:132], v[129:130]
	buffer_load_dword v142, off, s[0:3], 0 offset:220
	buffer_load_dword v143, off, s[0:3], 0 offset:240
	;; [unrolled: 1-line block ×8, first 2 shown]
	s_waitcnt vmcnt(24) lgkmcnt(0)
	v_fma_f64 v[129:130], v[149:150], v[133:134], v[129:130]
	s_waitcnt vmcnt(19)
	v_fma_f64 v[149:150], v[151:152], v[135:136], v[129:130]
	ds_read_b128 v[129:132], v128 offset:672
	ds_read_b128 v[133:136], v128 offset:688
	s_waitcnt vmcnt(18) lgkmcnt(1)
	v_fma_f64 v[129:130], v[157:158], v[129:130], v[149:150]
	s_waitcnt vmcnt(17)
	v_fma_f64 v[129:130], v[155:156], v[131:132], v[129:130]
	buffer_load_dword v150, off, s[0:3], 0 offset:252
	buffer_load_dword v151, off, s[0:3], 0 offset:272
	;; [unrolled: 1-line block ×8, first 2 shown]
	s_waitcnt vmcnt(24) lgkmcnt(0)
	v_fma_f64 v[129:130], v[153:154], v[133:134], v[129:130]
	s_waitcnt vmcnt(19)
	v_fma_f64 v[137:138], v[137:138], v[135:136], v[129:130]
	ds_read_b128 v[129:132], v128 offset:704
	ds_read_b128 v[133:136], v128 offset:720
	s_waitcnt vmcnt(18) lgkmcnt(1)
	v_fma_f64 v[129:130], v[161:162], v[129:130], v[137:138]
	s_waitcnt vmcnt(17)
	v_fma_f64 v[129:130], v[159:160], v[131:132], v[129:130]
	buffer_load_dword v138, off, s[0:3], 0 offset:284
	buffer_load_dword v153, off, s[0:3], 0 offset:304
	;; [unrolled: 1-line block ×7, first 2 shown]
	s_waitcnt vmcnt(23) lgkmcnt(0)
	v_fma_f64 v[129:130], v[139:140], v[133:134], v[129:130]
	s_waitcnt vmcnt(18)
	v_fma_f64 v[139:140], v[141:142], v[135:136], v[129:130]
	ds_read_b128 v[129:132], v128 offset:736
	ds_read_b128 v[133:136], v128 offset:752
	buffer_load_dword v154, off, s[0:3], 0 offset:308
	s_waitcnt vmcnt(18) lgkmcnt(1)
	v_fma_f64 v[129:130], v[147:148], v[129:130], v[139:140]
	s_waitcnt vmcnt(17)
	v_fma_f64 v[129:130], v[145:146], v[131:132], v[129:130]
	buffer_load_dword v140, off, s[0:3], 0 offset:316
	buffer_load_dword v141, off, s[0:3], 0 offset:336
	;; [unrolled: 1-line block ×7, first 2 shown]
	s_waitcnt vmcnt(23) lgkmcnt(0)
	v_fma_f64 v[129:130], v[143:144], v[133:134], v[129:130]
	s_waitcnt vmcnt(18)
	v_fma_f64 v[142:143], v[149:150], v[135:136], v[129:130]
	ds_read_b128 v[129:132], v128 offset:768
	ds_read_b128 v[133:136], v128 offset:784
	s_waitcnt vmcnt(17) lgkmcnt(1)
	v_fma_f64 v[129:130], v[157:158], v[129:130], v[142:143]
	buffer_load_dword v142, off, s[0:3], 0 offset:340
	s_waitcnt vmcnt(17)
	v_fma_f64 v[129:130], v[155:156], v[131:132], v[129:130]
	buffer_load_dword v144, off, s[0:3], 0 offset:348
	buffer_load_dword v149, off, s[0:3], 0 offset:368
	;; [unrolled: 1-line block ×8, first 2 shown]
	s_waitcnt vmcnt(24) lgkmcnt(0)
	v_fma_f64 v[129:130], v[151:152], v[133:134], v[129:130]
	s_waitcnt vmcnt(19)
	v_fma_f64 v[137:138], v[137:138], v[135:136], v[129:130]
	ds_read_b128 v[129:132], v128 offset:800
	ds_read_b128 v[133:136], v128 offset:816
	s_waitcnt vmcnt(18) lgkmcnt(1)
	v_fma_f64 v[129:130], v[161:162], v[129:130], v[137:138]
	s_waitcnt vmcnt(17)
	v_fma_f64 v[129:130], v[159:160], v[131:132], v[129:130]
	buffer_load_dword v138, off, s[0:3], 0 offset:380
	buffer_load_dword v151, off, s[0:3], 0 offset:400
	;; [unrolled: 1-line block ×7, first 2 shown]
	s_waitcnt vmcnt(23) lgkmcnt(0)
	v_fma_f64 v[129:130], v[153:154], v[133:134], v[129:130]
	s_waitcnt vmcnt(18)
	v_fma_f64 v[139:140], v[139:140], v[135:136], v[129:130]
	ds_read_b128 v[129:132], v128 offset:832
	ds_read_b128 v[133:136], v128 offset:848
	buffer_load_dword v152, off, s[0:3], 0 offset:404
	s_waitcnt vmcnt(18) lgkmcnt(1)
	v_fma_f64 v[129:130], v[147:148], v[129:130], v[139:140]
	s_waitcnt vmcnt(17)
	v_fma_f64 v[129:130], v[145:146], v[131:132], v[129:130]
	buffer_load_dword v140, off, s[0:3], 0 offset:412
	buffer_load_dword v145, off, s[0:3], 0 offset:432
	buffer_load_dword v147, off, s[0:3], 0 offset:424
	buffer_load_dword v153, off, s[0:3], 0 offset:416
	buffer_load_dword v139, off, s[0:3], 0 offset:408
	buffer_load_dword v154, off, s[0:3], 0 offset:420
	buffer_load_dword v148, off, s[0:3], 0 offset:428
	buffer_load_dword v146, off, s[0:3], 0 offset:436
	s_waitcnt vmcnt(24) lgkmcnt(0)
	v_fma_f64 v[129:130], v[141:142], v[133:134], v[129:130]
	s_waitcnt vmcnt(19)
	v_fma_f64 v[141:142], v[143:144], v[135:136], v[129:130]
	ds_read_b128 v[129:132], v128 offset:864
	ds_read_b128 v[133:136], v128 offset:880
	s_waitcnt vmcnt(18) lgkmcnt(1)
	v_fma_f64 v[129:130], v[157:158], v[129:130], v[141:142]
	s_waitcnt vmcnt(17)
	v_fma_f64 v[129:130], v[155:156], v[131:132], v[129:130]
	buffer_load_dword v142, off, s[0:3], 0 offset:444
	buffer_load_dword v143, off, s[0:3], 0 offset:464
	buffer_load_dword v155, off, s[0:3], 0 offset:456
	buffer_load_dword v157, off, s[0:3], 0 offset:448
	buffer_load_dword v141, off, s[0:3], 0 offset:440
	buffer_load_dword v158, off, s[0:3], 0 offset:452
	buffer_load_dword v156, off, s[0:3], 0 offset:460
	buffer_load_dword v144, off, s[0:3], 0 offset:468
	s_waitcnt vmcnt(24) lgkmcnt(0)
	v_fma_f64 v[129:130], v[149:150], v[133:134], v[129:130]
	s_waitcnt vmcnt(19)
	v_fma_f64 v[137:138], v[137:138], v[135:136], v[129:130]
	ds_read_b128 v[129:132], v128 offset:896
	ds_read_b128 v[133:136], v128 offset:912
	;; [unrolled: 18-line block ×3, first 2 shown]
	s_waitcnt vmcnt(18) lgkmcnt(1)
	v_fma_f64 v[129:130], v[153:154], v[129:130], v[139:140]
	buffer_load_dword v139, off, s[0:3], 0 offset:88
	buffer_load_dword v140, off, s[0:3], 0 offset:92
	s_waitcnt vmcnt(19)
	v_fma_f64 v[129:130], v[147:148], v[131:132], v[129:130]
	s_waitcnt vmcnt(18) lgkmcnt(0)
	v_fma_f64 v[129:130], v[145:146], v[133:134], v[129:130]
	s_waitcnt vmcnt(13)
	v_fma_f64 v[141:142], v[141:142], v[135:136], v[129:130]
	ds_read_b128 v[129:132], v128 offset:960
	ds_read_b128 v[133:136], v128 offset:976
	s_waitcnt vmcnt(12) lgkmcnt(1)
	v_fma_f64 v[129:130], v[157:158], v[129:130], v[141:142]
	s_waitcnt vmcnt(11)
	v_fma_f64 v[129:130], v[155:156], v[131:132], v[129:130]
	s_waitcnt vmcnt(10) lgkmcnt(0)
	v_fma_f64 v[129:130], v[143:144], v[133:134], v[129:130]
	s_waitcnt vmcnt(5)
	v_fma_f64 v[133:134], v[137:138], v[135:136], v[129:130]
	ds_read_b128 v[129:132], v128 offset:992
	ds_read_b64 v[135:136], v128 offset:1008
	s_waitcnt vmcnt(4) lgkmcnt(1)
	v_fma_f64 v[129:130], v[161:162], v[129:130], v[133:134]
	s_waitcnt vmcnt(3)
	v_fma_f64 v[129:130], v[159:160], v[131:132], v[129:130]
	s_waitcnt vmcnt(2) lgkmcnt(0)
	v_fma_f64 v[129:130], v[149:150], v[135:136], v[129:130]
	s_waitcnt vmcnt(0)
	v_add_f64 v[129:130], v[139:140], -v[129:130]
	buffer_store_dword v130, off, s[0:3], 0 offset:92
	buffer_store_dword v129, off, s[0:3], 0 offset:88
	s_and_saveexec_b64 s[4:5], vcc
	s_cbranch_execz .LBB126_365
; %bb.364:
	buffer_load_dword v129, off, s[0:3], 0 offset:80
	buffer_load_dword v130, off, s[0:3], 0 offset:84
	s_waitcnt vmcnt(0)
	ds_write_b64 v127, v[129:130]
	buffer_store_dword v128, off, s[0:3], 0 offset:80
	buffer_store_dword v128, off, s[0:3], 0 offset:84
.LBB126_365:
	s_or_b64 exec, exec, s[4:5]
	s_waitcnt lgkmcnt(0)
	; wave barrier
	buffer_load_dword v137, off, s[0:3], 0 offset:88
	buffer_load_dword v138, off, s[0:3], 0 offset:92
	;; [unrolled: 1-line block ×22, first 2 shown]
	ds_read2_b64 v[129:132], v128 offset0:75 offset1:76
	ds_read2_b64 v[133:136], v128 offset0:77 offset1:78
	v_cmp_lt_u32_e32 vcc, 9, v0
	s_waitcnt vmcnt(20) lgkmcnt(1)
	v_fma_f64 v[129:130], v[137:138], v[129:130], 0
	s_waitcnt vmcnt(18)
	v_fma_f64 v[129:130], v[139:140], v[131:132], v[129:130]
	buffer_load_dword v138, off, s[0:3], 0 offset:180
	buffer_load_dword v139, off, s[0:3], 0 offset:200
	;; [unrolled: 1-line block ×7, first 2 shown]
	s_waitcnt vmcnt(23) lgkmcnt(0)
	v_fma_f64 v[129:130], v[141:142], v[133:134], v[129:130]
	s_waitcnt vmcnt(21)
	v_fma_f64 v[140:141], v[143:144], v[135:136], v[129:130]
	ds_read2_b64 v[129:132], v128 offset0:79 offset1:80
	ds_read2_b64 v[133:136], v128 offset0:81 offset1:82
	s_waitcnt vmcnt(19) lgkmcnt(1)
	v_fma_f64 v[129:130], v[145:146], v[129:130], v[140:141]
	buffer_load_dword v140, off, s[0:3], 0 offset:204
	s_waitcnt vmcnt(18)
	v_fma_f64 v[129:130], v[147:148], v[131:132], v[129:130]
	buffer_load_dword v142, off, s[0:3], 0 offset:212
	buffer_load_dword v143, off, s[0:3], 0 offset:232
	;; [unrolled: 1-line block ×8, first 2 shown]
	s_waitcnt vmcnt(24) lgkmcnt(0)
	v_fma_f64 v[129:130], v[149:150], v[133:134], v[129:130]
	s_waitcnt vmcnt(19)
	v_fma_f64 v[149:150], v[151:152], v[135:136], v[129:130]
	ds_read2_b64 v[129:132], v128 offset0:83 offset1:84
	ds_read2_b64 v[133:136], v128 offset0:85 offset1:86
	s_waitcnt vmcnt(18) lgkmcnt(1)
	v_fma_f64 v[129:130], v[157:158], v[129:130], v[149:150]
	s_waitcnt vmcnt(17)
	v_fma_f64 v[129:130], v[155:156], v[131:132], v[129:130]
	buffer_load_dword v150, off, s[0:3], 0 offset:244
	buffer_load_dword v151, off, s[0:3], 0 offset:264
	;; [unrolled: 1-line block ×8, first 2 shown]
	s_waitcnt vmcnt(24) lgkmcnt(0)
	v_fma_f64 v[129:130], v[153:154], v[133:134], v[129:130]
	s_waitcnt vmcnt(19)
	v_fma_f64 v[137:138], v[137:138], v[135:136], v[129:130]
	ds_read2_b64 v[129:132], v128 offset0:87 offset1:88
	ds_read2_b64 v[133:136], v128 offset0:89 offset1:90
	s_waitcnt vmcnt(18) lgkmcnt(1)
	v_fma_f64 v[129:130], v[161:162], v[129:130], v[137:138]
	s_waitcnt vmcnt(17)
	v_fma_f64 v[129:130], v[159:160], v[131:132], v[129:130]
	buffer_load_dword v138, off, s[0:3], 0 offset:276
	buffer_load_dword v153, off, s[0:3], 0 offset:296
	;; [unrolled: 1-line block ×7, first 2 shown]
	s_waitcnt vmcnt(23) lgkmcnt(0)
	v_fma_f64 v[129:130], v[139:140], v[133:134], v[129:130]
	s_waitcnt vmcnt(18)
	v_fma_f64 v[139:140], v[141:142], v[135:136], v[129:130]
	ds_read2_b64 v[129:132], v128 offset0:91 offset1:92
	ds_read2_b64 v[133:136], v128 offset0:93 offset1:94
	buffer_load_dword v154, off, s[0:3], 0 offset:300
	s_waitcnt vmcnt(18) lgkmcnt(1)
	v_fma_f64 v[129:130], v[147:148], v[129:130], v[139:140]
	s_waitcnt vmcnt(17)
	v_fma_f64 v[129:130], v[145:146], v[131:132], v[129:130]
	buffer_load_dword v140, off, s[0:3], 0 offset:308
	buffer_load_dword v141, off, s[0:3], 0 offset:328
	;; [unrolled: 1-line block ×7, first 2 shown]
	s_waitcnt vmcnt(23) lgkmcnt(0)
	v_fma_f64 v[129:130], v[143:144], v[133:134], v[129:130]
	s_waitcnt vmcnt(18)
	v_fma_f64 v[142:143], v[149:150], v[135:136], v[129:130]
	ds_read2_b64 v[129:132], v128 offset0:95 offset1:96
	ds_read2_b64 v[133:136], v128 offset0:97 offset1:98
	s_waitcnt vmcnt(17) lgkmcnt(1)
	v_fma_f64 v[129:130], v[157:158], v[129:130], v[142:143]
	buffer_load_dword v142, off, s[0:3], 0 offset:332
	s_waitcnt vmcnt(17)
	v_fma_f64 v[129:130], v[155:156], v[131:132], v[129:130]
	buffer_load_dword v144, off, s[0:3], 0 offset:340
	buffer_load_dword v149, off, s[0:3], 0 offset:360
	;; [unrolled: 1-line block ×8, first 2 shown]
	s_waitcnt vmcnt(24) lgkmcnt(0)
	v_fma_f64 v[129:130], v[151:152], v[133:134], v[129:130]
	s_waitcnt vmcnt(19)
	v_fma_f64 v[137:138], v[137:138], v[135:136], v[129:130]
	ds_read2_b64 v[129:132], v128 offset0:99 offset1:100
	ds_read2_b64 v[133:136], v128 offset0:101 offset1:102
	s_waitcnt vmcnt(18) lgkmcnt(1)
	v_fma_f64 v[129:130], v[161:162], v[129:130], v[137:138]
	s_waitcnt vmcnt(17)
	v_fma_f64 v[129:130], v[159:160], v[131:132], v[129:130]
	buffer_load_dword v138, off, s[0:3], 0 offset:372
	buffer_load_dword v151, off, s[0:3], 0 offset:392
	;; [unrolled: 1-line block ×7, first 2 shown]
	s_waitcnt vmcnt(23) lgkmcnt(0)
	v_fma_f64 v[129:130], v[153:154], v[133:134], v[129:130]
	s_waitcnt vmcnt(18)
	v_fma_f64 v[139:140], v[139:140], v[135:136], v[129:130]
	ds_read2_b64 v[129:132], v128 offset0:103 offset1:104
	ds_read2_b64 v[133:136], v128 offset0:105 offset1:106
	buffer_load_dword v152, off, s[0:3], 0 offset:396
	s_waitcnt vmcnt(18) lgkmcnt(1)
	v_fma_f64 v[129:130], v[147:148], v[129:130], v[139:140]
	s_waitcnt vmcnt(17)
	v_fma_f64 v[129:130], v[145:146], v[131:132], v[129:130]
	buffer_load_dword v140, off, s[0:3], 0 offset:404
	buffer_load_dword v145, off, s[0:3], 0 offset:424
	buffer_load_dword v147, off, s[0:3], 0 offset:416
	buffer_load_dword v153, off, s[0:3], 0 offset:408
	buffer_load_dword v139, off, s[0:3], 0 offset:400
	buffer_load_dword v154, off, s[0:3], 0 offset:412
	buffer_load_dword v148, off, s[0:3], 0 offset:420
	buffer_load_dword v146, off, s[0:3], 0 offset:428
	s_waitcnt vmcnt(24) lgkmcnt(0)
	v_fma_f64 v[129:130], v[141:142], v[133:134], v[129:130]
	s_waitcnt vmcnt(19)
	v_fma_f64 v[141:142], v[143:144], v[135:136], v[129:130]
	ds_read2_b64 v[129:132], v128 offset0:107 offset1:108
	ds_read2_b64 v[133:136], v128 offset0:109 offset1:110
	s_waitcnt vmcnt(18) lgkmcnt(1)
	v_fma_f64 v[129:130], v[157:158], v[129:130], v[141:142]
	s_waitcnt vmcnt(17)
	v_fma_f64 v[129:130], v[155:156], v[131:132], v[129:130]
	buffer_load_dword v142, off, s[0:3], 0 offset:436
	buffer_load_dword v143, off, s[0:3], 0 offset:456
	buffer_load_dword v155, off, s[0:3], 0 offset:448
	buffer_load_dword v157, off, s[0:3], 0 offset:440
	buffer_load_dword v141, off, s[0:3], 0 offset:432
	buffer_load_dword v158, off, s[0:3], 0 offset:444
	buffer_load_dword v156, off, s[0:3], 0 offset:452
	buffer_load_dword v144, off, s[0:3], 0 offset:460
	s_waitcnt vmcnt(24) lgkmcnt(0)
	v_fma_f64 v[129:130], v[149:150], v[133:134], v[129:130]
	s_waitcnt vmcnt(19)
	v_fma_f64 v[137:138], v[137:138], v[135:136], v[129:130]
	ds_read2_b64 v[129:132], v128 offset0:111 offset1:112
	ds_read2_b64 v[133:136], v128 offset0:113 offset1:114
	;; [unrolled: 18-line block ×3, first 2 shown]
	s_waitcnt vmcnt(18) lgkmcnt(1)
	v_fma_f64 v[129:130], v[153:154], v[129:130], v[139:140]
	buffer_load_dword v140, off, s[0:3], 0 offset:500
	buffer_load_dword v139, off, s[0:3], 0 offset:496
	s_waitcnt vmcnt(19)
	v_fma_f64 v[129:130], v[147:148], v[131:132], v[129:130]
	buffer_load_dword v147, off, s[0:3], 0 offset:80
	buffer_load_dword v148, off, s[0:3], 0 offset:84
	s_waitcnt vmcnt(20) lgkmcnt(0)
	v_fma_f64 v[129:130], v[145:146], v[133:134], v[129:130]
	s_waitcnt vmcnt(15)
	v_fma_f64 v[141:142], v[141:142], v[135:136], v[129:130]
	ds_read2_b64 v[129:132], v128 offset0:119 offset1:120
	ds_read2_b64 v[133:136], v128 offset0:121 offset1:122
	s_waitcnt vmcnt(14) lgkmcnt(1)
	v_fma_f64 v[129:130], v[157:158], v[129:130], v[141:142]
	s_waitcnt vmcnt(13)
	v_fma_f64 v[129:130], v[155:156], v[131:132], v[129:130]
	s_waitcnt vmcnt(12) lgkmcnt(0)
	v_fma_f64 v[129:130], v[143:144], v[133:134], v[129:130]
	s_waitcnt vmcnt(7)
	v_fma_f64 v[137:138], v[137:138], v[135:136], v[129:130]
	ds_read2_b64 v[129:132], v128 offset0:123 offset1:124
	ds_read2_b64 v[133:136], v128 offset0:125 offset1:126
	s_waitcnt vmcnt(6) lgkmcnt(1)
	v_fma_f64 v[128:129], v[161:162], v[129:130], v[137:138]
	s_waitcnt vmcnt(5)
	v_fma_f64 v[128:129], v[159:160], v[131:132], v[128:129]
	s_waitcnt vmcnt(4) lgkmcnt(0)
	v_fma_f64 v[128:129], v[149:150], v[133:134], v[128:129]
	s_waitcnt vmcnt(2)
	v_fma_f64 v[128:129], v[139:140], v[135:136], v[128:129]
	s_waitcnt vmcnt(0)
	v_add_f64 v[128:129], v[147:148], -v[128:129]
	buffer_store_dword v129, off, s[0:3], 0 offset:84
	buffer_store_dword v128, off, s[0:3], 0 offset:80
	s_and_saveexec_b64 s[4:5], vcc
	s_cbranch_execz .LBB126_367
; %bb.366:
	buffer_load_dword v128, off, s[0:3], 0 offset:72
	buffer_load_dword v129, off, s[0:3], 0 offset:76
	v_mov_b32_e32 v130, 0
	buffer_store_dword v130, off, s[0:3], 0 offset:72
	buffer_store_dword v130, off, s[0:3], 0 offset:76
	s_waitcnt vmcnt(2)
	ds_write_b64 v127, v[128:129]
.LBB126_367:
	s_or_b64 exec, exec, s[4:5]
	s_waitcnt lgkmcnt(0)
	; wave barrier
	buffer_load_dword v137, off, s[0:3], 0 offset:80
	buffer_load_dword v138, off, s[0:3], 0 offset:84
	;; [unrolled: 1-line block ×22, first 2 shown]
	v_mov_b32_e32 v128, 0
	ds_read_b128 v[129:132], v128 offset:592
	ds_read_b128 v[133:136], v128 offset:608
	v_cmp_lt_u32_e32 vcc, 8, v0
	s_waitcnt vmcnt(20) lgkmcnt(1)
	v_fma_f64 v[129:130], v[137:138], v[129:130], 0
	s_waitcnt vmcnt(18)
	v_fma_f64 v[129:130], v[139:140], v[131:132], v[129:130]
	buffer_load_dword v138, off, s[0:3], 0 offset:172
	buffer_load_dword v139, off, s[0:3], 0 offset:192
	;; [unrolled: 1-line block ×7, first 2 shown]
	s_waitcnt vmcnt(23) lgkmcnt(0)
	v_fma_f64 v[129:130], v[141:142], v[133:134], v[129:130]
	s_waitcnt vmcnt(21)
	v_fma_f64 v[140:141], v[143:144], v[135:136], v[129:130]
	ds_read_b128 v[129:132], v128 offset:624
	ds_read_b128 v[133:136], v128 offset:640
	s_waitcnt vmcnt(19) lgkmcnt(1)
	v_fma_f64 v[129:130], v[145:146], v[129:130], v[140:141]
	buffer_load_dword v140, off, s[0:3], 0 offset:196
	s_waitcnt vmcnt(18)
	v_fma_f64 v[129:130], v[147:148], v[131:132], v[129:130]
	buffer_load_dword v142, off, s[0:3], 0 offset:204
	buffer_load_dword v143, off, s[0:3], 0 offset:224
	buffer_load_dword v145, off, s[0:3], 0 offset:216
	buffer_load_dword v147, off, s[0:3], 0 offset:208
	buffer_load_dword v141, off, s[0:3], 0 offset:200
	buffer_load_dword v148, off, s[0:3], 0 offset:212
	buffer_load_dword v146, off, s[0:3], 0 offset:220
	s_waitcnt vmcnt(23) lgkmcnt(0)
	v_fma_f64 v[129:130], v[149:150], v[133:134], v[129:130]
	s_waitcnt vmcnt(18)
	v_fma_f64 v[149:150], v[151:152], v[135:136], v[129:130]
	ds_read_b128 v[129:132], v128 offset:656
	ds_read_b128 v[133:136], v128 offset:672
	buffer_load_dword v144, off, s[0:3], 0 offset:228
	s_waitcnt vmcnt(18) lgkmcnt(1)
	v_fma_f64 v[129:130], v[157:158], v[129:130], v[149:150]
	s_waitcnt vmcnt(17)
	v_fma_f64 v[129:130], v[155:156], v[131:132], v[129:130]
	buffer_load_dword v150, off, s[0:3], 0 offset:236
	buffer_load_dword v151, off, s[0:3], 0 offset:256
	;; [unrolled: 1-line block ×8, first 2 shown]
	s_waitcnt vmcnt(24) lgkmcnt(0)
	v_fma_f64 v[129:130], v[153:154], v[133:134], v[129:130]
	s_waitcnt vmcnt(19)
	v_fma_f64 v[137:138], v[137:138], v[135:136], v[129:130]
	ds_read_b128 v[129:132], v128 offset:688
	ds_read_b128 v[133:136], v128 offset:704
	s_waitcnt vmcnt(18) lgkmcnt(1)
	v_fma_f64 v[129:130], v[161:162], v[129:130], v[137:138]
	s_waitcnt vmcnt(17)
	v_fma_f64 v[129:130], v[159:160], v[131:132], v[129:130]
	buffer_load_dword v138, off, s[0:3], 0 offset:268
	buffer_load_dword v153, off, s[0:3], 0 offset:288
	;; [unrolled: 1-line block ×7, first 2 shown]
	s_waitcnt vmcnt(23) lgkmcnt(0)
	v_fma_f64 v[129:130], v[139:140], v[133:134], v[129:130]
	s_waitcnt vmcnt(18)
	v_fma_f64 v[139:140], v[141:142], v[135:136], v[129:130]
	ds_read_b128 v[129:132], v128 offset:720
	ds_read_b128 v[133:136], v128 offset:736
	buffer_load_dword v154, off, s[0:3], 0 offset:292
	s_waitcnt vmcnt(18) lgkmcnt(1)
	v_fma_f64 v[129:130], v[147:148], v[129:130], v[139:140]
	s_waitcnt vmcnt(17)
	v_fma_f64 v[129:130], v[145:146], v[131:132], v[129:130]
	buffer_load_dword v140, off, s[0:3], 0 offset:300
	buffer_load_dword v141, off, s[0:3], 0 offset:320
	;; [unrolled: 1-line block ×7, first 2 shown]
	s_waitcnt vmcnt(23) lgkmcnt(0)
	v_fma_f64 v[129:130], v[143:144], v[133:134], v[129:130]
	s_waitcnt vmcnt(18)
	v_fma_f64 v[142:143], v[149:150], v[135:136], v[129:130]
	ds_read_b128 v[129:132], v128 offset:752
	ds_read_b128 v[133:136], v128 offset:768
	s_waitcnt vmcnt(17) lgkmcnt(1)
	v_fma_f64 v[129:130], v[157:158], v[129:130], v[142:143]
	buffer_load_dword v142, off, s[0:3], 0 offset:324
	s_waitcnt vmcnt(17)
	v_fma_f64 v[129:130], v[155:156], v[131:132], v[129:130]
	buffer_load_dword v144, off, s[0:3], 0 offset:332
	buffer_load_dword v149, off, s[0:3], 0 offset:352
	;; [unrolled: 1-line block ×8, first 2 shown]
	s_waitcnt vmcnt(24) lgkmcnt(0)
	v_fma_f64 v[129:130], v[151:152], v[133:134], v[129:130]
	s_waitcnt vmcnt(19)
	v_fma_f64 v[137:138], v[137:138], v[135:136], v[129:130]
	ds_read_b128 v[129:132], v128 offset:784
	ds_read_b128 v[133:136], v128 offset:800
	s_waitcnt vmcnt(18) lgkmcnt(1)
	v_fma_f64 v[129:130], v[161:162], v[129:130], v[137:138]
	s_waitcnt vmcnt(17)
	v_fma_f64 v[129:130], v[159:160], v[131:132], v[129:130]
	buffer_load_dword v138, off, s[0:3], 0 offset:364
	buffer_load_dword v151, off, s[0:3], 0 offset:384
	;; [unrolled: 1-line block ×7, first 2 shown]
	s_waitcnt vmcnt(23) lgkmcnt(0)
	v_fma_f64 v[129:130], v[153:154], v[133:134], v[129:130]
	s_waitcnt vmcnt(18)
	v_fma_f64 v[139:140], v[139:140], v[135:136], v[129:130]
	ds_read_b128 v[129:132], v128 offset:816
	ds_read_b128 v[133:136], v128 offset:832
	buffer_load_dword v152, off, s[0:3], 0 offset:388
	s_waitcnt vmcnt(18) lgkmcnt(1)
	v_fma_f64 v[129:130], v[147:148], v[129:130], v[139:140]
	s_waitcnt vmcnt(17)
	v_fma_f64 v[129:130], v[145:146], v[131:132], v[129:130]
	buffer_load_dword v140, off, s[0:3], 0 offset:396
	buffer_load_dword v145, off, s[0:3], 0 offset:416
	;; [unrolled: 1-line block ×7, first 2 shown]
	s_waitcnt vmcnt(23) lgkmcnt(0)
	v_fma_f64 v[129:130], v[141:142], v[133:134], v[129:130]
	s_waitcnt vmcnt(18)
	v_fma_f64 v[141:142], v[143:144], v[135:136], v[129:130]
	ds_read_b128 v[129:132], v128 offset:848
	ds_read_b128 v[133:136], v128 offset:864
	buffer_load_dword v146, off, s[0:3], 0 offset:420
	s_waitcnt vmcnt(18) lgkmcnt(1)
	v_fma_f64 v[129:130], v[157:158], v[129:130], v[141:142]
	s_waitcnt vmcnt(17)
	v_fma_f64 v[129:130], v[155:156], v[131:132], v[129:130]
	buffer_load_dword v142, off, s[0:3], 0 offset:428
	buffer_load_dword v143, off, s[0:3], 0 offset:448
	;; [unrolled: 1-line block ×8, first 2 shown]
	s_waitcnt vmcnt(24) lgkmcnt(0)
	v_fma_f64 v[129:130], v[149:150], v[133:134], v[129:130]
	s_waitcnt vmcnt(19)
	v_fma_f64 v[137:138], v[137:138], v[135:136], v[129:130]
	ds_read_b128 v[129:132], v128 offset:880
	ds_read_b128 v[133:136], v128 offset:896
	s_waitcnt vmcnt(18) lgkmcnt(1)
	v_fma_f64 v[129:130], v[161:162], v[129:130], v[137:138]
	s_waitcnt vmcnt(17)
	v_fma_f64 v[129:130], v[159:160], v[131:132], v[129:130]
	buffer_load_dword v138, off, s[0:3], 0 offset:460
	buffer_load_dword v149, off, s[0:3], 0 offset:480
	;; [unrolled: 1-line block ×7, first 2 shown]
	s_waitcnt vmcnt(23) lgkmcnt(0)
	v_fma_f64 v[129:130], v[151:152], v[133:134], v[129:130]
	s_waitcnt vmcnt(18)
	v_fma_f64 v[139:140], v[139:140], v[135:136], v[129:130]
	ds_read_b128 v[129:132], v128 offset:912
	ds_read_b128 v[133:136], v128 offset:928
	buffer_load_dword v150, off, s[0:3], 0 offset:484
	s_waitcnt vmcnt(18) lgkmcnt(1)
	v_fma_f64 v[129:130], v[153:154], v[129:130], v[139:140]
	s_waitcnt vmcnt(17)
	v_fma_f64 v[129:130], v[147:148], v[131:132], v[129:130]
	buffer_load_dword v140, off, s[0:3], 0 offset:492
	buffer_load_dword v147, off, s[0:3], 0 offset:496
	;; [unrolled: 1-line block ×4, first 2 shown]
	s_waitcnt vmcnt(20) lgkmcnt(0)
	v_fma_f64 v[129:130], v[145:146], v[133:134], v[129:130]
	buffer_load_dword v145, off, s[0:3], 0 offset:72
	buffer_load_dword v146, off, s[0:3], 0 offset:76
	s_waitcnt vmcnt(17)
	v_fma_f64 v[141:142], v[141:142], v[135:136], v[129:130]
	ds_read_b128 v[129:132], v128 offset:944
	ds_read_b128 v[133:136], v128 offset:960
	s_waitcnt vmcnt(16) lgkmcnt(1)
	v_fma_f64 v[129:130], v[157:158], v[129:130], v[141:142]
	s_waitcnt vmcnt(15)
	v_fma_f64 v[129:130], v[155:156], v[131:132], v[129:130]
	s_waitcnt vmcnt(14) lgkmcnt(0)
	v_fma_f64 v[129:130], v[143:144], v[133:134], v[129:130]
	s_waitcnt vmcnt(9)
	v_fma_f64 v[137:138], v[137:138], v[135:136], v[129:130]
	ds_read_b128 v[129:132], v128 offset:976
	ds_read_b128 v[133:136], v128 offset:992
	s_waitcnt vmcnt(8) lgkmcnt(1)
	v_fma_f64 v[129:130], v[161:162], v[129:130], v[137:138]
	s_waitcnt vmcnt(7)
	v_fma_f64 v[129:130], v[159:160], v[131:132], v[129:130]
	ds_read_b64 v[131:132], v128 offset:1008
	s_waitcnt vmcnt(6) lgkmcnt(1)
	v_fma_f64 v[129:130], v[149:150], v[133:134], v[129:130]
	s_waitcnt vmcnt(3)
	v_fma_f64 v[129:130], v[139:140], v[135:136], v[129:130]
	s_waitcnt vmcnt(2) lgkmcnt(0)
	v_fma_f64 v[129:130], v[147:148], v[131:132], v[129:130]
	s_waitcnt vmcnt(0)
	v_add_f64 v[129:130], v[145:146], -v[129:130]
	buffer_store_dword v130, off, s[0:3], 0 offset:76
	buffer_store_dword v129, off, s[0:3], 0 offset:72
	s_and_saveexec_b64 s[4:5], vcc
	s_cbranch_execz .LBB126_369
; %bb.368:
	buffer_load_dword v129, off, s[0:3], 0 offset:64
	buffer_load_dword v130, off, s[0:3], 0 offset:68
	s_waitcnt vmcnt(0)
	ds_write_b64 v127, v[129:130]
	buffer_store_dword v128, off, s[0:3], 0 offset:64
	buffer_store_dword v128, off, s[0:3], 0 offset:68
.LBB126_369:
	s_or_b64 exec, exec, s[4:5]
	s_waitcnt lgkmcnt(0)
	; wave barrier
	buffer_load_dword v137, off, s[0:3], 0 offset:72
	buffer_load_dword v138, off, s[0:3], 0 offset:76
	buffer_load_dword v139, off, s[0:3], 0 offset:80
	buffer_load_dword v140, off, s[0:3], 0 offset:84
	buffer_load_dword v141, off, s[0:3], 0 offset:88
	buffer_load_dword v142, off, s[0:3], 0 offset:92
	buffer_load_dword v143, off, s[0:3], 0 offset:96
	buffer_load_dword v144, off, s[0:3], 0 offset:100
	buffer_load_dword v145, off, s[0:3], 0 offset:104
	buffer_load_dword v146, off, s[0:3], 0 offset:108
	buffer_load_dword v147, off, s[0:3], 0 offset:112
	buffer_load_dword v148, off, s[0:3], 0 offset:116
	buffer_load_dword v149, off, s[0:3], 0 offset:120
	buffer_load_dword v150, off, s[0:3], 0 offset:124
	buffer_load_dword v152, off, s[0:3], 0 offset:132
	buffer_load_dword v153, off, s[0:3], 0 offset:152
	buffer_load_dword v155, off, s[0:3], 0 offset:144
	buffer_load_dword v157, off, s[0:3], 0 offset:136
	buffer_load_dword v151, off, s[0:3], 0 offset:128
	buffer_load_dword v158, off, s[0:3], 0 offset:140
	buffer_load_dword v156, off, s[0:3], 0 offset:148
	buffer_load_dword v154, off, s[0:3], 0 offset:156
	ds_read2_b64 v[129:132], v128 offset0:73 offset1:74
	ds_read2_b64 v[133:136], v128 offset0:75 offset1:76
	v_cmp_lt_u32_e32 vcc, 7, v0
	s_waitcnt vmcnt(20) lgkmcnt(1)
	v_fma_f64 v[129:130], v[137:138], v[129:130], 0
	s_waitcnt vmcnt(18)
	v_fma_f64 v[129:130], v[139:140], v[131:132], v[129:130]
	buffer_load_dword v138, off, s[0:3], 0 offset:164
	buffer_load_dword v139, off, s[0:3], 0 offset:184
	;; [unrolled: 1-line block ×7, first 2 shown]
	s_waitcnt vmcnt(23) lgkmcnt(0)
	v_fma_f64 v[129:130], v[141:142], v[133:134], v[129:130]
	s_waitcnt vmcnt(21)
	v_fma_f64 v[140:141], v[143:144], v[135:136], v[129:130]
	ds_read2_b64 v[129:132], v128 offset0:77 offset1:78
	ds_read2_b64 v[133:136], v128 offset0:79 offset1:80
	s_waitcnt vmcnt(19) lgkmcnt(1)
	v_fma_f64 v[129:130], v[145:146], v[129:130], v[140:141]
	buffer_load_dword v140, off, s[0:3], 0 offset:188
	s_waitcnt vmcnt(18)
	v_fma_f64 v[129:130], v[147:148], v[131:132], v[129:130]
	buffer_load_dword v142, off, s[0:3], 0 offset:196
	buffer_load_dword v143, off, s[0:3], 0 offset:216
	;; [unrolled: 1-line block ×7, first 2 shown]
	s_waitcnt vmcnt(23) lgkmcnt(0)
	v_fma_f64 v[129:130], v[149:150], v[133:134], v[129:130]
	s_waitcnt vmcnt(18)
	v_fma_f64 v[149:150], v[151:152], v[135:136], v[129:130]
	ds_read2_b64 v[129:132], v128 offset0:81 offset1:82
	ds_read2_b64 v[133:136], v128 offset0:83 offset1:84
	buffer_load_dword v144, off, s[0:3], 0 offset:220
	s_waitcnt vmcnt(18) lgkmcnt(1)
	v_fma_f64 v[129:130], v[157:158], v[129:130], v[149:150]
	s_waitcnt vmcnt(17)
	v_fma_f64 v[129:130], v[155:156], v[131:132], v[129:130]
	buffer_load_dword v150, off, s[0:3], 0 offset:228
	buffer_load_dword v151, off, s[0:3], 0 offset:248
	;; [unrolled: 1-line block ×8, first 2 shown]
	s_waitcnt vmcnt(24) lgkmcnt(0)
	v_fma_f64 v[129:130], v[153:154], v[133:134], v[129:130]
	s_waitcnt vmcnt(19)
	v_fma_f64 v[137:138], v[137:138], v[135:136], v[129:130]
	ds_read2_b64 v[129:132], v128 offset0:85 offset1:86
	ds_read2_b64 v[133:136], v128 offset0:87 offset1:88
	s_waitcnt vmcnt(18) lgkmcnt(1)
	v_fma_f64 v[129:130], v[161:162], v[129:130], v[137:138]
	s_waitcnt vmcnt(17)
	v_fma_f64 v[129:130], v[159:160], v[131:132], v[129:130]
	buffer_load_dword v138, off, s[0:3], 0 offset:260
	buffer_load_dword v153, off, s[0:3], 0 offset:280
	;; [unrolled: 1-line block ×8, first 2 shown]
	s_waitcnt vmcnt(24) lgkmcnt(0)
	v_fma_f64 v[129:130], v[139:140], v[133:134], v[129:130]
	s_waitcnt vmcnt(19)
	v_fma_f64 v[139:140], v[141:142], v[135:136], v[129:130]
	ds_read2_b64 v[129:132], v128 offset0:89 offset1:90
	ds_read2_b64 v[133:136], v128 offset0:91 offset1:92
	s_waitcnt vmcnt(18) lgkmcnt(1)
	v_fma_f64 v[129:130], v[147:148], v[129:130], v[139:140]
	s_waitcnt vmcnt(17)
	v_fma_f64 v[129:130], v[145:146], v[131:132], v[129:130]
	buffer_load_dword v140, off, s[0:3], 0 offset:292
	buffer_load_dword v141, off, s[0:3], 0 offset:312
	;; [unrolled: 1-line block ×7, first 2 shown]
	s_waitcnt vmcnt(23) lgkmcnt(0)
	v_fma_f64 v[129:130], v[143:144], v[133:134], v[129:130]
	s_waitcnt vmcnt(18)
	v_fma_f64 v[142:143], v[149:150], v[135:136], v[129:130]
	ds_read2_b64 v[129:132], v128 offset0:93 offset1:94
	ds_read2_b64 v[133:136], v128 offset0:95 offset1:96
	s_waitcnt vmcnt(17) lgkmcnt(1)
	v_fma_f64 v[129:130], v[157:158], v[129:130], v[142:143]
	buffer_load_dword v142, off, s[0:3], 0 offset:316
	s_waitcnt vmcnt(17)
	v_fma_f64 v[129:130], v[155:156], v[131:132], v[129:130]
	buffer_load_dword v144, off, s[0:3], 0 offset:324
	buffer_load_dword v149, off, s[0:3], 0 offset:344
	;; [unrolled: 1-line block ×8, first 2 shown]
	s_waitcnt vmcnt(24) lgkmcnt(0)
	v_fma_f64 v[129:130], v[151:152], v[133:134], v[129:130]
	s_waitcnt vmcnt(19)
	v_fma_f64 v[137:138], v[137:138], v[135:136], v[129:130]
	ds_read2_b64 v[129:132], v128 offset0:97 offset1:98
	ds_read2_b64 v[133:136], v128 offset0:99 offset1:100
	s_waitcnt vmcnt(18) lgkmcnt(1)
	v_fma_f64 v[129:130], v[161:162], v[129:130], v[137:138]
	s_waitcnt vmcnt(17)
	v_fma_f64 v[129:130], v[159:160], v[131:132], v[129:130]
	buffer_load_dword v138, off, s[0:3], 0 offset:356
	buffer_load_dword v151, off, s[0:3], 0 offset:376
	;; [unrolled: 1-line block ×8, first 2 shown]
	s_waitcnt vmcnt(24) lgkmcnt(0)
	v_fma_f64 v[129:130], v[153:154], v[133:134], v[129:130]
	s_waitcnt vmcnt(19)
	v_fma_f64 v[139:140], v[139:140], v[135:136], v[129:130]
	ds_read2_b64 v[129:132], v128 offset0:101 offset1:102
	ds_read2_b64 v[133:136], v128 offset0:103 offset1:104
	s_waitcnt vmcnt(18) lgkmcnt(1)
	v_fma_f64 v[129:130], v[147:148], v[129:130], v[139:140]
	s_waitcnt vmcnt(17)
	v_fma_f64 v[129:130], v[145:146], v[131:132], v[129:130]
	buffer_load_dword v140, off, s[0:3], 0 offset:388
	buffer_load_dword v145, off, s[0:3], 0 offset:408
	;; [unrolled: 1-line block ×7, first 2 shown]
	s_waitcnt vmcnt(23) lgkmcnt(0)
	v_fma_f64 v[129:130], v[141:142], v[133:134], v[129:130]
	s_waitcnt vmcnt(18)
	v_fma_f64 v[141:142], v[143:144], v[135:136], v[129:130]
	ds_read2_b64 v[129:132], v128 offset0:105 offset1:106
	ds_read2_b64 v[133:136], v128 offset0:107 offset1:108
	buffer_load_dword v146, off, s[0:3], 0 offset:412
	s_waitcnt vmcnt(18) lgkmcnt(1)
	v_fma_f64 v[129:130], v[157:158], v[129:130], v[141:142]
	s_waitcnt vmcnt(17)
	v_fma_f64 v[129:130], v[155:156], v[131:132], v[129:130]
	buffer_load_dword v142, off, s[0:3], 0 offset:420
	buffer_load_dword v143, off, s[0:3], 0 offset:440
	;; [unrolled: 1-line block ×8, first 2 shown]
	s_waitcnt vmcnt(24) lgkmcnt(0)
	v_fma_f64 v[129:130], v[149:150], v[133:134], v[129:130]
	s_waitcnt vmcnt(19)
	v_fma_f64 v[137:138], v[137:138], v[135:136], v[129:130]
	ds_read2_b64 v[129:132], v128 offset0:109 offset1:110
	ds_read2_b64 v[133:136], v128 offset0:111 offset1:112
	s_waitcnt vmcnt(18) lgkmcnt(1)
	v_fma_f64 v[129:130], v[161:162], v[129:130], v[137:138]
	s_waitcnt vmcnt(17)
	v_fma_f64 v[129:130], v[159:160], v[131:132], v[129:130]
	buffer_load_dword v138, off, s[0:3], 0 offset:452
	buffer_load_dword v149, off, s[0:3], 0 offset:472
	;; [unrolled: 1-line block ×8, first 2 shown]
	s_waitcnt vmcnt(24) lgkmcnt(0)
	v_fma_f64 v[129:130], v[151:152], v[133:134], v[129:130]
	s_waitcnt vmcnt(19)
	v_fma_f64 v[139:140], v[139:140], v[135:136], v[129:130]
	ds_read2_b64 v[129:132], v128 offset0:113 offset1:114
	ds_read2_b64 v[133:136], v128 offset0:115 offset1:116
	s_waitcnt vmcnt(18) lgkmcnt(1)
	v_fma_f64 v[129:130], v[153:154], v[129:130], v[139:140]
	s_waitcnt vmcnt(17)
	v_fma_f64 v[129:130], v[147:148], v[131:132], v[129:130]
	buffer_load_dword v140, off, s[0:3], 0 offset:484
	buffer_load_dword v147, off, s[0:3], 0 offset:496
	;; [unrolled: 1-line block ×6, first 2 shown]
	s_waitcnt vmcnt(22) lgkmcnt(0)
	v_fma_f64 v[129:130], v[145:146], v[133:134], v[129:130]
	s_waitcnt vmcnt(17)
	v_fma_f64 v[141:142], v[141:142], v[135:136], v[129:130]
	ds_read2_b64 v[129:132], v128 offset0:117 offset1:118
	buffer_load_dword v145, off, s[0:3], 0 offset:64
	buffer_load_dword v146, off, s[0:3], 0 offset:68
	ds_read2_b64 v[133:136], v128 offset0:119 offset1:120
	s_waitcnt vmcnt(18) lgkmcnt(1)
	v_fma_f64 v[129:130], v[157:158], v[129:130], v[141:142]
	s_waitcnt vmcnt(17)
	v_fma_f64 v[129:130], v[155:156], v[131:132], v[129:130]
	s_waitcnt vmcnt(16) lgkmcnt(0)
	v_fma_f64 v[129:130], v[143:144], v[133:134], v[129:130]
	s_waitcnt vmcnt(11)
	v_fma_f64 v[137:138], v[137:138], v[135:136], v[129:130]
	ds_read2_b64 v[129:132], v128 offset0:121 offset1:122
	ds_read2_b64 v[133:136], v128 offset0:123 offset1:124
	s_waitcnt vmcnt(10) lgkmcnt(1)
	v_fma_f64 v[129:130], v[161:162], v[129:130], v[137:138]
	s_waitcnt vmcnt(9)
	v_fma_f64 v[129:130], v[159:160], v[131:132], v[129:130]
	s_waitcnt vmcnt(8) lgkmcnt(0)
	v_fma_f64 v[129:130], v[149:150], v[133:134], v[129:130]
	s_waitcnt vmcnt(4)
	v_fma_f64 v[132:133], v[139:140], v[135:136], v[129:130]
	ds_read2_b64 v[128:131], v128 offset0:125 offset1:126
	s_waitcnt vmcnt(3) lgkmcnt(0)
	v_fma_f64 v[128:129], v[151:152], v[128:129], v[132:133]
	s_waitcnt vmcnt(2)
	v_fma_f64 v[128:129], v[147:148], v[130:131], v[128:129]
	s_waitcnt vmcnt(0)
	v_add_f64 v[128:129], v[145:146], -v[128:129]
	buffer_store_dword v129, off, s[0:3], 0 offset:68
	buffer_store_dword v128, off, s[0:3], 0 offset:64
	s_and_saveexec_b64 s[4:5], vcc
	s_cbranch_execz .LBB126_371
; %bb.370:
	buffer_load_dword v128, off, s[0:3], 0 offset:56
	buffer_load_dword v129, off, s[0:3], 0 offset:60
	v_mov_b32_e32 v130, 0
	buffer_store_dword v130, off, s[0:3], 0 offset:56
	buffer_store_dword v130, off, s[0:3], 0 offset:60
	s_waitcnt vmcnt(2)
	ds_write_b64 v127, v[128:129]
.LBB126_371:
	s_or_b64 exec, exec, s[4:5]
	s_waitcnt lgkmcnt(0)
	; wave barrier
	buffer_load_dword v137, off, s[0:3], 0 offset:64
	buffer_load_dword v138, off, s[0:3], 0 offset:68
	;; [unrolled: 1-line block ×22, first 2 shown]
	v_mov_b32_e32 v128, 0
	ds_read_b128 v[129:132], v128 offset:576
	ds_read_b128 v[133:136], v128 offset:592
	v_cmp_lt_u32_e32 vcc, 6, v0
	s_waitcnt vmcnt(20) lgkmcnt(1)
	v_fma_f64 v[129:130], v[137:138], v[129:130], 0
	s_waitcnt vmcnt(18)
	v_fma_f64 v[129:130], v[139:140], v[131:132], v[129:130]
	buffer_load_dword v138, off, s[0:3], 0 offset:156
	buffer_load_dword v139, off, s[0:3], 0 offset:176
	;; [unrolled: 1-line block ×7, first 2 shown]
	s_waitcnt vmcnt(23) lgkmcnt(0)
	v_fma_f64 v[129:130], v[141:142], v[133:134], v[129:130]
	s_waitcnt vmcnt(21)
	v_fma_f64 v[140:141], v[143:144], v[135:136], v[129:130]
	ds_read_b128 v[129:132], v128 offset:608
	ds_read_b128 v[133:136], v128 offset:624
	s_waitcnt vmcnt(19) lgkmcnt(1)
	v_fma_f64 v[129:130], v[145:146], v[129:130], v[140:141]
	buffer_load_dword v140, off, s[0:3], 0 offset:180
	s_waitcnt vmcnt(18)
	v_fma_f64 v[129:130], v[147:148], v[131:132], v[129:130]
	buffer_load_dword v142, off, s[0:3], 0 offset:188
	buffer_load_dword v143, off, s[0:3], 0 offset:208
	;; [unrolled: 1-line block ×7, first 2 shown]
	s_waitcnt vmcnt(23) lgkmcnt(0)
	v_fma_f64 v[129:130], v[149:150], v[133:134], v[129:130]
	s_waitcnt vmcnt(18)
	v_fma_f64 v[149:150], v[151:152], v[135:136], v[129:130]
	ds_read_b128 v[129:132], v128 offset:640
	ds_read_b128 v[133:136], v128 offset:656
	buffer_load_dword v144, off, s[0:3], 0 offset:212
	s_waitcnt vmcnt(18) lgkmcnt(1)
	v_fma_f64 v[129:130], v[157:158], v[129:130], v[149:150]
	s_waitcnt vmcnt(17)
	v_fma_f64 v[129:130], v[155:156], v[131:132], v[129:130]
	buffer_load_dword v150, off, s[0:3], 0 offset:220
	buffer_load_dword v151, off, s[0:3], 0 offset:240
	;; [unrolled: 1-line block ×8, first 2 shown]
	s_waitcnt vmcnt(24) lgkmcnt(0)
	v_fma_f64 v[129:130], v[153:154], v[133:134], v[129:130]
	s_waitcnt vmcnt(19)
	v_fma_f64 v[137:138], v[137:138], v[135:136], v[129:130]
	ds_read_b128 v[129:132], v128 offset:672
	ds_read_b128 v[133:136], v128 offset:688
	s_waitcnt vmcnt(18) lgkmcnt(1)
	v_fma_f64 v[129:130], v[161:162], v[129:130], v[137:138]
	s_waitcnt vmcnt(17)
	v_fma_f64 v[129:130], v[159:160], v[131:132], v[129:130]
	buffer_load_dword v138, off, s[0:3], 0 offset:252
	buffer_load_dword v153, off, s[0:3], 0 offset:272
	;; [unrolled: 1-line block ×8, first 2 shown]
	s_waitcnt vmcnt(24) lgkmcnt(0)
	v_fma_f64 v[129:130], v[139:140], v[133:134], v[129:130]
	s_waitcnt vmcnt(19)
	v_fma_f64 v[139:140], v[141:142], v[135:136], v[129:130]
	ds_read_b128 v[129:132], v128 offset:704
	ds_read_b128 v[133:136], v128 offset:720
	s_waitcnt vmcnt(18) lgkmcnt(1)
	v_fma_f64 v[129:130], v[147:148], v[129:130], v[139:140]
	s_waitcnt vmcnt(17)
	v_fma_f64 v[129:130], v[145:146], v[131:132], v[129:130]
	buffer_load_dword v140, off, s[0:3], 0 offset:284
	buffer_load_dword v141, off, s[0:3], 0 offset:304
	;; [unrolled: 1-line block ×7, first 2 shown]
	s_waitcnt vmcnt(23) lgkmcnt(0)
	v_fma_f64 v[129:130], v[143:144], v[133:134], v[129:130]
	s_waitcnt vmcnt(18)
	v_fma_f64 v[142:143], v[149:150], v[135:136], v[129:130]
	ds_read_b128 v[129:132], v128 offset:736
	ds_read_b128 v[133:136], v128 offset:752
	s_waitcnt vmcnt(17) lgkmcnt(1)
	v_fma_f64 v[129:130], v[157:158], v[129:130], v[142:143]
	buffer_load_dword v142, off, s[0:3], 0 offset:308
	s_waitcnt vmcnt(17)
	v_fma_f64 v[129:130], v[155:156], v[131:132], v[129:130]
	buffer_load_dword v144, off, s[0:3], 0 offset:316
	buffer_load_dword v149, off, s[0:3], 0 offset:336
	;; [unrolled: 1-line block ×8, first 2 shown]
	s_waitcnt vmcnt(24) lgkmcnt(0)
	v_fma_f64 v[129:130], v[151:152], v[133:134], v[129:130]
	s_waitcnt vmcnt(19)
	v_fma_f64 v[137:138], v[137:138], v[135:136], v[129:130]
	ds_read_b128 v[129:132], v128 offset:768
	ds_read_b128 v[133:136], v128 offset:784
	s_waitcnt vmcnt(18) lgkmcnt(1)
	v_fma_f64 v[129:130], v[161:162], v[129:130], v[137:138]
	s_waitcnt vmcnt(17)
	v_fma_f64 v[129:130], v[159:160], v[131:132], v[129:130]
	buffer_load_dword v138, off, s[0:3], 0 offset:348
	buffer_load_dword v151, off, s[0:3], 0 offset:368
	;; [unrolled: 1-line block ×8, first 2 shown]
	s_waitcnt vmcnt(24) lgkmcnt(0)
	v_fma_f64 v[129:130], v[153:154], v[133:134], v[129:130]
	s_waitcnt vmcnt(19)
	v_fma_f64 v[139:140], v[139:140], v[135:136], v[129:130]
	ds_read_b128 v[129:132], v128 offset:800
	ds_read_b128 v[133:136], v128 offset:816
	s_waitcnt vmcnt(18) lgkmcnt(1)
	v_fma_f64 v[129:130], v[147:148], v[129:130], v[139:140]
	s_waitcnt vmcnt(17)
	v_fma_f64 v[129:130], v[145:146], v[131:132], v[129:130]
	buffer_load_dword v140, off, s[0:3], 0 offset:380
	buffer_load_dword v145, off, s[0:3], 0 offset:400
	;; [unrolled: 1-line block ×7, first 2 shown]
	s_waitcnt vmcnt(23) lgkmcnt(0)
	v_fma_f64 v[129:130], v[141:142], v[133:134], v[129:130]
	s_waitcnt vmcnt(18)
	v_fma_f64 v[141:142], v[143:144], v[135:136], v[129:130]
	ds_read_b128 v[129:132], v128 offset:832
	ds_read_b128 v[133:136], v128 offset:848
	buffer_load_dword v146, off, s[0:3], 0 offset:404
	s_waitcnt vmcnt(18) lgkmcnt(1)
	v_fma_f64 v[129:130], v[157:158], v[129:130], v[141:142]
	s_waitcnt vmcnt(17)
	v_fma_f64 v[129:130], v[155:156], v[131:132], v[129:130]
	buffer_load_dword v142, off, s[0:3], 0 offset:412
	buffer_load_dword v143, off, s[0:3], 0 offset:432
	buffer_load_dword v155, off, s[0:3], 0 offset:424
	buffer_load_dword v157, off, s[0:3], 0 offset:416
	buffer_load_dword v141, off, s[0:3], 0 offset:408
	buffer_load_dword v158, off, s[0:3], 0 offset:420
	buffer_load_dword v156, off, s[0:3], 0 offset:428
	buffer_load_dword v144, off, s[0:3], 0 offset:436
	s_waitcnt vmcnt(24) lgkmcnt(0)
	v_fma_f64 v[129:130], v[149:150], v[133:134], v[129:130]
	s_waitcnt vmcnt(19)
	v_fma_f64 v[137:138], v[137:138], v[135:136], v[129:130]
	ds_read_b128 v[129:132], v128 offset:864
	ds_read_b128 v[133:136], v128 offset:880
	s_waitcnt vmcnt(18) lgkmcnt(1)
	v_fma_f64 v[129:130], v[161:162], v[129:130], v[137:138]
	s_waitcnt vmcnt(17)
	v_fma_f64 v[129:130], v[159:160], v[131:132], v[129:130]
	buffer_load_dword v138, off, s[0:3], 0 offset:444
	buffer_load_dword v149, off, s[0:3], 0 offset:464
	buffer_load_dword v159, off, s[0:3], 0 offset:456
	buffer_load_dword v161, off, s[0:3], 0 offset:448
	buffer_load_dword v137, off, s[0:3], 0 offset:440
	buffer_load_dword v162, off, s[0:3], 0 offset:452
	buffer_load_dword v160, off, s[0:3], 0 offset:460
	buffer_load_dword v150, off, s[0:3], 0 offset:468
	s_waitcnt vmcnt(24) lgkmcnt(0)
	v_fma_f64 v[129:130], v[151:152], v[133:134], v[129:130]
	s_waitcnt vmcnt(19)
	v_fma_f64 v[139:140], v[139:140], v[135:136], v[129:130]
	ds_read_b128 v[129:132], v128 offset:896
	ds_read_b128 v[133:136], v128 offset:912
	;; [unrolled: 18-line block ×3, first 2 shown]
	s_waitcnt vmcnt(18) lgkmcnt(1)
	v_fma_f64 v[129:130], v[157:158], v[129:130], v[141:142]
	buffer_load_dword v141, off, s[0:3], 0 offset:56
	buffer_load_dword v142, off, s[0:3], 0 offset:60
	s_waitcnt vmcnt(19)
	v_fma_f64 v[129:130], v[155:156], v[131:132], v[129:130]
	s_waitcnt vmcnt(18) lgkmcnt(0)
	v_fma_f64 v[129:130], v[143:144], v[133:134], v[129:130]
	s_waitcnt vmcnt(13)
	v_fma_f64 v[137:138], v[137:138], v[135:136], v[129:130]
	ds_read_b128 v[129:132], v128 offset:960
	ds_read_b128 v[133:136], v128 offset:976
	s_waitcnt vmcnt(12) lgkmcnt(1)
	v_fma_f64 v[129:130], v[161:162], v[129:130], v[137:138]
	s_waitcnt vmcnt(11)
	v_fma_f64 v[129:130], v[159:160], v[131:132], v[129:130]
	s_waitcnt vmcnt(10) lgkmcnt(0)
	v_fma_f64 v[129:130], v[149:150], v[133:134], v[129:130]
	s_waitcnt vmcnt(5)
	v_fma_f64 v[133:134], v[139:140], v[135:136], v[129:130]
	ds_read_b128 v[129:132], v128 offset:992
	ds_read_b64 v[135:136], v128 offset:1008
	s_waitcnt vmcnt(4) lgkmcnt(1)
	v_fma_f64 v[129:130], v[153:154], v[129:130], v[133:134]
	s_waitcnt vmcnt(3)
	v_fma_f64 v[129:130], v[151:152], v[131:132], v[129:130]
	s_waitcnt vmcnt(2) lgkmcnt(0)
	v_fma_f64 v[129:130], v[147:148], v[135:136], v[129:130]
	s_waitcnt vmcnt(0)
	v_add_f64 v[129:130], v[141:142], -v[129:130]
	buffer_store_dword v130, off, s[0:3], 0 offset:60
	buffer_store_dword v129, off, s[0:3], 0 offset:56
	s_and_saveexec_b64 s[4:5], vcc
	s_cbranch_execz .LBB126_373
; %bb.372:
	buffer_load_dword v129, off, s[0:3], 0 offset:48
	buffer_load_dword v130, off, s[0:3], 0 offset:52
	s_waitcnt vmcnt(0)
	ds_write_b64 v127, v[129:130]
	buffer_store_dword v128, off, s[0:3], 0 offset:48
	buffer_store_dword v128, off, s[0:3], 0 offset:52
.LBB126_373:
	s_or_b64 exec, exec, s[4:5]
	s_waitcnt lgkmcnt(0)
	; wave barrier
	buffer_load_dword v137, off, s[0:3], 0 offset:56
	buffer_load_dword v138, off, s[0:3], 0 offset:60
	;; [unrolled: 1-line block ×22, first 2 shown]
	ds_read2_b64 v[129:132], v128 offset0:71 offset1:72
	ds_read2_b64 v[133:136], v128 offset0:73 offset1:74
	v_cmp_lt_u32_e32 vcc, 5, v0
	s_waitcnt vmcnt(20) lgkmcnt(1)
	v_fma_f64 v[129:130], v[137:138], v[129:130], 0
	s_waitcnt vmcnt(18)
	v_fma_f64 v[129:130], v[139:140], v[131:132], v[129:130]
	buffer_load_dword v138, off, s[0:3], 0 offset:148
	buffer_load_dword v139, off, s[0:3], 0 offset:168
	;; [unrolled: 1-line block ×7, first 2 shown]
	s_waitcnt vmcnt(23) lgkmcnt(0)
	v_fma_f64 v[129:130], v[141:142], v[133:134], v[129:130]
	s_waitcnt vmcnt(21)
	v_fma_f64 v[140:141], v[143:144], v[135:136], v[129:130]
	ds_read2_b64 v[129:132], v128 offset0:75 offset1:76
	ds_read2_b64 v[133:136], v128 offset0:77 offset1:78
	s_waitcnt vmcnt(19) lgkmcnt(1)
	v_fma_f64 v[129:130], v[145:146], v[129:130], v[140:141]
	buffer_load_dword v140, off, s[0:3], 0 offset:172
	s_waitcnt vmcnt(18)
	v_fma_f64 v[129:130], v[147:148], v[131:132], v[129:130]
	buffer_load_dword v142, off, s[0:3], 0 offset:180
	buffer_load_dword v143, off, s[0:3], 0 offset:200
	;; [unrolled: 1-line block ×7, first 2 shown]
	s_waitcnt vmcnt(23) lgkmcnt(0)
	v_fma_f64 v[129:130], v[149:150], v[133:134], v[129:130]
	s_waitcnt vmcnt(18)
	v_fma_f64 v[149:150], v[151:152], v[135:136], v[129:130]
	ds_read2_b64 v[129:132], v128 offset0:79 offset1:80
	ds_read2_b64 v[133:136], v128 offset0:81 offset1:82
	buffer_load_dword v144, off, s[0:3], 0 offset:204
	s_waitcnt vmcnt(18) lgkmcnt(1)
	v_fma_f64 v[129:130], v[157:158], v[129:130], v[149:150]
	s_waitcnt vmcnt(17)
	v_fma_f64 v[129:130], v[155:156], v[131:132], v[129:130]
	buffer_load_dword v150, off, s[0:3], 0 offset:212
	buffer_load_dword v151, off, s[0:3], 0 offset:232
	;; [unrolled: 1-line block ×8, first 2 shown]
	s_waitcnt vmcnt(24) lgkmcnt(0)
	v_fma_f64 v[129:130], v[153:154], v[133:134], v[129:130]
	s_waitcnt vmcnt(19)
	v_fma_f64 v[137:138], v[137:138], v[135:136], v[129:130]
	ds_read2_b64 v[129:132], v128 offset0:83 offset1:84
	ds_read2_b64 v[133:136], v128 offset0:85 offset1:86
	s_waitcnt vmcnt(18) lgkmcnt(1)
	v_fma_f64 v[129:130], v[161:162], v[129:130], v[137:138]
	s_waitcnt vmcnt(17)
	v_fma_f64 v[129:130], v[159:160], v[131:132], v[129:130]
	buffer_load_dword v138, off, s[0:3], 0 offset:244
	buffer_load_dword v153, off, s[0:3], 0 offset:264
	buffer_load_dword v159, off, s[0:3], 0 offset:256
	buffer_load_dword v161, off, s[0:3], 0 offset:248
	buffer_load_dword v137, off, s[0:3], 0 offset:240
	buffer_load_dword v162, off, s[0:3], 0 offset:252
	buffer_load_dword v160, off, s[0:3], 0 offset:260
	buffer_load_dword v154, off, s[0:3], 0 offset:268
	s_waitcnt vmcnt(24) lgkmcnt(0)
	v_fma_f64 v[129:130], v[139:140], v[133:134], v[129:130]
	s_waitcnt vmcnt(19)
	v_fma_f64 v[139:140], v[141:142], v[135:136], v[129:130]
	ds_read2_b64 v[129:132], v128 offset0:87 offset1:88
	ds_read2_b64 v[133:136], v128 offset0:89 offset1:90
	s_waitcnt vmcnt(18) lgkmcnt(1)
	v_fma_f64 v[129:130], v[147:148], v[129:130], v[139:140]
	s_waitcnt vmcnt(17)
	v_fma_f64 v[129:130], v[145:146], v[131:132], v[129:130]
	buffer_load_dword v140, off, s[0:3], 0 offset:276
	buffer_load_dword v141, off, s[0:3], 0 offset:296
	;; [unrolled: 1-line block ×7, first 2 shown]
	s_waitcnt vmcnt(23) lgkmcnt(0)
	v_fma_f64 v[129:130], v[143:144], v[133:134], v[129:130]
	s_waitcnt vmcnt(18)
	v_fma_f64 v[142:143], v[149:150], v[135:136], v[129:130]
	ds_read2_b64 v[129:132], v128 offset0:91 offset1:92
	ds_read2_b64 v[133:136], v128 offset0:93 offset1:94
	s_waitcnt vmcnt(17) lgkmcnt(1)
	v_fma_f64 v[129:130], v[157:158], v[129:130], v[142:143]
	buffer_load_dword v142, off, s[0:3], 0 offset:300
	s_waitcnt vmcnt(17)
	v_fma_f64 v[129:130], v[155:156], v[131:132], v[129:130]
	buffer_load_dword v144, off, s[0:3], 0 offset:308
	buffer_load_dword v149, off, s[0:3], 0 offset:328
	;; [unrolled: 1-line block ×8, first 2 shown]
	s_waitcnt vmcnt(24) lgkmcnt(0)
	v_fma_f64 v[129:130], v[151:152], v[133:134], v[129:130]
	s_waitcnt vmcnt(19)
	v_fma_f64 v[137:138], v[137:138], v[135:136], v[129:130]
	ds_read2_b64 v[129:132], v128 offset0:95 offset1:96
	ds_read2_b64 v[133:136], v128 offset0:97 offset1:98
	s_waitcnt vmcnt(18) lgkmcnt(1)
	v_fma_f64 v[129:130], v[161:162], v[129:130], v[137:138]
	s_waitcnt vmcnt(17)
	v_fma_f64 v[129:130], v[159:160], v[131:132], v[129:130]
	buffer_load_dword v138, off, s[0:3], 0 offset:340
	buffer_load_dword v151, off, s[0:3], 0 offset:360
	;; [unrolled: 1-line block ×8, first 2 shown]
	s_waitcnt vmcnt(24) lgkmcnt(0)
	v_fma_f64 v[129:130], v[153:154], v[133:134], v[129:130]
	s_waitcnt vmcnt(19)
	v_fma_f64 v[139:140], v[139:140], v[135:136], v[129:130]
	ds_read2_b64 v[129:132], v128 offset0:99 offset1:100
	ds_read2_b64 v[133:136], v128 offset0:101 offset1:102
	s_waitcnt vmcnt(18) lgkmcnt(1)
	v_fma_f64 v[129:130], v[147:148], v[129:130], v[139:140]
	s_waitcnt vmcnt(17)
	v_fma_f64 v[129:130], v[145:146], v[131:132], v[129:130]
	buffer_load_dword v140, off, s[0:3], 0 offset:372
	buffer_load_dword v145, off, s[0:3], 0 offset:392
	;; [unrolled: 1-line block ×7, first 2 shown]
	s_waitcnt vmcnt(23) lgkmcnt(0)
	v_fma_f64 v[129:130], v[141:142], v[133:134], v[129:130]
	s_waitcnt vmcnt(18)
	v_fma_f64 v[141:142], v[143:144], v[135:136], v[129:130]
	ds_read2_b64 v[129:132], v128 offset0:103 offset1:104
	ds_read2_b64 v[133:136], v128 offset0:105 offset1:106
	buffer_load_dword v146, off, s[0:3], 0 offset:396
	s_waitcnt vmcnt(18) lgkmcnt(1)
	v_fma_f64 v[129:130], v[157:158], v[129:130], v[141:142]
	s_waitcnt vmcnt(17)
	v_fma_f64 v[129:130], v[155:156], v[131:132], v[129:130]
	buffer_load_dword v142, off, s[0:3], 0 offset:404
	buffer_load_dword v143, off, s[0:3], 0 offset:424
	buffer_load_dword v155, off, s[0:3], 0 offset:416
	buffer_load_dword v157, off, s[0:3], 0 offset:408
	buffer_load_dword v141, off, s[0:3], 0 offset:400
	buffer_load_dword v158, off, s[0:3], 0 offset:412
	buffer_load_dword v156, off, s[0:3], 0 offset:420
	buffer_load_dword v144, off, s[0:3], 0 offset:428
	s_waitcnt vmcnt(24) lgkmcnt(0)
	v_fma_f64 v[129:130], v[149:150], v[133:134], v[129:130]
	s_waitcnt vmcnt(19)
	v_fma_f64 v[137:138], v[137:138], v[135:136], v[129:130]
	ds_read2_b64 v[129:132], v128 offset0:107 offset1:108
	ds_read2_b64 v[133:136], v128 offset0:109 offset1:110
	s_waitcnt vmcnt(18) lgkmcnt(1)
	v_fma_f64 v[129:130], v[161:162], v[129:130], v[137:138]
	s_waitcnt vmcnt(17)
	v_fma_f64 v[129:130], v[159:160], v[131:132], v[129:130]
	buffer_load_dword v138, off, s[0:3], 0 offset:436
	buffer_load_dword v149, off, s[0:3], 0 offset:456
	buffer_load_dword v159, off, s[0:3], 0 offset:448
	buffer_load_dword v161, off, s[0:3], 0 offset:440
	buffer_load_dword v137, off, s[0:3], 0 offset:432
	buffer_load_dword v162, off, s[0:3], 0 offset:444
	buffer_load_dword v160, off, s[0:3], 0 offset:452
	buffer_load_dword v150, off, s[0:3], 0 offset:460
	s_waitcnt vmcnt(24) lgkmcnt(0)
	v_fma_f64 v[129:130], v[151:152], v[133:134], v[129:130]
	s_waitcnt vmcnt(19)
	v_fma_f64 v[139:140], v[139:140], v[135:136], v[129:130]
	ds_read2_b64 v[129:132], v128 offset0:111 offset1:112
	ds_read2_b64 v[133:136], v128 offset0:113 offset1:114
	;; [unrolled: 18-line block ×3, first 2 shown]
	s_waitcnt vmcnt(18) lgkmcnt(1)
	v_fma_f64 v[129:130], v[157:158], v[129:130], v[141:142]
	buffer_load_dword v142, off, s[0:3], 0 offset:500
	buffer_load_dword v141, off, s[0:3], 0 offset:496
	;; [unrolled: 1-line block ×4, first 2 shown]
	s_waitcnt vmcnt(21)
	v_fma_f64 v[129:130], v[155:156], v[131:132], v[129:130]
	s_waitcnt vmcnt(20) lgkmcnt(0)
	v_fma_f64 v[129:130], v[143:144], v[133:134], v[129:130]
	s_waitcnt vmcnt(15)
	v_fma_f64 v[137:138], v[137:138], v[135:136], v[129:130]
	ds_read2_b64 v[129:132], v128 offset0:119 offset1:120
	ds_read2_b64 v[133:136], v128 offset0:121 offset1:122
	s_waitcnt vmcnt(14) lgkmcnt(1)
	v_fma_f64 v[129:130], v[161:162], v[129:130], v[137:138]
	s_waitcnt vmcnt(13)
	v_fma_f64 v[129:130], v[159:160], v[131:132], v[129:130]
	s_waitcnt vmcnt(12) lgkmcnt(0)
	v_fma_f64 v[129:130], v[149:150], v[133:134], v[129:130]
	s_waitcnt vmcnt(7)
	v_fma_f64 v[137:138], v[139:140], v[135:136], v[129:130]
	ds_read2_b64 v[129:132], v128 offset0:123 offset1:124
	ds_read2_b64 v[133:136], v128 offset0:125 offset1:126
	s_waitcnt vmcnt(6) lgkmcnt(1)
	v_fma_f64 v[128:129], v[153:154], v[129:130], v[137:138]
	s_waitcnt vmcnt(5)
	v_fma_f64 v[128:129], v[151:152], v[131:132], v[128:129]
	s_waitcnt vmcnt(4) lgkmcnt(0)
	v_fma_f64 v[128:129], v[147:148], v[133:134], v[128:129]
	s_waitcnt vmcnt(2)
	v_fma_f64 v[128:129], v[141:142], v[135:136], v[128:129]
	s_waitcnt vmcnt(0)
	v_add_f64 v[128:129], v[145:146], -v[128:129]
	buffer_store_dword v129, off, s[0:3], 0 offset:52
	buffer_store_dword v128, off, s[0:3], 0 offset:48
	s_and_saveexec_b64 s[4:5], vcc
	s_cbranch_execz .LBB126_375
; %bb.374:
	buffer_load_dword v128, off, s[0:3], 0 offset:40
	buffer_load_dword v129, off, s[0:3], 0 offset:44
	v_mov_b32_e32 v130, 0
	buffer_store_dword v130, off, s[0:3], 0 offset:40
	buffer_store_dword v130, off, s[0:3], 0 offset:44
	s_waitcnt vmcnt(2)
	ds_write_b64 v127, v[128:129]
.LBB126_375:
	s_or_b64 exec, exec, s[4:5]
	s_waitcnt lgkmcnt(0)
	; wave barrier
	buffer_load_dword v137, off, s[0:3], 0 offset:48
	buffer_load_dword v138, off, s[0:3], 0 offset:52
	;; [unrolled: 1-line block ×21, first 2 shown]
	v_mov_b32_e32 v128, 0
	ds_read_b128 v[129:132], v128 offset:560
	ds_read_b128 v[133:136], v128 offset:576
	buffer_load_dword v154, off, s[0:3], 0 offset:132
	v_cmp_lt_u32_e32 vcc, 4, v0
	s_waitcnt vmcnt(20) lgkmcnt(1)
	v_fma_f64 v[129:130], v[137:138], v[129:130], 0
	s_waitcnt vmcnt(18)
	v_fma_f64 v[129:130], v[139:140], v[131:132], v[129:130]
	buffer_load_dword v138, off, s[0:3], 0 offset:140
	buffer_load_dword v139, off, s[0:3], 0 offset:160
	;; [unrolled: 1-line block ×7, first 2 shown]
	s_waitcnt vmcnt(23) lgkmcnt(0)
	v_fma_f64 v[129:130], v[141:142], v[133:134], v[129:130]
	s_waitcnt vmcnt(21)
	v_fma_f64 v[140:141], v[143:144], v[135:136], v[129:130]
	ds_read_b128 v[129:132], v128 offset:592
	ds_read_b128 v[133:136], v128 offset:608
	s_waitcnt vmcnt(19) lgkmcnt(1)
	v_fma_f64 v[129:130], v[145:146], v[129:130], v[140:141]
	buffer_load_dword v140, off, s[0:3], 0 offset:164
	s_waitcnt vmcnt(18)
	v_fma_f64 v[129:130], v[147:148], v[131:132], v[129:130]
	buffer_load_dword v142, off, s[0:3], 0 offset:172
	buffer_load_dword v143, off, s[0:3], 0 offset:192
	;; [unrolled: 1-line block ×7, first 2 shown]
	s_waitcnt vmcnt(23) lgkmcnt(0)
	v_fma_f64 v[129:130], v[149:150], v[133:134], v[129:130]
	s_waitcnt vmcnt(18)
	v_fma_f64 v[149:150], v[151:152], v[135:136], v[129:130]
	ds_read_b128 v[129:132], v128 offset:624
	ds_read_b128 v[133:136], v128 offset:640
	buffer_load_dword v144, off, s[0:3], 0 offset:196
	s_waitcnt vmcnt(18) lgkmcnt(1)
	v_fma_f64 v[129:130], v[157:158], v[129:130], v[149:150]
	s_waitcnt vmcnt(17)
	v_fma_f64 v[129:130], v[155:156], v[131:132], v[129:130]
	buffer_load_dword v150, off, s[0:3], 0 offset:204
	buffer_load_dword v151, off, s[0:3], 0 offset:224
	;; [unrolled: 1-line block ×7, first 2 shown]
	s_waitcnt vmcnt(23) lgkmcnt(0)
	v_fma_f64 v[129:130], v[153:154], v[133:134], v[129:130]
	s_waitcnt vmcnt(18)
	v_fma_f64 v[137:138], v[137:138], v[135:136], v[129:130]
	ds_read_b128 v[129:132], v128 offset:656
	ds_read_b128 v[133:136], v128 offset:672
	buffer_load_dword v152, off, s[0:3], 0 offset:228
	s_waitcnt vmcnt(18) lgkmcnt(1)
	v_fma_f64 v[129:130], v[161:162], v[129:130], v[137:138]
	s_waitcnt vmcnt(17)
	v_fma_f64 v[129:130], v[159:160], v[131:132], v[129:130]
	buffer_load_dword v138, off, s[0:3], 0 offset:236
	buffer_load_dword v153, off, s[0:3], 0 offset:256
	;; [unrolled: 1-line block ×8, first 2 shown]
	s_waitcnt vmcnt(24) lgkmcnt(0)
	v_fma_f64 v[129:130], v[139:140], v[133:134], v[129:130]
	s_waitcnt vmcnt(19)
	v_fma_f64 v[139:140], v[141:142], v[135:136], v[129:130]
	ds_read_b128 v[129:132], v128 offset:688
	ds_read_b128 v[133:136], v128 offset:704
	s_waitcnt vmcnt(18) lgkmcnt(1)
	v_fma_f64 v[129:130], v[147:148], v[129:130], v[139:140]
	s_waitcnt vmcnt(17)
	v_fma_f64 v[129:130], v[145:146], v[131:132], v[129:130]
	buffer_load_dword v140, off, s[0:3], 0 offset:268
	buffer_load_dword v141, off, s[0:3], 0 offset:288
	;; [unrolled: 1-line block ×7, first 2 shown]
	s_waitcnt vmcnt(23) lgkmcnt(0)
	v_fma_f64 v[129:130], v[143:144], v[133:134], v[129:130]
	s_waitcnt vmcnt(18)
	v_fma_f64 v[142:143], v[149:150], v[135:136], v[129:130]
	ds_read_b128 v[129:132], v128 offset:720
	ds_read_b128 v[133:136], v128 offset:736
	s_waitcnt vmcnt(17) lgkmcnt(1)
	v_fma_f64 v[129:130], v[157:158], v[129:130], v[142:143]
	buffer_load_dword v142, off, s[0:3], 0 offset:292
	s_waitcnt vmcnt(17)
	v_fma_f64 v[129:130], v[155:156], v[131:132], v[129:130]
	buffer_load_dword v144, off, s[0:3], 0 offset:300
	buffer_load_dword v149, off, s[0:3], 0 offset:320
	;; [unrolled: 1-line block ×7, first 2 shown]
	s_waitcnt vmcnt(23) lgkmcnt(0)
	v_fma_f64 v[129:130], v[151:152], v[133:134], v[129:130]
	s_waitcnt vmcnt(18)
	v_fma_f64 v[137:138], v[137:138], v[135:136], v[129:130]
	ds_read_b128 v[129:132], v128 offset:752
	ds_read_b128 v[133:136], v128 offset:768
	buffer_load_dword v150, off, s[0:3], 0 offset:324
	s_waitcnt vmcnt(18) lgkmcnt(1)
	v_fma_f64 v[129:130], v[161:162], v[129:130], v[137:138]
	s_waitcnt vmcnt(17)
	v_fma_f64 v[129:130], v[159:160], v[131:132], v[129:130]
	buffer_load_dword v138, off, s[0:3], 0 offset:332
	buffer_load_dword v151, off, s[0:3], 0 offset:352
	;; [unrolled: 1-line block ×8, first 2 shown]
	s_waitcnt vmcnt(24) lgkmcnt(0)
	v_fma_f64 v[129:130], v[153:154], v[133:134], v[129:130]
	s_waitcnt vmcnt(19)
	v_fma_f64 v[139:140], v[139:140], v[135:136], v[129:130]
	ds_read_b128 v[129:132], v128 offset:784
	ds_read_b128 v[133:136], v128 offset:800
	s_waitcnt vmcnt(18) lgkmcnt(1)
	v_fma_f64 v[129:130], v[147:148], v[129:130], v[139:140]
	s_waitcnt vmcnt(17)
	v_fma_f64 v[129:130], v[145:146], v[131:132], v[129:130]
	buffer_load_dword v140, off, s[0:3], 0 offset:364
	buffer_load_dword v145, off, s[0:3], 0 offset:384
	buffer_load_dword v147, off, s[0:3], 0 offset:376
	buffer_load_dword v153, off, s[0:3], 0 offset:368
	buffer_load_dword v139, off, s[0:3], 0 offset:360
	buffer_load_dword v154, off, s[0:3], 0 offset:372
	buffer_load_dword v148, off, s[0:3], 0 offset:380
	s_waitcnt vmcnt(23) lgkmcnt(0)
	v_fma_f64 v[129:130], v[141:142], v[133:134], v[129:130]
	s_waitcnt vmcnt(18)
	v_fma_f64 v[141:142], v[143:144], v[135:136], v[129:130]
	ds_read_b128 v[129:132], v128 offset:816
	ds_read_b128 v[133:136], v128 offset:832
	buffer_load_dword v146, off, s[0:3], 0 offset:388
	s_waitcnt vmcnt(18) lgkmcnt(1)
	v_fma_f64 v[129:130], v[157:158], v[129:130], v[141:142]
	s_waitcnt vmcnt(17)
	v_fma_f64 v[129:130], v[155:156], v[131:132], v[129:130]
	buffer_load_dword v142, off, s[0:3], 0 offset:396
	buffer_load_dword v143, off, s[0:3], 0 offset:416
	;; [unrolled: 1-line block ×7, first 2 shown]
	s_waitcnt vmcnt(23) lgkmcnt(0)
	v_fma_f64 v[129:130], v[149:150], v[133:134], v[129:130]
	s_waitcnt vmcnt(18)
	v_fma_f64 v[137:138], v[137:138], v[135:136], v[129:130]
	ds_read_b128 v[129:132], v128 offset:848
	ds_read_b128 v[133:136], v128 offset:864
	buffer_load_dword v144, off, s[0:3], 0 offset:420
	s_waitcnt vmcnt(18) lgkmcnt(1)
	v_fma_f64 v[129:130], v[161:162], v[129:130], v[137:138]
	s_waitcnt vmcnt(17)
	v_fma_f64 v[129:130], v[159:160], v[131:132], v[129:130]
	buffer_load_dword v138, off, s[0:3], 0 offset:428
	buffer_load_dword v149, off, s[0:3], 0 offset:448
	;; [unrolled: 1-line block ×8, first 2 shown]
	s_waitcnt vmcnt(24) lgkmcnt(0)
	v_fma_f64 v[129:130], v[151:152], v[133:134], v[129:130]
	s_waitcnt vmcnt(19)
	v_fma_f64 v[139:140], v[139:140], v[135:136], v[129:130]
	ds_read_b128 v[129:132], v128 offset:880
	ds_read_b128 v[133:136], v128 offset:896
	s_waitcnt vmcnt(18) lgkmcnt(1)
	v_fma_f64 v[129:130], v[153:154], v[129:130], v[139:140]
	s_waitcnt vmcnt(17)
	v_fma_f64 v[129:130], v[147:148], v[131:132], v[129:130]
	buffer_load_dword v140, off, s[0:3], 0 offset:460
	buffer_load_dword v147, off, s[0:3], 0 offset:480
	;; [unrolled: 1-line block ×7, first 2 shown]
	s_waitcnt vmcnt(23) lgkmcnt(0)
	v_fma_f64 v[129:130], v[145:146], v[133:134], v[129:130]
	s_waitcnt vmcnt(18)
	v_fma_f64 v[141:142], v[141:142], v[135:136], v[129:130]
	ds_read_b128 v[129:132], v128 offset:912
	ds_read_b128 v[133:136], v128 offset:928
	buffer_load_dword v148, off, s[0:3], 0 offset:484
	s_waitcnt vmcnt(18) lgkmcnt(1)
	v_fma_f64 v[129:130], v[157:158], v[129:130], v[141:142]
	buffer_load_dword v142, off, s[0:3], 0 offset:492
	buffer_load_dword v145, off, s[0:3], 0 offset:496
	buffer_load_dword v141, off, s[0:3], 0 offset:488
	buffer_load_dword v146, off, s[0:3], 0 offset:500
	s_waitcnt vmcnt(21)
	v_fma_f64 v[129:130], v[155:156], v[131:132], v[129:130]
	s_waitcnt vmcnt(20) lgkmcnt(0)
	v_fma_f64 v[129:130], v[143:144], v[133:134], v[129:130]
	buffer_load_dword v143, off, s[0:3], 0 offset:40
	buffer_load_dword v144, off, s[0:3], 0 offset:44
	s_waitcnt vmcnt(17)
	v_fma_f64 v[137:138], v[137:138], v[135:136], v[129:130]
	ds_read_b128 v[129:132], v128 offset:944
	ds_read_b128 v[133:136], v128 offset:960
	s_waitcnt vmcnt(16) lgkmcnt(1)
	v_fma_f64 v[129:130], v[161:162], v[129:130], v[137:138]
	s_waitcnt vmcnt(15)
	v_fma_f64 v[129:130], v[159:160], v[131:132], v[129:130]
	s_waitcnt vmcnt(14) lgkmcnt(0)
	v_fma_f64 v[129:130], v[149:150], v[133:134], v[129:130]
	s_waitcnt vmcnt(9)
	v_fma_f64 v[137:138], v[139:140], v[135:136], v[129:130]
	ds_read_b128 v[129:132], v128 offset:976
	ds_read_b128 v[133:136], v128 offset:992
	s_waitcnt vmcnt(8) lgkmcnt(1)
	v_fma_f64 v[129:130], v[153:154], v[129:130], v[137:138]
	s_waitcnt vmcnt(7)
	v_fma_f64 v[129:130], v[151:152], v[131:132], v[129:130]
	ds_read_b64 v[131:132], v128 offset:1008
	s_waitcnt vmcnt(6) lgkmcnt(1)
	v_fma_f64 v[129:130], v[147:148], v[133:134], v[129:130]
	s_waitcnt vmcnt(3)
	v_fma_f64 v[129:130], v[141:142], v[135:136], v[129:130]
	s_waitcnt vmcnt(2) lgkmcnt(0)
	v_fma_f64 v[129:130], v[145:146], v[131:132], v[129:130]
	s_waitcnt vmcnt(0)
	v_add_f64 v[129:130], v[143:144], -v[129:130]
	buffer_store_dword v130, off, s[0:3], 0 offset:44
	buffer_store_dword v129, off, s[0:3], 0 offset:40
	s_and_saveexec_b64 s[4:5], vcc
	s_cbranch_execz .LBB126_377
; %bb.376:
	buffer_load_dword v129, off, s[0:3], 0 offset:32
	buffer_load_dword v130, off, s[0:3], 0 offset:36
	s_waitcnt vmcnt(0)
	ds_write_b64 v127, v[129:130]
	buffer_store_dword v128, off, s[0:3], 0 offset:32
	buffer_store_dword v128, off, s[0:3], 0 offset:36
.LBB126_377:
	s_or_b64 exec, exec, s[4:5]
	s_waitcnt lgkmcnt(0)
	; wave barrier
	buffer_load_dword v137, off, s[0:3], 0 offset:40
	buffer_load_dword v138, off, s[0:3], 0 offset:44
	buffer_load_dword v139, off, s[0:3], 0 offset:48
	buffer_load_dword v140, off, s[0:3], 0 offset:52
	buffer_load_dword v141, off, s[0:3], 0 offset:56
	buffer_load_dword v142, off, s[0:3], 0 offset:60
	buffer_load_dword v143, off, s[0:3], 0 offset:64
	buffer_load_dword v144, off, s[0:3], 0 offset:68
	buffer_load_dword v145, off, s[0:3], 0 offset:72
	buffer_load_dword v146, off, s[0:3], 0 offset:76
	buffer_load_dword v147, off, s[0:3], 0 offset:80
	buffer_load_dword v148, off, s[0:3], 0 offset:84
	buffer_load_dword v149, off, s[0:3], 0 offset:88
	buffer_load_dword v150, off, s[0:3], 0 offset:92
	buffer_load_dword v152, off, s[0:3], 0 offset:100
	buffer_load_dword v153, off, s[0:3], 0 offset:120
	buffer_load_dword v155, off, s[0:3], 0 offset:112
	buffer_load_dword v157, off, s[0:3], 0 offset:104
	buffer_load_dword v151, off, s[0:3], 0 offset:96
	buffer_load_dword v158, off, s[0:3], 0 offset:108
	buffer_load_dword v156, off, s[0:3], 0 offset:116
	ds_read2_b64 v[129:132], v128 offset0:69 offset1:70
	ds_read2_b64 v[133:136], v128 offset0:71 offset1:72
	buffer_load_dword v154, off, s[0:3], 0 offset:124
	v_cmp_lt_u32_e32 vcc, 3, v0
	s_waitcnt vmcnt(20) lgkmcnt(1)
	v_fma_f64 v[129:130], v[137:138], v[129:130], 0
	s_waitcnt vmcnt(18)
	v_fma_f64 v[129:130], v[139:140], v[131:132], v[129:130]
	buffer_load_dword v138, off, s[0:3], 0 offset:132
	buffer_load_dword v139, off, s[0:3], 0 offset:152
	;; [unrolled: 1-line block ×7, first 2 shown]
	s_waitcnt vmcnt(23) lgkmcnt(0)
	v_fma_f64 v[129:130], v[141:142], v[133:134], v[129:130]
	s_waitcnt vmcnt(21)
	v_fma_f64 v[140:141], v[143:144], v[135:136], v[129:130]
	ds_read2_b64 v[129:132], v128 offset0:73 offset1:74
	ds_read2_b64 v[133:136], v128 offset0:75 offset1:76
	s_waitcnt vmcnt(19) lgkmcnt(1)
	v_fma_f64 v[129:130], v[145:146], v[129:130], v[140:141]
	buffer_load_dword v140, off, s[0:3], 0 offset:156
	s_waitcnt vmcnt(18)
	v_fma_f64 v[129:130], v[147:148], v[131:132], v[129:130]
	buffer_load_dword v142, off, s[0:3], 0 offset:164
	buffer_load_dword v143, off, s[0:3], 0 offset:184
	;; [unrolled: 1-line block ×8, first 2 shown]
	s_waitcnt vmcnt(24) lgkmcnt(0)
	v_fma_f64 v[129:130], v[149:150], v[133:134], v[129:130]
	s_waitcnt vmcnt(19)
	v_fma_f64 v[149:150], v[151:152], v[135:136], v[129:130]
	ds_read2_b64 v[129:132], v128 offset0:77 offset1:78
	ds_read2_b64 v[133:136], v128 offset0:79 offset1:80
	s_waitcnt vmcnt(18) lgkmcnt(1)
	v_fma_f64 v[129:130], v[157:158], v[129:130], v[149:150]
	s_waitcnt vmcnt(17)
	v_fma_f64 v[129:130], v[155:156], v[131:132], v[129:130]
	buffer_load_dword v150, off, s[0:3], 0 offset:196
	buffer_load_dword v151, off, s[0:3], 0 offset:216
	;; [unrolled: 1-line block ×7, first 2 shown]
	s_waitcnt vmcnt(23) lgkmcnt(0)
	v_fma_f64 v[129:130], v[153:154], v[133:134], v[129:130]
	s_waitcnt vmcnt(18)
	v_fma_f64 v[137:138], v[137:138], v[135:136], v[129:130]
	ds_read2_b64 v[129:132], v128 offset0:81 offset1:82
	ds_read2_b64 v[133:136], v128 offset0:83 offset1:84
	buffer_load_dword v152, off, s[0:3], 0 offset:220
	s_waitcnt vmcnt(18) lgkmcnt(1)
	v_fma_f64 v[129:130], v[161:162], v[129:130], v[137:138]
	s_waitcnt vmcnt(17)
	v_fma_f64 v[129:130], v[159:160], v[131:132], v[129:130]
	buffer_load_dword v138, off, s[0:3], 0 offset:228
	buffer_load_dword v153, off, s[0:3], 0 offset:248
	;; [unrolled: 1-line block ×8, first 2 shown]
	s_waitcnt vmcnt(24) lgkmcnt(0)
	v_fma_f64 v[129:130], v[139:140], v[133:134], v[129:130]
	s_waitcnt vmcnt(19)
	v_fma_f64 v[139:140], v[141:142], v[135:136], v[129:130]
	ds_read2_b64 v[129:132], v128 offset0:85 offset1:86
	ds_read2_b64 v[133:136], v128 offset0:87 offset1:88
	s_waitcnt vmcnt(18) lgkmcnt(1)
	v_fma_f64 v[129:130], v[147:148], v[129:130], v[139:140]
	s_waitcnt vmcnt(17)
	v_fma_f64 v[129:130], v[145:146], v[131:132], v[129:130]
	buffer_load_dword v140, off, s[0:3], 0 offset:260
	buffer_load_dword v141, off, s[0:3], 0 offset:280
	;; [unrolled: 1-line block ×7, first 2 shown]
	s_waitcnt vmcnt(23) lgkmcnt(0)
	v_fma_f64 v[129:130], v[143:144], v[133:134], v[129:130]
	s_waitcnt vmcnt(18)
	v_fma_f64 v[142:143], v[149:150], v[135:136], v[129:130]
	ds_read2_b64 v[129:132], v128 offset0:89 offset1:90
	ds_read2_b64 v[133:136], v128 offset0:91 offset1:92
	s_waitcnt vmcnt(17) lgkmcnt(1)
	v_fma_f64 v[129:130], v[157:158], v[129:130], v[142:143]
	buffer_load_dword v142, off, s[0:3], 0 offset:284
	s_waitcnt vmcnt(17)
	v_fma_f64 v[129:130], v[155:156], v[131:132], v[129:130]
	buffer_load_dword v144, off, s[0:3], 0 offset:292
	buffer_load_dword v149, off, s[0:3], 0 offset:312
	;; [unrolled: 1-line block ×7, first 2 shown]
	s_waitcnt vmcnt(23) lgkmcnt(0)
	v_fma_f64 v[129:130], v[151:152], v[133:134], v[129:130]
	s_waitcnt vmcnt(18)
	v_fma_f64 v[137:138], v[137:138], v[135:136], v[129:130]
	ds_read2_b64 v[129:132], v128 offset0:93 offset1:94
	ds_read2_b64 v[133:136], v128 offset0:95 offset1:96
	buffer_load_dword v150, off, s[0:3], 0 offset:316
	s_waitcnt vmcnt(18) lgkmcnt(1)
	v_fma_f64 v[129:130], v[161:162], v[129:130], v[137:138]
	s_waitcnt vmcnt(17)
	v_fma_f64 v[129:130], v[159:160], v[131:132], v[129:130]
	buffer_load_dword v138, off, s[0:3], 0 offset:324
	buffer_load_dword v151, off, s[0:3], 0 offset:344
	;; [unrolled: 1-line block ×8, first 2 shown]
	s_waitcnt vmcnt(24) lgkmcnt(0)
	v_fma_f64 v[129:130], v[153:154], v[133:134], v[129:130]
	s_waitcnt vmcnt(19)
	v_fma_f64 v[139:140], v[139:140], v[135:136], v[129:130]
	ds_read2_b64 v[129:132], v128 offset0:97 offset1:98
	ds_read2_b64 v[133:136], v128 offset0:99 offset1:100
	s_waitcnt vmcnt(18) lgkmcnt(1)
	v_fma_f64 v[129:130], v[147:148], v[129:130], v[139:140]
	s_waitcnt vmcnt(17)
	v_fma_f64 v[129:130], v[145:146], v[131:132], v[129:130]
	buffer_load_dword v140, off, s[0:3], 0 offset:356
	buffer_load_dword v145, off, s[0:3], 0 offset:376
	;; [unrolled: 1-line block ×8, first 2 shown]
	s_waitcnt vmcnt(24) lgkmcnt(0)
	v_fma_f64 v[129:130], v[141:142], v[133:134], v[129:130]
	s_waitcnt vmcnt(19)
	v_fma_f64 v[141:142], v[143:144], v[135:136], v[129:130]
	ds_read2_b64 v[129:132], v128 offset0:101 offset1:102
	ds_read2_b64 v[133:136], v128 offset0:103 offset1:104
	s_waitcnt vmcnt(18) lgkmcnt(1)
	v_fma_f64 v[129:130], v[157:158], v[129:130], v[141:142]
	s_waitcnt vmcnt(17)
	v_fma_f64 v[129:130], v[155:156], v[131:132], v[129:130]
	buffer_load_dword v142, off, s[0:3], 0 offset:388
	buffer_load_dword v143, off, s[0:3], 0 offset:408
	buffer_load_dword v155, off, s[0:3], 0 offset:400
	buffer_load_dword v157, off, s[0:3], 0 offset:392
	buffer_load_dword v141, off, s[0:3], 0 offset:384
	buffer_load_dword v158, off, s[0:3], 0 offset:396
	buffer_load_dword v156, off, s[0:3], 0 offset:404
	s_waitcnt vmcnt(23) lgkmcnt(0)
	v_fma_f64 v[129:130], v[149:150], v[133:134], v[129:130]
	s_waitcnt vmcnt(18)
	v_fma_f64 v[137:138], v[137:138], v[135:136], v[129:130]
	ds_read2_b64 v[129:132], v128 offset0:105 offset1:106
	ds_read2_b64 v[133:136], v128 offset0:107 offset1:108
	buffer_load_dword v144, off, s[0:3], 0 offset:412
	s_waitcnt vmcnt(18) lgkmcnt(1)
	v_fma_f64 v[129:130], v[161:162], v[129:130], v[137:138]
	s_waitcnt vmcnt(17)
	v_fma_f64 v[129:130], v[159:160], v[131:132], v[129:130]
	buffer_load_dword v138, off, s[0:3], 0 offset:420
	buffer_load_dword v149, off, s[0:3], 0 offset:440
	;; [unrolled: 1-line block ×8, first 2 shown]
	s_waitcnt vmcnt(24) lgkmcnt(0)
	v_fma_f64 v[129:130], v[151:152], v[133:134], v[129:130]
	s_waitcnt vmcnt(19)
	v_fma_f64 v[139:140], v[139:140], v[135:136], v[129:130]
	ds_read2_b64 v[129:132], v128 offset0:109 offset1:110
	ds_read2_b64 v[133:136], v128 offset0:111 offset1:112
	s_waitcnt vmcnt(18) lgkmcnt(1)
	v_fma_f64 v[129:130], v[153:154], v[129:130], v[139:140]
	s_waitcnt vmcnt(17)
	v_fma_f64 v[129:130], v[147:148], v[131:132], v[129:130]
	buffer_load_dword v140, off, s[0:3], 0 offset:452
	buffer_load_dword v147, off, s[0:3], 0 offset:472
	;; [unrolled: 1-line block ×8, first 2 shown]
	s_waitcnt vmcnt(24) lgkmcnt(0)
	v_fma_f64 v[129:130], v[145:146], v[133:134], v[129:130]
	s_waitcnt vmcnt(19)
	v_fma_f64 v[141:142], v[141:142], v[135:136], v[129:130]
	ds_read2_b64 v[129:132], v128 offset0:113 offset1:114
	ds_read2_b64 v[133:136], v128 offset0:115 offset1:116
	s_waitcnt vmcnt(18) lgkmcnt(1)
	v_fma_f64 v[129:130], v[157:158], v[129:130], v[141:142]
	s_waitcnt vmcnt(17)
	v_fma_f64 v[129:130], v[155:156], v[131:132], v[129:130]
	buffer_load_dword v142, off, s[0:3], 0 offset:484
	buffer_load_dword v145, off, s[0:3], 0 offset:496
	;; [unrolled: 1-line block ×6, first 2 shown]
	s_waitcnt vmcnt(22) lgkmcnt(0)
	v_fma_f64 v[129:130], v[143:144], v[133:134], v[129:130]
	s_waitcnt vmcnt(17)
	v_fma_f64 v[137:138], v[137:138], v[135:136], v[129:130]
	ds_read2_b64 v[129:132], v128 offset0:117 offset1:118
	buffer_load_dword v143, off, s[0:3], 0 offset:32
	buffer_load_dword v144, off, s[0:3], 0 offset:36
	ds_read2_b64 v[133:136], v128 offset0:119 offset1:120
	s_waitcnt vmcnt(18) lgkmcnt(1)
	v_fma_f64 v[129:130], v[161:162], v[129:130], v[137:138]
	s_waitcnt vmcnt(17)
	v_fma_f64 v[129:130], v[159:160], v[131:132], v[129:130]
	s_waitcnt vmcnt(16) lgkmcnt(0)
	v_fma_f64 v[129:130], v[149:150], v[133:134], v[129:130]
	s_waitcnt vmcnt(11)
	v_fma_f64 v[137:138], v[139:140], v[135:136], v[129:130]
	ds_read2_b64 v[129:132], v128 offset0:121 offset1:122
	ds_read2_b64 v[133:136], v128 offset0:123 offset1:124
	s_waitcnt vmcnt(10) lgkmcnt(1)
	v_fma_f64 v[129:130], v[153:154], v[129:130], v[137:138]
	s_waitcnt vmcnt(9)
	v_fma_f64 v[129:130], v[151:152], v[131:132], v[129:130]
	s_waitcnt vmcnt(8) lgkmcnt(0)
	v_fma_f64 v[129:130], v[147:148], v[133:134], v[129:130]
	s_waitcnt vmcnt(4)
	v_fma_f64 v[132:133], v[141:142], v[135:136], v[129:130]
	ds_read2_b64 v[128:131], v128 offset0:125 offset1:126
	s_waitcnt vmcnt(3) lgkmcnt(0)
	v_fma_f64 v[128:129], v[155:156], v[128:129], v[132:133]
	s_waitcnt vmcnt(2)
	v_fma_f64 v[128:129], v[145:146], v[130:131], v[128:129]
	s_waitcnt vmcnt(0)
	v_add_f64 v[128:129], v[143:144], -v[128:129]
	buffer_store_dword v129, off, s[0:3], 0 offset:36
	buffer_store_dword v128, off, s[0:3], 0 offset:32
	s_and_saveexec_b64 s[4:5], vcc
	s_cbranch_execz .LBB126_379
; %bb.378:
	buffer_load_dword v128, off, s[0:3], 0 offset:24
	buffer_load_dword v129, off, s[0:3], 0 offset:28
	v_mov_b32_e32 v130, 0
	buffer_store_dword v130, off, s[0:3], 0 offset:24
	buffer_store_dword v130, off, s[0:3], 0 offset:28
	s_waitcnt vmcnt(2)
	ds_write_b64 v127, v[128:129]
.LBB126_379:
	s_or_b64 exec, exec, s[4:5]
	s_waitcnt lgkmcnt(0)
	; wave barrier
	buffer_load_dword v137, off, s[0:3], 0 offset:32
	buffer_load_dword v138, off, s[0:3], 0 offset:36
	;; [unrolled: 1-line block ×21, first 2 shown]
	v_mov_b32_e32 v128, 0
	ds_read_b128 v[129:132], v128 offset:544
	ds_read_b128 v[133:136], v128 offset:560
	buffer_load_dword v154, off, s[0:3], 0 offset:116
	v_cmp_lt_u32_e32 vcc, 2, v0
	s_waitcnt vmcnt(20) lgkmcnt(1)
	v_fma_f64 v[129:130], v[137:138], v[129:130], 0
	s_waitcnt vmcnt(18)
	v_fma_f64 v[129:130], v[139:140], v[131:132], v[129:130]
	buffer_load_dword v138, off, s[0:3], 0 offset:124
	buffer_load_dword v139, off, s[0:3], 0 offset:144
	;; [unrolled: 1-line block ×7, first 2 shown]
	s_waitcnt vmcnt(23) lgkmcnt(0)
	v_fma_f64 v[129:130], v[141:142], v[133:134], v[129:130]
	s_waitcnt vmcnt(21)
	v_fma_f64 v[140:141], v[143:144], v[135:136], v[129:130]
	ds_read_b128 v[129:132], v128 offset:576
	ds_read_b128 v[133:136], v128 offset:592
	s_waitcnt vmcnt(19) lgkmcnt(1)
	v_fma_f64 v[129:130], v[145:146], v[129:130], v[140:141]
	buffer_load_dword v140, off, s[0:3], 0 offset:148
	s_waitcnt vmcnt(18)
	v_fma_f64 v[129:130], v[147:148], v[131:132], v[129:130]
	buffer_load_dword v142, off, s[0:3], 0 offset:156
	buffer_load_dword v143, off, s[0:3], 0 offset:176
	;; [unrolled: 1-line block ×8, first 2 shown]
	s_waitcnt vmcnt(24) lgkmcnt(0)
	v_fma_f64 v[129:130], v[149:150], v[133:134], v[129:130]
	s_waitcnt vmcnt(19)
	v_fma_f64 v[149:150], v[151:152], v[135:136], v[129:130]
	ds_read_b128 v[129:132], v128 offset:608
	ds_read_b128 v[133:136], v128 offset:624
	s_waitcnt vmcnt(18) lgkmcnt(1)
	v_fma_f64 v[129:130], v[157:158], v[129:130], v[149:150]
	s_waitcnt vmcnt(17)
	v_fma_f64 v[129:130], v[155:156], v[131:132], v[129:130]
	buffer_load_dword v150, off, s[0:3], 0 offset:188
	buffer_load_dword v151, off, s[0:3], 0 offset:208
	;; [unrolled: 1-line block ×7, first 2 shown]
	s_waitcnt vmcnt(23) lgkmcnt(0)
	v_fma_f64 v[129:130], v[153:154], v[133:134], v[129:130]
	s_waitcnt vmcnt(18)
	v_fma_f64 v[137:138], v[137:138], v[135:136], v[129:130]
	ds_read_b128 v[129:132], v128 offset:640
	ds_read_b128 v[133:136], v128 offset:656
	buffer_load_dword v152, off, s[0:3], 0 offset:212
	s_waitcnt vmcnt(18) lgkmcnt(1)
	v_fma_f64 v[129:130], v[161:162], v[129:130], v[137:138]
	s_waitcnt vmcnt(17)
	v_fma_f64 v[129:130], v[159:160], v[131:132], v[129:130]
	buffer_load_dword v138, off, s[0:3], 0 offset:220
	buffer_load_dword v153, off, s[0:3], 0 offset:240
	;; [unrolled: 1-line block ×8, first 2 shown]
	s_waitcnt vmcnt(24) lgkmcnt(0)
	v_fma_f64 v[129:130], v[139:140], v[133:134], v[129:130]
	s_waitcnt vmcnt(19)
	v_fma_f64 v[139:140], v[141:142], v[135:136], v[129:130]
	ds_read_b128 v[129:132], v128 offset:672
	ds_read_b128 v[133:136], v128 offset:688
	s_waitcnt vmcnt(18) lgkmcnt(1)
	v_fma_f64 v[129:130], v[147:148], v[129:130], v[139:140]
	s_waitcnt vmcnt(17)
	v_fma_f64 v[129:130], v[145:146], v[131:132], v[129:130]
	buffer_load_dword v140, off, s[0:3], 0 offset:252
	buffer_load_dword v141, off, s[0:3], 0 offset:272
	;; [unrolled: 1-line block ×7, first 2 shown]
	s_waitcnt vmcnt(23) lgkmcnt(0)
	v_fma_f64 v[129:130], v[143:144], v[133:134], v[129:130]
	s_waitcnt vmcnt(18)
	v_fma_f64 v[142:143], v[149:150], v[135:136], v[129:130]
	ds_read_b128 v[129:132], v128 offset:704
	ds_read_b128 v[133:136], v128 offset:720
	s_waitcnt vmcnt(17) lgkmcnt(1)
	v_fma_f64 v[129:130], v[157:158], v[129:130], v[142:143]
	buffer_load_dword v142, off, s[0:3], 0 offset:276
	s_waitcnt vmcnt(17)
	v_fma_f64 v[129:130], v[155:156], v[131:132], v[129:130]
	buffer_load_dword v144, off, s[0:3], 0 offset:284
	buffer_load_dword v149, off, s[0:3], 0 offset:304
	;; [unrolled: 1-line block ×7, first 2 shown]
	s_waitcnt vmcnt(23) lgkmcnt(0)
	v_fma_f64 v[129:130], v[151:152], v[133:134], v[129:130]
	s_waitcnt vmcnt(18)
	v_fma_f64 v[137:138], v[137:138], v[135:136], v[129:130]
	ds_read_b128 v[129:132], v128 offset:736
	ds_read_b128 v[133:136], v128 offset:752
	buffer_load_dword v150, off, s[0:3], 0 offset:308
	s_waitcnt vmcnt(18) lgkmcnt(1)
	v_fma_f64 v[129:130], v[161:162], v[129:130], v[137:138]
	s_waitcnt vmcnt(17)
	v_fma_f64 v[129:130], v[159:160], v[131:132], v[129:130]
	buffer_load_dword v138, off, s[0:3], 0 offset:316
	buffer_load_dword v151, off, s[0:3], 0 offset:336
	;; [unrolled: 1-line block ×8, first 2 shown]
	s_waitcnt vmcnt(24) lgkmcnt(0)
	v_fma_f64 v[129:130], v[153:154], v[133:134], v[129:130]
	s_waitcnt vmcnt(19)
	v_fma_f64 v[139:140], v[139:140], v[135:136], v[129:130]
	ds_read_b128 v[129:132], v128 offset:768
	ds_read_b128 v[133:136], v128 offset:784
	s_waitcnt vmcnt(18) lgkmcnt(1)
	v_fma_f64 v[129:130], v[147:148], v[129:130], v[139:140]
	s_waitcnt vmcnt(17)
	v_fma_f64 v[129:130], v[145:146], v[131:132], v[129:130]
	buffer_load_dword v140, off, s[0:3], 0 offset:348
	buffer_load_dword v145, off, s[0:3], 0 offset:368
	;; [unrolled: 1-line block ×8, first 2 shown]
	s_waitcnt vmcnt(24) lgkmcnt(0)
	v_fma_f64 v[129:130], v[141:142], v[133:134], v[129:130]
	s_waitcnt vmcnt(19)
	v_fma_f64 v[141:142], v[143:144], v[135:136], v[129:130]
	ds_read_b128 v[129:132], v128 offset:800
	ds_read_b128 v[133:136], v128 offset:816
	s_waitcnt vmcnt(18) lgkmcnt(1)
	v_fma_f64 v[129:130], v[157:158], v[129:130], v[141:142]
	s_waitcnt vmcnt(17)
	v_fma_f64 v[129:130], v[155:156], v[131:132], v[129:130]
	buffer_load_dword v142, off, s[0:3], 0 offset:380
	buffer_load_dword v143, off, s[0:3], 0 offset:400
	buffer_load_dword v155, off, s[0:3], 0 offset:392
	buffer_load_dword v157, off, s[0:3], 0 offset:384
	buffer_load_dword v141, off, s[0:3], 0 offset:376
	buffer_load_dword v158, off, s[0:3], 0 offset:388
	buffer_load_dword v156, off, s[0:3], 0 offset:396
	s_waitcnt vmcnt(23) lgkmcnt(0)
	v_fma_f64 v[129:130], v[149:150], v[133:134], v[129:130]
	s_waitcnt vmcnt(18)
	v_fma_f64 v[137:138], v[137:138], v[135:136], v[129:130]
	ds_read_b128 v[129:132], v128 offset:832
	ds_read_b128 v[133:136], v128 offset:848
	buffer_load_dword v144, off, s[0:3], 0 offset:404
	s_waitcnt vmcnt(18) lgkmcnt(1)
	v_fma_f64 v[129:130], v[161:162], v[129:130], v[137:138]
	s_waitcnt vmcnt(17)
	v_fma_f64 v[129:130], v[159:160], v[131:132], v[129:130]
	buffer_load_dword v138, off, s[0:3], 0 offset:412
	buffer_load_dword v149, off, s[0:3], 0 offset:432
	buffer_load_dword v159, off, s[0:3], 0 offset:424
	buffer_load_dword v161, off, s[0:3], 0 offset:416
	buffer_load_dword v137, off, s[0:3], 0 offset:408
	buffer_load_dword v162, off, s[0:3], 0 offset:420
	buffer_load_dword v160, off, s[0:3], 0 offset:428
	buffer_load_dword v150, off, s[0:3], 0 offset:436
	s_waitcnt vmcnt(24) lgkmcnt(0)
	v_fma_f64 v[129:130], v[151:152], v[133:134], v[129:130]
	s_waitcnt vmcnt(19)
	v_fma_f64 v[139:140], v[139:140], v[135:136], v[129:130]
	ds_read_b128 v[129:132], v128 offset:864
	ds_read_b128 v[133:136], v128 offset:880
	s_waitcnt vmcnt(18) lgkmcnt(1)
	v_fma_f64 v[129:130], v[153:154], v[129:130], v[139:140]
	s_waitcnt vmcnt(17)
	v_fma_f64 v[129:130], v[147:148], v[131:132], v[129:130]
	buffer_load_dword v140, off, s[0:3], 0 offset:444
	buffer_load_dword v147, off, s[0:3], 0 offset:464
	buffer_load_dword v151, off, s[0:3], 0 offset:456
	buffer_load_dword v153, off, s[0:3], 0 offset:448
	buffer_load_dword v139, off, s[0:3], 0 offset:440
	buffer_load_dword v154, off, s[0:3], 0 offset:452
	buffer_load_dword v152, off, s[0:3], 0 offset:460
	buffer_load_dword v148, off, s[0:3], 0 offset:468
	s_waitcnt vmcnt(24) lgkmcnt(0)
	v_fma_f64 v[129:130], v[145:146], v[133:134], v[129:130]
	s_waitcnt vmcnt(19)
	v_fma_f64 v[141:142], v[141:142], v[135:136], v[129:130]
	ds_read_b128 v[129:132], v128 offset:896
	ds_read_b128 v[133:136], v128 offset:912
	;; [unrolled: 18-line block ×3, first 2 shown]
	s_waitcnt vmcnt(18) lgkmcnt(1)
	v_fma_f64 v[129:130], v[161:162], v[129:130], v[137:138]
	buffer_load_dword v137, off, s[0:3], 0 offset:24
	buffer_load_dword v138, off, s[0:3], 0 offset:28
	s_waitcnt vmcnt(19)
	v_fma_f64 v[129:130], v[159:160], v[131:132], v[129:130]
	s_waitcnt vmcnt(18) lgkmcnt(0)
	v_fma_f64 v[129:130], v[149:150], v[133:134], v[129:130]
	s_waitcnt vmcnt(13)
	v_fma_f64 v[139:140], v[139:140], v[135:136], v[129:130]
	ds_read_b128 v[129:132], v128 offset:960
	ds_read_b128 v[133:136], v128 offset:976
	s_waitcnt vmcnt(12) lgkmcnt(1)
	v_fma_f64 v[129:130], v[153:154], v[129:130], v[139:140]
	s_waitcnt vmcnt(11)
	v_fma_f64 v[129:130], v[151:152], v[131:132], v[129:130]
	s_waitcnt vmcnt(10) lgkmcnt(0)
	v_fma_f64 v[129:130], v[147:148], v[133:134], v[129:130]
	s_waitcnt vmcnt(5)
	v_fma_f64 v[133:134], v[141:142], v[135:136], v[129:130]
	ds_read_b128 v[129:132], v128 offset:992
	ds_read_b64 v[135:136], v128 offset:1008
	s_waitcnt vmcnt(4) lgkmcnt(1)
	v_fma_f64 v[129:130], v[157:158], v[129:130], v[133:134]
	s_waitcnt vmcnt(3)
	v_fma_f64 v[129:130], v[155:156], v[131:132], v[129:130]
	s_waitcnt vmcnt(2) lgkmcnt(0)
	v_fma_f64 v[129:130], v[145:146], v[135:136], v[129:130]
	s_waitcnt vmcnt(0)
	v_add_f64 v[129:130], v[137:138], -v[129:130]
	buffer_store_dword v130, off, s[0:3], 0 offset:28
	buffer_store_dword v129, off, s[0:3], 0 offset:24
	s_and_saveexec_b64 s[4:5], vcc
	s_cbranch_execz .LBB126_381
; %bb.380:
	buffer_load_dword v129, off, s[0:3], 0 offset:16
	buffer_load_dword v130, off, s[0:3], 0 offset:20
	s_waitcnt vmcnt(0)
	ds_write_b64 v127, v[129:130]
	buffer_store_dword v128, off, s[0:3], 0 offset:16
	buffer_store_dword v128, off, s[0:3], 0 offset:20
.LBB126_381:
	s_or_b64 exec, exec, s[4:5]
	s_waitcnt lgkmcnt(0)
	; wave barrier
	buffer_load_dword v137, off, s[0:3], 0 offset:24
	buffer_load_dword v138, off, s[0:3], 0 offset:28
	;; [unrolled: 1-line block ×21, first 2 shown]
	ds_read2_b64 v[129:132], v128 offset0:67 offset1:68
	ds_read2_b64 v[133:136], v128 offset0:69 offset1:70
	buffer_load_dword v154, off, s[0:3], 0 offset:108
	v_cmp_lt_u32_e32 vcc, 1, v0
	s_waitcnt vmcnt(20) lgkmcnt(1)
	v_fma_f64 v[129:130], v[137:138], v[129:130], 0
	s_waitcnt vmcnt(18)
	v_fma_f64 v[129:130], v[139:140], v[131:132], v[129:130]
	buffer_load_dword v138, off, s[0:3], 0 offset:116
	buffer_load_dword v139, off, s[0:3], 0 offset:136
	;; [unrolled: 1-line block ×7, first 2 shown]
	s_waitcnt vmcnt(23) lgkmcnt(0)
	v_fma_f64 v[129:130], v[141:142], v[133:134], v[129:130]
	s_waitcnt vmcnt(21)
	v_fma_f64 v[140:141], v[143:144], v[135:136], v[129:130]
	ds_read2_b64 v[129:132], v128 offset0:71 offset1:72
	ds_read2_b64 v[133:136], v128 offset0:73 offset1:74
	s_waitcnt vmcnt(19) lgkmcnt(1)
	v_fma_f64 v[129:130], v[145:146], v[129:130], v[140:141]
	buffer_load_dword v140, off, s[0:3], 0 offset:140
	s_waitcnt vmcnt(18)
	v_fma_f64 v[129:130], v[147:148], v[131:132], v[129:130]
	buffer_load_dword v142, off, s[0:3], 0 offset:148
	buffer_load_dword v143, off, s[0:3], 0 offset:168
	;; [unrolled: 1-line block ×8, first 2 shown]
	s_waitcnt vmcnt(24) lgkmcnt(0)
	v_fma_f64 v[129:130], v[149:150], v[133:134], v[129:130]
	s_waitcnt vmcnt(19)
	v_fma_f64 v[149:150], v[151:152], v[135:136], v[129:130]
	ds_read2_b64 v[129:132], v128 offset0:75 offset1:76
	ds_read2_b64 v[133:136], v128 offset0:77 offset1:78
	s_waitcnt vmcnt(18) lgkmcnt(1)
	v_fma_f64 v[129:130], v[157:158], v[129:130], v[149:150]
	s_waitcnt vmcnt(17)
	v_fma_f64 v[129:130], v[155:156], v[131:132], v[129:130]
	buffer_load_dword v150, off, s[0:3], 0 offset:180
	buffer_load_dword v151, off, s[0:3], 0 offset:200
	;; [unrolled: 1-line block ×7, first 2 shown]
	s_waitcnt vmcnt(23) lgkmcnt(0)
	v_fma_f64 v[129:130], v[153:154], v[133:134], v[129:130]
	s_waitcnt vmcnt(18)
	v_fma_f64 v[137:138], v[137:138], v[135:136], v[129:130]
	ds_read2_b64 v[129:132], v128 offset0:79 offset1:80
	ds_read2_b64 v[133:136], v128 offset0:81 offset1:82
	buffer_load_dword v152, off, s[0:3], 0 offset:204
	s_waitcnt vmcnt(18) lgkmcnt(1)
	v_fma_f64 v[129:130], v[161:162], v[129:130], v[137:138]
	s_waitcnt vmcnt(17)
	v_fma_f64 v[129:130], v[159:160], v[131:132], v[129:130]
	buffer_load_dword v138, off, s[0:3], 0 offset:212
	buffer_load_dword v153, off, s[0:3], 0 offset:232
	;; [unrolled: 1-line block ×8, first 2 shown]
	s_waitcnt vmcnt(24) lgkmcnt(0)
	v_fma_f64 v[129:130], v[139:140], v[133:134], v[129:130]
	s_waitcnt vmcnt(19)
	v_fma_f64 v[139:140], v[141:142], v[135:136], v[129:130]
	ds_read2_b64 v[129:132], v128 offset0:83 offset1:84
	ds_read2_b64 v[133:136], v128 offset0:85 offset1:86
	s_waitcnt vmcnt(18) lgkmcnt(1)
	v_fma_f64 v[129:130], v[147:148], v[129:130], v[139:140]
	s_waitcnt vmcnt(17)
	v_fma_f64 v[129:130], v[145:146], v[131:132], v[129:130]
	buffer_load_dword v140, off, s[0:3], 0 offset:244
	buffer_load_dword v141, off, s[0:3], 0 offset:264
	;; [unrolled: 1-line block ×7, first 2 shown]
	s_waitcnt vmcnt(23) lgkmcnt(0)
	v_fma_f64 v[129:130], v[143:144], v[133:134], v[129:130]
	s_waitcnt vmcnt(18)
	v_fma_f64 v[142:143], v[149:150], v[135:136], v[129:130]
	ds_read2_b64 v[129:132], v128 offset0:87 offset1:88
	ds_read2_b64 v[133:136], v128 offset0:89 offset1:90
	s_waitcnt vmcnt(17) lgkmcnt(1)
	v_fma_f64 v[129:130], v[157:158], v[129:130], v[142:143]
	buffer_load_dword v142, off, s[0:3], 0 offset:268
	s_waitcnt vmcnt(17)
	v_fma_f64 v[129:130], v[155:156], v[131:132], v[129:130]
	buffer_load_dword v144, off, s[0:3], 0 offset:276
	buffer_load_dword v149, off, s[0:3], 0 offset:296
	;; [unrolled: 1-line block ×7, first 2 shown]
	s_waitcnt vmcnt(23) lgkmcnt(0)
	v_fma_f64 v[129:130], v[151:152], v[133:134], v[129:130]
	s_waitcnt vmcnt(18)
	v_fma_f64 v[137:138], v[137:138], v[135:136], v[129:130]
	ds_read2_b64 v[129:132], v128 offset0:91 offset1:92
	ds_read2_b64 v[133:136], v128 offset0:93 offset1:94
	buffer_load_dword v150, off, s[0:3], 0 offset:300
	s_waitcnt vmcnt(18) lgkmcnt(1)
	v_fma_f64 v[129:130], v[161:162], v[129:130], v[137:138]
	s_waitcnt vmcnt(17)
	v_fma_f64 v[129:130], v[159:160], v[131:132], v[129:130]
	buffer_load_dword v138, off, s[0:3], 0 offset:308
	buffer_load_dword v151, off, s[0:3], 0 offset:328
	buffer_load_dword v159, off, s[0:3], 0 offset:320
	buffer_load_dword v161, off, s[0:3], 0 offset:312
	buffer_load_dword v137, off, s[0:3], 0 offset:304
	buffer_load_dword v162, off, s[0:3], 0 offset:316
	buffer_load_dword v160, off, s[0:3], 0 offset:324
	buffer_load_dword v152, off, s[0:3], 0 offset:332
	s_waitcnt vmcnt(24) lgkmcnt(0)
	v_fma_f64 v[129:130], v[153:154], v[133:134], v[129:130]
	s_waitcnt vmcnt(19)
	v_fma_f64 v[139:140], v[139:140], v[135:136], v[129:130]
	ds_read2_b64 v[129:132], v128 offset0:95 offset1:96
	ds_read2_b64 v[133:136], v128 offset0:97 offset1:98
	s_waitcnt vmcnt(18) lgkmcnt(1)
	v_fma_f64 v[129:130], v[147:148], v[129:130], v[139:140]
	s_waitcnt vmcnt(17)
	v_fma_f64 v[129:130], v[145:146], v[131:132], v[129:130]
	buffer_load_dword v140, off, s[0:3], 0 offset:340
	buffer_load_dword v145, off, s[0:3], 0 offset:360
	;; [unrolled: 1-line block ×8, first 2 shown]
	s_waitcnt vmcnt(24) lgkmcnt(0)
	v_fma_f64 v[129:130], v[141:142], v[133:134], v[129:130]
	s_waitcnt vmcnt(19)
	v_fma_f64 v[141:142], v[143:144], v[135:136], v[129:130]
	ds_read2_b64 v[129:132], v128 offset0:99 offset1:100
	ds_read2_b64 v[133:136], v128 offset0:101 offset1:102
	s_waitcnt vmcnt(18) lgkmcnt(1)
	v_fma_f64 v[129:130], v[157:158], v[129:130], v[141:142]
	s_waitcnt vmcnt(17)
	v_fma_f64 v[129:130], v[155:156], v[131:132], v[129:130]
	buffer_load_dword v142, off, s[0:3], 0 offset:372
	buffer_load_dword v143, off, s[0:3], 0 offset:392
	;; [unrolled: 1-line block ×7, first 2 shown]
	s_waitcnt vmcnt(23) lgkmcnt(0)
	v_fma_f64 v[129:130], v[149:150], v[133:134], v[129:130]
	s_waitcnt vmcnt(18)
	v_fma_f64 v[137:138], v[137:138], v[135:136], v[129:130]
	ds_read2_b64 v[129:132], v128 offset0:103 offset1:104
	ds_read2_b64 v[133:136], v128 offset0:105 offset1:106
	buffer_load_dword v144, off, s[0:3], 0 offset:396
	s_waitcnt vmcnt(18) lgkmcnt(1)
	v_fma_f64 v[129:130], v[161:162], v[129:130], v[137:138]
	s_waitcnt vmcnt(17)
	v_fma_f64 v[129:130], v[159:160], v[131:132], v[129:130]
	buffer_load_dword v138, off, s[0:3], 0 offset:404
	buffer_load_dword v149, off, s[0:3], 0 offset:424
	buffer_load_dword v159, off, s[0:3], 0 offset:416
	buffer_load_dword v161, off, s[0:3], 0 offset:408
	buffer_load_dword v137, off, s[0:3], 0 offset:400
	buffer_load_dword v162, off, s[0:3], 0 offset:412
	buffer_load_dword v160, off, s[0:3], 0 offset:420
	buffer_load_dword v150, off, s[0:3], 0 offset:428
	s_waitcnt vmcnt(24) lgkmcnt(0)
	v_fma_f64 v[129:130], v[151:152], v[133:134], v[129:130]
	s_waitcnt vmcnt(19)
	v_fma_f64 v[139:140], v[139:140], v[135:136], v[129:130]
	ds_read2_b64 v[129:132], v128 offset0:107 offset1:108
	ds_read2_b64 v[133:136], v128 offset0:109 offset1:110
	s_waitcnt vmcnt(18) lgkmcnt(1)
	v_fma_f64 v[129:130], v[153:154], v[129:130], v[139:140]
	s_waitcnt vmcnt(17)
	v_fma_f64 v[129:130], v[147:148], v[131:132], v[129:130]
	buffer_load_dword v140, off, s[0:3], 0 offset:436
	buffer_load_dword v147, off, s[0:3], 0 offset:456
	buffer_load_dword v151, off, s[0:3], 0 offset:448
	buffer_load_dword v153, off, s[0:3], 0 offset:440
	buffer_load_dword v139, off, s[0:3], 0 offset:432
	buffer_load_dword v154, off, s[0:3], 0 offset:444
	buffer_load_dword v152, off, s[0:3], 0 offset:452
	buffer_load_dword v148, off, s[0:3], 0 offset:460
	s_waitcnt vmcnt(24) lgkmcnt(0)
	v_fma_f64 v[129:130], v[145:146], v[133:134], v[129:130]
	s_waitcnt vmcnt(19)
	v_fma_f64 v[141:142], v[141:142], v[135:136], v[129:130]
	ds_read2_b64 v[129:132], v128 offset0:111 offset1:112
	ds_read2_b64 v[133:136], v128 offset0:113 offset1:114
	;; [unrolled: 18-line block ×3, first 2 shown]
	s_waitcnt vmcnt(18) lgkmcnt(1)
	v_fma_f64 v[129:130], v[161:162], v[129:130], v[137:138]
	buffer_load_dword v138, off, s[0:3], 0 offset:500
	buffer_load_dword v137, off, s[0:3], 0 offset:496
	;; [unrolled: 1-line block ×4, first 2 shown]
	s_waitcnt vmcnt(21)
	v_fma_f64 v[129:130], v[159:160], v[131:132], v[129:130]
	s_waitcnt vmcnt(20) lgkmcnt(0)
	v_fma_f64 v[129:130], v[149:150], v[133:134], v[129:130]
	s_waitcnt vmcnt(15)
	v_fma_f64 v[139:140], v[139:140], v[135:136], v[129:130]
	ds_read2_b64 v[129:132], v128 offset0:119 offset1:120
	ds_read2_b64 v[133:136], v128 offset0:121 offset1:122
	s_waitcnt vmcnt(14) lgkmcnt(1)
	v_fma_f64 v[129:130], v[153:154], v[129:130], v[139:140]
	s_waitcnt vmcnt(13)
	v_fma_f64 v[129:130], v[151:152], v[131:132], v[129:130]
	s_waitcnt vmcnt(12) lgkmcnt(0)
	v_fma_f64 v[129:130], v[147:148], v[133:134], v[129:130]
	s_waitcnt vmcnt(7)
	v_fma_f64 v[139:140], v[141:142], v[135:136], v[129:130]
	ds_read2_b64 v[129:132], v128 offset0:123 offset1:124
	ds_read2_b64 v[133:136], v128 offset0:125 offset1:126
	s_waitcnt vmcnt(6) lgkmcnt(1)
	v_fma_f64 v[128:129], v[157:158], v[129:130], v[139:140]
	s_waitcnt vmcnt(5)
	v_fma_f64 v[128:129], v[155:156], v[131:132], v[128:129]
	s_waitcnt vmcnt(4) lgkmcnt(0)
	v_fma_f64 v[128:129], v[145:146], v[133:134], v[128:129]
	s_waitcnt vmcnt(2)
	v_fma_f64 v[128:129], v[137:138], v[135:136], v[128:129]
	s_waitcnt vmcnt(0)
	v_add_f64 v[128:129], v[143:144], -v[128:129]
	buffer_store_dword v129, off, s[0:3], 0 offset:20
	buffer_store_dword v128, off, s[0:3], 0 offset:16
	s_and_saveexec_b64 s[4:5], vcc
	s_cbranch_execz .LBB126_383
; %bb.382:
	buffer_load_dword v128, off, s[0:3], 0 offset:8
	buffer_load_dword v129, off, s[0:3], 0 offset:12
	v_mov_b32_e32 v130, 0
	buffer_store_dword v130, off, s[0:3], 0 offset:8
	buffer_store_dword v130, off, s[0:3], 0 offset:12
	s_waitcnt vmcnt(2)
	ds_write_b64 v127, v[128:129]
.LBB126_383:
	s_or_b64 exec, exec, s[4:5]
	s_waitcnt lgkmcnt(0)
	; wave barrier
	buffer_load_dword v138, off, s[0:3], 0 offset:16
	buffer_load_dword v139, off, s[0:3], 0 offset:20
	;; [unrolled: 1-line block ×21, first 2 shown]
	v_mov_b32_e32 v129, 0
	ds_read_b128 v[130:133], v129 offset:528
	ds_read_b128 v[134:137], v129 offset:544
	buffer_load_dword v155, off, s[0:3], 0 offset:100
	v_cmp_ne_u32_e32 vcc, 0, v0
	s_waitcnt vmcnt(20) lgkmcnt(1)
	v_fma_f64 v[130:131], v[138:139], v[130:131], 0
	s_waitcnt vmcnt(18)
	v_fma_f64 v[130:131], v[140:141], v[132:133], v[130:131]
	buffer_load_dword v139, off, s[0:3], 0 offset:108
	buffer_load_dword v140, off, s[0:3], 0 offset:128
	;; [unrolled: 1-line block ×7, first 2 shown]
	s_waitcnt vmcnt(23) lgkmcnt(0)
	v_fma_f64 v[130:131], v[142:143], v[134:135], v[130:131]
	s_waitcnt vmcnt(21)
	v_fma_f64 v[141:142], v[144:145], v[136:137], v[130:131]
	ds_read_b128 v[130:133], v129 offset:560
	ds_read_b128 v[134:137], v129 offset:576
	s_waitcnt vmcnt(19) lgkmcnt(1)
	v_fma_f64 v[130:131], v[146:147], v[130:131], v[141:142]
	buffer_load_dword v141, off, s[0:3], 0 offset:132
	s_waitcnt vmcnt(18)
	v_fma_f64 v[130:131], v[148:149], v[132:133], v[130:131]
	buffer_load_dword v143, off, s[0:3], 0 offset:140
	buffer_load_dword v144, off, s[0:3], 0 offset:160
	;; [unrolled: 1-line block ×8, first 2 shown]
	s_waitcnt vmcnt(24) lgkmcnt(0)
	v_fma_f64 v[130:131], v[150:151], v[134:135], v[130:131]
	s_waitcnt vmcnt(19)
	v_fma_f64 v[150:151], v[152:153], v[136:137], v[130:131]
	ds_read_b128 v[130:133], v129 offset:592
	ds_read_b128 v[134:137], v129 offset:608
	s_waitcnt vmcnt(18) lgkmcnt(1)
	v_fma_f64 v[130:131], v[158:159], v[130:131], v[150:151]
	s_waitcnt vmcnt(17)
	v_fma_f64 v[130:131], v[156:157], v[132:133], v[130:131]
	buffer_load_dword v151, off, s[0:3], 0 offset:172
	buffer_load_dword v152, off, s[0:3], 0 offset:192
	;; [unrolled: 1-line block ×7, first 2 shown]
	s_waitcnt vmcnt(23) lgkmcnt(0)
	v_fma_f64 v[130:131], v[154:155], v[134:135], v[130:131]
	s_waitcnt vmcnt(18)
	v_fma_f64 v[138:139], v[138:139], v[136:137], v[130:131]
	ds_read_b128 v[130:133], v129 offset:624
	ds_read_b128 v[134:137], v129 offset:640
	buffer_load_dword v153, off, s[0:3], 0 offset:196
	s_waitcnt vmcnt(18) lgkmcnt(1)
	v_fma_f64 v[130:131], v[162:163], v[130:131], v[138:139]
	s_waitcnt vmcnt(17)
	v_fma_f64 v[130:131], v[160:161], v[132:133], v[130:131]
	buffer_load_dword v139, off, s[0:3], 0 offset:204
	buffer_load_dword v154, off, s[0:3], 0 offset:224
	;; [unrolled: 1-line block ×7, first 2 shown]
	s_waitcnt vmcnt(23) lgkmcnt(0)
	v_fma_f64 v[130:131], v[140:141], v[134:135], v[130:131]
	s_waitcnt vmcnt(18)
	v_fma_f64 v[140:141], v[142:143], v[136:137], v[130:131]
	ds_read_b128 v[130:133], v129 offset:656
	ds_read_b128 v[134:137], v129 offset:672
	buffer_load_dword v155, off, s[0:3], 0 offset:228
	s_waitcnt vmcnt(18) lgkmcnt(1)
	v_fma_f64 v[130:131], v[148:149], v[130:131], v[140:141]
	s_waitcnt vmcnt(17)
	v_fma_f64 v[130:131], v[146:147], v[132:133], v[130:131]
	buffer_load_dword v141, off, s[0:3], 0 offset:236
	buffer_load_dword v142, off, s[0:3], 0 offset:256
	;; [unrolled: 1-line block ×7, first 2 shown]
	s_waitcnt vmcnt(23) lgkmcnt(0)
	v_fma_f64 v[130:131], v[144:145], v[134:135], v[130:131]
	s_waitcnt vmcnt(18)
	v_fma_f64 v[143:144], v[150:151], v[136:137], v[130:131]
	ds_read_b128 v[130:133], v129 offset:688
	ds_read_b128 v[134:137], v129 offset:704
	s_waitcnt vmcnt(17) lgkmcnt(1)
	v_fma_f64 v[130:131], v[158:159], v[130:131], v[143:144]
	buffer_load_dword v143, off, s[0:3], 0 offset:260
	s_waitcnt vmcnt(17)
	v_fma_f64 v[130:131], v[156:157], v[132:133], v[130:131]
	buffer_load_dword v145, off, s[0:3], 0 offset:268
	buffer_load_dword v150, off, s[0:3], 0 offset:288
	;; [unrolled: 1-line block ×7, first 2 shown]
	s_waitcnt vmcnt(23) lgkmcnt(0)
	v_fma_f64 v[130:131], v[152:153], v[134:135], v[130:131]
	s_waitcnt vmcnt(18)
	v_fma_f64 v[138:139], v[138:139], v[136:137], v[130:131]
	ds_read_b128 v[130:133], v129 offset:720
	ds_read_b128 v[134:137], v129 offset:736
	buffer_load_dword v151, off, s[0:3], 0 offset:292
	s_waitcnt vmcnt(18) lgkmcnt(1)
	v_fma_f64 v[130:131], v[162:163], v[130:131], v[138:139]
	s_waitcnt vmcnt(17)
	v_fma_f64 v[130:131], v[160:161], v[132:133], v[130:131]
	buffer_load_dword v139, off, s[0:3], 0 offset:300
	buffer_load_dword v152, off, s[0:3], 0 offset:320
	;; [unrolled: 1-line block ×7, first 2 shown]
	s_waitcnt vmcnt(23) lgkmcnt(0)
	v_fma_f64 v[130:131], v[154:155], v[134:135], v[130:131]
	s_waitcnt vmcnt(18)
	v_fma_f64 v[140:141], v[140:141], v[136:137], v[130:131]
	ds_read_b128 v[130:133], v129 offset:752
	ds_read_b128 v[134:137], v129 offset:768
	buffer_load_dword v153, off, s[0:3], 0 offset:324
	s_waitcnt vmcnt(18) lgkmcnt(1)
	v_fma_f64 v[130:131], v[148:149], v[130:131], v[140:141]
	s_waitcnt vmcnt(17)
	v_fma_f64 v[130:131], v[146:147], v[132:133], v[130:131]
	buffer_load_dword v141, off, s[0:3], 0 offset:332
	buffer_load_dword v146, off, s[0:3], 0 offset:352
	;; [unrolled: 1-line block ×8, first 2 shown]
	s_waitcnt vmcnt(24) lgkmcnt(0)
	v_fma_f64 v[130:131], v[142:143], v[134:135], v[130:131]
	s_waitcnt vmcnt(19)
	v_fma_f64 v[142:143], v[144:145], v[136:137], v[130:131]
	ds_read_b128 v[130:133], v129 offset:784
	ds_read_b128 v[134:137], v129 offset:800
	s_waitcnt vmcnt(18) lgkmcnt(1)
	v_fma_f64 v[130:131], v[158:159], v[130:131], v[142:143]
	s_waitcnt vmcnt(17)
	v_fma_f64 v[130:131], v[156:157], v[132:133], v[130:131]
	buffer_load_dword v143, off, s[0:3], 0 offset:364
	buffer_load_dword v144, off, s[0:3], 0 offset:384
	;; [unrolled: 1-line block ×7, first 2 shown]
	s_waitcnt vmcnt(23) lgkmcnt(0)
	v_fma_f64 v[130:131], v[150:151], v[134:135], v[130:131]
	s_waitcnt vmcnt(18)
	v_fma_f64 v[138:139], v[138:139], v[136:137], v[130:131]
	ds_read_b128 v[130:133], v129 offset:816
	ds_read_b128 v[134:137], v129 offset:832
	buffer_load_dword v145, off, s[0:3], 0 offset:388
	s_waitcnt vmcnt(18) lgkmcnt(1)
	v_fma_f64 v[130:131], v[162:163], v[130:131], v[138:139]
	s_waitcnt vmcnt(17)
	v_fma_f64 v[130:131], v[160:161], v[132:133], v[130:131]
	buffer_load_dword v139, off, s[0:3], 0 offset:396
	buffer_load_dword v150, off, s[0:3], 0 offset:416
	;; [unrolled: 1-line block ×7, first 2 shown]
	s_waitcnt vmcnt(23) lgkmcnt(0)
	v_fma_f64 v[130:131], v[152:153], v[134:135], v[130:131]
	s_waitcnt vmcnt(18)
	v_fma_f64 v[140:141], v[140:141], v[136:137], v[130:131]
	ds_read_b128 v[130:133], v129 offset:848
	ds_read_b128 v[134:137], v129 offset:864
	buffer_load_dword v151, off, s[0:3], 0 offset:420
	s_waitcnt vmcnt(18) lgkmcnt(1)
	v_fma_f64 v[130:131], v[154:155], v[130:131], v[140:141]
	s_waitcnt vmcnt(17)
	v_fma_f64 v[130:131], v[148:149], v[132:133], v[130:131]
	buffer_load_dword v141, off, s[0:3], 0 offset:428
	buffer_load_dword v148, off, s[0:3], 0 offset:448
	buffer_load_dword v152, off, s[0:3], 0 offset:440
	buffer_load_dword v154, off, s[0:3], 0 offset:432
	buffer_load_dword v140, off, s[0:3], 0 offset:424
	buffer_load_dword v155, off, s[0:3], 0 offset:436
	buffer_load_dword v153, off, s[0:3], 0 offset:444
	buffer_load_dword v149, off, s[0:3], 0 offset:452
	s_waitcnt vmcnt(24) lgkmcnt(0)
	v_fma_f64 v[130:131], v[146:147], v[134:135], v[130:131]
	s_waitcnt vmcnt(19)
	v_fma_f64 v[142:143], v[142:143], v[136:137], v[130:131]
	ds_read_b128 v[130:133], v129 offset:880
	ds_read_b128 v[134:137], v129 offset:896
	s_waitcnt vmcnt(18) lgkmcnt(1)
	v_fma_f64 v[130:131], v[158:159], v[130:131], v[142:143]
	s_waitcnt vmcnt(17)
	v_fma_f64 v[130:131], v[156:157], v[132:133], v[130:131]
	buffer_load_dword v143, off, s[0:3], 0 offset:460
	buffer_load_dword v146, off, s[0:3], 0 offset:480
	buffer_load_dword v156, off, s[0:3], 0 offset:472
	buffer_load_dword v158, off, s[0:3], 0 offset:464
	buffer_load_dword v142, off, s[0:3], 0 offset:456
	buffer_load_dword v159, off, s[0:3], 0 offset:468
	buffer_load_dword v157, off, s[0:3], 0 offset:476
	s_waitcnt vmcnt(23) lgkmcnt(0)
	v_fma_f64 v[130:131], v[144:145], v[134:135], v[130:131]
	s_waitcnt vmcnt(18)
	v_fma_f64 v[138:139], v[138:139], v[136:137], v[130:131]
	ds_read_b128 v[130:133], v129 offset:912
	ds_read_b128 v[134:137], v129 offset:928
	buffer_load_dword v147, off, s[0:3], 0 offset:484
	s_waitcnt vmcnt(18) lgkmcnt(1)
	v_fma_f64 v[130:131], v[162:163], v[130:131], v[138:139]
	buffer_load_dword v139, off, s[0:3], 0 offset:492
	buffer_load_dword v144, off, s[0:3], 0 offset:496
	;; [unrolled: 1-line block ×4, first 2 shown]
	s_waitcnt vmcnt(21)
	v_fma_f64 v[130:131], v[160:161], v[132:133], v[130:131]
	s_waitcnt vmcnt(20) lgkmcnt(0)
	v_fma_f64 v[130:131], v[150:151], v[134:135], v[130:131]
	buffer_load_dword v150, off, s[0:3], 0 offset:8
	buffer_load_dword v151, off, s[0:3], 0 offset:12
	s_waitcnt vmcnt(17)
	v_fma_f64 v[140:141], v[140:141], v[136:137], v[130:131]
	ds_read_b128 v[130:133], v129 offset:944
	ds_read_b128 v[134:137], v129 offset:960
	s_waitcnt vmcnt(16) lgkmcnt(1)
	v_fma_f64 v[130:131], v[154:155], v[130:131], v[140:141]
	s_waitcnt vmcnt(15)
	v_fma_f64 v[130:131], v[152:153], v[132:133], v[130:131]
	s_waitcnt vmcnt(14) lgkmcnt(0)
	v_fma_f64 v[130:131], v[148:149], v[134:135], v[130:131]
	s_waitcnt vmcnt(9)
	v_fma_f64 v[140:141], v[142:143], v[136:137], v[130:131]
	ds_read_b128 v[130:133], v129 offset:976
	ds_read_b128 v[134:137], v129 offset:992
	s_waitcnt vmcnt(8) lgkmcnt(1)
	v_fma_f64 v[130:131], v[158:159], v[130:131], v[140:141]
	s_waitcnt vmcnt(7)
	v_fma_f64 v[130:131], v[156:157], v[132:133], v[130:131]
	ds_read_b64 v[132:133], v129 offset:1008
	s_waitcnt vmcnt(6) lgkmcnt(1)
	v_fma_f64 v[130:131], v[146:147], v[134:135], v[130:131]
	s_waitcnt vmcnt(3)
	v_fma_f64 v[130:131], v[138:139], v[136:137], v[130:131]
	s_waitcnt vmcnt(2) lgkmcnt(0)
	v_fma_f64 v[130:131], v[144:145], v[132:133], v[130:131]
	s_waitcnt vmcnt(0)
	v_add_f64 v[130:131], v[150:151], -v[130:131]
	buffer_store_dword v131, off, s[0:3], 0 offset:12
	buffer_store_dword v130, off, s[0:3], 0 offset:8
	s_and_saveexec_b64 s[4:5], vcc
	s_cbranch_execz .LBB126_385
; %bb.384:
	buffer_load_dword v130, off, s[0:3], 0
	buffer_load_dword v131, off, s[0:3], 0 offset:4
	s_waitcnt vmcnt(0)
	ds_write_b64 v127, v[130:131]
	buffer_store_dword v129, off, s[0:3], 0
	buffer_store_dword v129, off, s[0:3], 0 offset:4
.LBB126_385:
	s_or_b64 exec, exec, s[4:5]
	s_waitcnt lgkmcnt(0)
	; wave barrier
	buffer_load_dword v127, off, s[0:3], 0 offset:8
	buffer_load_dword v128, off, s[0:3], 0 offset:12
	;; [unrolled: 1-line block ×22, first 2 shown]
	ds_read2_b64 v[130:133], v129 offset0:65 offset1:66
	ds_read2_b64 v[134:137], v129 offset0:67 offset1:68
	s_and_b64 vcc, exec, s[14:15]
	s_waitcnt vmcnt(20) lgkmcnt(1)
	v_fma_f64 v[127:128], v[127:128], v[130:131], 0
	s_waitcnt vmcnt(18)
	v_fma_f64 v[127:128], v[138:139], v[132:133], v[127:128]
	buffer_load_dword v139, off, s[0:3], 0 offset:100
	buffer_load_dword v158, off, s[0:3], 0 offset:120
	buffer_load_dword v160, off, s[0:3], 0 offset:112
	buffer_load_dword v162, off, s[0:3], 0 offset:104
	buffer_load_dword v138, off, s[0:3], 0 offset:96
	buffer_load_dword v163, off, s[0:3], 0 offset:108
	buffer_load_dword v161, off, s[0:3], 0 offset:116
	s_waitcnt vmcnt(23) lgkmcnt(0)
	v_fma_f64 v[127:128], v[140:141], v[134:135], v[127:128]
	s_waitcnt vmcnt(21)
	v_fma_f64 v[127:128], v[142:143], v[136:137], v[127:128]
	ds_read2_b64 v[130:133], v129 offset0:69 offset1:70
	ds_read2_b64 v[134:137], v129 offset0:71 offset1:72
	buffer_load_dword v159, off, s[0:3], 0 offset:124
	s_waitcnt vmcnt(20) lgkmcnt(1)
	v_fma_f64 v[127:128], v[144:145], v[130:131], v[127:128]
	s_waitcnt vmcnt(18)
	v_fma_f64 v[127:128], v[146:147], v[132:133], v[127:128]
	buffer_load_dword v141, off, s[0:3], 0 offset:132
	buffer_load_dword v142, off, s[0:3], 0 offset:152
	buffer_load_dword v144, off, s[0:3], 0 offset:144
	buffer_load_dword v146, off, s[0:3], 0 offset:136
	buffer_load_dword v140, off, s[0:3], 0 offset:128
	buffer_load_dword v147, off, s[0:3], 0 offset:140
	buffer_load_dword v145, off, s[0:3], 0 offset:148
	buffer_load_dword v143, off, s[0:3], 0 offset:156
	ds_read2_b64 v[130:133], v129 offset0:73 offset1:74
	s_waitcnt vmcnt(24) lgkmcnt(1)
	v_fma_f64 v[127:128], v[148:149], v[134:135], v[127:128]
	s_waitcnt vmcnt(19)
	v_fma_f64 v[127:128], v[150:151], v[136:137], v[127:128]
	ds_read2_b64 v[134:137], v129 offset0:75 offset1:76
	s_waitcnt vmcnt(18) lgkmcnt(1)
	v_fma_f64 v[127:128], v[156:157], v[130:131], v[127:128]
	s_waitcnt vmcnt(17)
	v_fma_f64 v[127:128], v[154:155], v[132:133], v[127:128]
	buffer_load_dword v149, off, s[0:3], 0 offset:164
	buffer_load_dword v150, off, s[0:3], 0 offset:184
	buffer_load_dword v154, off, s[0:3], 0 offset:176
	buffer_load_dword v156, off, s[0:3], 0 offset:168
	buffer_load_dword v148, off, s[0:3], 0 offset:160
	buffer_load_dword v157, off, s[0:3], 0 offset:172
	buffer_load_dword v155, off, s[0:3], 0 offset:180
	buffer_load_dword v151, off, s[0:3], 0 offset:188
	ds_read2_b64 v[130:133], v129 offset0:77 offset1:78
	s_waitcnt vmcnt(24) lgkmcnt(1)
	v_fma_f64 v[127:128], v[152:153], v[134:135], v[127:128]
	s_waitcnt vmcnt(19)
	v_fma_f64 v[127:128], v[138:139], v[136:137], v[127:128]
	ds_read2_b64 v[134:137], v129 offset0:79 offset1:80
	s_waitcnt vmcnt(18) lgkmcnt(1)
	v_fma_f64 v[127:128], v[162:163], v[130:131], v[127:128]
	s_waitcnt vmcnt(17)
	v_fma_f64 v[127:128], v[160:161], v[132:133], v[127:128]
	buffer_load_dword v139, off, s[0:3], 0 offset:196
	buffer_load_dword v152, off, s[0:3], 0 offset:216
	buffer_load_dword v160, off, s[0:3], 0 offset:208
	buffer_load_dword v162, off, s[0:3], 0 offset:200
	buffer_load_dword v138, off, s[0:3], 0 offset:192
	buffer_load_dword v163, off, s[0:3], 0 offset:204
	buffer_load_dword v161, off, s[0:3], 0 offset:212
	s_waitcnt vmcnt(23) lgkmcnt(0)
	v_fma_f64 v[127:128], v[158:159], v[134:135], v[127:128]
	s_waitcnt vmcnt(18)
	v_fma_f64 v[127:128], v[140:141], v[136:137], v[127:128]
	ds_read2_b64 v[130:133], v129 offset0:81 offset1:82
	ds_read2_b64 v[134:137], v129 offset0:83 offset1:84
	buffer_load_dword v153, off, s[0:3], 0 offset:220
	s_waitcnt vmcnt(18) lgkmcnt(1)
	v_fma_f64 v[127:128], v[146:147], v[130:131], v[127:128]
	s_waitcnt vmcnt(17)
	v_fma_f64 v[127:128], v[144:145], v[132:133], v[127:128]
	buffer_load_dword v141, off, s[0:3], 0 offset:228
	buffer_load_dword v144, off, s[0:3], 0 offset:248
	buffer_load_dword v146, off, s[0:3], 0 offset:240
	buffer_load_dword v158, off, s[0:3], 0 offset:232
	buffer_load_dword v140, off, s[0:3], 0 offset:224
	buffer_load_dword v159, off, s[0:3], 0 offset:236
	buffer_load_dword v147, off, s[0:3], 0 offset:244
	buffer_load_dword v145, off, s[0:3], 0 offset:252
	ds_read2_b64 v[130:133], v129 offset0:85 offset1:86
	s_waitcnt vmcnt(24) lgkmcnt(1)
	v_fma_f64 v[127:128], v[142:143], v[134:135], v[127:128]
	s_waitcnt vmcnt(19)
	v_fma_f64 v[127:128], v[148:149], v[136:137], v[127:128]
	ds_read2_b64 v[134:137], v129 offset0:87 offset1:88
	s_waitcnt vmcnt(18) lgkmcnt(1)
	v_fma_f64 v[127:128], v[156:157], v[130:131], v[127:128]
	s_waitcnt vmcnt(17)
	v_fma_f64 v[127:128], v[154:155], v[132:133], v[127:128]
	buffer_load_dword v143, off, s[0:3], 0 offset:260
	buffer_load_dword v148, off, s[0:3], 0 offset:280
	buffer_load_dword v154, off, s[0:3], 0 offset:272
	buffer_load_dword v156, off, s[0:3], 0 offset:264
	buffer_load_dword v142, off, s[0:3], 0 offset:256
	buffer_load_dword v157, off, s[0:3], 0 offset:268
	buffer_load_dword v155, off, s[0:3], 0 offset:276
	buffer_load_dword v149, off, s[0:3], 0 offset:284
	ds_read2_b64 v[130:133], v129 offset0:89 offset1:90
	s_waitcnt vmcnt(24) lgkmcnt(1)
	v_fma_f64 v[127:128], v[150:151], v[134:135], v[127:128]
	s_waitcnt vmcnt(19)
	v_fma_f64 v[127:128], v[138:139], v[136:137], v[127:128]
	ds_read2_b64 v[134:137], v129 offset0:91 offset1:92
	s_waitcnt vmcnt(18) lgkmcnt(1)
	v_fma_f64 v[127:128], v[162:163], v[130:131], v[127:128]
	s_waitcnt vmcnt(17)
	v_fma_f64 v[127:128], v[160:161], v[132:133], v[127:128]
	buffer_load_dword v139, off, s[0:3], 0 offset:292
	buffer_load_dword v150, off, s[0:3], 0 offset:312
	buffer_load_dword v160, off, s[0:3], 0 offset:304
	buffer_load_dword v162, off, s[0:3], 0 offset:296
	buffer_load_dword v138, off, s[0:3], 0 offset:288
	buffer_load_dword v163, off, s[0:3], 0 offset:300
	buffer_load_dword v161, off, s[0:3], 0 offset:308
	s_waitcnt vmcnt(23) lgkmcnt(0)
	v_fma_f64 v[127:128], v[152:153], v[134:135], v[127:128]
	s_waitcnt vmcnt(18)
	v_fma_f64 v[127:128], v[140:141], v[136:137], v[127:128]
	ds_read2_b64 v[130:133], v129 offset0:93 offset1:94
	ds_read2_b64 v[134:137], v129 offset0:95 offset1:96
	buffer_load_dword v151, off, s[0:3], 0 offset:316
	s_waitcnt vmcnt(18) lgkmcnt(1)
	v_fma_f64 v[127:128], v[158:159], v[130:131], v[127:128]
	s_waitcnt vmcnt(17)
	v_fma_f64 v[127:128], v[146:147], v[132:133], v[127:128]
	buffer_load_dword v141, off, s[0:3], 0 offset:324
	buffer_load_dword v146, off, s[0:3], 0 offset:344
	buffer_load_dword v152, off, s[0:3], 0 offset:336
	buffer_load_dword v158, off, s[0:3], 0 offset:328
	buffer_load_dword v140, off, s[0:3], 0 offset:320
	buffer_load_dword v159, off, s[0:3], 0 offset:332
	buffer_load_dword v153, off, s[0:3], 0 offset:340
	buffer_load_dword v147, off, s[0:3], 0 offset:348
	ds_read2_b64 v[130:133], v129 offset0:97 offset1:98
	s_waitcnt vmcnt(24) lgkmcnt(1)
	v_fma_f64 v[127:128], v[144:145], v[134:135], v[127:128]
	s_waitcnt vmcnt(19)
	v_fma_f64 v[127:128], v[142:143], v[136:137], v[127:128]
	ds_read2_b64 v[134:137], v129 offset0:99 offset1:100
	s_waitcnt vmcnt(18) lgkmcnt(1)
	v_fma_f64 v[127:128], v[156:157], v[130:131], v[127:128]
	s_waitcnt vmcnt(17)
	v_fma_f64 v[127:128], v[154:155], v[132:133], v[127:128]
	buffer_load_dword v143, off, s[0:3], 0 offset:356
	buffer_load_dword v144, off, s[0:3], 0 offset:376
	buffer_load_dword v154, off, s[0:3], 0 offset:368
	buffer_load_dword v156, off, s[0:3], 0 offset:360
	buffer_load_dword v142, off, s[0:3], 0 offset:352
	buffer_load_dword v157, off, s[0:3], 0 offset:364
	buffer_load_dword v155, off, s[0:3], 0 offset:372
	buffer_load_dword v145, off, s[0:3], 0 offset:380
	ds_read2_b64 v[130:133], v129 offset0:101 offset1:102
	s_waitcnt vmcnt(24) lgkmcnt(1)
	v_fma_f64 v[127:128], v[148:149], v[134:135], v[127:128]
	s_waitcnt vmcnt(19)
	v_fma_f64 v[127:128], v[138:139], v[136:137], v[127:128]
	ds_read2_b64 v[134:137], v129 offset0:103 offset1:104
	s_waitcnt vmcnt(18) lgkmcnt(1)
	v_fma_f64 v[127:128], v[162:163], v[130:131], v[127:128]
	s_waitcnt vmcnt(17)
	v_fma_f64 v[127:128], v[160:161], v[132:133], v[127:128]
	buffer_load_dword v139, off, s[0:3], 0 offset:388
	buffer_load_dword v148, off, s[0:3], 0 offset:408
	buffer_load_dword v160, off, s[0:3], 0 offset:400
	buffer_load_dword v162, off, s[0:3], 0 offset:392
	buffer_load_dword v138, off, s[0:3], 0 offset:384
	buffer_load_dword v163, off, s[0:3], 0 offset:396
	buffer_load_dword v161, off, s[0:3], 0 offset:404
	s_waitcnt vmcnt(23) lgkmcnt(0)
	v_fma_f64 v[127:128], v[150:151], v[134:135], v[127:128]
	s_waitcnt vmcnt(18)
	v_fma_f64 v[127:128], v[140:141], v[136:137], v[127:128]
	ds_read2_b64 v[130:133], v129 offset0:105 offset1:106
	ds_read2_b64 v[134:137], v129 offset0:107 offset1:108
	buffer_load_dword v149, off, s[0:3], 0 offset:412
	s_waitcnt vmcnt(18) lgkmcnt(1)
	v_fma_f64 v[127:128], v[158:159], v[130:131], v[127:128]
	s_waitcnt vmcnt(17)
	v_fma_f64 v[127:128], v[152:153], v[132:133], v[127:128]
	buffer_load_dword v141, off, s[0:3], 0 offset:420
	buffer_load_dword v150, off, s[0:3], 0 offset:440
	buffer_load_dword v152, off, s[0:3], 0 offset:432
	buffer_load_dword v158, off, s[0:3], 0 offset:424
	buffer_load_dword v140, off, s[0:3], 0 offset:416
	buffer_load_dword v159, off, s[0:3], 0 offset:428
	buffer_load_dword v153, off, s[0:3], 0 offset:436
	buffer_load_dword v151, off, s[0:3], 0 offset:444
	ds_read2_b64 v[130:133], v129 offset0:109 offset1:110
	s_waitcnt vmcnt(24) lgkmcnt(1)
	v_fma_f64 v[127:128], v[146:147], v[134:135], v[127:128]
	s_waitcnt vmcnt(19)
	v_fma_f64 v[127:128], v[142:143], v[136:137], v[127:128]
	ds_read2_b64 v[134:137], v129 offset0:111 offset1:112
	s_waitcnt vmcnt(18) lgkmcnt(1)
	v_fma_f64 v[127:128], v[156:157], v[130:131], v[127:128]
	s_waitcnt vmcnt(17)
	v_fma_f64 v[127:128], v[154:155], v[132:133], v[127:128]
	buffer_load_dword v143, off, s[0:3], 0 offset:452
	buffer_load_dword v146, off, s[0:3], 0 offset:472
	buffer_load_dword v154, off, s[0:3], 0 offset:464
	buffer_load_dword v156, off, s[0:3], 0 offset:456
	buffer_load_dword v142, off, s[0:3], 0 offset:448
	buffer_load_dword v157, off, s[0:3], 0 offset:460
	buffer_load_dword v155, off, s[0:3], 0 offset:468
	buffer_load_dword v147, off, s[0:3], 0 offset:476
	ds_read2_b64 v[130:133], v129 offset0:113 offset1:114
	s_waitcnt vmcnt(24) lgkmcnt(1)
	v_fma_f64 v[127:128], v[144:145], v[134:135], v[127:128]
	s_waitcnt vmcnt(19)
	v_fma_f64 v[127:128], v[138:139], v[136:137], v[127:128]
	ds_read2_b64 v[134:137], v129 offset0:115 offset1:116
	s_waitcnt vmcnt(18) lgkmcnt(1)
	v_fma_f64 v[127:128], v[162:163], v[130:131], v[127:128]
	s_waitcnt vmcnt(17)
	v_fma_f64 v[130:131], v[160:161], v[132:133], v[127:128]
	buffer_load_dword v139, off, s[0:3], 0 offset:484
	buffer_load_dword v144, off, s[0:3], 0 offset:496
	;; [unrolled: 1-line block ×6, first 2 shown]
	s_waitcnt vmcnt(22) lgkmcnt(0)
	v_fma_f64 v[130:131], v[148:149], v[134:135], v[130:131]
	s_waitcnt vmcnt(17)
	v_fma_f64 v[140:141], v[140:141], v[136:137], v[130:131]
	ds_read2_b64 v[130:133], v129 offset0:117 offset1:118
	buffer_load_dword v148, off, s[0:3], 0
	buffer_load_dword v149, off, s[0:3], 0 offset:4
	ds_read2_b64 v[134:137], v129 offset0:119 offset1:120
	s_waitcnt vmcnt(18) lgkmcnt(1)
	v_fma_f64 v[130:131], v[158:159], v[130:131], v[140:141]
	s_waitcnt vmcnt(17)
	v_fma_f64 v[130:131], v[152:153], v[132:133], v[130:131]
	s_waitcnt vmcnt(16) lgkmcnt(0)
	v_fma_f64 v[130:131], v[150:151], v[134:135], v[130:131]
	s_waitcnt vmcnt(11)
	v_fma_f64 v[140:141], v[142:143], v[136:137], v[130:131]
	ds_read2_b64 v[130:133], v129 offset0:121 offset1:122
	ds_read2_b64 v[134:137], v129 offset0:123 offset1:124
	s_waitcnt vmcnt(10) lgkmcnt(1)
	v_fma_f64 v[130:131], v[156:157], v[130:131], v[140:141]
	s_waitcnt vmcnt(9)
	v_fma_f64 v[130:131], v[154:155], v[132:133], v[130:131]
	s_waitcnt vmcnt(8) lgkmcnt(0)
	v_fma_f64 v[130:131], v[146:147], v[134:135], v[130:131]
	s_waitcnt vmcnt(4)
	v_fma_f64 v[133:134], v[138:139], v[136:137], v[130:131]
	ds_read2_b64 v[129:132], v129 offset0:125 offset1:126
	s_waitcnt vmcnt(3) lgkmcnt(0)
	v_fma_f64 v[129:130], v[127:128], v[129:130], v[133:134]
	s_waitcnt vmcnt(2)
	v_fma_f64 v[129:130], v[144:145], v[131:132], v[129:130]
	s_waitcnt vmcnt(0)
	v_add_f64 v[129:130], v[148:149], -v[129:130]
	buffer_store_dword v130, off, s[0:3], 0 offset:4
	buffer_store_dword v129, off, s[0:3], 0
	s_cbranch_vccz .LBB126_510
; %bb.386:
	v_mov_b32_e32 v0, 0
	global_load_dword v129, v0, s[12:13] offset:244
	s_waitcnt vmcnt(0)
	v_add_u32_e32 v129, -1, v129
	v_cmp_ne_u32_e32 vcc, 61, v129
	s_cbranch_vccz .LBB126_388
; %bb.387:
	v_lshlrev_b32_e32 v129, 3, v129
	buffer_load_dword v130, v129, s[0:3], 0 offen
	buffer_load_dword v131, v129, s[0:3], 0 offen offset:4
	s_waitcnt vmcnt(1)
	buffer_store_dword v130, off, s[0:3], 0 offset:488
	s_waitcnt vmcnt(1)
	buffer_store_dword v131, off, s[0:3], 0 offset:492
	buffer_store_dword v127, v129, s[0:3], 0 offen
	buffer_store_dword v128, v129, s[0:3], 0 offen offset:4
.LBB126_388:
	global_load_dword v0, v0, s[12:13] offset:240
	s_waitcnt vmcnt(0)
	v_add_u32_e32 v0, -1, v0
	v_cmp_eq_u32_e32 vcc, 60, v0
	s_cbranch_vccnz .LBB126_390
; %bb.389:
	v_lshlrev_b32_e32 v0, 3, v0
	buffer_load_dword v127, v0, s[0:3], 0 offen
	buffer_load_dword v128, v0, s[0:3], 0 offen offset:4
	buffer_load_dword v129, off, s[0:3], 0 offset:484
	buffer_load_dword v130, off, s[0:3], 0 offset:480
	s_waitcnt vmcnt(3)
	buffer_store_dword v127, off, s[0:3], 0 offset:480
	s_waitcnt vmcnt(3)
	buffer_store_dword v128, off, s[0:3], 0 offset:484
	s_waitcnt vmcnt(3)
	buffer_store_dword v129, v0, s[0:3], 0 offen offset:4
	s_waitcnt vmcnt(3)
	buffer_store_dword v130, v0, s[0:3], 0 offen
.LBB126_390:
	v_mov_b32_e32 v0, 0
	global_load_dword v127, v0, s[12:13] offset:236
	s_waitcnt vmcnt(0)
	v_add_u32_e32 v127, -1, v127
	v_cmp_eq_u32_e32 vcc, 59, v127
	s_cbranch_vccnz .LBB126_392
; %bb.391:
	v_lshlrev_b32_e32 v127, 3, v127
	buffer_load_dword v128, v127, s[0:3], 0 offen
	buffer_load_dword v129, v127, s[0:3], 0 offen offset:4
	buffer_load_dword v130, off, s[0:3], 0 offset:472
	buffer_load_dword v131, off, s[0:3], 0 offset:476
	s_waitcnt vmcnt(3)
	buffer_store_dword v128, off, s[0:3], 0 offset:472
	s_waitcnt vmcnt(3)
	buffer_store_dword v129, off, s[0:3], 0 offset:476
	s_waitcnt vmcnt(3)
	buffer_store_dword v130, v127, s[0:3], 0 offen
	s_waitcnt vmcnt(3)
	buffer_store_dword v131, v127, s[0:3], 0 offen offset:4
.LBB126_392:
	global_load_dword v0, v0, s[12:13] offset:232
	s_waitcnt vmcnt(0)
	v_add_u32_e32 v0, -1, v0
	v_cmp_eq_u32_e32 vcc, 58, v0
	s_cbranch_vccnz .LBB126_394
; %bb.393:
	v_lshlrev_b32_e32 v0, 3, v0
	buffer_load_dword v127, v0, s[0:3], 0 offen
	buffer_load_dword v128, v0, s[0:3], 0 offen offset:4
	buffer_load_dword v129, off, s[0:3], 0 offset:468
	buffer_load_dword v130, off, s[0:3], 0 offset:464
	s_waitcnt vmcnt(3)
	buffer_store_dword v127, off, s[0:3], 0 offset:464
	s_waitcnt vmcnt(3)
	buffer_store_dword v128, off, s[0:3], 0 offset:468
	s_waitcnt vmcnt(3)
	buffer_store_dword v129, v0, s[0:3], 0 offen offset:4
	s_waitcnt vmcnt(3)
	buffer_store_dword v130, v0, s[0:3], 0 offen
.LBB126_394:
	v_mov_b32_e32 v0, 0
	global_load_dword v127, v0, s[12:13] offset:228
	s_waitcnt vmcnt(0)
	v_add_u32_e32 v127, -1, v127
	v_cmp_eq_u32_e32 vcc, 57, v127
	s_cbranch_vccnz .LBB126_396
; %bb.395:
	v_lshlrev_b32_e32 v127, 3, v127
	buffer_load_dword v128, v127, s[0:3], 0 offen
	buffer_load_dword v129, v127, s[0:3], 0 offen offset:4
	buffer_load_dword v130, off, s[0:3], 0 offset:456
	buffer_load_dword v131, off, s[0:3], 0 offset:460
	s_waitcnt vmcnt(3)
	buffer_store_dword v128, off, s[0:3], 0 offset:456
	s_waitcnt vmcnt(3)
	buffer_store_dword v129, off, s[0:3], 0 offset:460
	s_waitcnt vmcnt(3)
	buffer_store_dword v130, v127, s[0:3], 0 offen
	s_waitcnt vmcnt(3)
	buffer_store_dword v131, v127, s[0:3], 0 offen offset:4
.LBB126_396:
	;; [unrolled: 41-line block ×30, first 2 shown]
	global_load_dword v0, v0, s[12:13]
	s_nop 0
	buffer_load_dword v129, off, s[0:3], 0
	buffer_load_dword v130, off, s[0:3], 0 offset:4
	s_waitcnt vmcnt(2)
	v_add_u32_e32 v0, -1, v0
	v_cmp_eq_u32_e32 vcc, 0, v0
	s_cbranch_vccnz .LBB126_510
; %bb.509:
	v_lshlrev_b32_e32 v0, 3, v0
	buffer_load_dword v127, v0, s[0:3], 0 offen offset:4
	buffer_load_dword v128, v0, s[0:3], 0 offen
	s_waitcnt vmcnt(1)
	buffer_store_dword v127, off, s[0:3], 0 offset:4
	s_waitcnt vmcnt(1)
	buffer_store_dword v128, off, s[0:3], 0
	buffer_store_dword v130, v0, s[0:3], 0 offen offset:4
	buffer_store_dword v129, v0, s[0:3], 0 offen
	buffer_load_dword v129, off, s[0:3], 0
	s_nop 0
	buffer_load_dword v130, off, s[0:3], 0 offset:4
.LBB126_510:
	s_waitcnt vmcnt(0)
	flat_store_dwordx2 v[1:2], v[129:130]
	buffer_load_dword v0, off, s[0:3], 0 offset:8
	s_nop 0
	buffer_load_dword v1, off, s[0:3], 0 offset:12
	s_waitcnt vmcnt(0)
	flat_store_dwordx2 v[3:4], v[0:1]
	buffer_load_dword v0, off, s[0:3], 0 offset:16
	s_nop 0
	buffer_load_dword v1, off, s[0:3], 0 offset:20
	;; [unrolled: 5-line block ×62, first 2 shown]
	s_waitcnt vmcnt(0)
	flat_store_dwordx2 v[125:126], v[0:1]
	s_endpgm
	.section	.rodata,"a",@progbits
	.p2align	6, 0x0
	.amdhsa_kernel _ZN9rocsolver6v33100L18getri_kernel_smallILi63EdPKPdEEvT1_iilPiilS6_bb
		.amdhsa_group_segment_fixed_size 1016
		.amdhsa_private_segment_fixed_size 512
		.amdhsa_kernarg_size 60
		.amdhsa_user_sgpr_count 6
		.amdhsa_user_sgpr_private_segment_buffer 1
		.amdhsa_user_sgpr_dispatch_ptr 0
		.amdhsa_user_sgpr_queue_ptr 0
		.amdhsa_user_sgpr_kernarg_segment_ptr 1
		.amdhsa_user_sgpr_dispatch_id 0
		.amdhsa_user_sgpr_flat_scratch_init 0
		.amdhsa_user_sgpr_private_segment_size 0
		.amdhsa_uses_dynamic_stack 0
		.amdhsa_system_sgpr_private_segment_wavefront_offset 1
		.amdhsa_system_sgpr_workgroup_id_x 1
		.amdhsa_system_sgpr_workgroup_id_y 0
		.amdhsa_system_sgpr_workgroup_id_z 0
		.amdhsa_system_sgpr_workgroup_info 0
		.amdhsa_system_vgpr_workitem_id 0
		.amdhsa_next_free_vgpr 164
		.amdhsa_next_free_sgpr 21
		.amdhsa_reserve_vcc 1
		.amdhsa_reserve_flat_scratch 0
		.amdhsa_float_round_mode_32 0
		.amdhsa_float_round_mode_16_64 0
		.amdhsa_float_denorm_mode_32 3
		.amdhsa_float_denorm_mode_16_64 3
		.amdhsa_dx10_clamp 1
		.amdhsa_ieee_mode 1
		.amdhsa_fp16_overflow 0
		.amdhsa_exception_fp_ieee_invalid_op 0
		.amdhsa_exception_fp_denorm_src 0
		.amdhsa_exception_fp_ieee_div_zero 0
		.amdhsa_exception_fp_ieee_overflow 0
		.amdhsa_exception_fp_ieee_underflow 0
		.amdhsa_exception_fp_ieee_inexact 0
		.amdhsa_exception_int_div_zero 0
	.end_amdhsa_kernel
	.section	.text._ZN9rocsolver6v33100L18getri_kernel_smallILi63EdPKPdEEvT1_iilPiilS6_bb,"axG",@progbits,_ZN9rocsolver6v33100L18getri_kernel_smallILi63EdPKPdEEvT1_iilPiilS6_bb,comdat
.Lfunc_end126:
	.size	_ZN9rocsolver6v33100L18getri_kernel_smallILi63EdPKPdEEvT1_iilPiilS6_bb, .Lfunc_end126-_ZN9rocsolver6v33100L18getri_kernel_smallILi63EdPKPdEEvT1_iilPiilS6_bb
                                        ; -- End function
	.set _ZN9rocsolver6v33100L18getri_kernel_smallILi63EdPKPdEEvT1_iilPiilS6_bb.num_vgpr, 164
	.set _ZN9rocsolver6v33100L18getri_kernel_smallILi63EdPKPdEEvT1_iilPiilS6_bb.num_agpr, 0
	.set _ZN9rocsolver6v33100L18getri_kernel_smallILi63EdPKPdEEvT1_iilPiilS6_bb.numbered_sgpr, 21
	.set _ZN9rocsolver6v33100L18getri_kernel_smallILi63EdPKPdEEvT1_iilPiilS6_bb.num_named_barrier, 0
	.set _ZN9rocsolver6v33100L18getri_kernel_smallILi63EdPKPdEEvT1_iilPiilS6_bb.private_seg_size, 512
	.set _ZN9rocsolver6v33100L18getri_kernel_smallILi63EdPKPdEEvT1_iilPiilS6_bb.uses_vcc, 1
	.set _ZN9rocsolver6v33100L18getri_kernel_smallILi63EdPKPdEEvT1_iilPiilS6_bb.uses_flat_scratch, 0
	.set _ZN9rocsolver6v33100L18getri_kernel_smallILi63EdPKPdEEvT1_iilPiilS6_bb.has_dyn_sized_stack, 0
	.set _ZN9rocsolver6v33100L18getri_kernel_smallILi63EdPKPdEEvT1_iilPiilS6_bb.has_recursion, 0
	.set _ZN9rocsolver6v33100L18getri_kernel_smallILi63EdPKPdEEvT1_iilPiilS6_bb.has_indirect_call, 0
	.section	.AMDGPU.csdata,"",@progbits
; Kernel info:
; codeLenInByte = 93888
; TotalNumSgprs: 25
; NumVgprs: 164
; ScratchSize: 512
; MemoryBound: 1
; FloatMode: 240
; IeeeMode: 1
; LDSByteSize: 1016 bytes/workgroup (compile time only)
; SGPRBlocks: 3
; VGPRBlocks: 40
; NumSGPRsForWavesPerEU: 25
; NumVGPRsForWavesPerEU: 164
; Occupancy: 1
; WaveLimiterHint : 1
; COMPUTE_PGM_RSRC2:SCRATCH_EN: 1
; COMPUTE_PGM_RSRC2:USER_SGPR: 6
; COMPUTE_PGM_RSRC2:TRAP_HANDLER: 0
; COMPUTE_PGM_RSRC2:TGID_X_EN: 1
; COMPUTE_PGM_RSRC2:TGID_Y_EN: 0
; COMPUTE_PGM_RSRC2:TGID_Z_EN: 0
; COMPUTE_PGM_RSRC2:TIDIG_COMP_CNT: 0
	.section	.text._ZN9rocsolver6v33100L18getri_kernel_smallILi64EdPKPdEEvT1_iilPiilS6_bb,"axG",@progbits,_ZN9rocsolver6v33100L18getri_kernel_smallILi64EdPKPdEEvT1_iilPiilS6_bb,comdat
	.globl	_ZN9rocsolver6v33100L18getri_kernel_smallILi64EdPKPdEEvT1_iilPiilS6_bb ; -- Begin function _ZN9rocsolver6v33100L18getri_kernel_smallILi64EdPKPdEEvT1_iilPiilS6_bb
	.p2align	8
	.type	_ZN9rocsolver6v33100L18getri_kernel_smallILi64EdPKPdEEvT1_iilPiilS6_bb,@function
_ZN9rocsolver6v33100L18getri_kernel_smallILi64EdPKPdEEvT1_iilPiilS6_bb: ; @_ZN9rocsolver6v33100L18getri_kernel_smallILi64EdPKPdEEvT1_iilPiilS6_bb
; %bb.0:
	s_add_u32 s0, s0, s7
	s_addc_u32 s1, s1, 0
	v_cmp_gt_u32_e32 vcc, 64, v0
	s_and_saveexec_b64 s[8:9], vcc
	s_cbranch_execz .LBB127_264
; %bb.1:
	s_load_dword s18, s[4:5], 0x38
	s_load_dwordx2 s[12:13], s[4:5], 0x0
	s_load_dwordx4 s[8:11], s[4:5], 0x28
	s_waitcnt lgkmcnt(0)
	s_bitcmp1_b32 s18, 8
	s_cselect_b64 s[14:15], -1, 0
	s_ashr_i32 s7, s6, 31
	s_lshl_b64 s[16:17], s[6:7], 3
	s_add_u32 s12, s12, s16
	s_addc_u32 s13, s13, s17
	s_load_dwordx2 s[16:17], s[12:13], 0x0
	s_bfe_u32 s12, s18, 0x10008
	s_cmp_eq_u32 s12, 0
                                        ; implicit-def: $sgpr12_sgpr13
	s_cbranch_scc1 .LBB127_3
; %bb.2:
	s_load_dword s12, s[4:5], 0x20
	s_load_dwordx2 s[18:19], s[4:5], 0x18
	s_mul_i32 s13, s8, s7
	s_mul_hi_u32 s20, s8, s6
	s_add_i32 s20, s20, s13
	s_mul_i32 s9, s9, s6
	s_add_i32 s9, s20, s9
	s_mul_i32 s8, s8, s6
	s_waitcnt lgkmcnt(0)
	s_ashr_i32 s13, s12, 31
	s_lshl_b64 s[8:9], s[8:9], 2
	s_add_u32 s18, s18, s8
	s_addc_u32 s19, s19, s9
	s_lshl_b64 s[8:9], s[12:13], 2
	s_add_u32 s12, s18, s8
	s_addc_u32 s13, s19, s9
.LBB127_3:
	s_load_dwordx2 s[8:9], s[4:5], 0x8
	v_lshlrev_b32_e32 v131, 3, v0
	s_load_dword s4, s[4:5], 0x38
	s_waitcnt lgkmcnt(0)
	s_ashr_i32 s19, s8, 31
	s_mov_b32 s18, s8
	s_lshl_b64 s[18:19], s[18:19], 3
	s_add_u32 s5, s16, s18
	s_addc_u32 s8, s17, s19
	v_mov_b32_e32 v2, s8
	v_add_co_u32_e32 v1, vcc, s5, v131
	v_addc_co_u32_e32 v2, vcc, 0, v2, vcc
	flat_load_dwordx2 v[5:6], v[1:2]
	s_mov_b32 s16, s9
	s_ashr_i32 s17, s9, 31
	s_lshl_b64 s[16:17], s[16:17], 3
	v_mov_b32_e32 v4, s17
	v_add_co_u32_e32 v3, vcc, s16, v1
	v_addc_co_u32_e32 v4, vcc, v2, v4, vcc
	s_add_i32 s16, s9, s9
	v_add_u32_e32 v9, s16, v0
	v_ashrrev_i32_e32 v10, 31, v9
	v_mov_b32_e32 v11, s8
	v_add_u32_e32 v12, s9, v9
	v_ashrrev_i32_e32 v13, 31, v12
	v_mov_b32_e32 v14, s8
	v_mov_b32_e32 v15, s8
	;; [unrolled: 1-line block ×60, first 2 shown]
	s_bitcmp0_b32 s4, 0
	s_waitcnt vmcnt(0) lgkmcnt(0)
	buffer_store_dword v6, off, s[0:3], 0 offset:4
	buffer_store_dword v5, off, s[0:3], 0
	flat_load_dwordx2 v[7:8], v[3:4]
	v_lshlrev_b64 v[5:6], 3, v[9:10]
	s_waitcnt vmcnt(0) lgkmcnt(0)
	buffer_store_dword v8, off, s[0:3], 0 offset:12
	buffer_store_dword v7, off, s[0:3], 0 offset:8
	v_add_co_u32_e32 v5, vcc, s5, v5
	v_addc_co_u32_e32 v6, vcc, v11, v6, vcc
	flat_load_dwordx2 v[10:11], v[5:6]
	v_lshlrev_b64 v[7:8], 3, v[12:13]
	s_waitcnt vmcnt(0) lgkmcnt(0)
	buffer_store_dword v11, off, s[0:3], 0 offset:20
	buffer_store_dword v10, off, s[0:3], 0 offset:16
	v_add_co_u32_e32 v7, vcc, s5, v7
	v_addc_co_u32_e32 v8, vcc, v14, v8, vcc
	flat_load_dwordx2 v[13:14], v[7:8]
	v_add_u32_e32 v11, s9, v12
	v_ashrrev_i32_e32 v12, 31, v11
	v_lshlrev_b64 v[9:10], 3, v[11:12]
	s_waitcnt vmcnt(0) lgkmcnt(0)
	buffer_store_dword v14, off, s[0:3], 0 offset:28
	buffer_store_dword v13, off, s[0:3], 0 offset:24
	v_add_co_u32_e32 v9, vcc, s5, v9
	v_addc_co_u32_e32 v10, vcc, v15, v10, vcc
	flat_load_dwordx2 v[13:14], v[9:10]
	v_add_u32_e32 v15, s9, v11
	v_ashrrev_i32_e32 v16, 31, v15
	v_lshlrev_b64 v[11:12], 3, v[15:16]
	v_add_u32_e32 v18, s9, v15
	v_add_co_u32_e32 v11, vcc, s5, v11
	v_addc_co_u32_e32 v12, vcc, v17, v12, vcc
	v_ashrrev_i32_e32 v19, 31, v18
	s_waitcnt vmcnt(0) lgkmcnt(0)
	buffer_store_dword v14, off, s[0:3], 0 offset:36
	buffer_store_dword v13, off, s[0:3], 0 offset:32
	flat_load_dwordx2 v[16:17], v[11:12]
	v_lshlrev_b64 v[13:14], 3, v[18:19]
	s_waitcnt vmcnt(0) lgkmcnt(0)
	buffer_store_dword v17, off, s[0:3], 0 offset:44
	buffer_store_dword v16, off, s[0:3], 0 offset:40
	v_add_co_u32_e32 v13, vcc, s5, v13
	v_addc_co_u32_e32 v14, vcc, v20, v14, vcc
	flat_load_dwordx2 v[19:20], v[13:14]
	v_add_u32_e32 v17, s9, v18
	v_ashrrev_i32_e32 v18, 31, v17
	v_lshlrev_b64 v[15:16], 3, v[17:18]
	s_waitcnt vmcnt(0) lgkmcnt(0)
	buffer_store_dword v20, off, s[0:3], 0 offset:52
	buffer_store_dword v19, off, s[0:3], 0 offset:48
	v_add_co_u32_e32 v15, vcc, s5, v15
	v_addc_co_u32_e32 v16, vcc, v21, v16, vcc
	flat_load_dwordx2 v[19:20], v[15:16]
	v_add_u32_e32 v21, s9, v17
	v_ashrrev_i32_e32 v22, 31, v21
	v_lshlrev_b64 v[17:18], 3, v[21:22]
	v_add_u32_e32 v24, s9, v21
	v_add_co_u32_e32 v17, vcc, s5, v17
	v_addc_co_u32_e32 v18, vcc, v23, v18, vcc
	v_ashrrev_i32_e32 v25, 31, v24
	s_waitcnt vmcnt(0) lgkmcnt(0)
	buffer_store_dword v20, off, s[0:3], 0 offset:60
	buffer_store_dword v19, off, s[0:3], 0 offset:56
	;; [unrolled: 27-line block ×7, first 2 shown]
	flat_load_dwordx2 v[52:53], v[47:48]
	v_lshlrev_b64 v[49:50], 3, v[54:55]
	s_waitcnt vmcnt(0) lgkmcnt(0)
	buffer_store_dword v53, off, s[0:3], 0 offset:188
	buffer_store_dword v52, off, s[0:3], 0 offset:184
	v_add_co_u32_e32 v49, vcc, s5, v49
	v_addc_co_u32_e32 v50, vcc, v56, v50, vcc
	flat_load_dwordx2 v[55:56], v[49:50]
	v_add_u32_e32 v53, s9, v54
	v_ashrrev_i32_e32 v54, 31, v53
	v_lshlrev_b64 v[51:52], 3, v[53:54]
	s_waitcnt vmcnt(0) lgkmcnt(0)
	buffer_store_dword v56, off, s[0:3], 0 offset:196
	buffer_store_dword v55, off, s[0:3], 0 offset:192
	v_add_co_u32_e32 v51, vcc, s5, v51
	v_addc_co_u32_e32 v52, vcc, v57, v52, vcc
	flat_load_dwordx2 v[55:56], v[51:52]
	v_add_u32_e32 v57, s9, v53
	v_ashrrev_i32_e32 v58, 31, v57
	v_lshlrev_b64 v[53:54], 3, v[57:58]
	v_add_u32_e32 v60, s9, v57
	v_add_co_u32_e32 v53, vcc, s5, v53
	v_addc_co_u32_e32 v54, vcc, v59, v54, vcc
	s_waitcnt vmcnt(0) lgkmcnt(0)
	buffer_store_dword v56, off, s[0:3], 0 offset:204
	buffer_store_dword v55, off, s[0:3], 0 offset:200
	flat_load_dwordx2 v[58:59], v[53:54]
	v_ashrrev_i32_e32 v61, 31, v60
	v_lshlrev_b64 v[55:56], 3, v[60:61]
	s_waitcnt vmcnt(0) lgkmcnt(0)
	buffer_store_dword v59, off, s[0:3], 0 offset:212
	buffer_store_dword v58, off, s[0:3], 0 offset:208
	v_add_co_u32_e32 v55, vcc, s5, v55
	v_addc_co_u32_e32 v56, vcc, v62, v56, vcc
	flat_load_dwordx2 v[61:62], v[55:56]
	v_add_u32_e32 v59, s9, v60
	v_ashrrev_i32_e32 v60, 31, v59
	v_lshlrev_b64 v[57:58], 3, v[59:60]
	s_waitcnt vmcnt(0) lgkmcnt(0)
	buffer_store_dword v62, off, s[0:3], 0 offset:220
	buffer_store_dword v61, off, s[0:3], 0 offset:216
	v_add_co_u32_e32 v57, vcc, s5, v57
	v_addc_co_u32_e32 v58, vcc, v63, v58, vcc
	flat_load_dwordx2 v[61:62], v[57:58]
	v_add_u32_e32 v63, s9, v59
	;; [unrolled: 9-line block ×36, first 2 shown]
	v_ashrrev_i32_e32 v128, 31, v127
	v_lshlrev_b64 v[127:128], 3, v[127:128]
	v_mov_b32_e32 v130, s8
	v_add_co_u32_e32 v127, vcc, s5, v127
	v_addc_co_u32_e32 v128, vcc, v130, v128, vcc
	s_waitcnt vmcnt(0) lgkmcnt(0)
	buffer_store_dword v133, off, s[0:3], 0 offset:500
	buffer_store_dword v132, off, s[0:3], 0 offset:496
	flat_load_dwordx2 v[129:130], v[127:128]
	s_mov_b64 s[8:9], -1
	s_waitcnt vmcnt(0) lgkmcnt(0)
	buffer_store_dword v130, off, s[0:3], 0 offset:508
	buffer_store_dword v129, off, s[0:3], 0 offset:504
	s_cbranch_scc1 .LBB127_262
; %bb.4:
	v_cmp_eq_u32_e64 s[4:5], 0, v0
	s_and_saveexec_b64 s[8:9], s[4:5]
; %bb.5:
	v_mov_b32_e32 v129, 0
	ds_write_b32 v129, v129 offset:1024
; %bb.6:
	s_or_b64 exec, exec, s[8:9]
	v_mov_b32_e32 v129, 0
	v_lshl_add_u32 v129, v0, 3, v129
	s_waitcnt lgkmcnt(0)
	; wave barrier
	buffer_load_dword v132, v129, s[0:3], 0 offen
	buffer_load_dword v133, v129, s[0:3], 0 offen offset:4
	s_waitcnt vmcnt(0)
	v_cmp_eq_f64_e32 vcc, 0, v[132:133]
	s_and_saveexec_b64 s[16:17], vcc
	s_cbranch_execz .LBB127_10
; %bb.7:
	v_mov_b32_e32 v130, 0
	ds_read_b32 v133, v130 offset:1024
	v_add_u32_e32 v132, 1, v0
	s_waitcnt lgkmcnt(0)
	v_readfirstlane_b32 s8, v133
	s_cmp_eq_u32 s8, 0
	s_cselect_b64 s[18:19], -1, 0
	v_cmp_gt_i32_e32 vcc, s8, v132
	s_or_b64 s[18:19], s[18:19], vcc
	s_and_b64 exec, exec, s[18:19]
	s_cbranch_execz .LBB127_10
; %bb.8:
	s_mov_b64 s[18:19], 0
	v_mov_b32_e32 v133, s8
.LBB127_9:                              ; =>This Inner Loop Header: Depth=1
	ds_cmpst_rtn_b32 v133, v130, v133, v132 offset:1024
	s_waitcnt lgkmcnt(0)
	v_cmp_ne_u32_e32 vcc, 0, v133
	v_cmp_le_i32_e64 s[8:9], v133, v132
	s_and_b64 s[8:9], vcc, s[8:9]
	s_and_b64 s[8:9], exec, s[8:9]
	s_or_b64 s[18:19], s[8:9], s[18:19]
	s_andn2_b64 exec, exec, s[18:19]
	s_cbranch_execnz .LBB127_9
.LBB127_10:
	s_or_b64 exec, exec, s[16:17]
	v_mov_b32_e32 v132, 0
	; wave barrier
	ds_read_b32 v130, v132 offset:1024
	s_and_saveexec_b64 s[8:9], s[4:5]
	s_cbranch_execz .LBB127_12
; %bb.11:
	s_lshl_b64 s[16:17], s[6:7], 2
	s_add_u32 s16, s10, s16
	s_addc_u32 s17, s11, s17
	s_waitcnt lgkmcnt(0)
	global_store_dword v132, v130, s[16:17]
.LBB127_12:
	s_or_b64 exec, exec, s[8:9]
	s_waitcnt lgkmcnt(0)
	v_cmp_ne_u32_e32 vcc, 0, v130
	s_mov_b64 s[8:9], 0
	s_cbranch_vccnz .LBB127_262
; %bb.13:
	buffer_load_dword v132, v129, s[0:3], 0 offen
	buffer_load_dword v133, v129, s[0:3], 0 offen offset:4
	s_waitcnt vmcnt(0)
	v_div_scale_f64 v[134:135], s[8:9], v[132:133], v[132:133], 1.0
	v_rcp_f64_e32 v[136:137], v[134:135]
	v_fma_f64 v[138:139], -v[134:135], v[136:137], 1.0
	v_fma_f64 v[136:137], v[136:137], v[138:139], v[136:137]
	v_div_scale_f64 v[138:139], vcc, 1.0, v[132:133], 1.0
	v_fma_f64 v[140:141], -v[134:135], v[136:137], 1.0
	v_fma_f64 v[136:137], v[136:137], v[140:141], v[136:137]
	v_mul_f64 v[140:141], v[138:139], v[136:137]
	v_fma_f64 v[134:135], -v[134:135], v[140:141], v[138:139]
	v_div_fmas_f64 v[134:135], v[134:135], v[136:137], v[140:141]
	v_div_fixup_f64 v[133:134], v[134:135], v[132:133], 1.0
	v_or_b32_e32 v132, 0x200, v131
	buffer_store_dword v134, v129, s[0:3], 0 offen offset:4
	buffer_store_dword v133, v129, s[0:3], 0 offen
	buffer_load_dword v136, off, s[0:3], 0 offset:12
	buffer_load_dword v135, off, s[0:3], 0 offset:8
	v_xor_b32_e32 v134, 0x80000000, v134
	s_waitcnt vmcnt(0)
	ds_write2st64_b64 v131, v[133:134], v[135:136] offset1:1
	s_waitcnt lgkmcnt(0)
	; wave barrier
	s_and_saveexec_b64 s[8:9], s[4:5]
	s_cbranch_execz .LBB127_15
; %bb.14:
	buffer_load_dword v133, v129, s[0:3], 0 offen
	buffer_load_dword v134, v129, s[0:3], 0 offen offset:4
	ds_read_b64 v[135:136], v132
	v_mov_b32_e32 v130, 0
	ds_read_b64 v[137:138], v130 offset:8
	s_waitcnt vmcnt(0) lgkmcnt(1)
	v_fma_f64 v[133:134], v[133:134], v[135:136], 0
	s_waitcnt lgkmcnt(0)
	v_mul_f64 v[133:134], v[133:134], v[137:138]
	buffer_store_dword v133, off, s[0:3], 0 offset:8
	buffer_store_dword v134, off, s[0:3], 0 offset:12
.LBB127_15:
	s_or_b64 exec, exec, s[8:9]
	; wave barrier
	buffer_load_dword v133, off, s[0:3], 0 offset:16
	buffer_load_dword v134, off, s[0:3], 0 offset:20
	v_cmp_gt_u32_e32 vcc, 2, v0
	s_waitcnt vmcnt(0)
	ds_write_b64 v132, v[133:134]
	s_waitcnt lgkmcnt(0)
	; wave barrier
	s_and_saveexec_b64 s[8:9], vcc
	s_cbranch_execz .LBB127_17
; %bb.16:
	buffer_load_dword v133, v129, s[0:3], 0 offen
	buffer_load_dword v134, v129, s[0:3], 0 offen offset:4
	s_nop 0
	buffer_load_dword v129, off, s[0:3], 0 offset:8
	buffer_load_dword v130, off, s[0:3], 0 offset:12
	ds_read_b64 v[135:136], v132
	s_waitcnt vmcnt(2) lgkmcnt(0)
	v_fma_f64 v[137:138], v[133:134], v[135:136], 0
	v_mov_b32_e32 v133, 0
	ds_read2_b64 v[133:136], v133 offset0:2 offset1:65
	s_waitcnt vmcnt(0) lgkmcnt(0)
	v_fma_f64 v[129:130], v[129:130], v[135:136], v[137:138]
	v_cndmask_b32_e64 v130, v138, v130, s[4:5]
	v_cndmask_b32_e64 v129, v137, v129, s[4:5]
	v_mul_f64 v[129:130], v[129:130], v[133:134]
	buffer_store_dword v130, off, s[0:3], 0 offset:20
	buffer_store_dword v129, off, s[0:3], 0 offset:16
.LBB127_17:
	s_or_b64 exec, exec, s[8:9]
	; wave barrier
	buffer_load_dword v129, off, s[0:3], 0 offset:24
	buffer_load_dword v130, off, s[0:3], 0 offset:28
	v_cmp_gt_u32_e32 vcc, 3, v0
	v_add_u32_e32 v133, -1, v0
	s_waitcnt vmcnt(0)
	ds_write_b64 v132, v[129:130]
	s_waitcnt lgkmcnt(0)
	; wave barrier
	s_and_saveexec_b64 s[4:5], vcc
	s_cbranch_execz .LBB127_21
; %bb.18:
	v_mov_b32_e32 v129, 0
	v_add_u32_e32 v134, -1, v0
	v_or_b32_e32 v135, 0x200, v131
	v_mov_b32_e32 v136, v131
	v_mov_b32_e32 v130, 0
	s_mov_b64 s[8:9], 0
.LBB127_19:                             ; =>This Inner Loop Header: Depth=1
	buffer_load_dword v137, v136, s[0:3], 0 offen
	buffer_load_dword v138, v136, s[0:3], 0 offen offset:4
	ds_read_b64 v[139:140], v135
	v_add_u32_e32 v134, 1, v134
	v_cmp_lt_u32_e32 vcc, 1, v134
	v_add_u32_e32 v135, 8, v135
	s_or_b64 s[8:9], vcc, s[8:9]
	v_add_u32_e32 v136, 8, v136
	s_waitcnt vmcnt(0) lgkmcnt(0)
	v_fma_f64 v[129:130], v[137:138], v[139:140], v[129:130]
	s_andn2_b64 exec, exec, s[8:9]
	s_cbranch_execnz .LBB127_19
; %bb.20:
	s_or_b64 exec, exec, s[8:9]
	v_mov_b32_e32 v134, 0
	ds_read_b64 v[134:135], v134 offset:24
	s_waitcnt lgkmcnt(0)
	v_mul_f64 v[129:130], v[129:130], v[134:135]
	buffer_store_dword v130, off, s[0:3], 0 offset:28
	buffer_store_dword v129, off, s[0:3], 0 offset:24
.LBB127_21:
	s_or_b64 exec, exec, s[4:5]
	; wave barrier
	buffer_load_dword v129, off, s[0:3], 0 offset:32
	buffer_load_dword v130, off, s[0:3], 0 offset:36
	v_cmp_gt_u32_e32 vcc, 4, v0
	s_waitcnt vmcnt(0)
	ds_write_b64 v132, v[129:130]
	s_waitcnt lgkmcnt(0)
	; wave barrier
	s_and_saveexec_b64 s[4:5], vcc
	s_cbranch_execz .LBB127_25
; %bb.22:
	v_mov_b32_e32 v129, 0
	v_add_u32_e32 v134, -1, v0
	v_or_b32_e32 v135, 0x200, v131
	v_mov_b32_e32 v136, v131
	v_mov_b32_e32 v130, 0
	s_mov_b64 s[8:9], 0
.LBB127_23:                             ; =>This Inner Loop Header: Depth=1
	buffer_load_dword v137, v136, s[0:3], 0 offen
	buffer_load_dword v138, v136, s[0:3], 0 offen offset:4
	ds_read_b64 v[139:140], v135
	v_add_u32_e32 v134, 1, v134
	v_cmp_lt_u32_e32 vcc, 2, v134
	v_add_u32_e32 v135, 8, v135
	s_or_b64 s[8:9], vcc, s[8:9]
	v_add_u32_e32 v136, 8, v136
	s_waitcnt vmcnt(0) lgkmcnt(0)
	v_fma_f64 v[129:130], v[137:138], v[139:140], v[129:130]
	s_andn2_b64 exec, exec, s[8:9]
	s_cbranch_execnz .LBB127_23
; %bb.24:
	s_or_b64 exec, exec, s[8:9]
	v_mov_b32_e32 v134, 0
	ds_read_b64 v[134:135], v134 offset:32
	s_waitcnt lgkmcnt(0)
	v_mul_f64 v[129:130], v[129:130], v[134:135]
	buffer_store_dword v130, off, s[0:3], 0 offset:36
	buffer_store_dword v129, off, s[0:3], 0 offset:32
.LBB127_25:
	s_or_b64 exec, exec, s[4:5]
	; wave barrier
	buffer_load_dword v129, off, s[0:3], 0 offset:40
	buffer_load_dword v130, off, s[0:3], 0 offset:44
	v_cmp_gt_u32_e32 vcc, 5, v0
	;; [unrolled: 40-line block ×21, first 2 shown]
	s_waitcnt vmcnt(0)
	ds_write_b64 v132, v[129:130]
	s_waitcnt lgkmcnt(0)
	; wave barrier
	s_and_saveexec_b64 s[4:5], vcc
	s_cbranch_execz .LBB127_105
; %bb.102:
	v_mov_b32_e32 v129, 0
	v_add_u32_e32 v134, -1, v0
	v_or_b32_e32 v135, 0x200, v131
	v_mov_b32_e32 v136, v131
	v_mov_b32_e32 v130, 0
	s_mov_b64 s[8:9], 0
.LBB127_103:                            ; =>This Inner Loop Header: Depth=1
	buffer_load_dword v137, v136, s[0:3], 0 offen
	buffer_load_dword v138, v136, s[0:3], 0 offen offset:4
	ds_read_b64 v[139:140], v135
	v_add_u32_e32 v134, 1, v134
	v_cmp_lt_u32_e32 vcc, 22, v134
	v_add_u32_e32 v135, 8, v135
	s_or_b64 s[8:9], vcc, s[8:9]
	v_add_u32_e32 v136, 8, v136
	s_waitcnt vmcnt(0) lgkmcnt(0)
	v_fma_f64 v[129:130], v[137:138], v[139:140], v[129:130]
	s_andn2_b64 exec, exec, s[8:9]
	s_cbranch_execnz .LBB127_103
; %bb.104:
	s_or_b64 exec, exec, s[8:9]
	v_mov_b32_e32 v134, 0
	ds_read_b64 v[134:135], v134 offset:192
	s_waitcnt lgkmcnt(0)
	v_mul_f64 v[129:130], v[129:130], v[134:135]
	buffer_store_dword v130, off, s[0:3], 0 offset:196
	buffer_store_dword v129, off, s[0:3], 0 offset:192
.LBB127_105:
	s_or_b64 exec, exec, s[4:5]
	; wave barrier
	buffer_load_dword v129, off, s[0:3], 0 offset:200
	buffer_load_dword v130, off, s[0:3], 0 offset:204
	v_cmp_gt_u32_e32 vcc, 25, v0
	s_waitcnt vmcnt(0)
	ds_write_b64 v132, v[129:130]
	s_waitcnt lgkmcnt(0)
	; wave barrier
	s_and_saveexec_b64 s[4:5], vcc
	s_cbranch_execz .LBB127_109
; %bb.106:
	v_mov_b32_e32 v129, 0
	v_add_u32_e32 v134, -1, v0
	v_or_b32_e32 v135, 0x200, v131
	v_mov_b32_e32 v136, v131
	v_mov_b32_e32 v130, 0
	s_mov_b64 s[8:9], 0
.LBB127_107:                            ; =>This Inner Loop Header: Depth=1
	buffer_load_dword v137, v136, s[0:3], 0 offen
	buffer_load_dword v138, v136, s[0:3], 0 offen offset:4
	ds_read_b64 v[139:140], v135
	v_add_u32_e32 v134, 1, v134
	v_cmp_lt_u32_e32 vcc, 23, v134
	v_add_u32_e32 v135, 8, v135
	s_or_b64 s[8:9], vcc, s[8:9]
	v_add_u32_e32 v136, 8, v136
	s_waitcnt vmcnt(0) lgkmcnt(0)
	v_fma_f64 v[129:130], v[137:138], v[139:140], v[129:130]
	s_andn2_b64 exec, exec, s[8:9]
	s_cbranch_execnz .LBB127_107
; %bb.108:
	s_or_b64 exec, exec, s[8:9]
	v_mov_b32_e32 v134, 0
	ds_read_b64 v[134:135], v134 offset:200
	s_waitcnt lgkmcnt(0)
	v_mul_f64 v[129:130], v[129:130], v[134:135]
	buffer_store_dword v130, off, s[0:3], 0 offset:204
	buffer_store_dword v129, off, s[0:3], 0 offset:200
.LBB127_109:
	s_or_b64 exec, exec, s[4:5]
	; wave barrier
	buffer_load_dword v129, off, s[0:3], 0 offset:208
	buffer_load_dword v130, off, s[0:3], 0 offset:212
	v_cmp_gt_u32_e32 vcc, 26, v0
	;; [unrolled: 40-line block ×38, first 2 shown]
	s_waitcnt vmcnt(0)
	ds_write_b64 v132, v[129:130]
	s_waitcnt lgkmcnt(0)
	; wave barrier
	s_and_saveexec_b64 s[4:5], vcc
	s_cbranch_execz .LBB127_257
; %bb.254:
	v_mov_b32_e32 v129, 0
	v_add_u32_e32 v134, -1, v0
	v_or_b32_e32 v135, 0x200, v131
	v_mov_b32_e32 v136, v131
	v_mov_b32_e32 v130, 0
	s_mov_b64 s[8:9], 0
.LBB127_255:                            ; =>This Inner Loop Header: Depth=1
	buffer_load_dword v137, v136, s[0:3], 0 offen
	buffer_load_dword v138, v136, s[0:3], 0 offen offset:4
	ds_read_b64 v[139:140], v135
	v_add_u32_e32 v134, 1, v134
	v_cmp_lt_u32_e32 vcc, 60, v134
	v_add_u32_e32 v135, 8, v135
	s_or_b64 s[8:9], vcc, s[8:9]
	v_add_u32_e32 v136, 8, v136
	s_waitcnt vmcnt(0) lgkmcnt(0)
	v_fma_f64 v[129:130], v[137:138], v[139:140], v[129:130]
	s_andn2_b64 exec, exec, s[8:9]
	s_cbranch_execnz .LBB127_255
; %bb.256:
	s_or_b64 exec, exec, s[8:9]
	v_mov_b32_e32 v134, 0
	ds_read_b64 v[134:135], v134 offset:496
	s_waitcnt lgkmcnt(0)
	v_mul_f64 v[129:130], v[129:130], v[134:135]
	buffer_store_dword v130, off, s[0:3], 0 offset:500
	buffer_store_dword v129, off, s[0:3], 0 offset:496
.LBB127_257:
	s_or_b64 exec, exec, s[4:5]
	; wave barrier
	buffer_load_dword v129, off, s[0:3], 0 offset:504
	buffer_load_dword v130, off, s[0:3], 0 offset:508
	v_cmp_ne_u32_e32 vcc, 63, v0
	s_waitcnt vmcnt(0)
	ds_write_b64 v132, v[129:130]
	s_waitcnt lgkmcnt(0)
	; wave barrier
	s_and_saveexec_b64 s[4:5], vcc
	s_cbranch_execz .LBB127_261
; %bb.258:
	v_mov_b32_e32 v129, 0
	v_or_b32_e32 v132, 0x200, v131
	v_mov_b32_e32 v130, 0
	s_mov_b64 s[8:9], 0
.LBB127_259:                            ; =>This Inner Loop Header: Depth=1
	buffer_load_dword v134, v131, s[0:3], 0 offen
	buffer_load_dword v135, v131, s[0:3], 0 offen offset:4
	ds_read_b64 v[136:137], v132
	v_add_u32_e32 v133, 1, v133
	v_cmp_lt_u32_e32 vcc, 61, v133
	v_add_u32_e32 v132, 8, v132
	s_or_b64 s[8:9], vcc, s[8:9]
	v_add_u32_e32 v131, 8, v131
	s_waitcnt vmcnt(0) lgkmcnt(0)
	v_fma_f64 v[129:130], v[134:135], v[136:137], v[129:130]
	s_andn2_b64 exec, exec, s[8:9]
	s_cbranch_execnz .LBB127_259
; %bb.260:
	s_or_b64 exec, exec, s[8:9]
	v_mov_b32_e32 v131, 0
	ds_read_b64 v[131:132], v131 offset:504
	s_waitcnt lgkmcnt(0)
	v_mul_f64 v[129:130], v[129:130], v[131:132]
	buffer_store_dword v130, off, s[0:3], 0 offset:508
	buffer_store_dword v129, off, s[0:3], 0 offset:504
.LBB127_261:
	s_or_b64 exec, exec, s[4:5]
	s_mov_b64 s[8:9], -1
	; wave barrier
.LBB127_262:
	s_and_b64 vcc, exec, s[8:9]
	s_cbranch_vccz .LBB127_264
; %bb.263:
	s_lshl_b64 s[4:5], s[6:7], 2
	s_add_u32 s4, s10, s4
	s_addc_u32 s5, s11, s5
	v_mov_b32_e32 v129, 0
	global_load_dword v129, v129, s[4:5]
	s_waitcnt vmcnt(0)
	v_cmp_ne_u32_e32 vcc, 0, v129
	s_cbranch_vccz .LBB127_265
.LBB127_264:
	s_endpgm
.LBB127_265:
	v_mov_b32_e32 v129, 0x200
	v_lshl_or_b32 v129, v0, 3, v129
	v_cmp_eq_u32_e32 vcc, 63, v0
	s_and_saveexec_b64 s[4:5], vcc
	s_cbranch_execz .LBB127_267
; %bb.266:
	buffer_load_dword v130, off, s[0:3], 0 offset:496
	buffer_load_dword v131, off, s[0:3], 0 offset:500
	v_mov_b32_e32 v132, 0
	buffer_store_dword v132, off, s[0:3], 0 offset:496
	buffer_store_dword v132, off, s[0:3], 0 offset:500
	s_waitcnt vmcnt(2)
	ds_write_b64 v129, v[130:131]
.LBB127_267:
	s_or_b64 exec, exec, s[4:5]
	s_waitcnt lgkmcnt(0)
	; wave barrier
	buffer_load_dword v131, off, s[0:3], 0 offset:504
	buffer_load_dword v132, off, s[0:3], 0 offset:508
	;; [unrolled: 1-line block ×4, first 2 shown]
	v_mov_b32_e32 v130, 0
	ds_read_b64 v[135:136], v130 offset:1016
	v_cmp_lt_u32_e32 vcc, 61, v0
	s_waitcnt vmcnt(2) lgkmcnt(0)
	v_fma_f64 v[131:132], v[131:132], v[135:136], 0
	s_waitcnt vmcnt(0)
	v_add_f64 v[131:132], v[133:134], -v[131:132]
	buffer_store_dword v131, off, s[0:3], 0 offset:496
	buffer_store_dword v132, off, s[0:3], 0 offset:500
	s_and_saveexec_b64 s[4:5], vcc
	s_cbranch_execz .LBB127_269
; %bb.268:
	buffer_load_dword v131, off, s[0:3], 0 offset:488
	buffer_load_dword v132, off, s[0:3], 0 offset:492
	s_waitcnt vmcnt(0)
	ds_write_b64 v129, v[131:132]
	buffer_store_dword v130, off, s[0:3], 0 offset:488
	buffer_store_dword v130, off, s[0:3], 0 offset:492
.LBB127_269:
	s_or_b64 exec, exec, s[4:5]
	s_waitcnt lgkmcnt(0)
	; wave barrier
	buffer_load_dword v134, off, s[0:3], 0 offset:496
	buffer_load_dword v135, off, s[0:3], 0 offset:500
	;; [unrolled: 1-line block ×6, first 2 shown]
	ds_read_b128 v[130:133], v130 offset:1008
	v_cmp_lt_u32_e32 vcc, 60, v0
	s_waitcnt vmcnt(4) lgkmcnt(0)
	v_fma_f64 v[130:131], v[134:135], v[130:131], 0
	s_waitcnt vmcnt(2)
	v_fma_f64 v[130:131], v[136:137], v[132:133], v[130:131]
	s_waitcnt vmcnt(0)
	v_add_f64 v[130:131], v[138:139], -v[130:131]
	buffer_store_dword v130, off, s[0:3], 0 offset:488
	buffer_store_dword v131, off, s[0:3], 0 offset:492
	s_and_saveexec_b64 s[4:5], vcc
	s_cbranch_execz .LBB127_271
; %bb.270:
	buffer_load_dword v130, off, s[0:3], 0 offset:480
	buffer_load_dword v131, off, s[0:3], 0 offset:484
	v_mov_b32_e32 v132, 0
	buffer_store_dword v132, off, s[0:3], 0 offset:480
	buffer_store_dword v132, off, s[0:3], 0 offset:484
	s_waitcnt vmcnt(2)
	ds_write_b64 v129, v[130:131]
.LBB127_271:
	s_or_b64 exec, exec, s[4:5]
	s_waitcnt lgkmcnt(0)
	; wave barrier
	buffer_load_dword v135, off, s[0:3], 0 offset:488
	buffer_load_dword v136, off, s[0:3], 0 offset:492
	;; [unrolled: 1-line block ×8, first 2 shown]
	v_mov_b32_e32 v130, 0
	ds_read2_b64 v[131:134], v130 offset0:125 offset1:126
	ds_read_b64 v[143:144], v130 offset:1016
	v_cmp_lt_u32_e32 vcc, 59, v0
	s_waitcnt vmcnt(6) lgkmcnt(1)
	v_fma_f64 v[131:132], v[135:136], v[131:132], 0
	s_waitcnt vmcnt(4)
	v_fma_f64 v[131:132], v[137:138], v[133:134], v[131:132]
	s_waitcnt vmcnt(2) lgkmcnt(0)
	v_fma_f64 v[131:132], v[139:140], v[143:144], v[131:132]
	s_waitcnt vmcnt(0)
	v_add_f64 v[131:132], v[141:142], -v[131:132]
	buffer_store_dword v131, off, s[0:3], 0 offset:480
	buffer_store_dword v132, off, s[0:3], 0 offset:484
	s_and_saveexec_b64 s[4:5], vcc
	s_cbranch_execz .LBB127_273
; %bb.272:
	buffer_load_dword v131, off, s[0:3], 0 offset:472
	buffer_load_dword v132, off, s[0:3], 0 offset:476
	s_waitcnt vmcnt(0)
	ds_write_b64 v129, v[131:132]
	buffer_store_dword v130, off, s[0:3], 0 offset:472
	buffer_store_dword v130, off, s[0:3], 0 offset:476
.LBB127_273:
	s_or_b64 exec, exec, s[4:5]
	s_waitcnt lgkmcnt(0)
	; wave barrier
	buffer_load_dword v139, off, s[0:3], 0 offset:480
	buffer_load_dword v140, off, s[0:3], 0 offset:484
	;; [unrolled: 1-line block ×10, first 2 shown]
	ds_read_b128 v[131:134], v130 offset:992
	ds_read_b128 v[135:138], v130 offset:1008
	v_cmp_lt_u32_e32 vcc, 58, v0
	s_waitcnt vmcnt(8) lgkmcnt(1)
	v_fma_f64 v[130:131], v[139:140], v[131:132], 0
	s_waitcnt vmcnt(6)
	v_fma_f64 v[130:131], v[141:142], v[133:134], v[130:131]
	s_waitcnt vmcnt(4) lgkmcnt(0)
	v_fma_f64 v[130:131], v[143:144], v[135:136], v[130:131]
	s_waitcnt vmcnt(2)
	v_fma_f64 v[130:131], v[145:146], v[137:138], v[130:131]
	s_waitcnt vmcnt(0)
	v_add_f64 v[130:131], v[147:148], -v[130:131]
	buffer_store_dword v130, off, s[0:3], 0 offset:472
	buffer_store_dword v131, off, s[0:3], 0 offset:476
	s_and_saveexec_b64 s[4:5], vcc
	s_cbranch_execz .LBB127_275
; %bb.274:
	buffer_load_dword v130, off, s[0:3], 0 offset:464
	buffer_load_dword v131, off, s[0:3], 0 offset:468
	v_mov_b32_e32 v132, 0
	buffer_store_dword v132, off, s[0:3], 0 offset:464
	buffer_store_dword v132, off, s[0:3], 0 offset:468
	s_waitcnt vmcnt(2)
	ds_write_b64 v129, v[130:131]
.LBB127_275:
	s_or_b64 exec, exec, s[4:5]
	s_waitcnt lgkmcnt(0)
	; wave barrier
	buffer_load_dword v139, off, s[0:3], 0 offset:472
	buffer_load_dword v140, off, s[0:3], 0 offset:476
	;; [unrolled: 1-line block ×12, first 2 shown]
	v_mov_b32_e32 v130, 0
	ds_read2_b64 v[131:134], v130 offset0:123 offset1:124
	ds_read2_b64 v[135:138], v130 offset0:125 offset1:126
	v_cmp_lt_u32_e32 vcc, 57, v0
	s_waitcnt vmcnt(10) lgkmcnt(1)
	v_fma_f64 v[131:132], v[139:140], v[131:132], 0
	s_waitcnt vmcnt(8)
	v_fma_f64 v[131:132], v[141:142], v[133:134], v[131:132]
	ds_read_b64 v[133:134], v130 offset:1016
	s_waitcnt vmcnt(6) lgkmcnt(1)
	v_fma_f64 v[131:132], v[143:144], v[135:136], v[131:132]
	s_waitcnt vmcnt(4)
	v_fma_f64 v[131:132], v[145:146], v[137:138], v[131:132]
	s_waitcnt vmcnt(2) lgkmcnt(0)
	v_fma_f64 v[131:132], v[147:148], v[133:134], v[131:132]
	s_waitcnt vmcnt(0)
	v_add_f64 v[131:132], v[149:150], -v[131:132]
	buffer_store_dword v131, off, s[0:3], 0 offset:464
	buffer_store_dword v132, off, s[0:3], 0 offset:468
	s_and_saveexec_b64 s[4:5], vcc
	s_cbranch_execz .LBB127_277
; %bb.276:
	buffer_load_dword v131, off, s[0:3], 0 offset:456
	buffer_load_dword v132, off, s[0:3], 0 offset:460
	s_waitcnt vmcnt(0)
	ds_write_b64 v129, v[131:132]
	buffer_store_dword v130, off, s[0:3], 0 offset:456
	buffer_store_dword v130, off, s[0:3], 0 offset:460
.LBB127_277:
	s_or_b64 exec, exec, s[4:5]
	s_waitcnt lgkmcnt(0)
	; wave barrier
	buffer_load_dword v139, off, s[0:3], 0 offset:464
	buffer_load_dword v140, off, s[0:3], 0 offset:468
	;; [unrolled: 1-line block ×14, first 2 shown]
	ds_read_b128 v[131:134], v130 offset:976
	ds_read_b128 v[135:138], v130 offset:992
	v_cmp_lt_u32_e32 vcc, 56, v0
	s_waitcnt vmcnt(12) lgkmcnt(1)
	v_fma_f64 v[131:132], v[139:140], v[131:132], 0
	s_waitcnt vmcnt(10)
	v_fma_f64 v[131:132], v[141:142], v[133:134], v[131:132]
	s_waitcnt vmcnt(8) lgkmcnt(0)
	v_fma_f64 v[131:132], v[143:144], v[135:136], v[131:132]
	s_waitcnt vmcnt(6)
	v_fma_f64 v[134:135], v[145:146], v[137:138], v[131:132]
	ds_read_b128 v[130:133], v130 offset:1008
	s_waitcnt vmcnt(4) lgkmcnt(0)
	v_fma_f64 v[130:131], v[147:148], v[130:131], v[134:135]
	s_waitcnt vmcnt(2)
	v_fma_f64 v[130:131], v[149:150], v[132:133], v[130:131]
	s_waitcnt vmcnt(0)
	v_add_f64 v[130:131], v[151:152], -v[130:131]
	buffer_store_dword v130, off, s[0:3], 0 offset:456
	buffer_store_dword v131, off, s[0:3], 0 offset:460
	s_and_saveexec_b64 s[4:5], vcc
	s_cbranch_execz .LBB127_279
; %bb.278:
	buffer_load_dword v130, off, s[0:3], 0 offset:448
	buffer_load_dword v131, off, s[0:3], 0 offset:452
	v_mov_b32_e32 v132, 0
	buffer_store_dword v132, off, s[0:3], 0 offset:448
	buffer_store_dword v132, off, s[0:3], 0 offset:452
	s_waitcnt vmcnt(2)
	ds_write_b64 v129, v[130:131]
.LBB127_279:
	s_or_b64 exec, exec, s[4:5]
	s_waitcnt lgkmcnt(0)
	; wave barrier
	buffer_load_dword v139, off, s[0:3], 0 offset:456
	buffer_load_dword v140, off, s[0:3], 0 offset:460
	;; [unrolled: 1-line block ×16, first 2 shown]
	v_mov_b32_e32 v130, 0
	ds_read2_b64 v[131:134], v130 offset0:121 offset1:122
	ds_read2_b64 v[135:138], v130 offset0:123 offset1:124
	v_cmp_lt_u32_e32 vcc, 55, v0
	s_waitcnt vmcnt(14) lgkmcnt(1)
	v_fma_f64 v[131:132], v[139:140], v[131:132], 0
	s_waitcnt vmcnt(12)
	v_fma_f64 v[131:132], v[141:142], v[133:134], v[131:132]
	s_waitcnt vmcnt(10) lgkmcnt(0)
	v_fma_f64 v[131:132], v[143:144], v[135:136], v[131:132]
	s_waitcnt vmcnt(8)
	v_fma_f64 v[135:136], v[145:146], v[137:138], v[131:132]
	ds_read2_b64 v[131:134], v130 offset0:125 offset1:126
	ds_read_b64 v[137:138], v130 offset:1016
	s_waitcnt vmcnt(6) lgkmcnt(1)
	v_fma_f64 v[131:132], v[147:148], v[131:132], v[135:136]
	s_waitcnt vmcnt(4)
	v_fma_f64 v[131:132], v[149:150], v[133:134], v[131:132]
	s_waitcnt vmcnt(2) lgkmcnt(0)
	v_fma_f64 v[131:132], v[151:152], v[137:138], v[131:132]
	s_waitcnt vmcnt(0)
	v_add_f64 v[131:132], v[153:154], -v[131:132]
	buffer_store_dword v131, off, s[0:3], 0 offset:448
	buffer_store_dword v132, off, s[0:3], 0 offset:452
	s_and_saveexec_b64 s[4:5], vcc
	s_cbranch_execz .LBB127_281
; %bb.280:
	buffer_load_dword v131, off, s[0:3], 0 offset:440
	buffer_load_dword v132, off, s[0:3], 0 offset:444
	s_waitcnt vmcnt(0)
	ds_write_b64 v129, v[131:132]
	buffer_store_dword v130, off, s[0:3], 0 offset:440
	buffer_store_dword v130, off, s[0:3], 0 offset:444
.LBB127_281:
	s_or_b64 exec, exec, s[4:5]
	s_waitcnt lgkmcnt(0)
	; wave barrier
	buffer_load_dword v139, off, s[0:3], 0 offset:448
	buffer_load_dword v140, off, s[0:3], 0 offset:452
	;; [unrolled: 1-line block ×18, first 2 shown]
	ds_read_b128 v[131:134], v130 offset:960
	ds_read_b128 v[135:138], v130 offset:976
	v_cmp_lt_u32_e32 vcc, 54, v0
	s_waitcnt vmcnt(16) lgkmcnt(1)
	v_fma_f64 v[131:132], v[139:140], v[131:132], 0
	s_waitcnt vmcnt(14)
	v_fma_f64 v[131:132], v[141:142], v[133:134], v[131:132]
	s_waitcnt vmcnt(12) lgkmcnt(0)
	v_fma_f64 v[131:132], v[143:144], v[135:136], v[131:132]
	s_waitcnt vmcnt(10)
	v_fma_f64 v[139:140], v[145:146], v[137:138], v[131:132]
	ds_read_b128 v[131:134], v130 offset:992
	ds_read_b128 v[135:138], v130 offset:1008
	s_waitcnt vmcnt(8) lgkmcnt(1)
	v_fma_f64 v[130:131], v[147:148], v[131:132], v[139:140]
	s_waitcnt vmcnt(6)
	v_fma_f64 v[130:131], v[149:150], v[133:134], v[130:131]
	s_waitcnt vmcnt(4) lgkmcnt(0)
	v_fma_f64 v[130:131], v[151:152], v[135:136], v[130:131]
	s_waitcnt vmcnt(2)
	v_fma_f64 v[130:131], v[153:154], v[137:138], v[130:131]
	s_waitcnt vmcnt(0)
	v_add_f64 v[130:131], v[155:156], -v[130:131]
	buffer_store_dword v130, off, s[0:3], 0 offset:440
	buffer_store_dword v131, off, s[0:3], 0 offset:444
	s_and_saveexec_b64 s[4:5], vcc
	s_cbranch_execz .LBB127_283
; %bb.282:
	buffer_load_dword v130, off, s[0:3], 0 offset:432
	buffer_load_dword v131, off, s[0:3], 0 offset:436
	v_mov_b32_e32 v132, 0
	buffer_store_dword v132, off, s[0:3], 0 offset:432
	buffer_store_dword v132, off, s[0:3], 0 offset:436
	s_waitcnt vmcnt(2)
	ds_write_b64 v129, v[130:131]
.LBB127_283:
	s_or_b64 exec, exec, s[4:5]
	s_waitcnt lgkmcnt(0)
	; wave barrier
	buffer_load_dword v139, off, s[0:3], 0 offset:440
	buffer_load_dword v140, off, s[0:3], 0 offset:444
	;; [unrolled: 1-line block ×20, first 2 shown]
	v_mov_b32_e32 v130, 0
	ds_read2_b64 v[131:134], v130 offset0:119 offset1:120
	ds_read2_b64 v[135:138], v130 offset0:121 offset1:122
	v_cmp_lt_u32_e32 vcc, 53, v0
	s_waitcnt vmcnt(18) lgkmcnt(1)
	v_fma_f64 v[131:132], v[139:140], v[131:132], 0
	s_waitcnt vmcnt(16)
	v_fma_f64 v[131:132], v[141:142], v[133:134], v[131:132]
	s_waitcnt vmcnt(14) lgkmcnt(0)
	v_fma_f64 v[131:132], v[143:144], v[135:136], v[131:132]
	s_waitcnt vmcnt(12)
	v_fma_f64 v[139:140], v[145:146], v[137:138], v[131:132]
	ds_read2_b64 v[131:134], v130 offset0:123 offset1:124
	ds_read2_b64 v[135:138], v130 offset0:125 offset1:126
	s_waitcnt vmcnt(10) lgkmcnt(1)
	v_fma_f64 v[131:132], v[147:148], v[131:132], v[139:140]
	s_waitcnt vmcnt(8)
	v_fma_f64 v[131:132], v[149:150], v[133:134], v[131:132]
	ds_read_b64 v[133:134], v130 offset:1016
	s_waitcnt vmcnt(6) lgkmcnt(1)
	v_fma_f64 v[131:132], v[151:152], v[135:136], v[131:132]
	s_waitcnt vmcnt(3)
	v_fma_f64 v[131:132], v[153:154], v[137:138], v[131:132]
	s_waitcnt vmcnt(2) lgkmcnt(0)
	v_fma_f64 v[131:132], v[155:156], v[133:134], v[131:132]
	s_waitcnt vmcnt(0)
	v_add_f64 v[131:132], v[157:158], -v[131:132]
	buffer_store_dword v131, off, s[0:3], 0 offset:432
	buffer_store_dword v132, off, s[0:3], 0 offset:436
	s_and_saveexec_b64 s[4:5], vcc
	s_cbranch_execz .LBB127_285
; %bb.284:
	buffer_load_dword v131, off, s[0:3], 0 offset:424
	buffer_load_dword v132, off, s[0:3], 0 offset:428
	s_waitcnt vmcnt(0)
	ds_write_b64 v129, v[131:132]
	buffer_store_dword v130, off, s[0:3], 0 offset:424
	buffer_store_dword v130, off, s[0:3], 0 offset:428
.LBB127_285:
	s_or_b64 exec, exec, s[4:5]
	s_waitcnt lgkmcnt(0)
	; wave barrier
	buffer_load_dword v139, off, s[0:3], 0 offset:432
	buffer_load_dword v140, off, s[0:3], 0 offset:436
	buffer_load_dword v141, off, s[0:3], 0 offset:440
	buffer_load_dword v142, off, s[0:3], 0 offset:444
	buffer_load_dword v143, off, s[0:3], 0 offset:448
	buffer_load_dword v144, off, s[0:3], 0 offset:452
	buffer_load_dword v145, off, s[0:3], 0 offset:456
	buffer_load_dword v146, off, s[0:3], 0 offset:460
	buffer_load_dword v147, off, s[0:3], 0 offset:464
	buffer_load_dword v148, off, s[0:3], 0 offset:468
	buffer_load_dword v149, off, s[0:3], 0 offset:472
	buffer_load_dword v150, off, s[0:3], 0 offset:476
	buffer_load_dword v151, off, s[0:3], 0 offset:480
	buffer_load_dword v152, off, s[0:3], 0 offset:484
	buffer_load_dword v154, off, s[0:3], 0 offset:492
	buffer_load_dword v155, off, s[0:3], 0 offset:504
	buffer_load_dword v157, off, s[0:3], 0 offset:496
	buffer_load_dword v153, off, s[0:3], 0 offset:488
	buffer_load_dword v158, off, s[0:3], 0 offset:500
	buffer_load_dword v156, off, s[0:3], 0 offset:508
	ds_read_b128 v[131:134], v130 offset:944
	buffer_load_dword v159, off, s[0:3], 0 offset:424
	buffer_load_dword v160, off, s[0:3], 0 offset:428
	ds_read_b128 v[135:138], v130 offset:960
	v_cmp_lt_u32_e32 vcc, 52, v0
	s_waitcnt vmcnt(20) lgkmcnt(1)
	v_fma_f64 v[131:132], v[139:140], v[131:132], 0
	s_waitcnt vmcnt(18)
	v_fma_f64 v[131:132], v[141:142], v[133:134], v[131:132]
	s_waitcnt vmcnt(16) lgkmcnt(0)
	v_fma_f64 v[131:132], v[143:144], v[135:136], v[131:132]
	s_waitcnt vmcnt(14)
	v_fma_f64 v[139:140], v[145:146], v[137:138], v[131:132]
	ds_read_b128 v[131:134], v130 offset:976
	ds_read_b128 v[135:138], v130 offset:992
	s_waitcnt vmcnt(12) lgkmcnt(1)
	v_fma_f64 v[131:132], v[147:148], v[131:132], v[139:140]
	s_waitcnt vmcnt(10)
	v_fma_f64 v[131:132], v[149:150], v[133:134], v[131:132]
	s_waitcnt vmcnt(8) lgkmcnt(0)
	v_fma_f64 v[131:132], v[151:152], v[135:136], v[131:132]
	s_waitcnt vmcnt(4)
	v_fma_f64 v[134:135], v[153:154], v[137:138], v[131:132]
	ds_read_b128 v[130:133], v130 offset:1008
	s_waitcnt vmcnt(3) lgkmcnt(0)
	v_fma_f64 v[130:131], v[157:158], v[130:131], v[134:135]
	s_waitcnt vmcnt(2)
	v_fma_f64 v[130:131], v[155:156], v[132:133], v[130:131]
	s_waitcnt vmcnt(0)
	v_add_f64 v[130:131], v[159:160], -v[130:131]
	buffer_store_dword v130, off, s[0:3], 0 offset:424
	buffer_store_dword v131, off, s[0:3], 0 offset:428
	s_and_saveexec_b64 s[4:5], vcc
	s_cbranch_execz .LBB127_287
; %bb.286:
	buffer_load_dword v130, off, s[0:3], 0 offset:416
	buffer_load_dword v131, off, s[0:3], 0 offset:420
	v_mov_b32_e32 v132, 0
	buffer_store_dword v132, off, s[0:3], 0 offset:416
	buffer_store_dword v132, off, s[0:3], 0 offset:420
	s_waitcnt vmcnt(2)
	ds_write_b64 v129, v[130:131]
.LBB127_287:
	s_or_b64 exec, exec, s[4:5]
	s_waitcnt lgkmcnt(0)
	; wave barrier
	buffer_load_dword v139, off, s[0:3], 0 offset:424
	buffer_load_dword v140, off, s[0:3], 0 offset:428
	;; [unrolled: 1-line block ×21, first 2 shown]
	v_mov_b32_e32 v130, 0
	ds_read2_b64 v[131:134], v130 offset0:117 offset1:118
	ds_read2_b64 v[135:138], v130 offset0:119 offset1:120
	buffer_load_dword v156, off, s[0:3], 0 offset:508
	v_cmp_lt_u32_e32 vcc, 51, v0
	s_waitcnt vmcnt(20) lgkmcnt(1)
	v_fma_f64 v[131:132], v[139:140], v[131:132], 0
	buffer_load_dword v139, off, s[0:3], 0 offset:416
	buffer_load_dword v140, off, s[0:3], 0 offset:420
	s_waitcnt vmcnt(20)
	v_fma_f64 v[131:132], v[141:142], v[133:134], v[131:132]
	s_waitcnt vmcnt(18) lgkmcnt(0)
	v_fma_f64 v[131:132], v[143:144], v[135:136], v[131:132]
	s_waitcnt vmcnt(16)
	v_fma_f64 v[141:142], v[145:146], v[137:138], v[131:132]
	ds_read2_b64 v[131:134], v130 offset0:121 offset1:122
	ds_read2_b64 v[135:138], v130 offset0:123 offset1:124
	s_waitcnt vmcnt(14) lgkmcnt(1)
	v_fma_f64 v[131:132], v[147:148], v[131:132], v[141:142]
	s_waitcnt vmcnt(12)
	v_fma_f64 v[131:132], v[149:150], v[133:134], v[131:132]
	s_waitcnt vmcnt(10) lgkmcnt(0)
	v_fma_f64 v[131:132], v[151:152], v[135:136], v[131:132]
	s_waitcnt vmcnt(5)
	v_fma_f64 v[135:136], v[153:154], v[137:138], v[131:132]
	ds_read2_b64 v[131:134], v130 offset0:125 offset1:126
	ds_read_b64 v[137:138], v130 offset:1016
	s_waitcnt vmcnt(4) lgkmcnt(1)
	v_fma_f64 v[131:132], v[159:160], v[131:132], v[135:136]
	s_waitcnt vmcnt(3)
	v_fma_f64 v[131:132], v[157:158], v[133:134], v[131:132]
	s_waitcnt vmcnt(2) lgkmcnt(0)
	v_fma_f64 v[131:132], v[155:156], v[137:138], v[131:132]
	s_waitcnt vmcnt(0)
	v_add_f64 v[131:132], v[139:140], -v[131:132]
	buffer_store_dword v132, off, s[0:3], 0 offset:420
	buffer_store_dword v131, off, s[0:3], 0 offset:416
	s_and_saveexec_b64 s[4:5], vcc
	s_cbranch_execz .LBB127_289
; %bb.288:
	buffer_load_dword v131, off, s[0:3], 0 offset:408
	buffer_load_dword v132, off, s[0:3], 0 offset:412
	s_waitcnt vmcnt(0)
	ds_write_b64 v129, v[131:132]
	buffer_store_dword v130, off, s[0:3], 0 offset:408
	buffer_store_dword v130, off, s[0:3], 0 offset:412
.LBB127_289:
	s_or_b64 exec, exec, s[4:5]
	s_waitcnt lgkmcnt(0)
	; wave barrier
	buffer_load_dword v139, off, s[0:3], 0 offset:416
	buffer_load_dword v140, off, s[0:3], 0 offset:420
	;; [unrolled: 1-line block ×21, first 2 shown]
	ds_read_b128 v[131:134], v130 offset:928
	ds_read_b128 v[135:138], v130 offset:944
	buffer_load_dword v156, off, s[0:3], 0 offset:500
	v_cmp_lt_u32_e32 vcc, 50, v0
	s_waitcnt vmcnt(20) lgkmcnt(1)
	v_fma_f64 v[131:132], v[139:140], v[131:132], 0
	buffer_load_dword v140, off, s[0:3], 0 offset:508
	buffer_load_dword v139, off, s[0:3], 0 offset:504
	s_waitcnt vmcnt(20)
	v_fma_f64 v[131:132], v[141:142], v[133:134], v[131:132]
	buffer_load_dword v141, off, s[0:3], 0 offset:408
	buffer_load_dword v142, off, s[0:3], 0 offset:412
	s_waitcnt vmcnt(20) lgkmcnt(0)
	v_fma_f64 v[131:132], v[143:144], v[135:136], v[131:132]
	s_waitcnt vmcnt(18)
	v_fma_f64 v[143:144], v[145:146], v[137:138], v[131:132]
	ds_read_b128 v[131:134], v130 offset:960
	ds_read_b128 v[135:138], v130 offset:976
	s_waitcnt vmcnt(16) lgkmcnt(1)
	v_fma_f64 v[131:132], v[147:148], v[131:132], v[143:144]
	s_waitcnt vmcnt(14)
	v_fma_f64 v[131:132], v[149:150], v[133:134], v[131:132]
	s_waitcnt vmcnt(12) lgkmcnt(0)
	v_fma_f64 v[131:132], v[151:152], v[135:136], v[131:132]
	s_waitcnt vmcnt(7)
	v_fma_f64 v[143:144], v[153:154], v[137:138], v[131:132]
	ds_read_b128 v[131:134], v130 offset:992
	ds_read_b128 v[135:138], v130 offset:1008
	s_waitcnt vmcnt(6) lgkmcnt(1)
	v_fma_f64 v[130:131], v[159:160], v[131:132], v[143:144]
	s_waitcnt vmcnt(5)
	v_fma_f64 v[130:131], v[157:158], v[133:134], v[130:131]
	s_waitcnt vmcnt(4) lgkmcnt(0)
	v_fma_f64 v[130:131], v[155:156], v[135:136], v[130:131]
	s_waitcnt vmcnt(2)
	v_fma_f64 v[130:131], v[139:140], v[137:138], v[130:131]
	s_waitcnt vmcnt(0)
	v_add_f64 v[130:131], v[141:142], -v[130:131]
	buffer_store_dword v131, off, s[0:3], 0 offset:412
	buffer_store_dword v130, off, s[0:3], 0 offset:408
	s_and_saveexec_b64 s[4:5], vcc
	s_cbranch_execz .LBB127_291
; %bb.290:
	buffer_load_dword v130, off, s[0:3], 0 offset:400
	buffer_load_dword v131, off, s[0:3], 0 offset:404
	v_mov_b32_e32 v132, 0
	buffer_store_dword v132, off, s[0:3], 0 offset:400
	buffer_store_dword v132, off, s[0:3], 0 offset:404
	s_waitcnt vmcnt(2)
	ds_write_b64 v129, v[130:131]
.LBB127_291:
	s_or_b64 exec, exec, s[4:5]
	s_waitcnt lgkmcnt(0)
	; wave barrier
	buffer_load_dword v139, off, s[0:3], 0 offset:408
	buffer_load_dword v140, off, s[0:3], 0 offset:412
	;; [unrolled: 1-line block ×21, first 2 shown]
	v_mov_b32_e32 v130, 0
	ds_read2_b64 v[131:134], v130 offset0:115 offset1:116
	ds_read2_b64 v[135:138], v130 offset0:117 offset1:118
	buffer_load_dword v156, off, s[0:3], 0 offset:492
	v_cmp_lt_u32_e32 vcc, 49, v0
	s_waitcnt vmcnt(20) lgkmcnt(1)
	v_fma_f64 v[131:132], v[139:140], v[131:132], 0
	s_waitcnt vmcnt(18)
	v_fma_f64 v[131:132], v[141:142], v[133:134], v[131:132]
	buffer_load_dword v140, off, s[0:3], 0 offset:500
	buffer_load_dword v141, off, s[0:3], 0 offset:504
	;; [unrolled: 1-line block ×4, first 2 shown]
	s_waitcnt vmcnt(20) lgkmcnt(0)
	v_fma_f64 v[131:132], v[143:144], v[135:136], v[131:132]
	buffer_load_dword v143, off, s[0:3], 0 offset:400
	buffer_load_dword v144, off, s[0:3], 0 offset:404
	s_waitcnt vmcnt(20)
	v_fma_f64 v[145:146], v[145:146], v[137:138], v[131:132]
	ds_read2_b64 v[131:134], v130 offset0:119 offset1:120
	ds_read2_b64 v[135:138], v130 offset0:121 offset1:122
	s_waitcnt vmcnt(18) lgkmcnt(1)
	v_fma_f64 v[131:132], v[147:148], v[131:132], v[145:146]
	s_waitcnt vmcnt(16)
	v_fma_f64 v[131:132], v[149:150], v[133:134], v[131:132]
	s_waitcnt vmcnt(14) lgkmcnt(0)
	v_fma_f64 v[131:132], v[151:152], v[135:136], v[131:132]
	s_waitcnt vmcnt(9)
	v_fma_f64 v[145:146], v[153:154], v[137:138], v[131:132]
	ds_read2_b64 v[131:134], v130 offset0:123 offset1:124
	ds_read2_b64 v[135:138], v130 offset0:125 offset1:126
	s_waitcnt vmcnt(8) lgkmcnt(1)
	v_fma_f64 v[131:132], v[159:160], v[131:132], v[145:146]
	s_waitcnt vmcnt(7)
	v_fma_f64 v[131:132], v[157:158], v[133:134], v[131:132]
	ds_read_b64 v[133:134], v130 offset:1016
	s_waitcnt vmcnt(6) lgkmcnt(1)
	v_fma_f64 v[131:132], v[155:156], v[135:136], v[131:132]
	s_waitcnt vmcnt(3)
	v_fma_f64 v[131:132], v[139:140], v[137:138], v[131:132]
	s_waitcnt vmcnt(2) lgkmcnt(0)
	v_fma_f64 v[131:132], v[141:142], v[133:134], v[131:132]
	s_waitcnt vmcnt(0)
	v_add_f64 v[131:132], v[143:144], -v[131:132]
	buffer_store_dword v132, off, s[0:3], 0 offset:404
	buffer_store_dword v131, off, s[0:3], 0 offset:400
	s_and_saveexec_b64 s[4:5], vcc
	s_cbranch_execz .LBB127_293
; %bb.292:
	buffer_load_dword v131, off, s[0:3], 0 offset:392
	buffer_load_dword v132, off, s[0:3], 0 offset:396
	s_waitcnt vmcnt(0)
	ds_write_b64 v129, v[131:132]
	buffer_store_dword v130, off, s[0:3], 0 offset:392
	buffer_store_dword v130, off, s[0:3], 0 offset:396
.LBB127_293:
	s_or_b64 exec, exec, s[4:5]
	s_waitcnt lgkmcnt(0)
	; wave barrier
	buffer_load_dword v139, off, s[0:3], 0 offset:400
	buffer_load_dword v140, off, s[0:3], 0 offset:404
	;; [unrolled: 1-line block ×22, first 2 shown]
	ds_read_b128 v[131:134], v130 offset:912
	ds_read_b128 v[135:138], v130 offset:928
	v_cmp_lt_u32_e32 vcc, 48, v0
	s_waitcnt vmcnt(20) lgkmcnt(1)
	v_fma_f64 v[131:132], v[139:140], v[131:132], 0
	s_waitcnt vmcnt(18)
	v_fma_f64 v[131:132], v[141:142], v[133:134], v[131:132]
	buffer_load_dword v140, off, s[0:3], 0 offset:492
	buffer_load_dword v141, off, s[0:3], 0 offset:504
	;; [unrolled: 1-line block ×6, first 2 shown]
	s_waitcnt vmcnt(22) lgkmcnt(0)
	v_fma_f64 v[131:132], v[143:144], v[135:136], v[131:132]
	s_waitcnt vmcnt(20)
	v_fma_f64 v[143:144], v[145:146], v[137:138], v[131:132]
	ds_read_b128 v[131:134], v130 offset:944
	buffer_load_dword v145, off, s[0:3], 0 offset:392
	buffer_load_dword v146, off, s[0:3], 0 offset:396
	ds_read_b128 v[135:138], v130 offset:960
	s_waitcnt vmcnt(20) lgkmcnt(1)
	v_fma_f64 v[131:132], v[147:148], v[131:132], v[143:144]
	s_waitcnt vmcnt(18)
	v_fma_f64 v[131:132], v[149:150], v[133:134], v[131:132]
	s_waitcnt vmcnt(16) lgkmcnt(0)
	v_fma_f64 v[131:132], v[151:152], v[135:136], v[131:132]
	s_waitcnt vmcnt(11)
	v_fma_f64 v[143:144], v[153:154], v[137:138], v[131:132]
	ds_read_b128 v[131:134], v130 offset:976
	ds_read_b128 v[135:138], v130 offset:992
	s_waitcnt vmcnt(10) lgkmcnt(1)
	v_fma_f64 v[131:132], v[159:160], v[131:132], v[143:144]
	s_waitcnt vmcnt(9)
	v_fma_f64 v[131:132], v[157:158], v[133:134], v[131:132]
	s_waitcnt vmcnt(8) lgkmcnt(0)
	v_fma_f64 v[131:132], v[155:156], v[135:136], v[131:132]
	s_waitcnt vmcnt(4)
	v_fma_f64 v[134:135], v[139:140], v[137:138], v[131:132]
	ds_read_b128 v[130:133], v130 offset:1008
	s_waitcnt vmcnt(3) lgkmcnt(0)
	v_fma_f64 v[130:131], v[161:162], v[130:131], v[134:135]
	s_waitcnt vmcnt(2)
	v_fma_f64 v[130:131], v[141:142], v[132:133], v[130:131]
	s_waitcnt vmcnt(0)
	v_add_f64 v[130:131], v[145:146], -v[130:131]
	buffer_store_dword v131, off, s[0:3], 0 offset:396
	buffer_store_dword v130, off, s[0:3], 0 offset:392
	s_and_saveexec_b64 s[4:5], vcc
	s_cbranch_execz .LBB127_295
; %bb.294:
	buffer_load_dword v130, off, s[0:3], 0 offset:384
	buffer_load_dword v131, off, s[0:3], 0 offset:388
	v_mov_b32_e32 v132, 0
	buffer_store_dword v132, off, s[0:3], 0 offset:384
	buffer_store_dword v132, off, s[0:3], 0 offset:388
	s_waitcnt vmcnt(2)
	ds_write_b64 v129, v[130:131]
.LBB127_295:
	s_or_b64 exec, exec, s[4:5]
	s_waitcnt lgkmcnt(0)
	; wave barrier
	buffer_load_dword v139, off, s[0:3], 0 offset:392
	buffer_load_dword v140, off, s[0:3], 0 offset:396
	;; [unrolled: 1-line block ×22, first 2 shown]
	v_mov_b32_e32 v130, 0
	ds_read2_b64 v[131:134], v130 offset0:113 offset1:114
	ds_read2_b64 v[135:138], v130 offset0:115 offset1:116
	v_cmp_lt_u32_e32 vcc, 47, v0
	s_waitcnt vmcnt(20) lgkmcnt(1)
	v_fma_f64 v[131:132], v[139:140], v[131:132], 0
	s_waitcnt vmcnt(18)
	v_fma_f64 v[131:132], v[141:142], v[133:134], v[131:132]
	buffer_load_dword v140, off, s[0:3], 0 offset:484
	buffer_load_dword v141, off, s[0:3], 0 offset:504
	;; [unrolled: 1-line block ×8, first 2 shown]
	s_waitcnt vmcnt(24) lgkmcnt(0)
	v_fma_f64 v[131:132], v[143:144], v[135:136], v[131:132]
	s_waitcnt vmcnt(22)
	v_fma_f64 v[143:144], v[145:146], v[137:138], v[131:132]
	ds_read2_b64 v[131:134], v130 offset0:117 offset1:118
	ds_read2_b64 v[135:138], v130 offset0:119 offset1:120
	s_waitcnt vmcnt(20) lgkmcnt(1)
	v_fma_f64 v[131:132], v[147:148], v[131:132], v[143:144]
	buffer_load_dword v143, off, s[0:3], 0 offset:384
	buffer_load_dword v144, off, s[0:3], 0 offset:388
	s_waitcnt vmcnt(20)
	v_fma_f64 v[131:132], v[149:150], v[133:134], v[131:132]
	s_waitcnt vmcnt(18) lgkmcnt(0)
	v_fma_f64 v[131:132], v[151:152], v[135:136], v[131:132]
	s_waitcnt vmcnt(13)
	v_fma_f64 v[145:146], v[153:154], v[137:138], v[131:132]
	ds_read2_b64 v[131:134], v130 offset0:121 offset1:122
	ds_read2_b64 v[135:138], v130 offset0:123 offset1:124
	s_waitcnt vmcnt(12) lgkmcnt(1)
	v_fma_f64 v[131:132], v[159:160], v[131:132], v[145:146]
	s_waitcnt vmcnt(11)
	v_fma_f64 v[131:132], v[157:158], v[133:134], v[131:132]
	s_waitcnt vmcnt(10) lgkmcnt(0)
	v_fma_f64 v[131:132], v[155:156], v[135:136], v[131:132]
	s_waitcnt vmcnt(5)
	v_fma_f64 v[135:136], v[139:140], v[137:138], v[131:132]
	ds_read2_b64 v[131:134], v130 offset0:125 offset1:126
	ds_read_b64 v[137:138], v130 offset:1016
	s_waitcnt vmcnt(4) lgkmcnt(1)
	v_fma_f64 v[131:132], v[163:164], v[131:132], v[135:136]
	s_waitcnt vmcnt(3)
	v_fma_f64 v[131:132], v[161:162], v[133:134], v[131:132]
	s_waitcnt vmcnt(2) lgkmcnt(0)
	v_fma_f64 v[131:132], v[141:142], v[137:138], v[131:132]
	s_waitcnt vmcnt(0)
	v_add_f64 v[131:132], v[143:144], -v[131:132]
	buffer_store_dword v132, off, s[0:3], 0 offset:388
	buffer_store_dword v131, off, s[0:3], 0 offset:384
	s_and_saveexec_b64 s[4:5], vcc
	s_cbranch_execz .LBB127_297
; %bb.296:
	buffer_load_dword v131, off, s[0:3], 0 offset:376
	buffer_load_dword v132, off, s[0:3], 0 offset:380
	s_waitcnt vmcnt(0)
	ds_write_b64 v129, v[131:132]
	buffer_store_dword v130, off, s[0:3], 0 offset:376
	buffer_store_dword v130, off, s[0:3], 0 offset:380
.LBB127_297:
	s_or_b64 exec, exec, s[4:5]
	s_waitcnt lgkmcnt(0)
	; wave barrier
	buffer_load_dword v139, off, s[0:3], 0 offset:384
	buffer_load_dword v140, off, s[0:3], 0 offset:388
	;; [unrolled: 1-line block ×22, first 2 shown]
	ds_read_b128 v[131:134], v130 offset:896
	ds_read_b128 v[135:138], v130 offset:912
	v_cmp_lt_u32_e32 vcc, 46, v0
	s_waitcnt vmcnt(20) lgkmcnt(1)
	v_fma_f64 v[131:132], v[139:140], v[131:132], 0
	s_waitcnt vmcnt(18)
	v_fma_f64 v[131:132], v[141:142], v[133:134], v[131:132]
	buffer_load_dword v140, off, s[0:3], 0 offset:476
	buffer_load_dword v141, off, s[0:3], 0 offset:496
	;; [unrolled: 1-line block ×8, first 2 shown]
	s_waitcnt vmcnt(24) lgkmcnt(0)
	v_fma_f64 v[131:132], v[143:144], v[135:136], v[131:132]
	s_waitcnt vmcnt(22)
	v_fma_f64 v[143:144], v[145:146], v[137:138], v[131:132]
	ds_read_b128 v[131:134], v130 offset:928
	ds_read_b128 v[135:138], v130 offset:944
	s_waitcnt vmcnt(20) lgkmcnt(1)
	v_fma_f64 v[131:132], v[147:148], v[131:132], v[143:144]
	buffer_load_dword v144, off, s[0:3], 0 offset:508
	buffer_load_dword v143, off, s[0:3], 0 offset:504
	;; [unrolled: 1-line block ×4, first 2 shown]
	s_waitcnt vmcnt(22)
	v_fma_f64 v[131:132], v[149:150], v[133:134], v[131:132]
	s_waitcnt vmcnt(20) lgkmcnt(0)
	v_fma_f64 v[131:132], v[151:152], v[135:136], v[131:132]
	s_waitcnt vmcnt(15)
	v_fma_f64 v[147:148], v[153:154], v[137:138], v[131:132]
	ds_read_b128 v[131:134], v130 offset:960
	ds_read_b128 v[135:138], v130 offset:976
	s_waitcnt vmcnt(14) lgkmcnt(1)
	v_fma_f64 v[131:132], v[159:160], v[131:132], v[147:148]
	s_waitcnt vmcnt(13)
	v_fma_f64 v[131:132], v[157:158], v[133:134], v[131:132]
	s_waitcnt vmcnt(12) lgkmcnt(0)
	v_fma_f64 v[131:132], v[155:156], v[135:136], v[131:132]
	s_waitcnt vmcnt(7)
	v_fma_f64 v[139:140], v[139:140], v[137:138], v[131:132]
	ds_read_b128 v[131:134], v130 offset:992
	ds_read_b128 v[135:138], v130 offset:1008
	s_waitcnt vmcnt(6) lgkmcnt(1)
	v_fma_f64 v[130:131], v[163:164], v[131:132], v[139:140]
	s_waitcnt vmcnt(5)
	v_fma_f64 v[130:131], v[161:162], v[133:134], v[130:131]
	s_waitcnt vmcnt(4) lgkmcnt(0)
	v_fma_f64 v[130:131], v[141:142], v[135:136], v[130:131]
	s_waitcnt vmcnt(2)
	v_fma_f64 v[130:131], v[143:144], v[137:138], v[130:131]
	s_waitcnt vmcnt(0)
	v_add_f64 v[130:131], v[145:146], -v[130:131]
	buffer_store_dword v131, off, s[0:3], 0 offset:380
	buffer_store_dword v130, off, s[0:3], 0 offset:376
	s_and_saveexec_b64 s[4:5], vcc
	s_cbranch_execz .LBB127_299
; %bb.298:
	buffer_load_dword v130, off, s[0:3], 0 offset:368
	buffer_load_dword v131, off, s[0:3], 0 offset:372
	v_mov_b32_e32 v132, 0
	buffer_store_dword v132, off, s[0:3], 0 offset:368
	buffer_store_dword v132, off, s[0:3], 0 offset:372
	s_waitcnt vmcnt(2)
	ds_write_b64 v129, v[130:131]
.LBB127_299:
	s_or_b64 exec, exec, s[4:5]
	s_waitcnt lgkmcnt(0)
	; wave barrier
	buffer_load_dword v139, off, s[0:3], 0 offset:376
	buffer_load_dword v140, off, s[0:3], 0 offset:380
	;; [unrolled: 1-line block ×22, first 2 shown]
	v_mov_b32_e32 v130, 0
	ds_read2_b64 v[131:134], v130 offset0:111 offset1:112
	ds_read2_b64 v[135:138], v130 offset0:113 offset1:114
	v_cmp_lt_u32_e32 vcc, 45, v0
	s_waitcnt vmcnt(20) lgkmcnt(1)
	v_fma_f64 v[131:132], v[139:140], v[131:132], 0
	s_waitcnt vmcnt(18)
	v_fma_f64 v[131:132], v[141:142], v[133:134], v[131:132]
	buffer_load_dword v140, off, s[0:3], 0 offset:468
	buffer_load_dword v141, off, s[0:3], 0 offset:488
	;; [unrolled: 1-line block ×7, first 2 shown]
	s_waitcnt vmcnt(23) lgkmcnt(0)
	v_fma_f64 v[131:132], v[143:144], v[135:136], v[131:132]
	s_waitcnt vmcnt(21)
	v_fma_f64 v[142:143], v[145:146], v[137:138], v[131:132]
	ds_read2_b64 v[131:134], v130 offset0:115 offset1:116
	ds_read2_b64 v[135:138], v130 offset0:117 offset1:118
	s_waitcnt vmcnt(19) lgkmcnt(1)
	v_fma_f64 v[131:132], v[147:148], v[131:132], v[142:143]
	buffer_load_dword v142, off, s[0:3], 0 offset:492
	buffer_load_dword v144, off, s[0:3], 0 offset:500
	;; [unrolled: 1-line block ×7, first 2 shown]
	s_waitcnt vmcnt(24)
	v_fma_f64 v[131:132], v[149:150], v[133:134], v[131:132]
	s_waitcnt vmcnt(22) lgkmcnt(0)
	v_fma_f64 v[131:132], v[151:152], v[135:136], v[131:132]
	s_waitcnt vmcnt(17)
	v_fma_f64 v[149:150], v[153:154], v[137:138], v[131:132]
	ds_read2_b64 v[131:134], v130 offset0:119 offset1:120
	ds_read2_b64 v[135:138], v130 offset0:121 offset1:122
	s_waitcnt vmcnt(16) lgkmcnt(1)
	v_fma_f64 v[131:132], v[159:160], v[131:132], v[149:150]
	s_waitcnt vmcnt(15)
	v_fma_f64 v[131:132], v[157:158], v[133:134], v[131:132]
	s_waitcnt vmcnt(14) lgkmcnt(0)
	v_fma_f64 v[131:132], v[155:156], v[135:136], v[131:132]
	s_waitcnt vmcnt(9)
	v_fma_f64 v[139:140], v[139:140], v[137:138], v[131:132]
	ds_read2_b64 v[131:134], v130 offset0:123 offset1:124
	ds_read2_b64 v[135:138], v130 offset0:125 offset1:126
	s_waitcnt vmcnt(8) lgkmcnt(1)
	v_fma_f64 v[131:132], v[163:164], v[131:132], v[139:140]
	s_waitcnt vmcnt(7)
	v_fma_f64 v[131:132], v[161:162], v[133:134], v[131:132]
	ds_read_b64 v[133:134], v130 offset:1016
	s_waitcnt vmcnt(6) lgkmcnt(1)
	v_fma_f64 v[131:132], v[141:142], v[135:136], v[131:132]
	s_waitcnt vmcnt(3)
	v_fma_f64 v[131:132], v[143:144], v[137:138], v[131:132]
	s_waitcnt vmcnt(2) lgkmcnt(0)
	v_fma_f64 v[131:132], v[145:146], v[133:134], v[131:132]
	s_waitcnt vmcnt(0)
	v_add_f64 v[131:132], v[147:148], -v[131:132]
	buffer_store_dword v132, off, s[0:3], 0 offset:372
	buffer_store_dword v131, off, s[0:3], 0 offset:368
	s_and_saveexec_b64 s[4:5], vcc
	s_cbranch_execz .LBB127_301
; %bb.300:
	buffer_load_dword v131, off, s[0:3], 0 offset:360
	buffer_load_dword v132, off, s[0:3], 0 offset:364
	s_waitcnt vmcnt(0)
	ds_write_b64 v129, v[131:132]
	buffer_store_dword v130, off, s[0:3], 0 offset:360
	buffer_store_dword v130, off, s[0:3], 0 offset:364
.LBB127_301:
	s_or_b64 exec, exec, s[4:5]
	s_waitcnt lgkmcnt(0)
	; wave barrier
	buffer_load_dword v139, off, s[0:3], 0 offset:368
	buffer_load_dword v140, off, s[0:3], 0 offset:372
	buffer_load_dword v141, off, s[0:3], 0 offset:376
	buffer_load_dword v142, off, s[0:3], 0 offset:380
	buffer_load_dword v143, off, s[0:3], 0 offset:384
	buffer_load_dword v144, off, s[0:3], 0 offset:388
	buffer_load_dword v145, off, s[0:3], 0 offset:392
	buffer_load_dword v146, off, s[0:3], 0 offset:396
	buffer_load_dword v147, off, s[0:3], 0 offset:400
	buffer_load_dword v148, off, s[0:3], 0 offset:404
	buffer_load_dword v149, off, s[0:3], 0 offset:408
	buffer_load_dword v150, off, s[0:3], 0 offset:412
	buffer_load_dword v151, off, s[0:3], 0 offset:416
	buffer_load_dword v152, off, s[0:3], 0 offset:420
	buffer_load_dword v154, off, s[0:3], 0 offset:428
	buffer_load_dword v155, off, s[0:3], 0 offset:448
	buffer_load_dword v157, off, s[0:3], 0 offset:440
	buffer_load_dword v159, off, s[0:3], 0 offset:432
	buffer_load_dword v153, off, s[0:3], 0 offset:424
	buffer_load_dword v160, off, s[0:3], 0 offset:436
	buffer_load_dword v158, off, s[0:3], 0 offset:444
	buffer_load_dword v156, off, s[0:3], 0 offset:452
	ds_read_b128 v[131:134], v130 offset:880
	ds_read_b128 v[135:138], v130 offset:896
	v_cmp_lt_u32_e32 vcc, 44, v0
	s_waitcnt vmcnt(20) lgkmcnt(1)
	v_fma_f64 v[131:132], v[139:140], v[131:132], 0
	s_waitcnt vmcnt(18)
	v_fma_f64 v[131:132], v[141:142], v[133:134], v[131:132]
	buffer_load_dword v140, off, s[0:3], 0 offset:460
	buffer_load_dword v141, off, s[0:3], 0 offset:480
	;; [unrolled: 1-line block ×7, first 2 shown]
	s_waitcnt vmcnt(23) lgkmcnt(0)
	v_fma_f64 v[131:132], v[143:144], v[135:136], v[131:132]
	s_waitcnt vmcnt(21)
	v_fma_f64 v[142:143], v[145:146], v[137:138], v[131:132]
	ds_read_b128 v[131:134], v130 offset:912
	ds_read_b128 v[135:138], v130 offset:928
	s_waitcnt vmcnt(19) lgkmcnt(1)
	v_fma_f64 v[131:132], v[147:148], v[131:132], v[142:143]
	buffer_load_dword v142, off, s[0:3], 0 offset:484
	buffer_load_dword v144, off, s[0:3], 0 offset:492
	;; [unrolled: 1-line block ×7, first 2 shown]
	s_waitcnt vmcnt(24)
	v_fma_f64 v[131:132], v[149:150], v[133:134], v[131:132]
	s_waitcnt vmcnt(22) lgkmcnt(0)
	v_fma_f64 v[131:132], v[151:152], v[135:136], v[131:132]
	s_waitcnt vmcnt(17)
	v_fma_f64 v[149:150], v[153:154], v[137:138], v[131:132]
	ds_read_b128 v[131:134], v130 offset:944
	buffer_load_dword v151, off, s[0:3], 0 offset:360
	buffer_load_dword v152, off, s[0:3], 0 offset:364
	ds_read_b128 v[135:138], v130 offset:960
	s_waitcnt vmcnt(18) lgkmcnt(1)
	v_fma_f64 v[131:132], v[159:160], v[131:132], v[149:150]
	s_waitcnt vmcnt(17)
	v_fma_f64 v[131:132], v[157:158], v[133:134], v[131:132]
	s_waitcnt vmcnt(16) lgkmcnt(0)
	v_fma_f64 v[131:132], v[155:156], v[135:136], v[131:132]
	s_waitcnt vmcnt(11)
	v_fma_f64 v[139:140], v[139:140], v[137:138], v[131:132]
	ds_read_b128 v[131:134], v130 offset:976
	ds_read_b128 v[135:138], v130 offset:992
	s_waitcnt vmcnt(10) lgkmcnt(1)
	v_fma_f64 v[131:132], v[163:164], v[131:132], v[139:140]
	s_waitcnt vmcnt(9)
	v_fma_f64 v[131:132], v[161:162], v[133:134], v[131:132]
	s_waitcnt vmcnt(8) lgkmcnt(0)
	v_fma_f64 v[131:132], v[141:142], v[135:136], v[131:132]
	s_waitcnt vmcnt(4)
	v_fma_f64 v[134:135], v[143:144], v[137:138], v[131:132]
	ds_read_b128 v[130:133], v130 offset:1008
	s_waitcnt vmcnt(3) lgkmcnt(0)
	v_fma_f64 v[130:131], v[147:148], v[130:131], v[134:135]
	s_waitcnt vmcnt(2)
	v_fma_f64 v[130:131], v[145:146], v[132:133], v[130:131]
	s_waitcnt vmcnt(0)
	v_add_f64 v[130:131], v[151:152], -v[130:131]
	buffer_store_dword v131, off, s[0:3], 0 offset:364
	buffer_store_dword v130, off, s[0:3], 0 offset:360
	s_and_saveexec_b64 s[4:5], vcc
	s_cbranch_execz .LBB127_303
; %bb.302:
	buffer_load_dword v130, off, s[0:3], 0 offset:352
	buffer_load_dword v131, off, s[0:3], 0 offset:356
	v_mov_b32_e32 v132, 0
	buffer_store_dword v132, off, s[0:3], 0 offset:352
	buffer_store_dword v132, off, s[0:3], 0 offset:356
	s_waitcnt vmcnt(2)
	ds_write_b64 v129, v[130:131]
.LBB127_303:
	s_or_b64 exec, exec, s[4:5]
	s_waitcnt lgkmcnt(0)
	; wave barrier
	buffer_load_dword v139, off, s[0:3], 0 offset:360
	buffer_load_dword v140, off, s[0:3], 0 offset:364
	;; [unrolled: 1-line block ×22, first 2 shown]
	v_mov_b32_e32 v130, 0
	ds_read2_b64 v[131:134], v130 offset0:109 offset1:110
	ds_read2_b64 v[135:138], v130 offset0:111 offset1:112
	v_cmp_lt_u32_e32 vcc, 43, v0
	s_waitcnt vmcnt(20) lgkmcnt(1)
	v_fma_f64 v[131:132], v[139:140], v[131:132], 0
	s_waitcnt vmcnt(18)
	v_fma_f64 v[131:132], v[141:142], v[133:134], v[131:132]
	buffer_load_dword v140, off, s[0:3], 0 offset:452
	buffer_load_dword v141, off, s[0:3], 0 offset:472
	;; [unrolled: 1-line block ×7, first 2 shown]
	s_waitcnt vmcnt(23) lgkmcnt(0)
	v_fma_f64 v[131:132], v[143:144], v[135:136], v[131:132]
	s_waitcnt vmcnt(21)
	v_fma_f64 v[142:143], v[145:146], v[137:138], v[131:132]
	ds_read2_b64 v[131:134], v130 offset0:113 offset1:114
	ds_read2_b64 v[135:138], v130 offset0:115 offset1:116
	s_waitcnt vmcnt(19) lgkmcnt(1)
	v_fma_f64 v[131:132], v[147:148], v[131:132], v[142:143]
	buffer_load_dword v142, off, s[0:3], 0 offset:476
	s_waitcnt vmcnt(18)
	v_fma_f64 v[131:132], v[149:150], v[133:134], v[131:132]
	buffer_load_dword v144, off, s[0:3], 0 offset:484
	buffer_load_dword v145, off, s[0:3], 0 offset:504
	;; [unrolled: 1-line block ×8, first 2 shown]
	s_waitcnt vmcnt(24) lgkmcnt(0)
	v_fma_f64 v[131:132], v[151:152], v[135:136], v[131:132]
	s_waitcnt vmcnt(19)
	v_fma_f64 v[151:152], v[153:154], v[137:138], v[131:132]
	ds_read2_b64 v[131:134], v130 offset0:117 offset1:118
	ds_read2_b64 v[135:138], v130 offset0:119 offset1:120
	s_waitcnt vmcnt(18) lgkmcnt(1)
	v_fma_f64 v[131:132], v[159:160], v[131:132], v[151:152]
	buffer_load_dword v151, off, s[0:3], 0 offset:352
	buffer_load_dword v152, off, s[0:3], 0 offset:356
	s_waitcnt vmcnt(19)
	v_fma_f64 v[131:132], v[157:158], v[133:134], v[131:132]
	s_waitcnt vmcnt(18) lgkmcnt(0)
	v_fma_f64 v[131:132], v[155:156], v[135:136], v[131:132]
	s_waitcnt vmcnt(13)
	v_fma_f64 v[139:140], v[139:140], v[137:138], v[131:132]
	ds_read2_b64 v[131:134], v130 offset0:121 offset1:122
	ds_read2_b64 v[135:138], v130 offset0:123 offset1:124
	s_waitcnt vmcnt(12) lgkmcnt(1)
	v_fma_f64 v[131:132], v[163:164], v[131:132], v[139:140]
	s_waitcnt vmcnt(11)
	v_fma_f64 v[131:132], v[161:162], v[133:134], v[131:132]
	s_waitcnt vmcnt(10) lgkmcnt(0)
	v_fma_f64 v[131:132], v[141:142], v[135:136], v[131:132]
	s_waitcnt vmcnt(5)
	v_fma_f64 v[135:136], v[143:144], v[137:138], v[131:132]
	ds_read2_b64 v[131:134], v130 offset0:125 offset1:126
	ds_read_b64 v[137:138], v130 offset:1016
	s_waitcnt vmcnt(4) lgkmcnt(1)
	v_fma_f64 v[131:132], v[149:150], v[131:132], v[135:136]
	s_waitcnt vmcnt(3)
	v_fma_f64 v[131:132], v[147:148], v[133:134], v[131:132]
	s_waitcnt vmcnt(2) lgkmcnt(0)
	v_fma_f64 v[131:132], v[145:146], v[137:138], v[131:132]
	s_waitcnt vmcnt(0)
	v_add_f64 v[131:132], v[151:152], -v[131:132]
	buffer_store_dword v132, off, s[0:3], 0 offset:356
	buffer_store_dword v131, off, s[0:3], 0 offset:352
	s_and_saveexec_b64 s[4:5], vcc
	s_cbranch_execz .LBB127_305
; %bb.304:
	buffer_load_dword v131, off, s[0:3], 0 offset:344
	buffer_load_dword v132, off, s[0:3], 0 offset:348
	s_waitcnt vmcnt(0)
	ds_write_b64 v129, v[131:132]
	buffer_store_dword v130, off, s[0:3], 0 offset:344
	buffer_store_dword v130, off, s[0:3], 0 offset:348
.LBB127_305:
	s_or_b64 exec, exec, s[4:5]
	s_waitcnt lgkmcnt(0)
	; wave barrier
	buffer_load_dword v139, off, s[0:3], 0 offset:352
	buffer_load_dword v140, off, s[0:3], 0 offset:356
	;; [unrolled: 1-line block ×22, first 2 shown]
	ds_read_b128 v[131:134], v130 offset:864
	ds_read_b128 v[135:138], v130 offset:880
	v_cmp_lt_u32_e32 vcc, 42, v0
	s_waitcnt vmcnt(20) lgkmcnt(1)
	v_fma_f64 v[131:132], v[139:140], v[131:132], 0
	s_waitcnt vmcnt(18)
	v_fma_f64 v[131:132], v[141:142], v[133:134], v[131:132]
	buffer_load_dword v140, off, s[0:3], 0 offset:444
	buffer_load_dword v141, off, s[0:3], 0 offset:464
	;; [unrolled: 1-line block ×7, first 2 shown]
	s_waitcnt vmcnt(23) lgkmcnt(0)
	v_fma_f64 v[131:132], v[143:144], v[135:136], v[131:132]
	s_waitcnt vmcnt(21)
	v_fma_f64 v[142:143], v[145:146], v[137:138], v[131:132]
	ds_read_b128 v[131:134], v130 offset:896
	ds_read_b128 v[135:138], v130 offset:912
	s_waitcnt vmcnt(19) lgkmcnt(1)
	v_fma_f64 v[131:132], v[147:148], v[131:132], v[142:143]
	buffer_load_dword v142, off, s[0:3], 0 offset:468
	s_waitcnt vmcnt(18)
	v_fma_f64 v[131:132], v[149:150], v[133:134], v[131:132]
	buffer_load_dword v144, off, s[0:3], 0 offset:476
	buffer_load_dword v145, off, s[0:3], 0 offset:496
	;; [unrolled: 1-line block ×8, first 2 shown]
	s_waitcnt vmcnt(24) lgkmcnt(0)
	v_fma_f64 v[131:132], v[151:152], v[135:136], v[131:132]
	s_waitcnt vmcnt(19)
	v_fma_f64 v[151:152], v[153:154], v[137:138], v[131:132]
	ds_read_b128 v[131:134], v130 offset:928
	ds_read_b128 v[135:138], v130 offset:944
	s_waitcnt vmcnt(18) lgkmcnt(1)
	v_fma_f64 v[131:132], v[159:160], v[131:132], v[151:152]
	buffer_load_dword v152, off, s[0:3], 0 offset:508
	buffer_load_dword v151, off, s[0:3], 0 offset:504
	;; [unrolled: 1-line block ×4, first 2 shown]
	s_waitcnt vmcnt(21)
	v_fma_f64 v[131:132], v[157:158], v[133:134], v[131:132]
	s_waitcnt vmcnt(20) lgkmcnt(0)
	v_fma_f64 v[131:132], v[155:156], v[135:136], v[131:132]
	s_waitcnt vmcnt(15)
	v_fma_f64 v[139:140], v[139:140], v[137:138], v[131:132]
	ds_read_b128 v[131:134], v130 offset:960
	ds_read_b128 v[135:138], v130 offset:976
	s_waitcnt vmcnt(14) lgkmcnt(1)
	v_fma_f64 v[131:132], v[163:164], v[131:132], v[139:140]
	s_waitcnt vmcnt(13)
	v_fma_f64 v[131:132], v[161:162], v[133:134], v[131:132]
	s_waitcnt vmcnt(12) lgkmcnt(0)
	v_fma_f64 v[131:132], v[141:142], v[135:136], v[131:132]
	s_waitcnt vmcnt(7)
	v_fma_f64 v[139:140], v[143:144], v[137:138], v[131:132]
	ds_read_b128 v[131:134], v130 offset:992
	ds_read_b128 v[135:138], v130 offset:1008
	s_waitcnt vmcnt(6) lgkmcnt(1)
	v_fma_f64 v[130:131], v[149:150], v[131:132], v[139:140]
	s_waitcnt vmcnt(5)
	v_fma_f64 v[130:131], v[147:148], v[133:134], v[130:131]
	s_waitcnt vmcnt(4) lgkmcnt(0)
	v_fma_f64 v[130:131], v[145:146], v[135:136], v[130:131]
	s_waitcnt vmcnt(2)
	v_fma_f64 v[130:131], v[151:152], v[137:138], v[130:131]
	s_waitcnt vmcnt(0)
	v_add_f64 v[130:131], v[153:154], -v[130:131]
	buffer_store_dword v131, off, s[0:3], 0 offset:348
	buffer_store_dword v130, off, s[0:3], 0 offset:344
	s_and_saveexec_b64 s[4:5], vcc
	s_cbranch_execz .LBB127_307
; %bb.306:
	buffer_load_dword v130, off, s[0:3], 0 offset:336
	buffer_load_dword v131, off, s[0:3], 0 offset:340
	v_mov_b32_e32 v132, 0
	buffer_store_dword v132, off, s[0:3], 0 offset:336
	buffer_store_dword v132, off, s[0:3], 0 offset:340
	s_waitcnt vmcnt(2)
	ds_write_b64 v129, v[130:131]
.LBB127_307:
	s_or_b64 exec, exec, s[4:5]
	s_waitcnt lgkmcnt(0)
	; wave barrier
	buffer_load_dword v139, off, s[0:3], 0 offset:344
	buffer_load_dword v140, off, s[0:3], 0 offset:348
	;; [unrolled: 1-line block ×21, first 2 shown]
	v_mov_b32_e32 v130, 0
	ds_read2_b64 v[131:134], v130 offset0:107 offset1:108
	ds_read2_b64 v[135:138], v130 offset0:109 offset1:110
	buffer_load_dword v156, off, s[0:3], 0 offset:428
	v_cmp_lt_u32_e32 vcc, 41, v0
	s_waitcnt vmcnt(20) lgkmcnt(1)
	v_fma_f64 v[131:132], v[139:140], v[131:132], 0
	s_waitcnt vmcnt(18)
	v_fma_f64 v[131:132], v[141:142], v[133:134], v[131:132]
	buffer_load_dword v140, off, s[0:3], 0 offset:436
	buffer_load_dword v141, off, s[0:3], 0 offset:456
	;; [unrolled: 1-line block ×7, first 2 shown]
	s_waitcnt vmcnt(23) lgkmcnt(0)
	v_fma_f64 v[131:132], v[143:144], v[135:136], v[131:132]
	s_waitcnt vmcnt(21)
	v_fma_f64 v[142:143], v[145:146], v[137:138], v[131:132]
	ds_read2_b64 v[131:134], v130 offset0:111 offset1:112
	ds_read2_b64 v[135:138], v130 offset0:113 offset1:114
	s_waitcnt vmcnt(19) lgkmcnt(1)
	v_fma_f64 v[131:132], v[147:148], v[131:132], v[142:143]
	buffer_load_dword v142, off, s[0:3], 0 offset:460
	s_waitcnt vmcnt(18)
	v_fma_f64 v[131:132], v[149:150], v[133:134], v[131:132]
	buffer_load_dword v144, off, s[0:3], 0 offset:468
	buffer_load_dword v145, off, s[0:3], 0 offset:488
	buffer_load_dword v147, off, s[0:3], 0 offset:480
	buffer_load_dword v149, off, s[0:3], 0 offset:472
	buffer_load_dword v143, off, s[0:3], 0 offset:464
	buffer_load_dword v150, off, s[0:3], 0 offset:476
	buffer_load_dword v148, off, s[0:3], 0 offset:484
	s_waitcnt vmcnt(23) lgkmcnt(0)
	v_fma_f64 v[131:132], v[151:152], v[135:136], v[131:132]
	s_waitcnt vmcnt(18)
	v_fma_f64 v[151:152], v[153:154], v[137:138], v[131:132]
	ds_read2_b64 v[131:134], v130 offset0:115 offset1:116
	ds_read2_b64 v[135:138], v130 offset0:117 offset1:118
	buffer_load_dword v146, off, s[0:3], 0 offset:492
	s_waitcnt vmcnt(18) lgkmcnt(1)
	v_fma_f64 v[131:132], v[159:160], v[131:132], v[151:152]
	buffer_load_dword v152, off, s[0:3], 0 offset:500
	buffer_load_dword v153, off, s[0:3], 0 offset:504
	;; [unrolled: 1-line block ×4, first 2 shown]
	s_waitcnt vmcnt(21)
	v_fma_f64 v[131:132], v[157:158], v[133:134], v[131:132]
	s_waitcnt vmcnt(20) lgkmcnt(0)
	v_fma_f64 v[131:132], v[155:156], v[135:136], v[131:132]
	buffer_load_dword v155, off, s[0:3], 0 offset:336
	buffer_load_dword v156, off, s[0:3], 0 offset:340
	s_waitcnt vmcnt(17)
	v_fma_f64 v[139:140], v[139:140], v[137:138], v[131:132]
	ds_read2_b64 v[131:134], v130 offset0:119 offset1:120
	ds_read2_b64 v[135:138], v130 offset0:121 offset1:122
	s_waitcnt vmcnt(16) lgkmcnt(1)
	v_fma_f64 v[131:132], v[163:164], v[131:132], v[139:140]
	s_waitcnt vmcnt(15)
	v_fma_f64 v[131:132], v[161:162], v[133:134], v[131:132]
	s_waitcnt vmcnt(14) lgkmcnt(0)
	v_fma_f64 v[131:132], v[141:142], v[135:136], v[131:132]
	s_waitcnt vmcnt(9)
	v_fma_f64 v[139:140], v[143:144], v[137:138], v[131:132]
	ds_read2_b64 v[131:134], v130 offset0:123 offset1:124
	ds_read2_b64 v[135:138], v130 offset0:125 offset1:126
	s_waitcnt vmcnt(8) lgkmcnt(1)
	v_fma_f64 v[131:132], v[149:150], v[131:132], v[139:140]
	s_waitcnt vmcnt(7)
	v_fma_f64 v[131:132], v[147:148], v[133:134], v[131:132]
	ds_read_b64 v[133:134], v130 offset:1016
	s_waitcnt vmcnt(6) lgkmcnt(1)
	v_fma_f64 v[131:132], v[145:146], v[135:136], v[131:132]
	s_waitcnt vmcnt(3)
	v_fma_f64 v[131:132], v[151:152], v[137:138], v[131:132]
	s_waitcnt vmcnt(2) lgkmcnt(0)
	v_fma_f64 v[131:132], v[153:154], v[133:134], v[131:132]
	s_waitcnt vmcnt(0)
	v_add_f64 v[131:132], v[155:156], -v[131:132]
	buffer_store_dword v132, off, s[0:3], 0 offset:340
	buffer_store_dword v131, off, s[0:3], 0 offset:336
	s_and_saveexec_b64 s[4:5], vcc
	s_cbranch_execz .LBB127_309
; %bb.308:
	buffer_load_dword v131, off, s[0:3], 0 offset:328
	buffer_load_dword v132, off, s[0:3], 0 offset:332
	s_waitcnt vmcnt(0)
	ds_write_b64 v129, v[131:132]
	buffer_store_dword v130, off, s[0:3], 0 offset:328
	buffer_store_dword v130, off, s[0:3], 0 offset:332
.LBB127_309:
	s_or_b64 exec, exec, s[4:5]
	s_waitcnt lgkmcnt(0)
	; wave barrier
	buffer_load_dword v139, off, s[0:3], 0 offset:336
	buffer_load_dword v140, off, s[0:3], 0 offset:340
	;; [unrolled: 1-line block ×21, first 2 shown]
	ds_read_b128 v[131:134], v130 offset:848
	ds_read_b128 v[135:138], v130 offset:864
	buffer_load_dword v156, off, s[0:3], 0 offset:420
	v_cmp_lt_u32_e32 vcc, 40, v0
	s_waitcnt vmcnt(20) lgkmcnt(1)
	v_fma_f64 v[131:132], v[139:140], v[131:132], 0
	s_waitcnt vmcnt(18)
	v_fma_f64 v[131:132], v[141:142], v[133:134], v[131:132]
	buffer_load_dword v140, off, s[0:3], 0 offset:428
	buffer_load_dword v141, off, s[0:3], 0 offset:448
	buffer_load_dword v161, off, s[0:3], 0 offset:440
	buffer_load_dword v163, off, s[0:3], 0 offset:432
	buffer_load_dword v139, off, s[0:3], 0 offset:424
	buffer_load_dword v164, off, s[0:3], 0 offset:436
	buffer_load_dword v162, off, s[0:3], 0 offset:444
	s_waitcnt vmcnt(23) lgkmcnt(0)
	v_fma_f64 v[131:132], v[143:144], v[135:136], v[131:132]
	s_waitcnt vmcnt(21)
	v_fma_f64 v[142:143], v[145:146], v[137:138], v[131:132]
	ds_read_b128 v[131:134], v130 offset:880
	ds_read_b128 v[135:138], v130 offset:896
	s_waitcnt vmcnt(19) lgkmcnt(1)
	v_fma_f64 v[131:132], v[147:148], v[131:132], v[142:143]
	buffer_load_dword v142, off, s[0:3], 0 offset:452
	s_waitcnt vmcnt(18)
	v_fma_f64 v[131:132], v[149:150], v[133:134], v[131:132]
	buffer_load_dword v144, off, s[0:3], 0 offset:460
	buffer_load_dword v145, off, s[0:3], 0 offset:480
	;; [unrolled: 1-line block ×8, first 2 shown]
	s_waitcnt vmcnt(24) lgkmcnt(0)
	v_fma_f64 v[131:132], v[151:152], v[135:136], v[131:132]
	s_waitcnt vmcnt(19)
	v_fma_f64 v[151:152], v[153:154], v[137:138], v[131:132]
	ds_read_b128 v[131:134], v130 offset:912
	ds_read_b128 v[135:138], v130 offset:928
	s_waitcnt vmcnt(18) lgkmcnt(1)
	v_fma_f64 v[131:132], v[159:160], v[131:132], v[151:152]
	s_waitcnt vmcnt(17)
	v_fma_f64 v[131:132], v[157:158], v[133:134], v[131:132]
	buffer_load_dword v152, off, s[0:3], 0 offset:492
	buffer_load_dword v153, off, s[0:3], 0 offset:504
	;; [unrolled: 1-line block ×6, first 2 shown]
	s_waitcnt vmcnt(22) lgkmcnt(0)
	v_fma_f64 v[131:132], v[155:156], v[135:136], v[131:132]
	s_waitcnt vmcnt(17)
	v_fma_f64 v[139:140], v[139:140], v[137:138], v[131:132]
	ds_read_b128 v[131:134], v130 offset:944
	buffer_load_dword v155, off, s[0:3], 0 offset:328
	buffer_load_dword v156, off, s[0:3], 0 offset:332
	ds_read_b128 v[135:138], v130 offset:960
	s_waitcnt vmcnt(18) lgkmcnt(1)
	v_fma_f64 v[131:132], v[163:164], v[131:132], v[139:140]
	s_waitcnt vmcnt(17)
	v_fma_f64 v[131:132], v[161:162], v[133:134], v[131:132]
	s_waitcnt vmcnt(16) lgkmcnt(0)
	v_fma_f64 v[131:132], v[141:142], v[135:136], v[131:132]
	s_waitcnt vmcnt(11)
	v_fma_f64 v[139:140], v[143:144], v[137:138], v[131:132]
	ds_read_b128 v[131:134], v130 offset:976
	ds_read_b128 v[135:138], v130 offset:992
	s_waitcnt vmcnt(10) lgkmcnt(1)
	v_fma_f64 v[131:132], v[149:150], v[131:132], v[139:140]
	s_waitcnt vmcnt(9)
	v_fma_f64 v[131:132], v[147:148], v[133:134], v[131:132]
	s_waitcnt vmcnt(8) lgkmcnt(0)
	v_fma_f64 v[131:132], v[145:146], v[135:136], v[131:132]
	s_waitcnt vmcnt(4)
	v_fma_f64 v[134:135], v[151:152], v[137:138], v[131:132]
	ds_read_b128 v[130:133], v130 offset:1008
	s_waitcnt vmcnt(3) lgkmcnt(0)
	v_fma_f64 v[130:131], v[157:158], v[130:131], v[134:135]
	s_waitcnt vmcnt(2)
	v_fma_f64 v[130:131], v[153:154], v[132:133], v[130:131]
	s_waitcnt vmcnt(0)
	v_add_f64 v[130:131], v[155:156], -v[130:131]
	buffer_store_dword v131, off, s[0:3], 0 offset:332
	buffer_store_dword v130, off, s[0:3], 0 offset:328
	s_and_saveexec_b64 s[4:5], vcc
	s_cbranch_execz .LBB127_311
; %bb.310:
	buffer_load_dword v130, off, s[0:3], 0 offset:320
	buffer_load_dword v131, off, s[0:3], 0 offset:324
	v_mov_b32_e32 v132, 0
	buffer_store_dword v132, off, s[0:3], 0 offset:320
	buffer_store_dword v132, off, s[0:3], 0 offset:324
	s_waitcnt vmcnt(2)
	ds_write_b64 v129, v[130:131]
.LBB127_311:
	s_or_b64 exec, exec, s[4:5]
	s_waitcnt lgkmcnt(0)
	; wave barrier
	buffer_load_dword v139, off, s[0:3], 0 offset:328
	buffer_load_dword v140, off, s[0:3], 0 offset:332
	;; [unrolled: 1-line block ×21, first 2 shown]
	v_mov_b32_e32 v130, 0
	ds_read2_b64 v[131:134], v130 offset0:105 offset1:106
	ds_read2_b64 v[135:138], v130 offset0:107 offset1:108
	buffer_load_dword v156, off, s[0:3], 0 offset:412
	v_cmp_lt_u32_e32 vcc, 39, v0
	s_waitcnt vmcnt(20) lgkmcnt(1)
	v_fma_f64 v[131:132], v[139:140], v[131:132], 0
	s_waitcnt vmcnt(18)
	v_fma_f64 v[131:132], v[141:142], v[133:134], v[131:132]
	buffer_load_dword v140, off, s[0:3], 0 offset:420
	buffer_load_dword v141, off, s[0:3], 0 offset:440
	;; [unrolled: 1-line block ×7, first 2 shown]
	s_waitcnt vmcnt(23) lgkmcnt(0)
	v_fma_f64 v[131:132], v[143:144], v[135:136], v[131:132]
	s_waitcnt vmcnt(21)
	v_fma_f64 v[142:143], v[145:146], v[137:138], v[131:132]
	ds_read2_b64 v[131:134], v130 offset0:109 offset1:110
	ds_read2_b64 v[135:138], v130 offset0:111 offset1:112
	s_waitcnt vmcnt(19) lgkmcnt(1)
	v_fma_f64 v[131:132], v[147:148], v[131:132], v[142:143]
	buffer_load_dword v142, off, s[0:3], 0 offset:444
	s_waitcnt vmcnt(18)
	v_fma_f64 v[131:132], v[149:150], v[133:134], v[131:132]
	buffer_load_dword v144, off, s[0:3], 0 offset:452
	buffer_load_dword v145, off, s[0:3], 0 offset:472
	;; [unrolled: 1-line block ×8, first 2 shown]
	s_waitcnt vmcnt(24) lgkmcnt(0)
	v_fma_f64 v[131:132], v[151:152], v[135:136], v[131:132]
	s_waitcnt vmcnt(19)
	v_fma_f64 v[151:152], v[153:154], v[137:138], v[131:132]
	ds_read2_b64 v[131:134], v130 offset0:113 offset1:114
	ds_read2_b64 v[135:138], v130 offset0:115 offset1:116
	s_waitcnt vmcnt(18) lgkmcnt(1)
	v_fma_f64 v[131:132], v[159:160], v[131:132], v[151:152]
	s_waitcnt vmcnt(17)
	v_fma_f64 v[131:132], v[157:158], v[133:134], v[131:132]
	buffer_load_dword v152, off, s[0:3], 0 offset:484
	buffer_load_dword v153, off, s[0:3], 0 offset:504
	;; [unrolled: 1-line block ×8, first 2 shown]
	s_waitcnt vmcnt(24) lgkmcnt(0)
	v_fma_f64 v[131:132], v[155:156], v[135:136], v[131:132]
	s_waitcnt vmcnt(19)
	v_fma_f64 v[139:140], v[139:140], v[137:138], v[131:132]
	ds_read2_b64 v[131:134], v130 offset0:117 offset1:118
	ds_read2_b64 v[135:138], v130 offset0:119 offset1:120
	s_waitcnt vmcnt(18) lgkmcnt(1)
	v_fma_f64 v[131:132], v[163:164], v[131:132], v[139:140]
	buffer_load_dword v139, off, s[0:3], 0 offset:320
	buffer_load_dword v140, off, s[0:3], 0 offset:324
	s_waitcnt vmcnt(19)
	v_fma_f64 v[131:132], v[161:162], v[133:134], v[131:132]
	s_waitcnt vmcnt(18) lgkmcnt(0)
	v_fma_f64 v[131:132], v[141:142], v[135:136], v[131:132]
	s_waitcnt vmcnt(13)
	v_fma_f64 v[141:142], v[143:144], v[137:138], v[131:132]
	ds_read2_b64 v[131:134], v130 offset0:121 offset1:122
	ds_read2_b64 v[135:138], v130 offset0:123 offset1:124
	s_waitcnt vmcnt(12) lgkmcnt(1)
	v_fma_f64 v[131:132], v[149:150], v[131:132], v[141:142]
	s_waitcnt vmcnt(11)
	v_fma_f64 v[131:132], v[147:148], v[133:134], v[131:132]
	s_waitcnt vmcnt(10) lgkmcnt(0)
	v_fma_f64 v[131:132], v[145:146], v[135:136], v[131:132]
	s_waitcnt vmcnt(5)
	v_fma_f64 v[135:136], v[151:152], v[137:138], v[131:132]
	ds_read2_b64 v[131:134], v130 offset0:125 offset1:126
	ds_read_b64 v[137:138], v130 offset:1016
	s_waitcnt vmcnt(4) lgkmcnt(1)
	v_fma_f64 v[131:132], v[159:160], v[131:132], v[135:136]
	s_waitcnt vmcnt(3)
	v_fma_f64 v[131:132], v[157:158], v[133:134], v[131:132]
	s_waitcnt vmcnt(2) lgkmcnt(0)
	v_fma_f64 v[131:132], v[153:154], v[137:138], v[131:132]
	s_waitcnt vmcnt(0)
	v_add_f64 v[131:132], v[139:140], -v[131:132]
	buffer_store_dword v132, off, s[0:3], 0 offset:324
	buffer_store_dword v131, off, s[0:3], 0 offset:320
	s_and_saveexec_b64 s[4:5], vcc
	s_cbranch_execz .LBB127_313
; %bb.312:
	buffer_load_dword v131, off, s[0:3], 0 offset:312
	buffer_load_dword v132, off, s[0:3], 0 offset:316
	s_waitcnt vmcnt(0)
	ds_write_b64 v129, v[131:132]
	buffer_store_dword v130, off, s[0:3], 0 offset:312
	buffer_store_dword v130, off, s[0:3], 0 offset:316
.LBB127_313:
	s_or_b64 exec, exec, s[4:5]
	s_waitcnt lgkmcnt(0)
	; wave barrier
	buffer_load_dword v139, off, s[0:3], 0 offset:320
	buffer_load_dword v140, off, s[0:3], 0 offset:324
	;; [unrolled: 1-line block ×21, first 2 shown]
	ds_read_b128 v[131:134], v130 offset:832
	ds_read_b128 v[135:138], v130 offset:848
	buffer_load_dword v156, off, s[0:3], 0 offset:404
	v_cmp_lt_u32_e32 vcc, 38, v0
	s_waitcnt vmcnt(20) lgkmcnt(1)
	v_fma_f64 v[131:132], v[139:140], v[131:132], 0
	s_waitcnt vmcnt(18)
	v_fma_f64 v[131:132], v[141:142], v[133:134], v[131:132]
	buffer_load_dword v140, off, s[0:3], 0 offset:412
	buffer_load_dword v141, off, s[0:3], 0 offset:432
	;; [unrolled: 1-line block ×7, first 2 shown]
	s_waitcnt vmcnt(23) lgkmcnt(0)
	v_fma_f64 v[131:132], v[143:144], v[135:136], v[131:132]
	s_waitcnt vmcnt(21)
	v_fma_f64 v[142:143], v[145:146], v[137:138], v[131:132]
	ds_read_b128 v[131:134], v130 offset:864
	ds_read_b128 v[135:138], v130 offset:880
	s_waitcnt vmcnt(19) lgkmcnt(1)
	v_fma_f64 v[131:132], v[147:148], v[131:132], v[142:143]
	buffer_load_dword v142, off, s[0:3], 0 offset:436
	s_waitcnt vmcnt(18)
	v_fma_f64 v[131:132], v[149:150], v[133:134], v[131:132]
	buffer_load_dword v144, off, s[0:3], 0 offset:444
	buffer_load_dword v145, off, s[0:3], 0 offset:464
	;; [unrolled: 1-line block ×8, first 2 shown]
	s_waitcnt vmcnt(24) lgkmcnt(0)
	v_fma_f64 v[131:132], v[151:152], v[135:136], v[131:132]
	s_waitcnt vmcnt(19)
	v_fma_f64 v[151:152], v[153:154], v[137:138], v[131:132]
	ds_read_b128 v[131:134], v130 offset:896
	ds_read_b128 v[135:138], v130 offset:912
	s_waitcnt vmcnt(18) lgkmcnt(1)
	v_fma_f64 v[131:132], v[159:160], v[131:132], v[151:152]
	s_waitcnt vmcnt(17)
	v_fma_f64 v[131:132], v[157:158], v[133:134], v[131:132]
	buffer_load_dword v152, off, s[0:3], 0 offset:476
	buffer_load_dword v153, off, s[0:3], 0 offset:496
	;; [unrolled: 1-line block ×8, first 2 shown]
	s_waitcnt vmcnt(24) lgkmcnt(0)
	v_fma_f64 v[131:132], v[155:156], v[135:136], v[131:132]
	s_waitcnt vmcnt(19)
	v_fma_f64 v[139:140], v[139:140], v[137:138], v[131:132]
	ds_read_b128 v[131:134], v130 offset:928
	ds_read_b128 v[135:138], v130 offset:944
	s_waitcnt vmcnt(18) lgkmcnt(1)
	v_fma_f64 v[131:132], v[163:164], v[131:132], v[139:140]
	buffer_load_dword v140, off, s[0:3], 0 offset:508
	buffer_load_dword v139, off, s[0:3], 0 offset:504
	;; [unrolled: 1-line block ×4, first 2 shown]
	s_waitcnt vmcnt(21)
	v_fma_f64 v[131:132], v[161:162], v[133:134], v[131:132]
	s_waitcnt vmcnt(20) lgkmcnt(0)
	v_fma_f64 v[131:132], v[141:142], v[135:136], v[131:132]
	s_waitcnt vmcnt(15)
	v_fma_f64 v[141:142], v[143:144], v[137:138], v[131:132]
	ds_read_b128 v[131:134], v130 offset:960
	ds_read_b128 v[135:138], v130 offset:976
	s_waitcnt vmcnt(14) lgkmcnt(1)
	v_fma_f64 v[131:132], v[149:150], v[131:132], v[141:142]
	s_waitcnt vmcnt(13)
	v_fma_f64 v[131:132], v[147:148], v[133:134], v[131:132]
	s_waitcnt vmcnt(12) lgkmcnt(0)
	v_fma_f64 v[131:132], v[145:146], v[135:136], v[131:132]
	s_waitcnt vmcnt(7)
	v_fma_f64 v[141:142], v[151:152], v[137:138], v[131:132]
	ds_read_b128 v[131:134], v130 offset:992
	ds_read_b128 v[135:138], v130 offset:1008
	s_waitcnt vmcnt(6) lgkmcnt(1)
	v_fma_f64 v[130:131], v[159:160], v[131:132], v[141:142]
	s_waitcnt vmcnt(5)
	v_fma_f64 v[130:131], v[157:158], v[133:134], v[130:131]
	s_waitcnt vmcnt(4) lgkmcnt(0)
	v_fma_f64 v[130:131], v[153:154], v[135:136], v[130:131]
	s_waitcnt vmcnt(2)
	v_fma_f64 v[130:131], v[139:140], v[137:138], v[130:131]
	s_waitcnt vmcnt(0)
	v_add_f64 v[130:131], v[155:156], -v[130:131]
	buffer_store_dword v131, off, s[0:3], 0 offset:316
	buffer_store_dword v130, off, s[0:3], 0 offset:312
	s_and_saveexec_b64 s[4:5], vcc
	s_cbranch_execz .LBB127_315
; %bb.314:
	buffer_load_dword v130, off, s[0:3], 0 offset:304
	buffer_load_dword v131, off, s[0:3], 0 offset:308
	v_mov_b32_e32 v132, 0
	buffer_store_dword v132, off, s[0:3], 0 offset:304
	buffer_store_dword v132, off, s[0:3], 0 offset:308
	s_waitcnt vmcnt(2)
	ds_write_b64 v129, v[130:131]
.LBB127_315:
	s_or_b64 exec, exec, s[4:5]
	s_waitcnt lgkmcnt(0)
	; wave barrier
	buffer_load_dword v139, off, s[0:3], 0 offset:312
	buffer_load_dword v140, off, s[0:3], 0 offset:316
	;; [unrolled: 1-line block ×21, first 2 shown]
	v_mov_b32_e32 v130, 0
	ds_read2_b64 v[131:134], v130 offset0:103 offset1:104
	ds_read2_b64 v[135:138], v130 offset0:105 offset1:106
	buffer_load_dword v156, off, s[0:3], 0 offset:396
	v_cmp_lt_u32_e32 vcc, 37, v0
	s_waitcnt vmcnt(20) lgkmcnt(1)
	v_fma_f64 v[131:132], v[139:140], v[131:132], 0
	s_waitcnt vmcnt(18)
	v_fma_f64 v[131:132], v[141:142], v[133:134], v[131:132]
	buffer_load_dword v140, off, s[0:3], 0 offset:404
	buffer_load_dword v141, off, s[0:3], 0 offset:424
	;; [unrolled: 1-line block ×7, first 2 shown]
	s_waitcnt vmcnt(23) lgkmcnt(0)
	v_fma_f64 v[131:132], v[143:144], v[135:136], v[131:132]
	s_waitcnt vmcnt(21)
	v_fma_f64 v[142:143], v[145:146], v[137:138], v[131:132]
	ds_read2_b64 v[131:134], v130 offset0:107 offset1:108
	ds_read2_b64 v[135:138], v130 offset0:109 offset1:110
	s_waitcnt vmcnt(19) lgkmcnt(1)
	v_fma_f64 v[131:132], v[147:148], v[131:132], v[142:143]
	buffer_load_dword v142, off, s[0:3], 0 offset:428
	s_waitcnt vmcnt(18)
	v_fma_f64 v[131:132], v[149:150], v[133:134], v[131:132]
	buffer_load_dword v144, off, s[0:3], 0 offset:436
	buffer_load_dword v145, off, s[0:3], 0 offset:456
	;; [unrolled: 1-line block ×8, first 2 shown]
	s_waitcnt vmcnt(24) lgkmcnt(0)
	v_fma_f64 v[131:132], v[151:152], v[135:136], v[131:132]
	s_waitcnt vmcnt(19)
	v_fma_f64 v[151:152], v[153:154], v[137:138], v[131:132]
	ds_read2_b64 v[131:134], v130 offset0:111 offset1:112
	ds_read2_b64 v[135:138], v130 offset0:113 offset1:114
	s_waitcnt vmcnt(18) lgkmcnt(1)
	v_fma_f64 v[131:132], v[159:160], v[131:132], v[151:152]
	s_waitcnt vmcnt(17)
	v_fma_f64 v[131:132], v[157:158], v[133:134], v[131:132]
	buffer_load_dword v152, off, s[0:3], 0 offset:468
	buffer_load_dword v153, off, s[0:3], 0 offset:488
	;; [unrolled: 1-line block ×7, first 2 shown]
	s_waitcnt vmcnt(23) lgkmcnt(0)
	v_fma_f64 v[131:132], v[155:156], v[135:136], v[131:132]
	s_waitcnt vmcnt(18)
	v_fma_f64 v[139:140], v[139:140], v[137:138], v[131:132]
	ds_read2_b64 v[131:134], v130 offset0:115 offset1:116
	ds_read2_b64 v[135:138], v130 offset0:117 offset1:118
	buffer_load_dword v154, off, s[0:3], 0 offset:492
	s_waitcnt vmcnt(18) lgkmcnt(1)
	v_fma_f64 v[131:132], v[163:164], v[131:132], v[139:140]
	buffer_load_dword v140, off, s[0:3], 0 offset:500
	buffer_load_dword v155, off, s[0:3], 0 offset:504
	;; [unrolled: 1-line block ×4, first 2 shown]
	s_waitcnt vmcnt(21)
	v_fma_f64 v[131:132], v[161:162], v[133:134], v[131:132]
	s_waitcnt vmcnt(20) lgkmcnt(0)
	v_fma_f64 v[131:132], v[141:142], v[135:136], v[131:132]
	buffer_load_dword v141, off, s[0:3], 0 offset:304
	buffer_load_dword v142, off, s[0:3], 0 offset:308
	s_waitcnt vmcnt(17)
	v_fma_f64 v[143:144], v[143:144], v[137:138], v[131:132]
	ds_read2_b64 v[131:134], v130 offset0:119 offset1:120
	ds_read2_b64 v[135:138], v130 offset0:121 offset1:122
	s_waitcnt vmcnt(16) lgkmcnt(1)
	v_fma_f64 v[131:132], v[149:150], v[131:132], v[143:144]
	s_waitcnt vmcnt(15)
	v_fma_f64 v[131:132], v[147:148], v[133:134], v[131:132]
	s_waitcnt vmcnt(14) lgkmcnt(0)
	v_fma_f64 v[131:132], v[145:146], v[135:136], v[131:132]
	s_waitcnt vmcnt(9)
	v_fma_f64 v[143:144], v[151:152], v[137:138], v[131:132]
	ds_read2_b64 v[131:134], v130 offset0:123 offset1:124
	ds_read2_b64 v[135:138], v130 offset0:125 offset1:126
	s_waitcnt vmcnt(8) lgkmcnt(1)
	v_fma_f64 v[131:132], v[159:160], v[131:132], v[143:144]
	s_waitcnt vmcnt(7)
	v_fma_f64 v[131:132], v[157:158], v[133:134], v[131:132]
	ds_read_b64 v[133:134], v130 offset:1016
	s_waitcnt vmcnt(6) lgkmcnt(1)
	v_fma_f64 v[131:132], v[153:154], v[135:136], v[131:132]
	s_waitcnt vmcnt(3)
	v_fma_f64 v[131:132], v[139:140], v[137:138], v[131:132]
	s_waitcnt vmcnt(2) lgkmcnt(0)
	v_fma_f64 v[131:132], v[155:156], v[133:134], v[131:132]
	s_waitcnt vmcnt(0)
	v_add_f64 v[131:132], v[141:142], -v[131:132]
	buffer_store_dword v132, off, s[0:3], 0 offset:308
	buffer_store_dword v131, off, s[0:3], 0 offset:304
	s_and_saveexec_b64 s[4:5], vcc
	s_cbranch_execz .LBB127_317
; %bb.316:
	buffer_load_dword v131, off, s[0:3], 0 offset:296
	buffer_load_dword v132, off, s[0:3], 0 offset:300
	s_waitcnt vmcnt(0)
	ds_write_b64 v129, v[131:132]
	buffer_store_dword v130, off, s[0:3], 0 offset:296
	buffer_store_dword v130, off, s[0:3], 0 offset:300
.LBB127_317:
	s_or_b64 exec, exec, s[4:5]
	s_waitcnt lgkmcnt(0)
	; wave barrier
	buffer_load_dword v139, off, s[0:3], 0 offset:304
	buffer_load_dword v140, off, s[0:3], 0 offset:308
	;; [unrolled: 1-line block ×22, first 2 shown]
	ds_read_b128 v[131:134], v130 offset:816
	ds_read_b128 v[135:138], v130 offset:832
	v_cmp_lt_u32_e32 vcc, 36, v0
	s_waitcnt vmcnt(20) lgkmcnt(1)
	v_fma_f64 v[131:132], v[139:140], v[131:132], 0
	s_waitcnt vmcnt(18)
	v_fma_f64 v[131:132], v[141:142], v[133:134], v[131:132]
	buffer_load_dword v140, off, s[0:3], 0 offset:396
	buffer_load_dword v141, off, s[0:3], 0 offset:416
	;; [unrolled: 1-line block ×7, first 2 shown]
	s_waitcnt vmcnt(23) lgkmcnt(0)
	v_fma_f64 v[131:132], v[143:144], v[135:136], v[131:132]
	s_waitcnt vmcnt(21)
	v_fma_f64 v[142:143], v[145:146], v[137:138], v[131:132]
	ds_read_b128 v[131:134], v130 offset:848
	ds_read_b128 v[135:138], v130 offset:864
	s_waitcnt vmcnt(19) lgkmcnt(1)
	v_fma_f64 v[131:132], v[147:148], v[131:132], v[142:143]
	buffer_load_dword v142, off, s[0:3], 0 offset:420
	s_waitcnt vmcnt(18)
	v_fma_f64 v[131:132], v[149:150], v[133:134], v[131:132]
	buffer_load_dword v144, off, s[0:3], 0 offset:428
	buffer_load_dword v145, off, s[0:3], 0 offset:448
	;; [unrolled: 1-line block ×8, first 2 shown]
	s_waitcnt vmcnt(24) lgkmcnt(0)
	v_fma_f64 v[131:132], v[151:152], v[135:136], v[131:132]
	s_waitcnt vmcnt(19)
	v_fma_f64 v[151:152], v[153:154], v[137:138], v[131:132]
	ds_read_b128 v[131:134], v130 offset:880
	ds_read_b128 v[135:138], v130 offset:896
	s_waitcnt vmcnt(18) lgkmcnt(1)
	v_fma_f64 v[131:132], v[159:160], v[131:132], v[151:152]
	s_waitcnt vmcnt(17)
	v_fma_f64 v[131:132], v[157:158], v[133:134], v[131:132]
	buffer_load_dword v152, off, s[0:3], 0 offset:460
	buffer_load_dword v153, off, s[0:3], 0 offset:480
	;; [unrolled: 1-line block ×8, first 2 shown]
	s_waitcnt vmcnt(24) lgkmcnt(0)
	v_fma_f64 v[131:132], v[155:156], v[135:136], v[131:132]
	s_waitcnt vmcnt(19)
	v_fma_f64 v[139:140], v[139:140], v[137:138], v[131:132]
	ds_read_b128 v[131:134], v130 offset:912
	ds_read_b128 v[135:138], v130 offset:928
	s_waitcnt vmcnt(18) lgkmcnt(1)
	v_fma_f64 v[131:132], v[163:164], v[131:132], v[139:140]
	s_waitcnt vmcnt(17)
	v_fma_f64 v[131:132], v[161:162], v[133:134], v[131:132]
	buffer_load_dword v140, off, s[0:3], 0 offset:492
	buffer_load_dword v155, off, s[0:3], 0 offset:504
	;; [unrolled: 1-line block ×6, first 2 shown]
	s_waitcnt vmcnt(22) lgkmcnt(0)
	v_fma_f64 v[131:132], v[141:142], v[135:136], v[131:132]
	s_waitcnt vmcnt(17)
	v_fma_f64 v[141:142], v[143:144], v[137:138], v[131:132]
	ds_read_b128 v[131:134], v130 offset:944
	buffer_load_dword v143, off, s[0:3], 0 offset:296
	buffer_load_dword v144, off, s[0:3], 0 offset:300
	ds_read_b128 v[135:138], v130 offset:960
	s_waitcnt vmcnt(18) lgkmcnt(1)
	v_fma_f64 v[131:132], v[149:150], v[131:132], v[141:142]
	s_waitcnt vmcnt(17)
	v_fma_f64 v[131:132], v[147:148], v[133:134], v[131:132]
	s_waitcnt vmcnt(16) lgkmcnt(0)
	v_fma_f64 v[131:132], v[145:146], v[135:136], v[131:132]
	s_waitcnt vmcnt(11)
	v_fma_f64 v[141:142], v[151:152], v[137:138], v[131:132]
	ds_read_b128 v[131:134], v130 offset:976
	ds_read_b128 v[135:138], v130 offset:992
	s_waitcnt vmcnt(10) lgkmcnt(1)
	v_fma_f64 v[131:132], v[159:160], v[131:132], v[141:142]
	s_waitcnt vmcnt(9)
	v_fma_f64 v[131:132], v[157:158], v[133:134], v[131:132]
	s_waitcnt vmcnt(8) lgkmcnt(0)
	v_fma_f64 v[131:132], v[153:154], v[135:136], v[131:132]
	s_waitcnt vmcnt(4)
	v_fma_f64 v[134:135], v[139:140], v[137:138], v[131:132]
	ds_read_b128 v[130:133], v130 offset:1008
	s_waitcnt vmcnt(3) lgkmcnt(0)
	v_fma_f64 v[130:131], v[161:162], v[130:131], v[134:135]
	s_waitcnt vmcnt(2)
	v_fma_f64 v[130:131], v[155:156], v[132:133], v[130:131]
	s_waitcnt vmcnt(0)
	v_add_f64 v[130:131], v[143:144], -v[130:131]
	buffer_store_dword v131, off, s[0:3], 0 offset:300
	buffer_store_dword v130, off, s[0:3], 0 offset:296
	s_and_saveexec_b64 s[4:5], vcc
	s_cbranch_execz .LBB127_319
; %bb.318:
	buffer_load_dword v130, off, s[0:3], 0 offset:288
	buffer_load_dword v131, off, s[0:3], 0 offset:292
	v_mov_b32_e32 v132, 0
	buffer_store_dword v132, off, s[0:3], 0 offset:288
	buffer_store_dword v132, off, s[0:3], 0 offset:292
	s_waitcnt vmcnt(2)
	ds_write_b64 v129, v[130:131]
.LBB127_319:
	s_or_b64 exec, exec, s[4:5]
	s_waitcnt lgkmcnt(0)
	; wave barrier
	buffer_load_dword v139, off, s[0:3], 0 offset:296
	buffer_load_dword v140, off, s[0:3], 0 offset:300
	;; [unrolled: 1-line block ×22, first 2 shown]
	v_mov_b32_e32 v130, 0
	ds_read2_b64 v[131:134], v130 offset0:101 offset1:102
	ds_read2_b64 v[135:138], v130 offset0:103 offset1:104
	v_cmp_lt_u32_e32 vcc, 35, v0
	s_waitcnt vmcnt(20) lgkmcnt(1)
	v_fma_f64 v[131:132], v[139:140], v[131:132], 0
	s_waitcnt vmcnt(18)
	v_fma_f64 v[131:132], v[141:142], v[133:134], v[131:132]
	buffer_load_dword v140, off, s[0:3], 0 offset:388
	buffer_load_dword v141, off, s[0:3], 0 offset:408
	;; [unrolled: 1-line block ×7, first 2 shown]
	s_waitcnt vmcnt(23) lgkmcnt(0)
	v_fma_f64 v[131:132], v[143:144], v[135:136], v[131:132]
	s_waitcnt vmcnt(21)
	v_fma_f64 v[142:143], v[145:146], v[137:138], v[131:132]
	ds_read2_b64 v[131:134], v130 offset0:105 offset1:106
	ds_read2_b64 v[135:138], v130 offset0:107 offset1:108
	s_waitcnt vmcnt(19) lgkmcnt(1)
	v_fma_f64 v[131:132], v[147:148], v[131:132], v[142:143]
	buffer_load_dword v142, off, s[0:3], 0 offset:412
	s_waitcnt vmcnt(18)
	v_fma_f64 v[131:132], v[149:150], v[133:134], v[131:132]
	buffer_load_dword v144, off, s[0:3], 0 offset:420
	buffer_load_dword v145, off, s[0:3], 0 offset:440
	buffer_load_dword v147, off, s[0:3], 0 offset:432
	buffer_load_dword v149, off, s[0:3], 0 offset:424
	buffer_load_dword v143, off, s[0:3], 0 offset:416
	buffer_load_dword v150, off, s[0:3], 0 offset:428
	buffer_load_dword v148, off, s[0:3], 0 offset:436
	buffer_load_dword v146, off, s[0:3], 0 offset:444
	s_waitcnt vmcnt(24) lgkmcnt(0)
	v_fma_f64 v[131:132], v[151:152], v[135:136], v[131:132]
	s_waitcnt vmcnt(19)
	v_fma_f64 v[151:152], v[153:154], v[137:138], v[131:132]
	ds_read2_b64 v[131:134], v130 offset0:109 offset1:110
	ds_read2_b64 v[135:138], v130 offset0:111 offset1:112
	s_waitcnt vmcnt(18) lgkmcnt(1)
	v_fma_f64 v[131:132], v[159:160], v[131:132], v[151:152]
	s_waitcnt vmcnt(17)
	v_fma_f64 v[131:132], v[157:158], v[133:134], v[131:132]
	buffer_load_dword v152, off, s[0:3], 0 offset:452
	buffer_load_dword v153, off, s[0:3], 0 offset:472
	buffer_load_dword v157, off, s[0:3], 0 offset:464
	buffer_load_dword v159, off, s[0:3], 0 offset:456
	buffer_load_dword v151, off, s[0:3], 0 offset:448
	buffer_load_dword v160, off, s[0:3], 0 offset:460
	buffer_load_dword v158, off, s[0:3], 0 offset:468
	buffer_load_dword v154, off, s[0:3], 0 offset:476
	s_waitcnt vmcnt(24) lgkmcnt(0)
	v_fma_f64 v[131:132], v[155:156], v[135:136], v[131:132]
	s_waitcnt vmcnt(19)
	v_fma_f64 v[139:140], v[139:140], v[137:138], v[131:132]
	ds_read2_b64 v[131:134], v130 offset0:113 offset1:114
	ds_read2_b64 v[135:138], v130 offset0:115 offset1:116
	s_waitcnt vmcnt(18) lgkmcnt(1)
	v_fma_f64 v[131:132], v[163:164], v[131:132], v[139:140]
	;; [unrolled: 18-line block ×3, first 2 shown]
	buffer_load_dword v141, off, s[0:3], 0 offset:288
	buffer_load_dword v142, off, s[0:3], 0 offset:292
	s_waitcnt vmcnt(19)
	v_fma_f64 v[131:132], v[147:148], v[133:134], v[131:132]
	s_waitcnt vmcnt(18) lgkmcnt(0)
	v_fma_f64 v[131:132], v[145:146], v[135:136], v[131:132]
	s_waitcnt vmcnt(13)
	v_fma_f64 v[143:144], v[151:152], v[137:138], v[131:132]
	ds_read2_b64 v[131:134], v130 offset0:121 offset1:122
	ds_read2_b64 v[135:138], v130 offset0:123 offset1:124
	s_waitcnt vmcnt(12) lgkmcnt(1)
	v_fma_f64 v[131:132], v[159:160], v[131:132], v[143:144]
	s_waitcnt vmcnt(11)
	v_fma_f64 v[131:132], v[157:158], v[133:134], v[131:132]
	s_waitcnt vmcnt(10) lgkmcnt(0)
	v_fma_f64 v[131:132], v[153:154], v[135:136], v[131:132]
	s_waitcnt vmcnt(5)
	v_fma_f64 v[135:136], v[139:140], v[137:138], v[131:132]
	ds_read2_b64 v[131:134], v130 offset0:125 offset1:126
	ds_read_b64 v[137:138], v130 offset:1016
	s_waitcnt vmcnt(4) lgkmcnt(1)
	v_fma_f64 v[131:132], v[163:164], v[131:132], v[135:136]
	s_waitcnt vmcnt(3)
	v_fma_f64 v[131:132], v[161:162], v[133:134], v[131:132]
	s_waitcnt vmcnt(2) lgkmcnt(0)
	v_fma_f64 v[131:132], v[155:156], v[137:138], v[131:132]
	s_waitcnt vmcnt(0)
	v_add_f64 v[131:132], v[141:142], -v[131:132]
	buffer_store_dword v132, off, s[0:3], 0 offset:292
	buffer_store_dword v131, off, s[0:3], 0 offset:288
	s_and_saveexec_b64 s[4:5], vcc
	s_cbranch_execz .LBB127_321
; %bb.320:
	buffer_load_dword v131, off, s[0:3], 0 offset:280
	buffer_load_dword v132, off, s[0:3], 0 offset:284
	s_waitcnt vmcnt(0)
	ds_write_b64 v129, v[131:132]
	buffer_store_dword v130, off, s[0:3], 0 offset:280
	buffer_store_dword v130, off, s[0:3], 0 offset:284
.LBB127_321:
	s_or_b64 exec, exec, s[4:5]
	s_waitcnt lgkmcnt(0)
	; wave barrier
	buffer_load_dword v139, off, s[0:3], 0 offset:288
	buffer_load_dword v140, off, s[0:3], 0 offset:292
	;; [unrolled: 1-line block ×22, first 2 shown]
	ds_read_b128 v[131:134], v130 offset:800
	ds_read_b128 v[135:138], v130 offset:816
	v_cmp_lt_u32_e32 vcc, 34, v0
	s_waitcnt vmcnt(20) lgkmcnt(1)
	v_fma_f64 v[131:132], v[139:140], v[131:132], 0
	s_waitcnt vmcnt(18)
	v_fma_f64 v[131:132], v[141:142], v[133:134], v[131:132]
	buffer_load_dword v140, off, s[0:3], 0 offset:380
	buffer_load_dword v141, off, s[0:3], 0 offset:400
	;; [unrolled: 1-line block ×7, first 2 shown]
	s_waitcnt vmcnt(23) lgkmcnt(0)
	v_fma_f64 v[131:132], v[143:144], v[135:136], v[131:132]
	s_waitcnt vmcnt(21)
	v_fma_f64 v[142:143], v[145:146], v[137:138], v[131:132]
	ds_read_b128 v[131:134], v130 offset:832
	ds_read_b128 v[135:138], v130 offset:848
	s_waitcnt vmcnt(19) lgkmcnt(1)
	v_fma_f64 v[131:132], v[147:148], v[131:132], v[142:143]
	buffer_load_dword v142, off, s[0:3], 0 offset:404
	s_waitcnt vmcnt(18)
	v_fma_f64 v[131:132], v[149:150], v[133:134], v[131:132]
	buffer_load_dword v144, off, s[0:3], 0 offset:412
	buffer_load_dword v145, off, s[0:3], 0 offset:432
	buffer_load_dword v147, off, s[0:3], 0 offset:424
	buffer_load_dword v149, off, s[0:3], 0 offset:416
	buffer_load_dword v143, off, s[0:3], 0 offset:408
	buffer_load_dword v150, off, s[0:3], 0 offset:420
	buffer_load_dword v148, off, s[0:3], 0 offset:428
	buffer_load_dword v146, off, s[0:3], 0 offset:436
	s_waitcnt vmcnt(24) lgkmcnt(0)
	v_fma_f64 v[131:132], v[151:152], v[135:136], v[131:132]
	s_waitcnt vmcnt(19)
	v_fma_f64 v[151:152], v[153:154], v[137:138], v[131:132]
	ds_read_b128 v[131:134], v130 offset:864
	ds_read_b128 v[135:138], v130 offset:880
	s_waitcnt vmcnt(18) lgkmcnt(1)
	v_fma_f64 v[131:132], v[159:160], v[131:132], v[151:152]
	s_waitcnt vmcnt(17)
	v_fma_f64 v[131:132], v[157:158], v[133:134], v[131:132]
	buffer_load_dword v152, off, s[0:3], 0 offset:444
	buffer_load_dword v153, off, s[0:3], 0 offset:464
	buffer_load_dword v157, off, s[0:3], 0 offset:456
	buffer_load_dword v159, off, s[0:3], 0 offset:448
	buffer_load_dword v151, off, s[0:3], 0 offset:440
	buffer_load_dword v160, off, s[0:3], 0 offset:452
	buffer_load_dword v158, off, s[0:3], 0 offset:460
	buffer_load_dword v154, off, s[0:3], 0 offset:468
	s_waitcnt vmcnt(24) lgkmcnt(0)
	v_fma_f64 v[131:132], v[155:156], v[135:136], v[131:132]
	s_waitcnt vmcnt(19)
	v_fma_f64 v[139:140], v[139:140], v[137:138], v[131:132]
	ds_read_b128 v[131:134], v130 offset:896
	ds_read_b128 v[135:138], v130 offset:912
	s_waitcnt vmcnt(18) lgkmcnt(1)
	v_fma_f64 v[131:132], v[163:164], v[131:132], v[139:140]
	;; [unrolled: 18-line block ×3, first 2 shown]
	buffer_load_dword v142, off, s[0:3], 0 offset:508
	buffer_load_dword v141, off, s[0:3], 0 offset:504
	;; [unrolled: 1-line block ×4, first 2 shown]
	s_waitcnt vmcnt(21)
	v_fma_f64 v[131:132], v[147:148], v[133:134], v[131:132]
	s_waitcnt vmcnt(20) lgkmcnt(0)
	v_fma_f64 v[131:132], v[145:146], v[135:136], v[131:132]
	s_waitcnt vmcnt(15)
	v_fma_f64 v[145:146], v[151:152], v[137:138], v[131:132]
	ds_read_b128 v[131:134], v130 offset:960
	ds_read_b128 v[135:138], v130 offset:976
	s_waitcnt vmcnt(14) lgkmcnt(1)
	v_fma_f64 v[131:132], v[159:160], v[131:132], v[145:146]
	s_waitcnt vmcnt(13)
	v_fma_f64 v[131:132], v[157:158], v[133:134], v[131:132]
	s_waitcnt vmcnt(12) lgkmcnt(0)
	v_fma_f64 v[131:132], v[153:154], v[135:136], v[131:132]
	s_waitcnt vmcnt(7)
	v_fma_f64 v[139:140], v[139:140], v[137:138], v[131:132]
	ds_read_b128 v[131:134], v130 offset:992
	ds_read_b128 v[135:138], v130 offset:1008
	s_waitcnt vmcnt(6) lgkmcnt(1)
	v_fma_f64 v[130:131], v[163:164], v[131:132], v[139:140]
	s_waitcnt vmcnt(5)
	v_fma_f64 v[130:131], v[161:162], v[133:134], v[130:131]
	s_waitcnt vmcnt(4) lgkmcnt(0)
	v_fma_f64 v[130:131], v[155:156], v[135:136], v[130:131]
	s_waitcnt vmcnt(2)
	v_fma_f64 v[130:131], v[141:142], v[137:138], v[130:131]
	s_waitcnt vmcnt(0)
	v_add_f64 v[130:131], v[143:144], -v[130:131]
	buffer_store_dword v131, off, s[0:3], 0 offset:284
	buffer_store_dword v130, off, s[0:3], 0 offset:280
	s_and_saveexec_b64 s[4:5], vcc
	s_cbranch_execz .LBB127_323
; %bb.322:
	buffer_load_dword v130, off, s[0:3], 0 offset:272
	buffer_load_dword v131, off, s[0:3], 0 offset:276
	v_mov_b32_e32 v132, 0
	buffer_store_dword v132, off, s[0:3], 0 offset:272
	buffer_store_dword v132, off, s[0:3], 0 offset:276
	s_waitcnt vmcnt(2)
	ds_write_b64 v129, v[130:131]
.LBB127_323:
	s_or_b64 exec, exec, s[4:5]
	s_waitcnt lgkmcnt(0)
	; wave barrier
	buffer_load_dword v139, off, s[0:3], 0 offset:280
	buffer_load_dword v140, off, s[0:3], 0 offset:284
	buffer_load_dword v141, off, s[0:3], 0 offset:288
	buffer_load_dword v142, off, s[0:3], 0 offset:292
	buffer_load_dword v143, off, s[0:3], 0 offset:296
	buffer_load_dword v144, off, s[0:3], 0 offset:300
	buffer_load_dword v145, off, s[0:3], 0 offset:304
	buffer_load_dword v146, off, s[0:3], 0 offset:308
	buffer_load_dword v147, off, s[0:3], 0 offset:312
	buffer_load_dword v148, off, s[0:3], 0 offset:316
	buffer_load_dword v149, off, s[0:3], 0 offset:320
	buffer_load_dword v150, off, s[0:3], 0 offset:324
	buffer_load_dword v151, off, s[0:3], 0 offset:328
	buffer_load_dword v152, off, s[0:3], 0 offset:332
	buffer_load_dword v154, off, s[0:3], 0 offset:340
	buffer_load_dword v155, off, s[0:3], 0 offset:360
	buffer_load_dword v157, off, s[0:3], 0 offset:352
	buffer_load_dword v159, off, s[0:3], 0 offset:344
	buffer_load_dword v153, off, s[0:3], 0 offset:336
	buffer_load_dword v160, off, s[0:3], 0 offset:348
	buffer_load_dword v158, off, s[0:3], 0 offset:356
	buffer_load_dword v156, off, s[0:3], 0 offset:364
	v_mov_b32_e32 v130, 0
	ds_read2_b64 v[131:134], v130 offset0:99 offset1:100
	ds_read2_b64 v[135:138], v130 offset0:101 offset1:102
	v_cmp_lt_u32_e32 vcc, 33, v0
	s_waitcnt vmcnt(20) lgkmcnt(1)
	v_fma_f64 v[131:132], v[139:140], v[131:132], 0
	s_waitcnt vmcnt(18)
	v_fma_f64 v[131:132], v[141:142], v[133:134], v[131:132]
	buffer_load_dword v140, off, s[0:3], 0 offset:372
	buffer_load_dword v141, off, s[0:3], 0 offset:392
	;; [unrolled: 1-line block ×7, first 2 shown]
	s_waitcnt vmcnt(23) lgkmcnt(0)
	v_fma_f64 v[131:132], v[143:144], v[135:136], v[131:132]
	s_waitcnt vmcnt(21)
	v_fma_f64 v[142:143], v[145:146], v[137:138], v[131:132]
	ds_read2_b64 v[131:134], v130 offset0:103 offset1:104
	ds_read2_b64 v[135:138], v130 offset0:105 offset1:106
	s_waitcnt vmcnt(19) lgkmcnt(1)
	v_fma_f64 v[131:132], v[147:148], v[131:132], v[142:143]
	buffer_load_dword v142, off, s[0:3], 0 offset:396
	s_waitcnt vmcnt(18)
	v_fma_f64 v[131:132], v[149:150], v[133:134], v[131:132]
	buffer_load_dword v144, off, s[0:3], 0 offset:404
	buffer_load_dword v145, off, s[0:3], 0 offset:424
	;; [unrolled: 1-line block ×7, first 2 shown]
	s_waitcnt vmcnt(23) lgkmcnt(0)
	v_fma_f64 v[131:132], v[151:152], v[135:136], v[131:132]
	s_waitcnt vmcnt(18)
	v_fma_f64 v[151:152], v[153:154], v[137:138], v[131:132]
	ds_read2_b64 v[131:134], v130 offset0:107 offset1:108
	ds_read2_b64 v[135:138], v130 offset0:109 offset1:110
	buffer_load_dword v146, off, s[0:3], 0 offset:428
	s_waitcnt vmcnt(18) lgkmcnt(1)
	v_fma_f64 v[131:132], v[159:160], v[131:132], v[151:152]
	s_waitcnt vmcnt(17)
	v_fma_f64 v[131:132], v[157:158], v[133:134], v[131:132]
	buffer_load_dword v152, off, s[0:3], 0 offset:436
	buffer_load_dword v153, off, s[0:3], 0 offset:456
	buffer_load_dword v157, off, s[0:3], 0 offset:448
	buffer_load_dword v159, off, s[0:3], 0 offset:440
	buffer_load_dword v151, off, s[0:3], 0 offset:432
	buffer_load_dword v160, off, s[0:3], 0 offset:444
	buffer_load_dword v158, off, s[0:3], 0 offset:452
	buffer_load_dword v154, off, s[0:3], 0 offset:460
	s_waitcnt vmcnt(24) lgkmcnt(0)
	v_fma_f64 v[131:132], v[155:156], v[135:136], v[131:132]
	s_waitcnt vmcnt(19)
	v_fma_f64 v[139:140], v[139:140], v[137:138], v[131:132]
	ds_read2_b64 v[131:134], v130 offset0:111 offset1:112
	ds_read2_b64 v[135:138], v130 offset0:113 offset1:114
	s_waitcnt vmcnt(18) lgkmcnt(1)
	v_fma_f64 v[131:132], v[163:164], v[131:132], v[139:140]
	s_waitcnt vmcnt(17)
	v_fma_f64 v[131:132], v[161:162], v[133:134], v[131:132]
	buffer_load_dword v140, off, s[0:3], 0 offset:468
	buffer_load_dword v155, off, s[0:3], 0 offset:488
	;; [unrolled: 1-line block ×7, first 2 shown]
	s_waitcnt vmcnt(23) lgkmcnt(0)
	v_fma_f64 v[131:132], v[141:142], v[135:136], v[131:132]
	s_waitcnt vmcnt(18)
	v_fma_f64 v[141:142], v[143:144], v[137:138], v[131:132]
	ds_read2_b64 v[131:134], v130 offset0:115 offset1:116
	ds_read2_b64 v[135:138], v130 offset0:117 offset1:118
	buffer_load_dword v156, off, s[0:3], 0 offset:492
	s_waitcnt vmcnt(18) lgkmcnt(1)
	v_fma_f64 v[131:132], v[149:150], v[131:132], v[141:142]
	buffer_load_dword v142, off, s[0:3], 0 offset:500
	buffer_load_dword v143, off, s[0:3], 0 offset:504
	;; [unrolled: 1-line block ×4, first 2 shown]
	s_waitcnt vmcnt(21)
	v_fma_f64 v[131:132], v[147:148], v[133:134], v[131:132]
	s_waitcnt vmcnt(20) lgkmcnt(0)
	v_fma_f64 v[131:132], v[145:146], v[135:136], v[131:132]
	buffer_load_dword v145, off, s[0:3], 0 offset:272
	buffer_load_dword v146, off, s[0:3], 0 offset:276
	s_waitcnt vmcnt(17)
	v_fma_f64 v[147:148], v[151:152], v[137:138], v[131:132]
	ds_read2_b64 v[131:134], v130 offset0:119 offset1:120
	ds_read2_b64 v[135:138], v130 offset0:121 offset1:122
	s_waitcnt vmcnt(16) lgkmcnt(1)
	v_fma_f64 v[131:132], v[159:160], v[131:132], v[147:148]
	s_waitcnt vmcnt(15)
	v_fma_f64 v[131:132], v[157:158], v[133:134], v[131:132]
	s_waitcnt vmcnt(14) lgkmcnt(0)
	v_fma_f64 v[131:132], v[153:154], v[135:136], v[131:132]
	s_waitcnt vmcnt(9)
	v_fma_f64 v[139:140], v[139:140], v[137:138], v[131:132]
	ds_read2_b64 v[131:134], v130 offset0:123 offset1:124
	ds_read2_b64 v[135:138], v130 offset0:125 offset1:126
	s_waitcnt vmcnt(8) lgkmcnt(1)
	v_fma_f64 v[131:132], v[163:164], v[131:132], v[139:140]
	s_waitcnt vmcnt(7)
	v_fma_f64 v[131:132], v[161:162], v[133:134], v[131:132]
	ds_read_b64 v[133:134], v130 offset:1016
	s_waitcnt vmcnt(6) lgkmcnt(1)
	v_fma_f64 v[131:132], v[155:156], v[135:136], v[131:132]
	s_waitcnt vmcnt(3)
	v_fma_f64 v[131:132], v[141:142], v[137:138], v[131:132]
	s_waitcnt vmcnt(2) lgkmcnt(0)
	v_fma_f64 v[131:132], v[143:144], v[133:134], v[131:132]
	s_waitcnt vmcnt(0)
	v_add_f64 v[131:132], v[145:146], -v[131:132]
	buffer_store_dword v132, off, s[0:3], 0 offset:276
	buffer_store_dword v131, off, s[0:3], 0 offset:272
	s_and_saveexec_b64 s[4:5], vcc
	s_cbranch_execz .LBB127_325
; %bb.324:
	buffer_load_dword v131, off, s[0:3], 0 offset:264
	buffer_load_dword v132, off, s[0:3], 0 offset:268
	s_waitcnt vmcnt(0)
	ds_write_b64 v129, v[131:132]
	buffer_store_dword v130, off, s[0:3], 0 offset:264
	buffer_store_dword v130, off, s[0:3], 0 offset:268
.LBB127_325:
	s_or_b64 exec, exec, s[4:5]
	s_waitcnt lgkmcnt(0)
	; wave barrier
	buffer_load_dword v139, off, s[0:3], 0 offset:272
	buffer_load_dword v140, off, s[0:3], 0 offset:276
	;; [unrolled: 1-line block ×22, first 2 shown]
	ds_read_b128 v[131:134], v130 offset:784
	ds_read_b128 v[135:138], v130 offset:800
	v_cmp_lt_u32_e32 vcc, 32, v0
	s_waitcnt vmcnt(20) lgkmcnt(1)
	v_fma_f64 v[131:132], v[139:140], v[131:132], 0
	s_waitcnt vmcnt(18)
	v_fma_f64 v[131:132], v[141:142], v[133:134], v[131:132]
	buffer_load_dword v140, off, s[0:3], 0 offset:364
	buffer_load_dword v141, off, s[0:3], 0 offset:384
	;; [unrolled: 1-line block ×7, first 2 shown]
	s_waitcnt vmcnt(23) lgkmcnt(0)
	v_fma_f64 v[131:132], v[143:144], v[135:136], v[131:132]
	s_waitcnt vmcnt(21)
	v_fma_f64 v[142:143], v[145:146], v[137:138], v[131:132]
	ds_read_b128 v[131:134], v130 offset:816
	ds_read_b128 v[135:138], v130 offset:832
	s_waitcnt vmcnt(19) lgkmcnt(1)
	v_fma_f64 v[131:132], v[147:148], v[131:132], v[142:143]
	buffer_load_dword v142, off, s[0:3], 0 offset:388
	s_waitcnt vmcnt(18)
	v_fma_f64 v[131:132], v[149:150], v[133:134], v[131:132]
	buffer_load_dword v144, off, s[0:3], 0 offset:396
	buffer_load_dword v145, off, s[0:3], 0 offset:416
	;; [unrolled: 1-line block ×7, first 2 shown]
	s_waitcnt vmcnt(23) lgkmcnt(0)
	v_fma_f64 v[131:132], v[151:152], v[135:136], v[131:132]
	s_waitcnt vmcnt(18)
	v_fma_f64 v[151:152], v[153:154], v[137:138], v[131:132]
	ds_read_b128 v[131:134], v130 offset:848
	ds_read_b128 v[135:138], v130 offset:864
	buffer_load_dword v146, off, s[0:3], 0 offset:420
	s_waitcnt vmcnt(18) lgkmcnt(1)
	v_fma_f64 v[131:132], v[159:160], v[131:132], v[151:152]
	s_waitcnt vmcnt(17)
	v_fma_f64 v[131:132], v[157:158], v[133:134], v[131:132]
	buffer_load_dword v152, off, s[0:3], 0 offset:428
	buffer_load_dword v153, off, s[0:3], 0 offset:448
	;; [unrolled: 1-line block ×8, first 2 shown]
	s_waitcnt vmcnt(24) lgkmcnt(0)
	v_fma_f64 v[131:132], v[155:156], v[135:136], v[131:132]
	s_waitcnt vmcnt(19)
	v_fma_f64 v[139:140], v[139:140], v[137:138], v[131:132]
	ds_read_b128 v[131:134], v130 offset:880
	ds_read_b128 v[135:138], v130 offset:896
	s_waitcnt vmcnt(18) lgkmcnt(1)
	v_fma_f64 v[131:132], v[163:164], v[131:132], v[139:140]
	s_waitcnt vmcnt(17)
	v_fma_f64 v[131:132], v[161:162], v[133:134], v[131:132]
	buffer_load_dword v140, off, s[0:3], 0 offset:460
	buffer_load_dword v155, off, s[0:3], 0 offset:480
	;; [unrolled: 1-line block ×8, first 2 shown]
	s_waitcnt vmcnt(24) lgkmcnt(0)
	v_fma_f64 v[131:132], v[141:142], v[135:136], v[131:132]
	s_waitcnt vmcnt(19)
	v_fma_f64 v[141:142], v[143:144], v[137:138], v[131:132]
	ds_read_b128 v[131:134], v130 offset:912
	ds_read_b128 v[135:138], v130 offset:928
	s_waitcnt vmcnt(18) lgkmcnt(1)
	v_fma_f64 v[131:132], v[149:150], v[131:132], v[141:142]
	s_waitcnt vmcnt(17)
	v_fma_f64 v[131:132], v[147:148], v[133:134], v[131:132]
	buffer_load_dword v142, off, s[0:3], 0 offset:492
	buffer_load_dword v143, off, s[0:3], 0 offset:504
	;; [unrolled: 1-line block ×6, first 2 shown]
	s_waitcnt vmcnt(22) lgkmcnt(0)
	v_fma_f64 v[131:132], v[145:146], v[135:136], v[131:132]
	s_waitcnt vmcnt(17)
	v_fma_f64 v[145:146], v[151:152], v[137:138], v[131:132]
	ds_read_b128 v[131:134], v130 offset:944
	buffer_load_dword v149, off, s[0:3], 0 offset:264
	buffer_load_dword v150, off, s[0:3], 0 offset:268
	ds_read_b128 v[135:138], v130 offset:960
	s_waitcnt vmcnt(18) lgkmcnt(1)
	v_fma_f64 v[131:132], v[159:160], v[131:132], v[145:146]
	s_waitcnt vmcnt(17)
	v_fma_f64 v[131:132], v[157:158], v[133:134], v[131:132]
	s_waitcnt vmcnt(16) lgkmcnt(0)
	v_fma_f64 v[131:132], v[153:154], v[135:136], v[131:132]
	s_waitcnt vmcnt(11)
	v_fma_f64 v[139:140], v[139:140], v[137:138], v[131:132]
	ds_read_b128 v[131:134], v130 offset:976
	ds_read_b128 v[135:138], v130 offset:992
	s_waitcnt vmcnt(10) lgkmcnt(1)
	v_fma_f64 v[131:132], v[163:164], v[131:132], v[139:140]
	s_waitcnt vmcnt(9)
	v_fma_f64 v[131:132], v[161:162], v[133:134], v[131:132]
	s_waitcnt vmcnt(8) lgkmcnt(0)
	v_fma_f64 v[131:132], v[155:156], v[135:136], v[131:132]
	s_waitcnt vmcnt(4)
	v_fma_f64 v[134:135], v[141:142], v[137:138], v[131:132]
	ds_read_b128 v[130:133], v130 offset:1008
	s_waitcnt vmcnt(3) lgkmcnt(0)
	v_fma_f64 v[130:131], v[147:148], v[130:131], v[134:135]
	s_waitcnt vmcnt(2)
	v_fma_f64 v[130:131], v[143:144], v[132:133], v[130:131]
	s_waitcnt vmcnt(0)
	v_add_f64 v[130:131], v[149:150], -v[130:131]
	buffer_store_dword v131, off, s[0:3], 0 offset:268
	buffer_store_dword v130, off, s[0:3], 0 offset:264
	s_and_saveexec_b64 s[4:5], vcc
	s_cbranch_execz .LBB127_327
; %bb.326:
	buffer_load_dword v130, off, s[0:3], 0 offset:256
	buffer_load_dword v131, off, s[0:3], 0 offset:260
	v_mov_b32_e32 v132, 0
	buffer_store_dword v132, off, s[0:3], 0 offset:256
	buffer_store_dword v132, off, s[0:3], 0 offset:260
	s_waitcnt vmcnt(2)
	ds_write_b64 v129, v[130:131]
.LBB127_327:
	s_or_b64 exec, exec, s[4:5]
	s_waitcnt lgkmcnt(0)
	; wave barrier
	buffer_load_dword v139, off, s[0:3], 0 offset:264
	buffer_load_dword v140, off, s[0:3], 0 offset:268
	;; [unrolled: 1-line block ×22, first 2 shown]
	v_mov_b32_e32 v130, 0
	ds_read2_b64 v[131:134], v130 offset0:97 offset1:98
	ds_read2_b64 v[135:138], v130 offset0:99 offset1:100
	v_cmp_lt_u32_e32 vcc, 31, v0
	s_waitcnt vmcnt(20) lgkmcnt(1)
	v_fma_f64 v[131:132], v[139:140], v[131:132], 0
	s_waitcnt vmcnt(18)
	v_fma_f64 v[131:132], v[141:142], v[133:134], v[131:132]
	buffer_load_dword v140, off, s[0:3], 0 offset:356
	buffer_load_dword v141, off, s[0:3], 0 offset:376
	;; [unrolled: 1-line block ×7, first 2 shown]
	s_waitcnt vmcnt(23) lgkmcnt(0)
	v_fma_f64 v[131:132], v[143:144], v[135:136], v[131:132]
	s_waitcnt vmcnt(21)
	v_fma_f64 v[142:143], v[145:146], v[137:138], v[131:132]
	ds_read2_b64 v[131:134], v130 offset0:101 offset1:102
	ds_read2_b64 v[135:138], v130 offset0:103 offset1:104
	s_waitcnt vmcnt(19) lgkmcnt(1)
	v_fma_f64 v[131:132], v[147:148], v[131:132], v[142:143]
	buffer_load_dword v142, off, s[0:3], 0 offset:380
	s_waitcnt vmcnt(18)
	v_fma_f64 v[131:132], v[149:150], v[133:134], v[131:132]
	buffer_load_dword v144, off, s[0:3], 0 offset:388
	buffer_load_dword v145, off, s[0:3], 0 offset:408
	;; [unrolled: 1-line block ×7, first 2 shown]
	s_waitcnt vmcnt(23) lgkmcnt(0)
	v_fma_f64 v[131:132], v[151:152], v[135:136], v[131:132]
	s_waitcnt vmcnt(18)
	v_fma_f64 v[151:152], v[153:154], v[137:138], v[131:132]
	ds_read2_b64 v[131:134], v130 offset0:105 offset1:106
	ds_read2_b64 v[135:138], v130 offset0:107 offset1:108
	buffer_load_dword v146, off, s[0:3], 0 offset:412
	s_waitcnt vmcnt(18) lgkmcnt(1)
	v_fma_f64 v[131:132], v[159:160], v[131:132], v[151:152]
	s_waitcnt vmcnt(17)
	v_fma_f64 v[131:132], v[157:158], v[133:134], v[131:132]
	buffer_load_dword v152, off, s[0:3], 0 offset:420
	buffer_load_dword v153, off, s[0:3], 0 offset:440
	buffer_load_dword v157, off, s[0:3], 0 offset:432
	buffer_load_dword v159, off, s[0:3], 0 offset:424
	buffer_load_dword v151, off, s[0:3], 0 offset:416
	buffer_load_dword v160, off, s[0:3], 0 offset:428
	buffer_load_dword v158, off, s[0:3], 0 offset:436
	buffer_load_dword v154, off, s[0:3], 0 offset:444
	s_waitcnt vmcnt(24) lgkmcnt(0)
	v_fma_f64 v[131:132], v[155:156], v[135:136], v[131:132]
	s_waitcnt vmcnt(19)
	v_fma_f64 v[139:140], v[139:140], v[137:138], v[131:132]
	ds_read2_b64 v[131:134], v130 offset0:109 offset1:110
	ds_read2_b64 v[135:138], v130 offset0:111 offset1:112
	s_waitcnt vmcnt(18) lgkmcnt(1)
	v_fma_f64 v[131:132], v[163:164], v[131:132], v[139:140]
	s_waitcnt vmcnt(17)
	v_fma_f64 v[131:132], v[161:162], v[133:134], v[131:132]
	buffer_load_dword v140, off, s[0:3], 0 offset:452
	buffer_load_dword v155, off, s[0:3], 0 offset:472
	buffer_load_dword v161, off, s[0:3], 0 offset:464
	buffer_load_dword v163, off, s[0:3], 0 offset:456
	buffer_load_dword v139, off, s[0:3], 0 offset:448
	buffer_load_dword v164, off, s[0:3], 0 offset:460
	buffer_load_dword v162, off, s[0:3], 0 offset:468
	buffer_load_dword v156, off, s[0:3], 0 offset:476
	s_waitcnt vmcnt(24) lgkmcnt(0)
	v_fma_f64 v[131:132], v[141:142], v[135:136], v[131:132]
	s_waitcnt vmcnt(19)
	v_fma_f64 v[141:142], v[143:144], v[137:138], v[131:132]
	ds_read2_b64 v[131:134], v130 offset0:113 offset1:114
	ds_read2_b64 v[135:138], v130 offset0:115 offset1:116
	;; [unrolled: 18-line block ×3, first 2 shown]
	s_waitcnt vmcnt(18) lgkmcnt(1)
	v_fma_f64 v[131:132], v[159:160], v[131:132], v[145:146]
	buffer_load_dword v145, off, s[0:3], 0 offset:256
	buffer_load_dword v146, off, s[0:3], 0 offset:260
	s_waitcnt vmcnt(19)
	v_fma_f64 v[131:132], v[157:158], v[133:134], v[131:132]
	s_waitcnt vmcnt(18) lgkmcnt(0)
	v_fma_f64 v[131:132], v[153:154], v[135:136], v[131:132]
	s_waitcnt vmcnt(13)
	v_fma_f64 v[139:140], v[139:140], v[137:138], v[131:132]
	ds_read2_b64 v[131:134], v130 offset0:121 offset1:122
	ds_read2_b64 v[135:138], v130 offset0:123 offset1:124
	s_waitcnt vmcnt(12) lgkmcnt(1)
	v_fma_f64 v[131:132], v[163:164], v[131:132], v[139:140]
	s_waitcnt vmcnt(11)
	v_fma_f64 v[131:132], v[161:162], v[133:134], v[131:132]
	s_waitcnt vmcnt(10) lgkmcnt(0)
	v_fma_f64 v[131:132], v[155:156], v[135:136], v[131:132]
	s_waitcnt vmcnt(5)
	v_fma_f64 v[135:136], v[141:142], v[137:138], v[131:132]
	ds_read2_b64 v[131:134], v130 offset0:125 offset1:126
	ds_read_b64 v[137:138], v130 offset:1016
	s_waitcnt vmcnt(4) lgkmcnt(1)
	v_fma_f64 v[131:132], v[149:150], v[131:132], v[135:136]
	s_waitcnt vmcnt(3)
	v_fma_f64 v[131:132], v[147:148], v[133:134], v[131:132]
	s_waitcnt vmcnt(2) lgkmcnt(0)
	v_fma_f64 v[131:132], v[143:144], v[137:138], v[131:132]
	s_waitcnt vmcnt(0)
	v_add_f64 v[131:132], v[145:146], -v[131:132]
	buffer_store_dword v132, off, s[0:3], 0 offset:260
	buffer_store_dword v131, off, s[0:3], 0 offset:256
	s_and_saveexec_b64 s[4:5], vcc
	s_cbranch_execz .LBB127_329
; %bb.328:
	buffer_load_dword v131, off, s[0:3], 0 offset:248
	buffer_load_dword v132, off, s[0:3], 0 offset:252
	s_waitcnt vmcnt(0)
	ds_write_b64 v129, v[131:132]
	buffer_store_dword v130, off, s[0:3], 0 offset:248
	buffer_store_dword v130, off, s[0:3], 0 offset:252
.LBB127_329:
	s_or_b64 exec, exec, s[4:5]
	s_waitcnt lgkmcnt(0)
	; wave barrier
	buffer_load_dword v139, off, s[0:3], 0 offset:256
	buffer_load_dword v140, off, s[0:3], 0 offset:260
	;; [unrolled: 1-line block ×22, first 2 shown]
	ds_read_b128 v[131:134], v130 offset:768
	ds_read_b128 v[135:138], v130 offset:784
	v_cmp_lt_u32_e32 vcc, 30, v0
	s_waitcnt vmcnt(20) lgkmcnt(1)
	v_fma_f64 v[131:132], v[139:140], v[131:132], 0
	s_waitcnt vmcnt(18)
	v_fma_f64 v[131:132], v[141:142], v[133:134], v[131:132]
	buffer_load_dword v140, off, s[0:3], 0 offset:348
	buffer_load_dword v141, off, s[0:3], 0 offset:368
	;; [unrolled: 1-line block ×7, first 2 shown]
	s_waitcnt vmcnt(23) lgkmcnt(0)
	v_fma_f64 v[131:132], v[143:144], v[135:136], v[131:132]
	s_waitcnt vmcnt(21)
	v_fma_f64 v[142:143], v[145:146], v[137:138], v[131:132]
	ds_read_b128 v[131:134], v130 offset:800
	ds_read_b128 v[135:138], v130 offset:816
	s_waitcnt vmcnt(19) lgkmcnt(1)
	v_fma_f64 v[131:132], v[147:148], v[131:132], v[142:143]
	buffer_load_dword v142, off, s[0:3], 0 offset:372
	s_waitcnt vmcnt(18)
	v_fma_f64 v[131:132], v[149:150], v[133:134], v[131:132]
	buffer_load_dword v144, off, s[0:3], 0 offset:380
	buffer_load_dword v145, off, s[0:3], 0 offset:400
	;; [unrolled: 1-line block ×7, first 2 shown]
	s_waitcnt vmcnt(23) lgkmcnt(0)
	v_fma_f64 v[131:132], v[151:152], v[135:136], v[131:132]
	s_waitcnt vmcnt(18)
	v_fma_f64 v[151:152], v[153:154], v[137:138], v[131:132]
	ds_read_b128 v[131:134], v130 offset:832
	ds_read_b128 v[135:138], v130 offset:848
	buffer_load_dword v146, off, s[0:3], 0 offset:404
	s_waitcnt vmcnt(18) lgkmcnt(1)
	v_fma_f64 v[131:132], v[159:160], v[131:132], v[151:152]
	s_waitcnt vmcnt(17)
	v_fma_f64 v[131:132], v[157:158], v[133:134], v[131:132]
	buffer_load_dword v152, off, s[0:3], 0 offset:412
	buffer_load_dword v153, off, s[0:3], 0 offset:432
	buffer_load_dword v157, off, s[0:3], 0 offset:424
	buffer_load_dword v159, off, s[0:3], 0 offset:416
	buffer_load_dword v151, off, s[0:3], 0 offset:408
	buffer_load_dword v160, off, s[0:3], 0 offset:420
	buffer_load_dword v158, off, s[0:3], 0 offset:428
	buffer_load_dword v154, off, s[0:3], 0 offset:436
	s_waitcnt vmcnt(24) lgkmcnt(0)
	v_fma_f64 v[131:132], v[155:156], v[135:136], v[131:132]
	s_waitcnt vmcnt(19)
	v_fma_f64 v[139:140], v[139:140], v[137:138], v[131:132]
	ds_read_b128 v[131:134], v130 offset:864
	ds_read_b128 v[135:138], v130 offset:880
	s_waitcnt vmcnt(18) lgkmcnt(1)
	v_fma_f64 v[131:132], v[163:164], v[131:132], v[139:140]
	s_waitcnt vmcnt(17)
	v_fma_f64 v[131:132], v[161:162], v[133:134], v[131:132]
	buffer_load_dword v140, off, s[0:3], 0 offset:444
	buffer_load_dword v155, off, s[0:3], 0 offset:464
	buffer_load_dword v161, off, s[0:3], 0 offset:456
	buffer_load_dword v163, off, s[0:3], 0 offset:448
	buffer_load_dword v139, off, s[0:3], 0 offset:440
	buffer_load_dword v164, off, s[0:3], 0 offset:452
	buffer_load_dword v162, off, s[0:3], 0 offset:460
	buffer_load_dword v156, off, s[0:3], 0 offset:468
	s_waitcnt vmcnt(24) lgkmcnt(0)
	v_fma_f64 v[131:132], v[141:142], v[135:136], v[131:132]
	s_waitcnt vmcnt(19)
	v_fma_f64 v[141:142], v[143:144], v[137:138], v[131:132]
	ds_read_b128 v[131:134], v130 offset:896
	ds_read_b128 v[135:138], v130 offset:912
	;; [unrolled: 18-line block ×3, first 2 shown]
	s_waitcnt vmcnt(18) lgkmcnt(1)
	v_fma_f64 v[131:132], v[159:160], v[131:132], v[145:146]
	buffer_load_dword v146, off, s[0:3], 0 offset:508
	buffer_load_dword v145, off, s[0:3], 0 offset:504
	;; [unrolled: 1-line block ×4, first 2 shown]
	s_waitcnt vmcnt(21)
	v_fma_f64 v[131:132], v[157:158], v[133:134], v[131:132]
	s_waitcnt vmcnt(20) lgkmcnt(0)
	v_fma_f64 v[131:132], v[153:154], v[135:136], v[131:132]
	s_waitcnt vmcnt(15)
	v_fma_f64 v[139:140], v[139:140], v[137:138], v[131:132]
	ds_read_b128 v[131:134], v130 offset:960
	ds_read_b128 v[135:138], v130 offset:976
	s_waitcnt vmcnt(14) lgkmcnt(1)
	v_fma_f64 v[131:132], v[163:164], v[131:132], v[139:140]
	s_waitcnt vmcnt(13)
	v_fma_f64 v[131:132], v[161:162], v[133:134], v[131:132]
	s_waitcnt vmcnt(12) lgkmcnt(0)
	v_fma_f64 v[131:132], v[155:156], v[135:136], v[131:132]
	s_waitcnt vmcnt(7)
	v_fma_f64 v[139:140], v[141:142], v[137:138], v[131:132]
	ds_read_b128 v[131:134], v130 offset:992
	ds_read_b128 v[135:138], v130 offset:1008
	s_waitcnt vmcnt(6) lgkmcnt(1)
	v_fma_f64 v[130:131], v[149:150], v[131:132], v[139:140]
	s_waitcnt vmcnt(5)
	v_fma_f64 v[130:131], v[147:148], v[133:134], v[130:131]
	s_waitcnt vmcnt(4) lgkmcnt(0)
	v_fma_f64 v[130:131], v[143:144], v[135:136], v[130:131]
	s_waitcnt vmcnt(2)
	v_fma_f64 v[130:131], v[145:146], v[137:138], v[130:131]
	s_waitcnt vmcnt(0)
	v_add_f64 v[130:131], v[151:152], -v[130:131]
	buffer_store_dword v131, off, s[0:3], 0 offset:252
	buffer_store_dword v130, off, s[0:3], 0 offset:248
	s_and_saveexec_b64 s[4:5], vcc
	s_cbranch_execz .LBB127_331
; %bb.330:
	buffer_load_dword v130, off, s[0:3], 0 offset:240
	buffer_load_dword v131, off, s[0:3], 0 offset:244
	v_mov_b32_e32 v132, 0
	buffer_store_dword v132, off, s[0:3], 0 offset:240
	buffer_store_dword v132, off, s[0:3], 0 offset:244
	s_waitcnt vmcnt(2)
	ds_write_b64 v129, v[130:131]
.LBB127_331:
	s_or_b64 exec, exec, s[4:5]
	s_waitcnt lgkmcnt(0)
	; wave barrier
	buffer_load_dword v139, off, s[0:3], 0 offset:248
	buffer_load_dword v140, off, s[0:3], 0 offset:252
	buffer_load_dword v141, off, s[0:3], 0 offset:256
	buffer_load_dword v142, off, s[0:3], 0 offset:260
	buffer_load_dword v143, off, s[0:3], 0 offset:264
	buffer_load_dword v144, off, s[0:3], 0 offset:268
	buffer_load_dword v145, off, s[0:3], 0 offset:272
	buffer_load_dword v146, off, s[0:3], 0 offset:276
	buffer_load_dword v147, off, s[0:3], 0 offset:280
	buffer_load_dword v148, off, s[0:3], 0 offset:284
	buffer_load_dword v149, off, s[0:3], 0 offset:288
	buffer_load_dword v150, off, s[0:3], 0 offset:292
	buffer_load_dword v151, off, s[0:3], 0 offset:296
	buffer_load_dword v152, off, s[0:3], 0 offset:300
	buffer_load_dword v154, off, s[0:3], 0 offset:308
	buffer_load_dword v155, off, s[0:3], 0 offset:328
	buffer_load_dword v157, off, s[0:3], 0 offset:320
	buffer_load_dword v159, off, s[0:3], 0 offset:312
	buffer_load_dword v153, off, s[0:3], 0 offset:304
	buffer_load_dword v160, off, s[0:3], 0 offset:316
	buffer_load_dword v158, off, s[0:3], 0 offset:324
	v_mov_b32_e32 v130, 0
	ds_read2_b64 v[131:134], v130 offset0:95 offset1:96
	ds_read2_b64 v[135:138], v130 offset0:97 offset1:98
	buffer_load_dword v156, off, s[0:3], 0 offset:332
	v_cmp_lt_u32_e32 vcc, 29, v0
	s_waitcnt vmcnt(20) lgkmcnt(1)
	v_fma_f64 v[131:132], v[139:140], v[131:132], 0
	s_waitcnt vmcnt(18)
	v_fma_f64 v[131:132], v[141:142], v[133:134], v[131:132]
	buffer_load_dword v140, off, s[0:3], 0 offset:340
	buffer_load_dword v141, off, s[0:3], 0 offset:360
	;; [unrolled: 1-line block ×7, first 2 shown]
	s_waitcnt vmcnt(23) lgkmcnt(0)
	v_fma_f64 v[131:132], v[143:144], v[135:136], v[131:132]
	s_waitcnt vmcnt(21)
	v_fma_f64 v[142:143], v[145:146], v[137:138], v[131:132]
	ds_read2_b64 v[131:134], v130 offset0:99 offset1:100
	ds_read2_b64 v[135:138], v130 offset0:101 offset1:102
	s_waitcnt vmcnt(19) lgkmcnt(1)
	v_fma_f64 v[131:132], v[147:148], v[131:132], v[142:143]
	buffer_load_dword v142, off, s[0:3], 0 offset:364
	s_waitcnt vmcnt(18)
	v_fma_f64 v[131:132], v[149:150], v[133:134], v[131:132]
	buffer_load_dword v144, off, s[0:3], 0 offset:372
	buffer_load_dword v145, off, s[0:3], 0 offset:392
	buffer_load_dword v147, off, s[0:3], 0 offset:384
	buffer_load_dword v149, off, s[0:3], 0 offset:376
	buffer_load_dword v143, off, s[0:3], 0 offset:368
	buffer_load_dword v150, off, s[0:3], 0 offset:380
	buffer_load_dword v148, off, s[0:3], 0 offset:388
	s_waitcnt vmcnt(23) lgkmcnt(0)
	v_fma_f64 v[131:132], v[151:152], v[135:136], v[131:132]
	s_waitcnt vmcnt(18)
	v_fma_f64 v[151:152], v[153:154], v[137:138], v[131:132]
	ds_read2_b64 v[131:134], v130 offset0:103 offset1:104
	ds_read2_b64 v[135:138], v130 offset0:105 offset1:106
	buffer_load_dword v146, off, s[0:3], 0 offset:396
	s_waitcnt vmcnt(18) lgkmcnt(1)
	v_fma_f64 v[131:132], v[159:160], v[131:132], v[151:152]
	s_waitcnt vmcnt(17)
	v_fma_f64 v[131:132], v[157:158], v[133:134], v[131:132]
	buffer_load_dword v152, off, s[0:3], 0 offset:404
	buffer_load_dword v153, off, s[0:3], 0 offset:424
	;; [unrolled: 1-line block ×7, first 2 shown]
	s_waitcnt vmcnt(23) lgkmcnt(0)
	v_fma_f64 v[131:132], v[155:156], v[135:136], v[131:132]
	s_waitcnt vmcnt(18)
	v_fma_f64 v[139:140], v[139:140], v[137:138], v[131:132]
	ds_read2_b64 v[131:134], v130 offset0:107 offset1:108
	ds_read2_b64 v[135:138], v130 offset0:109 offset1:110
	buffer_load_dword v154, off, s[0:3], 0 offset:428
	s_waitcnt vmcnt(18) lgkmcnt(1)
	v_fma_f64 v[131:132], v[163:164], v[131:132], v[139:140]
	s_waitcnt vmcnt(17)
	v_fma_f64 v[131:132], v[161:162], v[133:134], v[131:132]
	buffer_load_dword v140, off, s[0:3], 0 offset:436
	buffer_load_dword v155, off, s[0:3], 0 offset:456
	;; [unrolled: 1-line block ×8, first 2 shown]
	s_waitcnt vmcnt(24) lgkmcnt(0)
	v_fma_f64 v[131:132], v[141:142], v[135:136], v[131:132]
	s_waitcnt vmcnt(19)
	v_fma_f64 v[141:142], v[143:144], v[137:138], v[131:132]
	ds_read2_b64 v[131:134], v130 offset0:111 offset1:112
	ds_read2_b64 v[135:138], v130 offset0:113 offset1:114
	s_waitcnt vmcnt(18) lgkmcnt(1)
	v_fma_f64 v[131:132], v[149:150], v[131:132], v[141:142]
	s_waitcnt vmcnt(17)
	v_fma_f64 v[131:132], v[147:148], v[133:134], v[131:132]
	buffer_load_dword v142, off, s[0:3], 0 offset:468
	buffer_load_dword v143, off, s[0:3], 0 offset:488
	;; [unrolled: 1-line block ×7, first 2 shown]
	s_waitcnt vmcnt(23) lgkmcnt(0)
	v_fma_f64 v[131:132], v[145:146], v[135:136], v[131:132]
	s_waitcnt vmcnt(18)
	v_fma_f64 v[144:145], v[151:152], v[137:138], v[131:132]
	ds_read2_b64 v[131:134], v130 offset0:115 offset1:116
	ds_read2_b64 v[135:138], v130 offset0:117 offset1:118
	s_waitcnt vmcnt(17) lgkmcnt(1)
	v_fma_f64 v[131:132], v[159:160], v[131:132], v[144:145]
	buffer_load_dword v144, off, s[0:3], 0 offset:492
	buffer_load_dword v146, off, s[0:3], 0 offset:500
	;; [unrolled: 1-line block ×5, first 2 shown]
	s_waitcnt vmcnt(21)
	v_fma_f64 v[131:132], v[157:158], v[133:134], v[131:132]
	s_waitcnt vmcnt(20) lgkmcnt(0)
	v_fma_f64 v[131:132], v[153:154], v[135:136], v[131:132]
	buffer_load_dword v153, off, s[0:3], 0 offset:240
	buffer_load_dword v154, off, s[0:3], 0 offset:244
	s_waitcnt vmcnt(17)
	v_fma_f64 v[139:140], v[139:140], v[137:138], v[131:132]
	ds_read2_b64 v[131:134], v130 offset0:119 offset1:120
	ds_read2_b64 v[135:138], v130 offset0:121 offset1:122
	s_waitcnt vmcnt(16) lgkmcnt(1)
	v_fma_f64 v[131:132], v[163:164], v[131:132], v[139:140]
	s_waitcnt vmcnt(15)
	v_fma_f64 v[131:132], v[161:162], v[133:134], v[131:132]
	s_waitcnt vmcnt(14) lgkmcnt(0)
	v_fma_f64 v[131:132], v[155:156], v[135:136], v[131:132]
	s_waitcnt vmcnt(9)
	v_fma_f64 v[139:140], v[141:142], v[137:138], v[131:132]
	ds_read2_b64 v[131:134], v130 offset0:123 offset1:124
	ds_read2_b64 v[135:138], v130 offset0:125 offset1:126
	s_waitcnt vmcnt(8) lgkmcnt(1)
	v_fma_f64 v[131:132], v[149:150], v[131:132], v[139:140]
	s_waitcnt vmcnt(7)
	v_fma_f64 v[131:132], v[147:148], v[133:134], v[131:132]
	ds_read_b64 v[133:134], v130 offset:1016
	s_waitcnt vmcnt(6) lgkmcnt(1)
	v_fma_f64 v[131:132], v[143:144], v[135:136], v[131:132]
	s_waitcnt vmcnt(3)
	v_fma_f64 v[131:132], v[145:146], v[137:138], v[131:132]
	s_waitcnt vmcnt(2) lgkmcnt(0)
	v_fma_f64 v[131:132], v[151:152], v[133:134], v[131:132]
	s_waitcnt vmcnt(0)
	v_add_f64 v[131:132], v[153:154], -v[131:132]
	buffer_store_dword v132, off, s[0:3], 0 offset:244
	buffer_store_dword v131, off, s[0:3], 0 offset:240
	s_and_saveexec_b64 s[4:5], vcc
	s_cbranch_execz .LBB127_333
; %bb.332:
	buffer_load_dword v131, off, s[0:3], 0 offset:232
	buffer_load_dword v132, off, s[0:3], 0 offset:236
	s_waitcnt vmcnt(0)
	ds_write_b64 v129, v[131:132]
	buffer_store_dword v130, off, s[0:3], 0 offset:232
	buffer_store_dword v130, off, s[0:3], 0 offset:236
.LBB127_333:
	s_or_b64 exec, exec, s[4:5]
	s_waitcnt lgkmcnt(0)
	; wave barrier
	buffer_load_dword v139, off, s[0:3], 0 offset:240
	buffer_load_dword v140, off, s[0:3], 0 offset:244
	;; [unrolled: 1-line block ×21, first 2 shown]
	ds_read_b128 v[131:134], v130 offset:752
	ds_read_b128 v[135:138], v130 offset:768
	buffer_load_dword v156, off, s[0:3], 0 offset:324
	v_cmp_lt_u32_e32 vcc, 28, v0
	s_waitcnt vmcnt(20) lgkmcnt(1)
	v_fma_f64 v[131:132], v[139:140], v[131:132], 0
	s_waitcnt vmcnt(18)
	v_fma_f64 v[131:132], v[141:142], v[133:134], v[131:132]
	buffer_load_dword v140, off, s[0:3], 0 offset:332
	buffer_load_dword v141, off, s[0:3], 0 offset:352
	;; [unrolled: 1-line block ×7, first 2 shown]
	s_waitcnt vmcnt(23) lgkmcnt(0)
	v_fma_f64 v[131:132], v[143:144], v[135:136], v[131:132]
	s_waitcnt vmcnt(21)
	v_fma_f64 v[142:143], v[145:146], v[137:138], v[131:132]
	ds_read_b128 v[131:134], v130 offset:784
	ds_read_b128 v[135:138], v130 offset:800
	s_waitcnt vmcnt(19) lgkmcnt(1)
	v_fma_f64 v[131:132], v[147:148], v[131:132], v[142:143]
	buffer_load_dword v142, off, s[0:3], 0 offset:356
	s_waitcnt vmcnt(18)
	v_fma_f64 v[131:132], v[149:150], v[133:134], v[131:132]
	buffer_load_dword v144, off, s[0:3], 0 offset:364
	buffer_load_dword v145, off, s[0:3], 0 offset:384
	;; [unrolled: 1-line block ×8, first 2 shown]
	s_waitcnt vmcnt(24) lgkmcnt(0)
	v_fma_f64 v[131:132], v[151:152], v[135:136], v[131:132]
	s_waitcnt vmcnt(19)
	v_fma_f64 v[151:152], v[153:154], v[137:138], v[131:132]
	ds_read_b128 v[131:134], v130 offset:816
	ds_read_b128 v[135:138], v130 offset:832
	s_waitcnt vmcnt(18) lgkmcnt(1)
	v_fma_f64 v[131:132], v[159:160], v[131:132], v[151:152]
	s_waitcnt vmcnt(17)
	v_fma_f64 v[131:132], v[157:158], v[133:134], v[131:132]
	buffer_load_dword v152, off, s[0:3], 0 offset:396
	buffer_load_dword v153, off, s[0:3], 0 offset:416
	;; [unrolled: 1-line block ×7, first 2 shown]
	s_waitcnt vmcnt(23) lgkmcnt(0)
	v_fma_f64 v[131:132], v[155:156], v[135:136], v[131:132]
	s_waitcnt vmcnt(18)
	v_fma_f64 v[139:140], v[139:140], v[137:138], v[131:132]
	ds_read_b128 v[131:134], v130 offset:848
	ds_read_b128 v[135:138], v130 offset:864
	buffer_load_dword v154, off, s[0:3], 0 offset:420
	s_waitcnt vmcnt(18) lgkmcnt(1)
	v_fma_f64 v[131:132], v[163:164], v[131:132], v[139:140]
	s_waitcnt vmcnt(17)
	v_fma_f64 v[131:132], v[161:162], v[133:134], v[131:132]
	buffer_load_dword v140, off, s[0:3], 0 offset:428
	buffer_load_dword v155, off, s[0:3], 0 offset:448
	;; [unrolled: 1-line block ×8, first 2 shown]
	s_waitcnt vmcnt(24) lgkmcnt(0)
	v_fma_f64 v[131:132], v[141:142], v[135:136], v[131:132]
	s_waitcnt vmcnt(19)
	v_fma_f64 v[141:142], v[143:144], v[137:138], v[131:132]
	ds_read_b128 v[131:134], v130 offset:880
	ds_read_b128 v[135:138], v130 offset:896
	s_waitcnt vmcnt(18) lgkmcnt(1)
	v_fma_f64 v[131:132], v[149:150], v[131:132], v[141:142]
	s_waitcnt vmcnt(17)
	v_fma_f64 v[131:132], v[147:148], v[133:134], v[131:132]
	buffer_load_dword v142, off, s[0:3], 0 offset:460
	buffer_load_dword v143, off, s[0:3], 0 offset:480
	;; [unrolled: 1-line block ×7, first 2 shown]
	s_waitcnt vmcnt(23) lgkmcnt(0)
	v_fma_f64 v[131:132], v[145:146], v[135:136], v[131:132]
	s_waitcnt vmcnt(18)
	v_fma_f64 v[144:145], v[151:152], v[137:138], v[131:132]
	ds_read_b128 v[131:134], v130 offset:912
	ds_read_b128 v[135:138], v130 offset:928
	s_waitcnt vmcnt(17) lgkmcnt(1)
	v_fma_f64 v[131:132], v[159:160], v[131:132], v[144:145]
	buffer_load_dword v144, off, s[0:3], 0 offset:484
	s_waitcnt vmcnt(17)
	v_fma_f64 v[131:132], v[157:158], v[133:134], v[131:132]
	buffer_load_dword v146, off, s[0:3], 0 offset:492
	buffer_load_dword v151, off, s[0:3], 0 offset:504
	;; [unrolled: 1-line block ×6, first 2 shown]
	s_waitcnt vmcnt(22) lgkmcnt(0)
	v_fma_f64 v[131:132], v[153:154], v[135:136], v[131:132]
	s_waitcnt vmcnt(17)
	v_fma_f64 v[139:140], v[139:140], v[137:138], v[131:132]
	ds_read_b128 v[131:134], v130 offset:944
	buffer_load_dword v153, off, s[0:3], 0 offset:232
	buffer_load_dword v154, off, s[0:3], 0 offset:236
	ds_read_b128 v[135:138], v130 offset:960
	s_waitcnt vmcnt(18) lgkmcnt(1)
	v_fma_f64 v[131:132], v[163:164], v[131:132], v[139:140]
	s_waitcnt vmcnt(17)
	v_fma_f64 v[131:132], v[161:162], v[133:134], v[131:132]
	s_waitcnt vmcnt(16) lgkmcnt(0)
	v_fma_f64 v[131:132], v[155:156], v[135:136], v[131:132]
	s_waitcnt vmcnt(11)
	v_fma_f64 v[139:140], v[141:142], v[137:138], v[131:132]
	ds_read_b128 v[131:134], v130 offset:976
	ds_read_b128 v[135:138], v130 offset:992
	s_waitcnt vmcnt(10) lgkmcnt(1)
	v_fma_f64 v[131:132], v[149:150], v[131:132], v[139:140]
	s_waitcnt vmcnt(9)
	v_fma_f64 v[131:132], v[147:148], v[133:134], v[131:132]
	s_waitcnt vmcnt(8) lgkmcnt(0)
	v_fma_f64 v[131:132], v[143:144], v[135:136], v[131:132]
	s_waitcnt vmcnt(4)
	v_fma_f64 v[134:135], v[145:146], v[137:138], v[131:132]
	ds_read_b128 v[130:133], v130 offset:1008
	s_waitcnt vmcnt(3) lgkmcnt(0)
	v_fma_f64 v[130:131], v[157:158], v[130:131], v[134:135]
	s_waitcnt vmcnt(2)
	v_fma_f64 v[130:131], v[151:152], v[132:133], v[130:131]
	s_waitcnt vmcnt(0)
	v_add_f64 v[130:131], v[153:154], -v[130:131]
	buffer_store_dword v131, off, s[0:3], 0 offset:236
	buffer_store_dword v130, off, s[0:3], 0 offset:232
	s_and_saveexec_b64 s[4:5], vcc
	s_cbranch_execz .LBB127_335
; %bb.334:
	buffer_load_dword v130, off, s[0:3], 0 offset:224
	buffer_load_dword v131, off, s[0:3], 0 offset:228
	v_mov_b32_e32 v132, 0
	buffer_store_dword v132, off, s[0:3], 0 offset:224
	buffer_store_dword v132, off, s[0:3], 0 offset:228
	s_waitcnt vmcnt(2)
	ds_write_b64 v129, v[130:131]
.LBB127_335:
	s_or_b64 exec, exec, s[4:5]
	s_waitcnt lgkmcnt(0)
	; wave barrier
	buffer_load_dword v139, off, s[0:3], 0 offset:232
	buffer_load_dword v140, off, s[0:3], 0 offset:236
	;; [unrolled: 1-line block ×21, first 2 shown]
	v_mov_b32_e32 v130, 0
	ds_read2_b64 v[131:134], v130 offset0:93 offset1:94
	ds_read2_b64 v[135:138], v130 offset0:95 offset1:96
	buffer_load_dword v156, off, s[0:3], 0 offset:316
	v_cmp_lt_u32_e32 vcc, 27, v0
	s_waitcnt vmcnt(20) lgkmcnt(1)
	v_fma_f64 v[131:132], v[139:140], v[131:132], 0
	s_waitcnt vmcnt(18)
	v_fma_f64 v[131:132], v[141:142], v[133:134], v[131:132]
	buffer_load_dword v140, off, s[0:3], 0 offset:324
	buffer_load_dword v141, off, s[0:3], 0 offset:344
	;; [unrolled: 1-line block ×7, first 2 shown]
	s_waitcnt vmcnt(23) lgkmcnt(0)
	v_fma_f64 v[131:132], v[143:144], v[135:136], v[131:132]
	s_waitcnt vmcnt(21)
	v_fma_f64 v[142:143], v[145:146], v[137:138], v[131:132]
	ds_read2_b64 v[131:134], v130 offset0:97 offset1:98
	ds_read2_b64 v[135:138], v130 offset0:99 offset1:100
	s_waitcnt vmcnt(19) lgkmcnt(1)
	v_fma_f64 v[131:132], v[147:148], v[131:132], v[142:143]
	buffer_load_dword v142, off, s[0:3], 0 offset:348
	s_waitcnt vmcnt(18)
	v_fma_f64 v[131:132], v[149:150], v[133:134], v[131:132]
	buffer_load_dword v144, off, s[0:3], 0 offset:356
	buffer_load_dword v145, off, s[0:3], 0 offset:376
	;; [unrolled: 1-line block ×8, first 2 shown]
	s_waitcnt vmcnt(24) lgkmcnt(0)
	v_fma_f64 v[131:132], v[151:152], v[135:136], v[131:132]
	s_waitcnt vmcnt(19)
	v_fma_f64 v[151:152], v[153:154], v[137:138], v[131:132]
	ds_read2_b64 v[131:134], v130 offset0:101 offset1:102
	ds_read2_b64 v[135:138], v130 offset0:103 offset1:104
	s_waitcnt vmcnt(18) lgkmcnt(1)
	v_fma_f64 v[131:132], v[159:160], v[131:132], v[151:152]
	s_waitcnt vmcnt(17)
	v_fma_f64 v[131:132], v[157:158], v[133:134], v[131:132]
	buffer_load_dword v152, off, s[0:3], 0 offset:388
	buffer_load_dword v153, off, s[0:3], 0 offset:408
	;; [unrolled: 1-line block ×7, first 2 shown]
	s_waitcnt vmcnt(23) lgkmcnt(0)
	v_fma_f64 v[131:132], v[155:156], v[135:136], v[131:132]
	s_waitcnt vmcnt(18)
	v_fma_f64 v[139:140], v[139:140], v[137:138], v[131:132]
	ds_read2_b64 v[131:134], v130 offset0:105 offset1:106
	ds_read2_b64 v[135:138], v130 offset0:107 offset1:108
	buffer_load_dword v154, off, s[0:3], 0 offset:412
	s_waitcnt vmcnt(18) lgkmcnt(1)
	v_fma_f64 v[131:132], v[163:164], v[131:132], v[139:140]
	s_waitcnt vmcnt(17)
	v_fma_f64 v[131:132], v[161:162], v[133:134], v[131:132]
	buffer_load_dword v140, off, s[0:3], 0 offset:420
	buffer_load_dword v155, off, s[0:3], 0 offset:440
	;; [unrolled: 1-line block ×8, first 2 shown]
	s_waitcnt vmcnt(24) lgkmcnt(0)
	v_fma_f64 v[131:132], v[141:142], v[135:136], v[131:132]
	s_waitcnt vmcnt(19)
	v_fma_f64 v[141:142], v[143:144], v[137:138], v[131:132]
	ds_read2_b64 v[131:134], v130 offset0:109 offset1:110
	ds_read2_b64 v[135:138], v130 offset0:111 offset1:112
	s_waitcnt vmcnt(18) lgkmcnt(1)
	v_fma_f64 v[131:132], v[149:150], v[131:132], v[141:142]
	s_waitcnt vmcnt(17)
	v_fma_f64 v[131:132], v[147:148], v[133:134], v[131:132]
	buffer_load_dword v142, off, s[0:3], 0 offset:452
	buffer_load_dword v143, off, s[0:3], 0 offset:472
	buffer_load_dword v147, off, s[0:3], 0 offset:464
	buffer_load_dword v149, off, s[0:3], 0 offset:456
	buffer_load_dword v141, off, s[0:3], 0 offset:448
	buffer_load_dword v150, off, s[0:3], 0 offset:460
	buffer_load_dword v148, off, s[0:3], 0 offset:468
	s_waitcnt vmcnt(23) lgkmcnt(0)
	v_fma_f64 v[131:132], v[145:146], v[135:136], v[131:132]
	s_waitcnt vmcnt(18)
	v_fma_f64 v[144:145], v[151:152], v[137:138], v[131:132]
	ds_read2_b64 v[131:134], v130 offset0:113 offset1:114
	ds_read2_b64 v[135:138], v130 offset0:115 offset1:116
	s_waitcnt vmcnt(17) lgkmcnt(1)
	v_fma_f64 v[131:132], v[159:160], v[131:132], v[144:145]
	buffer_load_dword v144, off, s[0:3], 0 offset:476
	s_waitcnt vmcnt(17)
	v_fma_f64 v[131:132], v[157:158], v[133:134], v[131:132]
	buffer_load_dword v146, off, s[0:3], 0 offset:484
	buffer_load_dword v151, off, s[0:3], 0 offset:504
	;; [unrolled: 1-line block ×8, first 2 shown]
	s_waitcnt vmcnt(24) lgkmcnt(0)
	v_fma_f64 v[131:132], v[153:154], v[135:136], v[131:132]
	s_waitcnt vmcnt(19)
	v_fma_f64 v[139:140], v[139:140], v[137:138], v[131:132]
	ds_read2_b64 v[131:134], v130 offset0:117 offset1:118
	ds_read2_b64 v[135:138], v130 offset0:119 offset1:120
	s_waitcnt vmcnt(18) lgkmcnt(1)
	v_fma_f64 v[131:132], v[163:164], v[131:132], v[139:140]
	buffer_load_dword v139, off, s[0:3], 0 offset:224
	buffer_load_dword v140, off, s[0:3], 0 offset:228
	s_waitcnt vmcnt(19)
	v_fma_f64 v[131:132], v[161:162], v[133:134], v[131:132]
	s_waitcnt vmcnt(18) lgkmcnt(0)
	v_fma_f64 v[131:132], v[155:156], v[135:136], v[131:132]
	s_waitcnt vmcnt(13)
	v_fma_f64 v[141:142], v[141:142], v[137:138], v[131:132]
	ds_read2_b64 v[131:134], v130 offset0:121 offset1:122
	ds_read2_b64 v[135:138], v130 offset0:123 offset1:124
	s_waitcnt vmcnt(12) lgkmcnt(1)
	v_fma_f64 v[131:132], v[149:150], v[131:132], v[141:142]
	s_waitcnt vmcnt(11)
	v_fma_f64 v[131:132], v[147:148], v[133:134], v[131:132]
	s_waitcnt vmcnt(10) lgkmcnt(0)
	v_fma_f64 v[131:132], v[143:144], v[135:136], v[131:132]
	s_waitcnt vmcnt(5)
	v_fma_f64 v[135:136], v[145:146], v[137:138], v[131:132]
	ds_read2_b64 v[131:134], v130 offset0:125 offset1:126
	ds_read_b64 v[137:138], v130 offset:1016
	s_waitcnt vmcnt(4) lgkmcnt(1)
	v_fma_f64 v[131:132], v[159:160], v[131:132], v[135:136]
	s_waitcnt vmcnt(3)
	v_fma_f64 v[131:132], v[157:158], v[133:134], v[131:132]
	s_waitcnt vmcnt(2) lgkmcnt(0)
	v_fma_f64 v[131:132], v[151:152], v[137:138], v[131:132]
	s_waitcnt vmcnt(0)
	v_add_f64 v[131:132], v[139:140], -v[131:132]
	buffer_store_dword v132, off, s[0:3], 0 offset:228
	buffer_store_dword v131, off, s[0:3], 0 offset:224
	s_and_saveexec_b64 s[4:5], vcc
	s_cbranch_execz .LBB127_337
; %bb.336:
	buffer_load_dword v131, off, s[0:3], 0 offset:216
	buffer_load_dword v132, off, s[0:3], 0 offset:220
	s_waitcnt vmcnt(0)
	ds_write_b64 v129, v[131:132]
	buffer_store_dword v130, off, s[0:3], 0 offset:216
	buffer_store_dword v130, off, s[0:3], 0 offset:220
.LBB127_337:
	s_or_b64 exec, exec, s[4:5]
	s_waitcnt lgkmcnt(0)
	; wave barrier
	buffer_load_dword v139, off, s[0:3], 0 offset:224
	buffer_load_dword v140, off, s[0:3], 0 offset:228
	;; [unrolled: 1-line block ×21, first 2 shown]
	ds_read_b128 v[131:134], v130 offset:736
	ds_read_b128 v[135:138], v130 offset:752
	buffer_load_dword v156, off, s[0:3], 0 offset:308
	v_cmp_lt_u32_e32 vcc, 26, v0
	s_waitcnt vmcnt(20) lgkmcnt(1)
	v_fma_f64 v[131:132], v[139:140], v[131:132], 0
	s_waitcnt vmcnt(18)
	v_fma_f64 v[131:132], v[141:142], v[133:134], v[131:132]
	buffer_load_dword v140, off, s[0:3], 0 offset:316
	buffer_load_dword v141, off, s[0:3], 0 offset:336
	;; [unrolled: 1-line block ×7, first 2 shown]
	s_waitcnt vmcnt(23) lgkmcnt(0)
	v_fma_f64 v[131:132], v[143:144], v[135:136], v[131:132]
	s_waitcnt vmcnt(21)
	v_fma_f64 v[142:143], v[145:146], v[137:138], v[131:132]
	ds_read_b128 v[131:134], v130 offset:768
	ds_read_b128 v[135:138], v130 offset:784
	s_waitcnt vmcnt(19) lgkmcnt(1)
	v_fma_f64 v[131:132], v[147:148], v[131:132], v[142:143]
	buffer_load_dword v142, off, s[0:3], 0 offset:340
	s_waitcnt vmcnt(18)
	v_fma_f64 v[131:132], v[149:150], v[133:134], v[131:132]
	buffer_load_dword v144, off, s[0:3], 0 offset:348
	buffer_load_dword v145, off, s[0:3], 0 offset:368
	;; [unrolled: 1-line block ×8, first 2 shown]
	s_waitcnt vmcnt(24) lgkmcnt(0)
	v_fma_f64 v[131:132], v[151:152], v[135:136], v[131:132]
	s_waitcnt vmcnt(19)
	v_fma_f64 v[151:152], v[153:154], v[137:138], v[131:132]
	ds_read_b128 v[131:134], v130 offset:800
	ds_read_b128 v[135:138], v130 offset:816
	s_waitcnt vmcnt(18) lgkmcnt(1)
	v_fma_f64 v[131:132], v[159:160], v[131:132], v[151:152]
	s_waitcnt vmcnt(17)
	v_fma_f64 v[131:132], v[157:158], v[133:134], v[131:132]
	buffer_load_dword v152, off, s[0:3], 0 offset:380
	buffer_load_dword v153, off, s[0:3], 0 offset:400
	;; [unrolled: 1-line block ×7, first 2 shown]
	s_waitcnt vmcnt(23) lgkmcnt(0)
	v_fma_f64 v[131:132], v[155:156], v[135:136], v[131:132]
	s_waitcnt vmcnt(18)
	v_fma_f64 v[139:140], v[139:140], v[137:138], v[131:132]
	ds_read_b128 v[131:134], v130 offset:832
	ds_read_b128 v[135:138], v130 offset:848
	buffer_load_dword v154, off, s[0:3], 0 offset:404
	s_waitcnt vmcnt(18) lgkmcnt(1)
	v_fma_f64 v[131:132], v[163:164], v[131:132], v[139:140]
	s_waitcnt vmcnt(17)
	v_fma_f64 v[131:132], v[161:162], v[133:134], v[131:132]
	buffer_load_dword v140, off, s[0:3], 0 offset:412
	buffer_load_dword v155, off, s[0:3], 0 offset:432
	buffer_load_dword v161, off, s[0:3], 0 offset:424
	buffer_load_dword v163, off, s[0:3], 0 offset:416
	buffer_load_dword v139, off, s[0:3], 0 offset:408
	buffer_load_dword v164, off, s[0:3], 0 offset:420
	buffer_load_dword v162, off, s[0:3], 0 offset:428
	buffer_load_dword v156, off, s[0:3], 0 offset:436
	s_waitcnt vmcnt(24) lgkmcnt(0)
	v_fma_f64 v[131:132], v[141:142], v[135:136], v[131:132]
	s_waitcnt vmcnt(19)
	v_fma_f64 v[141:142], v[143:144], v[137:138], v[131:132]
	ds_read_b128 v[131:134], v130 offset:864
	ds_read_b128 v[135:138], v130 offset:880
	s_waitcnt vmcnt(18) lgkmcnt(1)
	v_fma_f64 v[131:132], v[149:150], v[131:132], v[141:142]
	s_waitcnt vmcnt(17)
	v_fma_f64 v[131:132], v[147:148], v[133:134], v[131:132]
	buffer_load_dword v142, off, s[0:3], 0 offset:444
	buffer_load_dword v143, off, s[0:3], 0 offset:464
	;; [unrolled: 1-line block ×7, first 2 shown]
	s_waitcnt vmcnt(23) lgkmcnt(0)
	v_fma_f64 v[131:132], v[145:146], v[135:136], v[131:132]
	s_waitcnt vmcnt(18)
	v_fma_f64 v[144:145], v[151:152], v[137:138], v[131:132]
	ds_read_b128 v[131:134], v130 offset:896
	ds_read_b128 v[135:138], v130 offset:912
	s_waitcnt vmcnt(17) lgkmcnt(1)
	v_fma_f64 v[131:132], v[159:160], v[131:132], v[144:145]
	buffer_load_dword v144, off, s[0:3], 0 offset:468
	s_waitcnt vmcnt(17)
	v_fma_f64 v[131:132], v[157:158], v[133:134], v[131:132]
	buffer_load_dword v146, off, s[0:3], 0 offset:476
	buffer_load_dword v151, off, s[0:3], 0 offset:496
	;; [unrolled: 1-line block ×8, first 2 shown]
	s_waitcnt vmcnt(24) lgkmcnt(0)
	v_fma_f64 v[131:132], v[153:154], v[135:136], v[131:132]
	s_waitcnt vmcnt(19)
	v_fma_f64 v[139:140], v[139:140], v[137:138], v[131:132]
	ds_read_b128 v[131:134], v130 offset:928
	ds_read_b128 v[135:138], v130 offset:944
	s_waitcnt vmcnt(18) lgkmcnt(1)
	v_fma_f64 v[131:132], v[163:164], v[131:132], v[139:140]
	buffer_load_dword v140, off, s[0:3], 0 offset:508
	buffer_load_dword v139, off, s[0:3], 0 offset:504
	;; [unrolled: 1-line block ×4, first 2 shown]
	s_waitcnt vmcnt(21)
	v_fma_f64 v[131:132], v[161:162], v[133:134], v[131:132]
	s_waitcnt vmcnt(20) lgkmcnt(0)
	v_fma_f64 v[131:132], v[155:156], v[135:136], v[131:132]
	s_waitcnt vmcnt(15)
	v_fma_f64 v[141:142], v[141:142], v[137:138], v[131:132]
	ds_read_b128 v[131:134], v130 offset:960
	ds_read_b128 v[135:138], v130 offset:976
	s_waitcnt vmcnt(14) lgkmcnt(1)
	v_fma_f64 v[131:132], v[149:150], v[131:132], v[141:142]
	s_waitcnt vmcnt(13)
	v_fma_f64 v[131:132], v[147:148], v[133:134], v[131:132]
	s_waitcnt vmcnt(12) lgkmcnt(0)
	v_fma_f64 v[131:132], v[143:144], v[135:136], v[131:132]
	s_waitcnt vmcnt(7)
	v_fma_f64 v[141:142], v[145:146], v[137:138], v[131:132]
	ds_read_b128 v[131:134], v130 offset:992
	ds_read_b128 v[135:138], v130 offset:1008
	s_waitcnt vmcnt(6) lgkmcnt(1)
	v_fma_f64 v[130:131], v[159:160], v[131:132], v[141:142]
	s_waitcnt vmcnt(5)
	v_fma_f64 v[130:131], v[157:158], v[133:134], v[130:131]
	s_waitcnt vmcnt(4) lgkmcnt(0)
	v_fma_f64 v[130:131], v[151:152], v[135:136], v[130:131]
	s_waitcnt vmcnt(2)
	v_fma_f64 v[130:131], v[139:140], v[137:138], v[130:131]
	s_waitcnt vmcnt(0)
	v_add_f64 v[130:131], v[153:154], -v[130:131]
	buffer_store_dword v131, off, s[0:3], 0 offset:220
	buffer_store_dword v130, off, s[0:3], 0 offset:216
	s_and_saveexec_b64 s[4:5], vcc
	s_cbranch_execz .LBB127_339
; %bb.338:
	buffer_load_dword v130, off, s[0:3], 0 offset:208
	buffer_load_dword v131, off, s[0:3], 0 offset:212
	v_mov_b32_e32 v132, 0
	buffer_store_dword v132, off, s[0:3], 0 offset:208
	buffer_store_dword v132, off, s[0:3], 0 offset:212
	s_waitcnt vmcnt(2)
	ds_write_b64 v129, v[130:131]
.LBB127_339:
	s_or_b64 exec, exec, s[4:5]
	s_waitcnt lgkmcnt(0)
	; wave barrier
	buffer_load_dword v139, off, s[0:3], 0 offset:216
	buffer_load_dword v140, off, s[0:3], 0 offset:220
	;; [unrolled: 1-line block ×21, first 2 shown]
	v_mov_b32_e32 v130, 0
	ds_read2_b64 v[131:134], v130 offset0:91 offset1:92
	ds_read2_b64 v[135:138], v130 offset0:93 offset1:94
	buffer_load_dword v156, off, s[0:3], 0 offset:300
	v_cmp_lt_u32_e32 vcc, 25, v0
	s_waitcnt vmcnt(20) lgkmcnt(1)
	v_fma_f64 v[131:132], v[139:140], v[131:132], 0
	s_waitcnt vmcnt(18)
	v_fma_f64 v[131:132], v[141:142], v[133:134], v[131:132]
	buffer_load_dword v140, off, s[0:3], 0 offset:308
	buffer_load_dword v141, off, s[0:3], 0 offset:328
	buffer_load_dword v161, off, s[0:3], 0 offset:320
	buffer_load_dword v163, off, s[0:3], 0 offset:312
	buffer_load_dword v139, off, s[0:3], 0 offset:304
	buffer_load_dword v164, off, s[0:3], 0 offset:316
	buffer_load_dword v162, off, s[0:3], 0 offset:324
	s_waitcnt vmcnt(23) lgkmcnt(0)
	v_fma_f64 v[131:132], v[143:144], v[135:136], v[131:132]
	s_waitcnt vmcnt(21)
	v_fma_f64 v[142:143], v[145:146], v[137:138], v[131:132]
	ds_read2_b64 v[131:134], v130 offset0:95 offset1:96
	ds_read2_b64 v[135:138], v130 offset0:97 offset1:98
	s_waitcnt vmcnt(19) lgkmcnt(1)
	v_fma_f64 v[131:132], v[147:148], v[131:132], v[142:143]
	buffer_load_dword v142, off, s[0:3], 0 offset:332
	s_waitcnt vmcnt(18)
	v_fma_f64 v[131:132], v[149:150], v[133:134], v[131:132]
	buffer_load_dword v144, off, s[0:3], 0 offset:340
	buffer_load_dword v145, off, s[0:3], 0 offset:360
	;; [unrolled: 1-line block ×8, first 2 shown]
	s_waitcnt vmcnt(24) lgkmcnt(0)
	v_fma_f64 v[131:132], v[151:152], v[135:136], v[131:132]
	s_waitcnt vmcnt(19)
	v_fma_f64 v[151:152], v[153:154], v[137:138], v[131:132]
	ds_read2_b64 v[131:134], v130 offset0:99 offset1:100
	ds_read2_b64 v[135:138], v130 offset0:101 offset1:102
	s_waitcnt vmcnt(18) lgkmcnt(1)
	v_fma_f64 v[131:132], v[159:160], v[131:132], v[151:152]
	s_waitcnt vmcnt(17)
	v_fma_f64 v[131:132], v[157:158], v[133:134], v[131:132]
	buffer_load_dword v152, off, s[0:3], 0 offset:372
	buffer_load_dword v153, off, s[0:3], 0 offset:392
	;; [unrolled: 1-line block ×7, first 2 shown]
	s_waitcnt vmcnt(23) lgkmcnt(0)
	v_fma_f64 v[131:132], v[155:156], v[135:136], v[131:132]
	s_waitcnt vmcnt(18)
	v_fma_f64 v[139:140], v[139:140], v[137:138], v[131:132]
	ds_read2_b64 v[131:134], v130 offset0:103 offset1:104
	ds_read2_b64 v[135:138], v130 offset0:105 offset1:106
	buffer_load_dword v154, off, s[0:3], 0 offset:396
	s_waitcnt vmcnt(18) lgkmcnt(1)
	v_fma_f64 v[131:132], v[163:164], v[131:132], v[139:140]
	s_waitcnt vmcnt(17)
	v_fma_f64 v[131:132], v[161:162], v[133:134], v[131:132]
	buffer_load_dword v140, off, s[0:3], 0 offset:404
	buffer_load_dword v155, off, s[0:3], 0 offset:424
	;; [unrolled: 1-line block ×7, first 2 shown]
	s_waitcnt vmcnt(23) lgkmcnt(0)
	v_fma_f64 v[131:132], v[141:142], v[135:136], v[131:132]
	s_waitcnt vmcnt(18)
	v_fma_f64 v[141:142], v[143:144], v[137:138], v[131:132]
	ds_read2_b64 v[131:134], v130 offset0:107 offset1:108
	ds_read2_b64 v[135:138], v130 offset0:109 offset1:110
	buffer_load_dword v156, off, s[0:3], 0 offset:428
	s_waitcnt vmcnt(18) lgkmcnt(1)
	v_fma_f64 v[131:132], v[149:150], v[131:132], v[141:142]
	s_waitcnt vmcnt(17)
	v_fma_f64 v[131:132], v[147:148], v[133:134], v[131:132]
	buffer_load_dword v142, off, s[0:3], 0 offset:436
	buffer_load_dword v143, off, s[0:3], 0 offset:456
	;; [unrolled: 1-line block ×7, first 2 shown]
	s_waitcnt vmcnt(23) lgkmcnt(0)
	v_fma_f64 v[131:132], v[145:146], v[135:136], v[131:132]
	s_waitcnt vmcnt(18)
	v_fma_f64 v[144:145], v[151:152], v[137:138], v[131:132]
	ds_read2_b64 v[131:134], v130 offset0:111 offset1:112
	ds_read2_b64 v[135:138], v130 offset0:113 offset1:114
	s_waitcnt vmcnt(17) lgkmcnt(1)
	v_fma_f64 v[131:132], v[159:160], v[131:132], v[144:145]
	buffer_load_dword v144, off, s[0:3], 0 offset:460
	s_waitcnt vmcnt(17)
	v_fma_f64 v[131:132], v[157:158], v[133:134], v[131:132]
	buffer_load_dword v146, off, s[0:3], 0 offset:468
	buffer_load_dword v151, off, s[0:3], 0 offset:488
	;; [unrolled: 1-line block ×7, first 2 shown]
	s_waitcnt vmcnt(23) lgkmcnt(0)
	v_fma_f64 v[131:132], v[153:154], v[135:136], v[131:132]
	s_waitcnt vmcnt(18)
	v_fma_f64 v[139:140], v[139:140], v[137:138], v[131:132]
	ds_read2_b64 v[131:134], v130 offset0:115 offset1:116
	ds_read2_b64 v[135:138], v130 offset0:117 offset1:118
	buffer_load_dword v152, off, s[0:3], 0 offset:492
	s_waitcnt vmcnt(18) lgkmcnt(1)
	v_fma_f64 v[131:132], v[163:164], v[131:132], v[139:140]
	buffer_load_dword v140, off, s[0:3], 0 offset:500
	buffer_load_dword v153, off, s[0:3], 0 offset:504
	;; [unrolled: 1-line block ×4, first 2 shown]
	s_waitcnt vmcnt(21)
	v_fma_f64 v[131:132], v[161:162], v[133:134], v[131:132]
	s_waitcnt vmcnt(20) lgkmcnt(0)
	v_fma_f64 v[131:132], v[155:156], v[135:136], v[131:132]
	buffer_load_dword v155, off, s[0:3], 0 offset:208
	buffer_load_dword v156, off, s[0:3], 0 offset:212
	s_waitcnt vmcnt(17)
	v_fma_f64 v[141:142], v[141:142], v[137:138], v[131:132]
	ds_read2_b64 v[131:134], v130 offset0:119 offset1:120
	ds_read2_b64 v[135:138], v130 offset0:121 offset1:122
	s_waitcnt vmcnt(16) lgkmcnt(1)
	v_fma_f64 v[131:132], v[149:150], v[131:132], v[141:142]
	s_waitcnt vmcnt(15)
	v_fma_f64 v[131:132], v[147:148], v[133:134], v[131:132]
	s_waitcnt vmcnt(14) lgkmcnt(0)
	v_fma_f64 v[131:132], v[143:144], v[135:136], v[131:132]
	s_waitcnt vmcnt(9)
	v_fma_f64 v[141:142], v[145:146], v[137:138], v[131:132]
	ds_read2_b64 v[131:134], v130 offset0:123 offset1:124
	ds_read2_b64 v[135:138], v130 offset0:125 offset1:126
	s_waitcnt vmcnt(8) lgkmcnt(1)
	v_fma_f64 v[131:132], v[159:160], v[131:132], v[141:142]
	s_waitcnt vmcnt(7)
	v_fma_f64 v[131:132], v[157:158], v[133:134], v[131:132]
	ds_read_b64 v[133:134], v130 offset:1016
	s_waitcnt vmcnt(6) lgkmcnt(1)
	v_fma_f64 v[131:132], v[151:152], v[135:136], v[131:132]
	s_waitcnt vmcnt(3)
	v_fma_f64 v[131:132], v[139:140], v[137:138], v[131:132]
	s_waitcnt vmcnt(2) lgkmcnt(0)
	v_fma_f64 v[131:132], v[153:154], v[133:134], v[131:132]
	s_waitcnt vmcnt(0)
	v_add_f64 v[131:132], v[155:156], -v[131:132]
	buffer_store_dword v132, off, s[0:3], 0 offset:212
	buffer_store_dword v131, off, s[0:3], 0 offset:208
	s_and_saveexec_b64 s[4:5], vcc
	s_cbranch_execz .LBB127_341
; %bb.340:
	buffer_load_dword v131, off, s[0:3], 0 offset:200
	buffer_load_dword v132, off, s[0:3], 0 offset:204
	s_waitcnt vmcnt(0)
	ds_write_b64 v129, v[131:132]
	buffer_store_dword v130, off, s[0:3], 0 offset:200
	buffer_store_dword v130, off, s[0:3], 0 offset:204
.LBB127_341:
	s_or_b64 exec, exec, s[4:5]
	s_waitcnt lgkmcnt(0)
	; wave barrier
	buffer_load_dword v139, off, s[0:3], 0 offset:208
	buffer_load_dword v140, off, s[0:3], 0 offset:212
	;; [unrolled: 1-line block ×22, first 2 shown]
	ds_read_b128 v[131:134], v130 offset:720
	ds_read_b128 v[135:138], v130 offset:736
	v_cmp_lt_u32_e32 vcc, 24, v0
	s_waitcnt vmcnt(20) lgkmcnt(1)
	v_fma_f64 v[131:132], v[139:140], v[131:132], 0
	s_waitcnt vmcnt(18)
	v_fma_f64 v[131:132], v[141:142], v[133:134], v[131:132]
	buffer_load_dword v140, off, s[0:3], 0 offset:300
	buffer_load_dword v141, off, s[0:3], 0 offset:320
	;; [unrolled: 1-line block ×7, first 2 shown]
	s_waitcnt vmcnt(23) lgkmcnt(0)
	v_fma_f64 v[131:132], v[143:144], v[135:136], v[131:132]
	s_waitcnt vmcnt(21)
	v_fma_f64 v[142:143], v[145:146], v[137:138], v[131:132]
	ds_read_b128 v[131:134], v130 offset:752
	ds_read_b128 v[135:138], v130 offset:768
	s_waitcnt vmcnt(19) lgkmcnt(1)
	v_fma_f64 v[131:132], v[147:148], v[131:132], v[142:143]
	buffer_load_dword v142, off, s[0:3], 0 offset:324
	s_waitcnt vmcnt(18)
	v_fma_f64 v[131:132], v[149:150], v[133:134], v[131:132]
	buffer_load_dword v144, off, s[0:3], 0 offset:332
	buffer_load_dword v145, off, s[0:3], 0 offset:352
	;; [unrolled: 1-line block ×8, first 2 shown]
	s_waitcnt vmcnt(24) lgkmcnt(0)
	v_fma_f64 v[131:132], v[151:152], v[135:136], v[131:132]
	s_waitcnt vmcnt(19)
	v_fma_f64 v[151:152], v[153:154], v[137:138], v[131:132]
	ds_read_b128 v[131:134], v130 offset:784
	ds_read_b128 v[135:138], v130 offset:800
	s_waitcnt vmcnt(18) lgkmcnt(1)
	v_fma_f64 v[131:132], v[159:160], v[131:132], v[151:152]
	s_waitcnt vmcnt(17)
	v_fma_f64 v[131:132], v[157:158], v[133:134], v[131:132]
	buffer_load_dword v152, off, s[0:3], 0 offset:364
	buffer_load_dword v153, off, s[0:3], 0 offset:384
	;; [unrolled: 1-line block ×8, first 2 shown]
	s_waitcnt vmcnt(24) lgkmcnt(0)
	v_fma_f64 v[131:132], v[155:156], v[135:136], v[131:132]
	s_waitcnt vmcnt(19)
	v_fma_f64 v[139:140], v[139:140], v[137:138], v[131:132]
	ds_read_b128 v[131:134], v130 offset:816
	ds_read_b128 v[135:138], v130 offset:832
	s_waitcnt vmcnt(18) lgkmcnt(1)
	v_fma_f64 v[131:132], v[163:164], v[131:132], v[139:140]
	s_waitcnt vmcnt(17)
	v_fma_f64 v[131:132], v[161:162], v[133:134], v[131:132]
	buffer_load_dword v140, off, s[0:3], 0 offset:396
	buffer_load_dword v155, off, s[0:3], 0 offset:416
	buffer_load_dword v161, off, s[0:3], 0 offset:408
	buffer_load_dword v163, off, s[0:3], 0 offset:400
	buffer_load_dword v139, off, s[0:3], 0 offset:392
	buffer_load_dword v164, off, s[0:3], 0 offset:404
	buffer_load_dword v162, off, s[0:3], 0 offset:412
	s_waitcnt vmcnt(23) lgkmcnt(0)
	v_fma_f64 v[131:132], v[141:142], v[135:136], v[131:132]
	s_waitcnt vmcnt(18)
	v_fma_f64 v[141:142], v[143:144], v[137:138], v[131:132]
	ds_read_b128 v[131:134], v130 offset:848
	ds_read_b128 v[135:138], v130 offset:864
	buffer_load_dword v156, off, s[0:3], 0 offset:420
	s_waitcnt vmcnt(18) lgkmcnt(1)
	v_fma_f64 v[131:132], v[149:150], v[131:132], v[141:142]
	s_waitcnt vmcnt(17)
	v_fma_f64 v[131:132], v[147:148], v[133:134], v[131:132]
	buffer_load_dword v142, off, s[0:3], 0 offset:428
	buffer_load_dword v143, off, s[0:3], 0 offset:448
	;; [unrolled: 1-line block ×7, first 2 shown]
	s_waitcnt vmcnt(23) lgkmcnt(0)
	v_fma_f64 v[131:132], v[145:146], v[135:136], v[131:132]
	s_waitcnt vmcnt(18)
	v_fma_f64 v[144:145], v[151:152], v[137:138], v[131:132]
	ds_read_b128 v[131:134], v130 offset:880
	ds_read_b128 v[135:138], v130 offset:896
	s_waitcnt vmcnt(17) lgkmcnt(1)
	v_fma_f64 v[131:132], v[159:160], v[131:132], v[144:145]
	buffer_load_dword v144, off, s[0:3], 0 offset:452
	s_waitcnt vmcnt(17)
	v_fma_f64 v[131:132], v[157:158], v[133:134], v[131:132]
	buffer_load_dword v146, off, s[0:3], 0 offset:460
	buffer_load_dword v151, off, s[0:3], 0 offset:480
	;; [unrolled: 1-line block ×8, first 2 shown]
	s_waitcnt vmcnt(24) lgkmcnt(0)
	v_fma_f64 v[131:132], v[153:154], v[135:136], v[131:132]
	s_waitcnt vmcnt(19)
	v_fma_f64 v[139:140], v[139:140], v[137:138], v[131:132]
	ds_read_b128 v[131:134], v130 offset:912
	ds_read_b128 v[135:138], v130 offset:928
	s_waitcnt vmcnt(18) lgkmcnt(1)
	v_fma_f64 v[131:132], v[163:164], v[131:132], v[139:140]
	s_waitcnt vmcnt(17)
	v_fma_f64 v[131:132], v[161:162], v[133:134], v[131:132]
	buffer_load_dword v140, off, s[0:3], 0 offset:492
	buffer_load_dword v153, off, s[0:3], 0 offset:504
	;; [unrolled: 1-line block ×6, first 2 shown]
	s_waitcnt vmcnt(22) lgkmcnt(0)
	v_fma_f64 v[131:132], v[155:156], v[135:136], v[131:132]
	s_waitcnt vmcnt(17)
	v_fma_f64 v[141:142], v[141:142], v[137:138], v[131:132]
	ds_read_b128 v[131:134], v130 offset:944
	buffer_load_dword v155, off, s[0:3], 0 offset:200
	buffer_load_dword v156, off, s[0:3], 0 offset:204
	ds_read_b128 v[135:138], v130 offset:960
	s_waitcnt vmcnt(18) lgkmcnt(1)
	v_fma_f64 v[131:132], v[149:150], v[131:132], v[141:142]
	s_waitcnt vmcnt(17)
	v_fma_f64 v[131:132], v[147:148], v[133:134], v[131:132]
	s_waitcnt vmcnt(16) lgkmcnt(0)
	v_fma_f64 v[131:132], v[143:144], v[135:136], v[131:132]
	s_waitcnt vmcnt(11)
	v_fma_f64 v[141:142], v[145:146], v[137:138], v[131:132]
	ds_read_b128 v[131:134], v130 offset:976
	ds_read_b128 v[135:138], v130 offset:992
	s_waitcnt vmcnt(10) lgkmcnt(1)
	v_fma_f64 v[131:132], v[159:160], v[131:132], v[141:142]
	s_waitcnt vmcnt(9)
	v_fma_f64 v[131:132], v[157:158], v[133:134], v[131:132]
	s_waitcnt vmcnt(8) lgkmcnt(0)
	v_fma_f64 v[131:132], v[151:152], v[135:136], v[131:132]
	s_waitcnt vmcnt(4)
	v_fma_f64 v[134:135], v[139:140], v[137:138], v[131:132]
	ds_read_b128 v[130:133], v130 offset:1008
	s_waitcnt vmcnt(3) lgkmcnt(0)
	v_fma_f64 v[130:131], v[161:162], v[130:131], v[134:135]
	s_waitcnt vmcnt(2)
	v_fma_f64 v[130:131], v[153:154], v[132:133], v[130:131]
	s_waitcnt vmcnt(0)
	v_add_f64 v[130:131], v[155:156], -v[130:131]
	buffer_store_dword v131, off, s[0:3], 0 offset:204
	buffer_store_dword v130, off, s[0:3], 0 offset:200
	s_and_saveexec_b64 s[4:5], vcc
	s_cbranch_execz .LBB127_343
; %bb.342:
	buffer_load_dword v130, off, s[0:3], 0 offset:192
	buffer_load_dword v131, off, s[0:3], 0 offset:196
	v_mov_b32_e32 v132, 0
	buffer_store_dword v132, off, s[0:3], 0 offset:192
	buffer_store_dword v132, off, s[0:3], 0 offset:196
	s_waitcnt vmcnt(2)
	ds_write_b64 v129, v[130:131]
.LBB127_343:
	s_or_b64 exec, exec, s[4:5]
	s_waitcnt lgkmcnt(0)
	; wave barrier
	buffer_load_dword v139, off, s[0:3], 0 offset:200
	buffer_load_dword v140, off, s[0:3], 0 offset:204
	;; [unrolled: 1-line block ×22, first 2 shown]
	v_mov_b32_e32 v130, 0
	ds_read2_b64 v[131:134], v130 offset0:89 offset1:90
	ds_read2_b64 v[135:138], v130 offset0:91 offset1:92
	v_cmp_lt_u32_e32 vcc, 23, v0
	s_waitcnt vmcnt(20) lgkmcnt(1)
	v_fma_f64 v[131:132], v[139:140], v[131:132], 0
	s_waitcnt vmcnt(18)
	v_fma_f64 v[131:132], v[141:142], v[133:134], v[131:132]
	buffer_load_dword v140, off, s[0:3], 0 offset:292
	buffer_load_dword v141, off, s[0:3], 0 offset:312
	;; [unrolled: 1-line block ×7, first 2 shown]
	s_waitcnt vmcnt(23) lgkmcnt(0)
	v_fma_f64 v[131:132], v[143:144], v[135:136], v[131:132]
	s_waitcnt vmcnt(21)
	v_fma_f64 v[142:143], v[145:146], v[137:138], v[131:132]
	ds_read2_b64 v[131:134], v130 offset0:93 offset1:94
	ds_read2_b64 v[135:138], v130 offset0:95 offset1:96
	s_waitcnt vmcnt(19) lgkmcnt(1)
	v_fma_f64 v[131:132], v[147:148], v[131:132], v[142:143]
	buffer_load_dword v142, off, s[0:3], 0 offset:316
	s_waitcnt vmcnt(18)
	v_fma_f64 v[131:132], v[149:150], v[133:134], v[131:132]
	buffer_load_dword v144, off, s[0:3], 0 offset:324
	buffer_load_dword v145, off, s[0:3], 0 offset:344
	;; [unrolled: 1-line block ×8, first 2 shown]
	s_waitcnt vmcnt(24) lgkmcnt(0)
	v_fma_f64 v[131:132], v[151:152], v[135:136], v[131:132]
	s_waitcnt vmcnt(19)
	v_fma_f64 v[151:152], v[153:154], v[137:138], v[131:132]
	ds_read2_b64 v[131:134], v130 offset0:97 offset1:98
	ds_read2_b64 v[135:138], v130 offset0:99 offset1:100
	s_waitcnt vmcnt(18) lgkmcnt(1)
	v_fma_f64 v[131:132], v[159:160], v[131:132], v[151:152]
	s_waitcnt vmcnt(17)
	v_fma_f64 v[131:132], v[157:158], v[133:134], v[131:132]
	buffer_load_dword v152, off, s[0:3], 0 offset:356
	buffer_load_dword v153, off, s[0:3], 0 offset:376
	;; [unrolled: 1-line block ×8, first 2 shown]
	s_waitcnt vmcnt(24) lgkmcnt(0)
	v_fma_f64 v[131:132], v[155:156], v[135:136], v[131:132]
	s_waitcnt vmcnt(19)
	v_fma_f64 v[139:140], v[139:140], v[137:138], v[131:132]
	ds_read2_b64 v[131:134], v130 offset0:101 offset1:102
	ds_read2_b64 v[135:138], v130 offset0:103 offset1:104
	s_waitcnt vmcnt(18) lgkmcnt(1)
	v_fma_f64 v[131:132], v[163:164], v[131:132], v[139:140]
	s_waitcnt vmcnt(17)
	v_fma_f64 v[131:132], v[161:162], v[133:134], v[131:132]
	buffer_load_dword v140, off, s[0:3], 0 offset:388
	buffer_load_dword v155, off, s[0:3], 0 offset:408
	;; [unrolled: 1-line block ×7, first 2 shown]
	s_waitcnt vmcnt(23) lgkmcnt(0)
	v_fma_f64 v[131:132], v[141:142], v[135:136], v[131:132]
	s_waitcnt vmcnt(18)
	v_fma_f64 v[141:142], v[143:144], v[137:138], v[131:132]
	ds_read2_b64 v[131:134], v130 offset0:105 offset1:106
	ds_read2_b64 v[135:138], v130 offset0:107 offset1:108
	buffer_load_dword v156, off, s[0:3], 0 offset:412
	s_waitcnt vmcnt(18) lgkmcnt(1)
	v_fma_f64 v[131:132], v[149:150], v[131:132], v[141:142]
	s_waitcnt vmcnt(17)
	v_fma_f64 v[131:132], v[147:148], v[133:134], v[131:132]
	buffer_load_dword v142, off, s[0:3], 0 offset:420
	buffer_load_dword v143, off, s[0:3], 0 offset:440
	;; [unrolled: 1-line block ×7, first 2 shown]
	s_waitcnt vmcnt(23) lgkmcnt(0)
	v_fma_f64 v[131:132], v[145:146], v[135:136], v[131:132]
	s_waitcnt vmcnt(18)
	v_fma_f64 v[144:145], v[151:152], v[137:138], v[131:132]
	ds_read2_b64 v[131:134], v130 offset0:109 offset1:110
	ds_read2_b64 v[135:138], v130 offset0:111 offset1:112
	s_waitcnt vmcnt(17) lgkmcnt(1)
	v_fma_f64 v[131:132], v[159:160], v[131:132], v[144:145]
	buffer_load_dword v144, off, s[0:3], 0 offset:444
	s_waitcnt vmcnt(17)
	v_fma_f64 v[131:132], v[157:158], v[133:134], v[131:132]
	buffer_load_dword v146, off, s[0:3], 0 offset:452
	buffer_load_dword v151, off, s[0:3], 0 offset:472
	;; [unrolled: 1-line block ×8, first 2 shown]
	s_waitcnt vmcnt(24) lgkmcnt(0)
	v_fma_f64 v[131:132], v[153:154], v[135:136], v[131:132]
	s_waitcnt vmcnt(19)
	v_fma_f64 v[139:140], v[139:140], v[137:138], v[131:132]
	ds_read2_b64 v[131:134], v130 offset0:113 offset1:114
	ds_read2_b64 v[135:138], v130 offset0:115 offset1:116
	s_waitcnt vmcnt(18) lgkmcnt(1)
	v_fma_f64 v[131:132], v[163:164], v[131:132], v[139:140]
	s_waitcnt vmcnt(17)
	v_fma_f64 v[131:132], v[161:162], v[133:134], v[131:132]
	buffer_load_dword v140, off, s[0:3], 0 offset:484
	buffer_load_dword v153, off, s[0:3], 0 offset:504
	;; [unrolled: 1-line block ×8, first 2 shown]
	s_waitcnt vmcnt(24) lgkmcnt(0)
	v_fma_f64 v[131:132], v[155:156], v[135:136], v[131:132]
	s_waitcnt vmcnt(19)
	v_fma_f64 v[141:142], v[141:142], v[137:138], v[131:132]
	ds_read2_b64 v[131:134], v130 offset0:117 offset1:118
	ds_read2_b64 v[135:138], v130 offset0:119 offset1:120
	s_waitcnt vmcnt(18) lgkmcnt(1)
	v_fma_f64 v[131:132], v[149:150], v[131:132], v[141:142]
	buffer_load_dword v141, off, s[0:3], 0 offset:192
	buffer_load_dword v142, off, s[0:3], 0 offset:196
	s_waitcnt vmcnt(19)
	v_fma_f64 v[131:132], v[147:148], v[133:134], v[131:132]
	s_waitcnt vmcnt(18) lgkmcnt(0)
	v_fma_f64 v[131:132], v[143:144], v[135:136], v[131:132]
	s_waitcnt vmcnt(13)
	v_fma_f64 v[143:144], v[145:146], v[137:138], v[131:132]
	ds_read2_b64 v[131:134], v130 offset0:121 offset1:122
	ds_read2_b64 v[135:138], v130 offset0:123 offset1:124
	s_waitcnt vmcnt(12) lgkmcnt(1)
	v_fma_f64 v[131:132], v[159:160], v[131:132], v[143:144]
	s_waitcnt vmcnt(11)
	v_fma_f64 v[131:132], v[157:158], v[133:134], v[131:132]
	s_waitcnt vmcnt(10) lgkmcnt(0)
	v_fma_f64 v[131:132], v[151:152], v[135:136], v[131:132]
	s_waitcnt vmcnt(5)
	v_fma_f64 v[135:136], v[139:140], v[137:138], v[131:132]
	ds_read2_b64 v[131:134], v130 offset0:125 offset1:126
	ds_read_b64 v[137:138], v130 offset:1016
	s_waitcnt vmcnt(4) lgkmcnt(1)
	v_fma_f64 v[131:132], v[163:164], v[131:132], v[135:136]
	s_waitcnt vmcnt(3)
	v_fma_f64 v[131:132], v[161:162], v[133:134], v[131:132]
	s_waitcnt vmcnt(2) lgkmcnt(0)
	v_fma_f64 v[131:132], v[153:154], v[137:138], v[131:132]
	s_waitcnt vmcnt(0)
	v_add_f64 v[131:132], v[141:142], -v[131:132]
	buffer_store_dword v132, off, s[0:3], 0 offset:196
	buffer_store_dword v131, off, s[0:3], 0 offset:192
	s_and_saveexec_b64 s[4:5], vcc
	s_cbranch_execz .LBB127_345
; %bb.344:
	buffer_load_dword v131, off, s[0:3], 0 offset:184
	buffer_load_dword v132, off, s[0:3], 0 offset:188
	s_waitcnt vmcnt(0)
	ds_write_b64 v129, v[131:132]
	buffer_store_dword v130, off, s[0:3], 0 offset:184
	buffer_store_dword v130, off, s[0:3], 0 offset:188
.LBB127_345:
	s_or_b64 exec, exec, s[4:5]
	s_waitcnt lgkmcnt(0)
	; wave barrier
	buffer_load_dword v139, off, s[0:3], 0 offset:192
	buffer_load_dword v140, off, s[0:3], 0 offset:196
	;; [unrolled: 1-line block ×22, first 2 shown]
	ds_read_b128 v[131:134], v130 offset:704
	ds_read_b128 v[135:138], v130 offset:720
	v_cmp_lt_u32_e32 vcc, 22, v0
	s_waitcnt vmcnt(20) lgkmcnt(1)
	v_fma_f64 v[131:132], v[139:140], v[131:132], 0
	s_waitcnt vmcnt(18)
	v_fma_f64 v[131:132], v[141:142], v[133:134], v[131:132]
	buffer_load_dword v140, off, s[0:3], 0 offset:284
	buffer_load_dword v141, off, s[0:3], 0 offset:304
	buffer_load_dword v161, off, s[0:3], 0 offset:296
	buffer_load_dword v163, off, s[0:3], 0 offset:288
	buffer_load_dword v139, off, s[0:3], 0 offset:280
	buffer_load_dword v164, off, s[0:3], 0 offset:292
	buffer_load_dword v162, off, s[0:3], 0 offset:300
	s_waitcnt vmcnt(23) lgkmcnt(0)
	v_fma_f64 v[131:132], v[143:144], v[135:136], v[131:132]
	s_waitcnt vmcnt(21)
	v_fma_f64 v[142:143], v[145:146], v[137:138], v[131:132]
	ds_read_b128 v[131:134], v130 offset:736
	ds_read_b128 v[135:138], v130 offset:752
	s_waitcnt vmcnt(19) lgkmcnt(1)
	v_fma_f64 v[131:132], v[147:148], v[131:132], v[142:143]
	buffer_load_dword v142, off, s[0:3], 0 offset:308
	s_waitcnt vmcnt(18)
	v_fma_f64 v[131:132], v[149:150], v[133:134], v[131:132]
	buffer_load_dword v144, off, s[0:3], 0 offset:316
	buffer_load_dword v145, off, s[0:3], 0 offset:336
	;; [unrolled: 1-line block ×8, first 2 shown]
	s_waitcnt vmcnt(24) lgkmcnt(0)
	v_fma_f64 v[131:132], v[151:152], v[135:136], v[131:132]
	s_waitcnt vmcnt(19)
	v_fma_f64 v[151:152], v[153:154], v[137:138], v[131:132]
	ds_read_b128 v[131:134], v130 offset:768
	ds_read_b128 v[135:138], v130 offset:784
	s_waitcnt vmcnt(18) lgkmcnt(1)
	v_fma_f64 v[131:132], v[159:160], v[131:132], v[151:152]
	s_waitcnt vmcnt(17)
	v_fma_f64 v[131:132], v[157:158], v[133:134], v[131:132]
	buffer_load_dword v152, off, s[0:3], 0 offset:348
	buffer_load_dword v153, off, s[0:3], 0 offset:368
	;; [unrolled: 1-line block ×8, first 2 shown]
	s_waitcnt vmcnt(24) lgkmcnt(0)
	v_fma_f64 v[131:132], v[155:156], v[135:136], v[131:132]
	s_waitcnt vmcnt(19)
	v_fma_f64 v[139:140], v[139:140], v[137:138], v[131:132]
	ds_read_b128 v[131:134], v130 offset:800
	ds_read_b128 v[135:138], v130 offset:816
	s_waitcnt vmcnt(18) lgkmcnt(1)
	v_fma_f64 v[131:132], v[163:164], v[131:132], v[139:140]
	s_waitcnt vmcnt(17)
	v_fma_f64 v[131:132], v[161:162], v[133:134], v[131:132]
	buffer_load_dword v140, off, s[0:3], 0 offset:380
	buffer_load_dword v155, off, s[0:3], 0 offset:400
	buffer_load_dword v161, off, s[0:3], 0 offset:392
	buffer_load_dword v163, off, s[0:3], 0 offset:384
	buffer_load_dword v139, off, s[0:3], 0 offset:376
	buffer_load_dword v164, off, s[0:3], 0 offset:388
	buffer_load_dword v162, off, s[0:3], 0 offset:396
	s_waitcnt vmcnt(23) lgkmcnt(0)
	v_fma_f64 v[131:132], v[141:142], v[135:136], v[131:132]
	s_waitcnt vmcnt(18)
	v_fma_f64 v[141:142], v[143:144], v[137:138], v[131:132]
	ds_read_b128 v[131:134], v130 offset:832
	ds_read_b128 v[135:138], v130 offset:848
	buffer_load_dword v156, off, s[0:3], 0 offset:404
	s_waitcnt vmcnt(18) lgkmcnt(1)
	v_fma_f64 v[131:132], v[149:150], v[131:132], v[141:142]
	s_waitcnt vmcnt(17)
	v_fma_f64 v[131:132], v[147:148], v[133:134], v[131:132]
	buffer_load_dword v142, off, s[0:3], 0 offset:412
	buffer_load_dword v143, off, s[0:3], 0 offset:432
	;; [unrolled: 1-line block ×7, first 2 shown]
	s_waitcnt vmcnt(23) lgkmcnt(0)
	v_fma_f64 v[131:132], v[145:146], v[135:136], v[131:132]
	s_waitcnt vmcnt(18)
	v_fma_f64 v[144:145], v[151:152], v[137:138], v[131:132]
	ds_read_b128 v[131:134], v130 offset:864
	ds_read_b128 v[135:138], v130 offset:880
	s_waitcnt vmcnt(17) lgkmcnt(1)
	v_fma_f64 v[131:132], v[159:160], v[131:132], v[144:145]
	buffer_load_dword v144, off, s[0:3], 0 offset:436
	s_waitcnt vmcnt(17)
	v_fma_f64 v[131:132], v[157:158], v[133:134], v[131:132]
	buffer_load_dword v146, off, s[0:3], 0 offset:444
	buffer_load_dword v151, off, s[0:3], 0 offset:464
	;; [unrolled: 1-line block ×8, first 2 shown]
	s_waitcnt vmcnt(24) lgkmcnt(0)
	v_fma_f64 v[131:132], v[153:154], v[135:136], v[131:132]
	s_waitcnt vmcnt(19)
	v_fma_f64 v[139:140], v[139:140], v[137:138], v[131:132]
	ds_read_b128 v[131:134], v130 offset:896
	ds_read_b128 v[135:138], v130 offset:912
	s_waitcnt vmcnt(18) lgkmcnt(1)
	v_fma_f64 v[131:132], v[163:164], v[131:132], v[139:140]
	s_waitcnt vmcnt(17)
	v_fma_f64 v[131:132], v[161:162], v[133:134], v[131:132]
	buffer_load_dword v140, off, s[0:3], 0 offset:476
	buffer_load_dword v153, off, s[0:3], 0 offset:496
	;; [unrolled: 1-line block ×8, first 2 shown]
	s_waitcnt vmcnt(24) lgkmcnt(0)
	v_fma_f64 v[131:132], v[155:156], v[135:136], v[131:132]
	s_waitcnt vmcnt(19)
	v_fma_f64 v[141:142], v[141:142], v[137:138], v[131:132]
	ds_read_b128 v[131:134], v130 offset:928
	ds_read_b128 v[135:138], v130 offset:944
	s_waitcnt vmcnt(18) lgkmcnt(1)
	v_fma_f64 v[131:132], v[149:150], v[131:132], v[141:142]
	buffer_load_dword v142, off, s[0:3], 0 offset:508
	buffer_load_dword v141, off, s[0:3], 0 offset:504
	s_waitcnt vmcnt(19)
	v_fma_f64 v[131:132], v[147:148], v[133:134], v[131:132]
	buffer_load_dword v147, off, s[0:3], 0 offset:184
	buffer_load_dword v148, off, s[0:3], 0 offset:188
	s_waitcnt vmcnt(20) lgkmcnt(0)
	v_fma_f64 v[131:132], v[143:144], v[135:136], v[131:132]
	s_waitcnt vmcnt(15)
	v_fma_f64 v[143:144], v[145:146], v[137:138], v[131:132]
	ds_read_b128 v[131:134], v130 offset:960
	ds_read_b128 v[135:138], v130 offset:976
	s_waitcnt vmcnt(14) lgkmcnt(1)
	v_fma_f64 v[131:132], v[159:160], v[131:132], v[143:144]
	s_waitcnt vmcnt(13)
	v_fma_f64 v[131:132], v[157:158], v[133:134], v[131:132]
	s_waitcnt vmcnt(12) lgkmcnt(0)
	v_fma_f64 v[131:132], v[151:152], v[135:136], v[131:132]
	s_waitcnt vmcnt(7)
	v_fma_f64 v[139:140], v[139:140], v[137:138], v[131:132]
	ds_read_b128 v[131:134], v130 offset:992
	ds_read_b128 v[135:138], v130 offset:1008
	s_waitcnt vmcnt(6) lgkmcnt(1)
	v_fma_f64 v[130:131], v[163:164], v[131:132], v[139:140]
	s_waitcnt vmcnt(5)
	v_fma_f64 v[130:131], v[161:162], v[133:134], v[130:131]
	s_waitcnt vmcnt(4) lgkmcnt(0)
	v_fma_f64 v[130:131], v[153:154], v[135:136], v[130:131]
	s_waitcnt vmcnt(2)
	v_fma_f64 v[130:131], v[141:142], v[137:138], v[130:131]
	s_waitcnt vmcnt(0)
	v_add_f64 v[130:131], v[147:148], -v[130:131]
	buffer_store_dword v131, off, s[0:3], 0 offset:188
	buffer_store_dword v130, off, s[0:3], 0 offset:184
	s_and_saveexec_b64 s[4:5], vcc
	s_cbranch_execz .LBB127_347
; %bb.346:
	buffer_load_dword v130, off, s[0:3], 0 offset:176
	buffer_load_dword v131, off, s[0:3], 0 offset:180
	v_mov_b32_e32 v132, 0
	buffer_store_dword v132, off, s[0:3], 0 offset:176
	buffer_store_dword v132, off, s[0:3], 0 offset:180
	s_waitcnt vmcnt(2)
	ds_write_b64 v129, v[130:131]
.LBB127_347:
	s_or_b64 exec, exec, s[4:5]
	s_waitcnt lgkmcnt(0)
	; wave barrier
	buffer_load_dword v139, off, s[0:3], 0 offset:184
	buffer_load_dword v140, off, s[0:3], 0 offset:188
	buffer_load_dword v141, off, s[0:3], 0 offset:192
	buffer_load_dword v142, off, s[0:3], 0 offset:196
	buffer_load_dword v143, off, s[0:3], 0 offset:200
	buffer_load_dword v144, off, s[0:3], 0 offset:204
	buffer_load_dword v145, off, s[0:3], 0 offset:208
	buffer_load_dword v146, off, s[0:3], 0 offset:212
	buffer_load_dword v147, off, s[0:3], 0 offset:216
	buffer_load_dword v148, off, s[0:3], 0 offset:220
	buffer_load_dword v149, off, s[0:3], 0 offset:224
	buffer_load_dword v150, off, s[0:3], 0 offset:228
	buffer_load_dword v151, off, s[0:3], 0 offset:232
	buffer_load_dword v152, off, s[0:3], 0 offset:236
	buffer_load_dword v154, off, s[0:3], 0 offset:244
	buffer_load_dword v155, off, s[0:3], 0 offset:264
	buffer_load_dword v157, off, s[0:3], 0 offset:256
	buffer_load_dword v159, off, s[0:3], 0 offset:248
	buffer_load_dword v153, off, s[0:3], 0 offset:240
	buffer_load_dword v160, off, s[0:3], 0 offset:252
	buffer_load_dword v158, off, s[0:3], 0 offset:260
	buffer_load_dword v156, off, s[0:3], 0 offset:268
	v_mov_b32_e32 v130, 0
	ds_read2_b64 v[131:134], v130 offset0:87 offset1:88
	ds_read2_b64 v[135:138], v130 offset0:89 offset1:90
	v_cmp_lt_u32_e32 vcc, 21, v0
	s_waitcnt vmcnt(20) lgkmcnt(1)
	v_fma_f64 v[131:132], v[139:140], v[131:132], 0
	s_waitcnt vmcnt(18)
	v_fma_f64 v[131:132], v[141:142], v[133:134], v[131:132]
	buffer_load_dword v140, off, s[0:3], 0 offset:276
	buffer_load_dword v141, off, s[0:3], 0 offset:296
	;; [unrolled: 1-line block ×7, first 2 shown]
	s_waitcnt vmcnt(23) lgkmcnt(0)
	v_fma_f64 v[131:132], v[143:144], v[135:136], v[131:132]
	s_waitcnt vmcnt(21)
	v_fma_f64 v[142:143], v[145:146], v[137:138], v[131:132]
	ds_read2_b64 v[131:134], v130 offset0:91 offset1:92
	ds_read2_b64 v[135:138], v130 offset0:93 offset1:94
	s_waitcnt vmcnt(19) lgkmcnt(1)
	v_fma_f64 v[131:132], v[147:148], v[131:132], v[142:143]
	buffer_load_dword v142, off, s[0:3], 0 offset:300
	s_waitcnt vmcnt(18)
	v_fma_f64 v[131:132], v[149:150], v[133:134], v[131:132]
	buffer_load_dword v144, off, s[0:3], 0 offset:308
	buffer_load_dword v145, off, s[0:3], 0 offset:328
	;; [unrolled: 1-line block ×7, first 2 shown]
	s_waitcnt vmcnt(23) lgkmcnt(0)
	v_fma_f64 v[131:132], v[151:152], v[135:136], v[131:132]
	s_waitcnt vmcnt(18)
	v_fma_f64 v[151:152], v[153:154], v[137:138], v[131:132]
	ds_read2_b64 v[131:134], v130 offset0:95 offset1:96
	ds_read2_b64 v[135:138], v130 offset0:97 offset1:98
	buffer_load_dword v146, off, s[0:3], 0 offset:332
	s_waitcnt vmcnt(18) lgkmcnt(1)
	v_fma_f64 v[131:132], v[159:160], v[131:132], v[151:152]
	s_waitcnt vmcnt(17)
	v_fma_f64 v[131:132], v[157:158], v[133:134], v[131:132]
	buffer_load_dword v152, off, s[0:3], 0 offset:340
	buffer_load_dword v153, off, s[0:3], 0 offset:360
	;; [unrolled: 1-line block ×8, first 2 shown]
	s_waitcnt vmcnt(24) lgkmcnt(0)
	v_fma_f64 v[131:132], v[155:156], v[135:136], v[131:132]
	s_waitcnt vmcnt(19)
	v_fma_f64 v[139:140], v[139:140], v[137:138], v[131:132]
	ds_read2_b64 v[131:134], v130 offset0:99 offset1:100
	ds_read2_b64 v[135:138], v130 offset0:101 offset1:102
	s_waitcnt vmcnt(18) lgkmcnt(1)
	v_fma_f64 v[131:132], v[163:164], v[131:132], v[139:140]
	s_waitcnt vmcnt(17)
	v_fma_f64 v[131:132], v[161:162], v[133:134], v[131:132]
	buffer_load_dword v140, off, s[0:3], 0 offset:372
	buffer_load_dword v155, off, s[0:3], 0 offset:392
	;; [unrolled: 1-line block ×7, first 2 shown]
	s_waitcnt vmcnt(23) lgkmcnt(0)
	v_fma_f64 v[131:132], v[141:142], v[135:136], v[131:132]
	s_waitcnt vmcnt(18)
	v_fma_f64 v[141:142], v[143:144], v[137:138], v[131:132]
	ds_read2_b64 v[131:134], v130 offset0:103 offset1:104
	ds_read2_b64 v[135:138], v130 offset0:105 offset1:106
	buffer_load_dword v156, off, s[0:3], 0 offset:396
	s_waitcnt vmcnt(18) lgkmcnt(1)
	v_fma_f64 v[131:132], v[149:150], v[131:132], v[141:142]
	s_waitcnt vmcnt(17)
	v_fma_f64 v[131:132], v[147:148], v[133:134], v[131:132]
	buffer_load_dword v142, off, s[0:3], 0 offset:404
	buffer_load_dword v143, off, s[0:3], 0 offset:424
	;; [unrolled: 1-line block ×7, first 2 shown]
	s_waitcnt vmcnt(23) lgkmcnt(0)
	v_fma_f64 v[131:132], v[145:146], v[135:136], v[131:132]
	s_waitcnt vmcnt(18)
	v_fma_f64 v[144:145], v[151:152], v[137:138], v[131:132]
	ds_read2_b64 v[131:134], v130 offset0:107 offset1:108
	ds_read2_b64 v[135:138], v130 offset0:109 offset1:110
	s_waitcnt vmcnt(17) lgkmcnt(1)
	v_fma_f64 v[131:132], v[159:160], v[131:132], v[144:145]
	buffer_load_dword v144, off, s[0:3], 0 offset:428
	s_waitcnt vmcnt(17)
	v_fma_f64 v[131:132], v[157:158], v[133:134], v[131:132]
	buffer_load_dword v146, off, s[0:3], 0 offset:436
	buffer_load_dword v151, off, s[0:3], 0 offset:456
	buffer_load_dword v157, off, s[0:3], 0 offset:448
	buffer_load_dword v159, off, s[0:3], 0 offset:440
	buffer_load_dword v145, off, s[0:3], 0 offset:432
	buffer_load_dword v160, off, s[0:3], 0 offset:444
	buffer_load_dword v158, off, s[0:3], 0 offset:452
	buffer_load_dword v152, off, s[0:3], 0 offset:460
	s_waitcnt vmcnt(24) lgkmcnt(0)
	v_fma_f64 v[131:132], v[153:154], v[135:136], v[131:132]
	s_waitcnt vmcnt(19)
	v_fma_f64 v[139:140], v[139:140], v[137:138], v[131:132]
	ds_read2_b64 v[131:134], v130 offset0:111 offset1:112
	ds_read2_b64 v[135:138], v130 offset0:113 offset1:114
	s_waitcnt vmcnt(18) lgkmcnt(1)
	v_fma_f64 v[131:132], v[163:164], v[131:132], v[139:140]
	s_waitcnt vmcnt(17)
	v_fma_f64 v[131:132], v[161:162], v[133:134], v[131:132]
	buffer_load_dword v140, off, s[0:3], 0 offset:468
	buffer_load_dword v153, off, s[0:3], 0 offset:488
	;; [unrolled: 1-line block ×7, first 2 shown]
	s_waitcnt vmcnt(23) lgkmcnt(0)
	v_fma_f64 v[131:132], v[155:156], v[135:136], v[131:132]
	s_waitcnt vmcnt(18)
	v_fma_f64 v[141:142], v[141:142], v[137:138], v[131:132]
	ds_read2_b64 v[131:134], v130 offset0:115 offset1:116
	ds_read2_b64 v[135:138], v130 offset0:117 offset1:118
	buffer_load_dword v154, off, s[0:3], 0 offset:492
	s_waitcnt vmcnt(18) lgkmcnt(1)
	v_fma_f64 v[131:132], v[149:150], v[131:132], v[141:142]
	s_waitcnt vmcnt(17)
	v_fma_f64 v[131:132], v[147:148], v[133:134], v[131:132]
	buffer_load_dword v142, off, s[0:3], 0 offset:500
	buffer_load_dword v147, off, s[0:3], 0 offset:504
	;; [unrolled: 1-line block ×4, first 2 shown]
	s_waitcnt vmcnt(20) lgkmcnt(0)
	v_fma_f64 v[131:132], v[143:144], v[135:136], v[131:132]
	buffer_load_dword v143, off, s[0:3], 0 offset:176
	buffer_load_dword v144, off, s[0:3], 0 offset:180
	s_waitcnt vmcnt(17)
	v_fma_f64 v[145:146], v[145:146], v[137:138], v[131:132]
	ds_read2_b64 v[131:134], v130 offset0:119 offset1:120
	ds_read2_b64 v[135:138], v130 offset0:121 offset1:122
	s_waitcnt vmcnt(16) lgkmcnt(1)
	v_fma_f64 v[131:132], v[159:160], v[131:132], v[145:146]
	s_waitcnt vmcnt(15)
	v_fma_f64 v[131:132], v[157:158], v[133:134], v[131:132]
	s_waitcnt vmcnt(14) lgkmcnt(0)
	v_fma_f64 v[131:132], v[151:152], v[135:136], v[131:132]
	s_waitcnt vmcnt(9)
	v_fma_f64 v[139:140], v[139:140], v[137:138], v[131:132]
	ds_read2_b64 v[131:134], v130 offset0:123 offset1:124
	ds_read2_b64 v[135:138], v130 offset0:125 offset1:126
	s_waitcnt vmcnt(8) lgkmcnt(1)
	v_fma_f64 v[131:132], v[163:164], v[131:132], v[139:140]
	s_waitcnt vmcnt(7)
	v_fma_f64 v[131:132], v[161:162], v[133:134], v[131:132]
	ds_read_b64 v[133:134], v130 offset:1016
	s_waitcnt vmcnt(6) lgkmcnt(1)
	v_fma_f64 v[131:132], v[153:154], v[135:136], v[131:132]
	s_waitcnt vmcnt(3)
	v_fma_f64 v[131:132], v[141:142], v[137:138], v[131:132]
	s_waitcnt vmcnt(2) lgkmcnt(0)
	v_fma_f64 v[131:132], v[147:148], v[133:134], v[131:132]
	s_waitcnt vmcnt(0)
	v_add_f64 v[131:132], v[143:144], -v[131:132]
	buffer_store_dword v132, off, s[0:3], 0 offset:180
	buffer_store_dword v131, off, s[0:3], 0 offset:176
	s_and_saveexec_b64 s[4:5], vcc
	s_cbranch_execz .LBB127_349
; %bb.348:
	buffer_load_dword v131, off, s[0:3], 0 offset:168
	buffer_load_dword v132, off, s[0:3], 0 offset:172
	s_waitcnt vmcnt(0)
	ds_write_b64 v129, v[131:132]
	buffer_store_dword v130, off, s[0:3], 0 offset:168
	buffer_store_dword v130, off, s[0:3], 0 offset:172
.LBB127_349:
	s_or_b64 exec, exec, s[4:5]
	s_waitcnt lgkmcnt(0)
	; wave barrier
	buffer_load_dword v139, off, s[0:3], 0 offset:176
	buffer_load_dword v140, off, s[0:3], 0 offset:180
	;; [unrolled: 1-line block ×22, first 2 shown]
	ds_read_b128 v[131:134], v130 offset:688
	ds_read_b128 v[135:138], v130 offset:704
	v_cmp_lt_u32_e32 vcc, 20, v0
	s_waitcnt vmcnt(20) lgkmcnt(1)
	v_fma_f64 v[131:132], v[139:140], v[131:132], 0
	s_waitcnt vmcnt(18)
	v_fma_f64 v[131:132], v[141:142], v[133:134], v[131:132]
	buffer_load_dword v140, off, s[0:3], 0 offset:268
	buffer_load_dword v141, off, s[0:3], 0 offset:288
	;; [unrolled: 1-line block ×7, first 2 shown]
	s_waitcnt vmcnt(23) lgkmcnt(0)
	v_fma_f64 v[131:132], v[143:144], v[135:136], v[131:132]
	s_waitcnt vmcnt(21)
	v_fma_f64 v[142:143], v[145:146], v[137:138], v[131:132]
	ds_read_b128 v[131:134], v130 offset:720
	ds_read_b128 v[135:138], v130 offset:736
	s_waitcnt vmcnt(19) lgkmcnt(1)
	v_fma_f64 v[131:132], v[147:148], v[131:132], v[142:143]
	buffer_load_dword v142, off, s[0:3], 0 offset:292
	s_waitcnt vmcnt(18)
	v_fma_f64 v[131:132], v[149:150], v[133:134], v[131:132]
	buffer_load_dword v144, off, s[0:3], 0 offset:300
	buffer_load_dword v145, off, s[0:3], 0 offset:320
	;; [unrolled: 1-line block ×7, first 2 shown]
	s_waitcnt vmcnt(23) lgkmcnt(0)
	v_fma_f64 v[131:132], v[151:152], v[135:136], v[131:132]
	s_waitcnt vmcnt(18)
	v_fma_f64 v[151:152], v[153:154], v[137:138], v[131:132]
	ds_read_b128 v[131:134], v130 offset:752
	ds_read_b128 v[135:138], v130 offset:768
	buffer_load_dword v146, off, s[0:3], 0 offset:324
	s_waitcnt vmcnt(18) lgkmcnt(1)
	v_fma_f64 v[131:132], v[159:160], v[131:132], v[151:152]
	s_waitcnt vmcnt(17)
	v_fma_f64 v[131:132], v[157:158], v[133:134], v[131:132]
	buffer_load_dword v152, off, s[0:3], 0 offset:332
	buffer_load_dword v153, off, s[0:3], 0 offset:352
	;; [unrolled: 1-line block ×8, first 2 shown]
	s_waitcnt vmcnt(24) lgkmcnt(0)
	v_fma_f64 v[131:132], v[155:156], v[135:136], v[131:132]
	s_waitcnt vmcnt(19)
	v_fma_f64 v[139:140], v[139:140], v[137:138], v[131:132]
	ds_read_b128 v[131:134], v130 offset:784
	ds_read_b128 v[135:138], v130 offset:800
	s_waitcnt vmcnt(18) lgkmcnt(1)
	v_fma_f64 v[131:132], v[163:164], v[131:132], v[139:140]
	s_waitcnt vmcnt(17)
	v_fma_f64 v[131:132], v[161:162], v[133:134], v[131:132]
	buffer_load_dword v140, off, s[0:3], 0 offset:364
	buffer_load_dword v155, off, s[0:3], 0 offset:384
	;; [unrolled: 1-line block ×8, first 2 shown]
	s_waitcnt vmcnt(24) lgkmcnt(0)
	v_fma_f64 v[131:132], v[141:142], v[135:136], v[131:132]
	s_waitcnt vmcnt(19)
	v_fma_f64 v[141:142], v[143:144], v[137:138], v[131:132]
	ds_read_b128 v[131:134], v130 offset:816
	ds_read_b128 v[135:138], v130 offset:832
	s_waitcnt vmcnt(18) lgkmcnt(1)
	v_fma_f64 v[131:132], v[149:150], v[131:132], v[141:142]
	s_waitcnt vmcnt(17)
	v_fma_f64 v[131:132], v[147:148], v[133:134], v[131:132]
	buffer_load_dword v142, off, s[0:3], 0 offset:396
	buffer_load_dword v143, off, s[0:3], 0 offset:416
	;; [unrolled: 1-line block ×7, first 2 shown]
	s_waitcnt vmcnt(23) lgkmcnt(0)
	v_fma_f64 v[131:132], v[145:146], v[135:136], v[131:132]
	s_waitcnt vmcnt(18)
	v_fma_f64 v[144:145], v[151:152], v[137:138], v[131:132]
	ds_read_b128 v[131:134], v130 offset:848
	ds_read_b128 v[135:138], v130 offset:864
	s_waitcnt vmcnt(17) lgkmcnt(1)
	v_fma_f64 v[131:132], v[159:160], v[131:132], v[144:145]
	buffer_load_dword v144, off, s[0:3], 0 offset:420
	s_waitcnt vmcnt(17)
	v_fma_f64 v[131:132], v[157:158], v[133:134], v[131:132]
	buffer_load_dword v146, off, s[0:3], 0 offset:428
	buffer_load_dword v151, off, s[0:3], 0 offset:448
	;; [unrolled: 1-line block ×8, first 2 shown]
	s_waitcnt vmcnt(24) lgkmcnt(0)
	v_fma_f64 v[131:132], v[153:154], v[135:136], v[131:132]
	s_waitcnt vmcnt(19)
	v_fma_f64 v[139:140], v[139:140], v[137:138], v[131:132]
	ds_read_b128 v[131:134], v130 offset:880
	ds_read_b128 v[135:138], v130 offset:896
	s_waitcnt vmcnt(18) lgkmcnt(1)
	v_fma_f64 v[131:132], v[163:164], v[131:132], v[139:140]
	s_waitcnt vmcnt(17)
	v_fma_f64 v[131:132], v[161:162], v[133:134], v[131:132]
	buffer_load_dword v140, off, s[0:3], 0 offset:460
	buffer_load_dword v153, off, s[0:3], 0 offset:480
	;; [unrolled: 1-line block ×8, first 2 shown]
	s_waitcnt vmcnt(24) lgkmcnt(0)
	v_fma_f64 v[131:132], v[155:156], v[135:136], v[131:132]
	s_waitcnt vmcnt(19)
	v_fma_f64 v[141:142], v[141:142], v[137:138], v[131:132]
	ds_read_b128 v[131:134], v130 offset:912
	ds_read_b128 v[135:138], v130 offset:928
	s_waitcnt vmcnt(18) lgkmcnt(1)
	v_fma_f64 v[131:132], v[149:150], v[131:132], v[141:142]
	s_waitcnt vmcnt(17)
	v_fma_f64 v[131:132], v[147:148], v[133:134], v[131:132]
	buffer_load_dword v142, off, s[0:3], 0 offset:492
	buffer_load_dword v147, off, s[0:3], 0 offset:504
	;; [unrolled: 1-line block ×6, first 2 shown]
	s_waitcnt vmcnt(22) lgkmcnt(0)
	v_fma_f64 v[131:132], v[143:144], v[135:136], v[131:132]
	s_waitcnt vmcnt(17)
	v_fma_f64 v[143:144], v[145:146], v[137:138], v[131:132]
	ds_read_b128 v[131:134], v130 offset:944
	buffer_load_dword v145, off, s[0:3], 0 offset:168
	buffer_load_dword v146, off, s[0:3], 0 offset:172
	ds_read_b128 v[135:138], v130 offset:960
	s_waitcnt vmcnt(18) lgkmcnt(1)
	v_fma_f64 v[131:132], v[159:160], v[131:132], v[143:144]
	s_waitcnt vmcnt(17)
	v_fma_f64 v[131:132], v[157:158], v[133:134], v[131:132]
	s_waitcnt vmcnt(16) lgkmcnt(0)
	v_fma_f64 v[131:132], v[151:152], v[135:136], v[131:132]
	s_waitcnt vmcnt(11)
	v_fma_f64 v[139:140], v[139:140], v[137:138], v[131:132]
	ds_read_b128 v[131:134], v130 offset:976
	ds_read_b128 v[135:138], v130 offset:992
	s_waitcnt vmcnt(10) lgkmcnt(1)
	v_fma_f64 v[131:132], v[163:164], v[131:132], v[139:140]
	s_waitcnt vmcnt(9)
	v_fma_f64 v[131:132], v[161:162], v[133:134], v[131:132]
	s_waitcnt vmcnt(8) lgkmcnt(0)
	v_fma_f64 v[131:132], v[153:154], v[135:136], v[131:132]
	s_waitcnt vmcnt(4)
	v_fma_f64 v[134:135], v[141:142], v[137:138], v[131:132]
	ds_read_b128 v[130:133], v130 offset:1008
	s_waitcnt vmcnt(3) lgkmcnt(0)
	v_fma_f64 v[130:131], v[149:150], v[130:131], v[134:135]
	s_waitcnt vmcnt(2)
	v_fma_f64 v[130:131], v[147:148], v[132:133], v[130:131]
	s_waitcnt vmcnt(0)
	v_add_f64 v[130:131], v[145:146], -v[130:131]
	buffer_store_dword v131, off, s[0:3], 0 offset:172
	buffer_store_dword v130, off, s[0:3], 0 offset:168
	s_and_saveexec_b64 s[4:5], vcc
	s_cbranch_execz .LBB127_351
; %bb.350:
	buffer_load_dword v130, off, s[0:3], 0 offset:160
	buffer_load_dword v131, off, s[0:3], 0 offset:164
	v_mov_b32_e32 v132, 0
	buffer_store_dword v132, off, s[0:3], 0 offset:160
	buffer_store_dword v132, off, s[0:3], 0 offset:164
	s_waitcnt vmcnt(2)
	ds_write_b64 v129, v[130:131]
.LBB127_351:
	s_or_b64 exec, exec, s[4:5]
	s_waitcnt lgkmcnt(0)
	; wave barrier
	buffer_load_dword v139, off, s[0:3], 0 offset:168
	buffer_load_dword v140, off, s[0:3], 0 offset:172
	;; [unrolled: 1-line block ×22, first 2 shown]
	v_mov_b32_e32 v130, 0
	ds_read2_b64 v[131:134], v130 offset0:85 offset1:86
	ds_read2_b64 v[135:138], v130 offset0:87 offset1:88
	v_cmp_lt_u32_e32 vcc, 19, v0
	s_waitcnt vmcnt(20) lgkmcnt(1)
	v_fma_f64 v[131:132], v[139:140], v[131:132], 0
	s_waitcnt vmcnt(18)
	v_fma_f64 v[131:132], v[141:142], v[133:134], v[131:132]
	buffer_load_dword v140, off, s[0:3], 0 offset:260
	buffer_load_dword v141, off, s[0:3], 0 offset:280
	;; [unrolled: 1-line block ×7, first 2 shown]
	s_waitcnt vmcnt(23) lgkmcnt(0)
	v_fma_f64 v[131:132], v[143:144], v[135:136], v[131:132]
	s_waitcnt vmcnt(21)
	v_fma_f64 v[142:143], v[145:146], v[137:138], v[131:132]
	ds_read2_b64 v[131:134], v130 offset0:89 offset1:90
	ds_read2_b64 v[135:138], v130 offset0:91 offset1:92
	s_waitcnt vmcnt(19) lgkmcnt(1)
	v_fma_f64 v[131:132], v[147:148], v[131:132], v[142:143]
	buffer_load_dword v142, off, s[0:3], 0 offset:284
	s_waitcnt vmcnt(18)
	v_fma_f64 v[131:132], v[149:150], v[133:134], v[131:132]
	buffer_load_dword v144, off, s[0:3], 0 offset:292
	buffer_load_dword v145, off, s[0:3], 0 offset:312
	;; [unrolled: 1-line block ×7, first 2 shown]
	s_waitcnt vmcnt(23) lgkmcnt(0)
	v_fma_f64 v[131:132], v[151:152], v[135:136], v[131:132]
	s_waitcnt vmcnt(18)
	v_fma_f64 v[151:152], v[153:154], v[137:138], v[131:132]
	ds_read2_b64 v[131:134], v130 offset0:93 offset1:94
	ds_read2_b64 v[135:138], v130 offset0:95 offset1:96
	buffer_load_dword v146, off, s[0:3], 0 offset:316
	s_waitcnt vmcnt(18) lgkmcnt(1)
	v_fma_f64 v[131:132], v[159:160], v[131:132], v[151:152]
	s_waitcnt vmcnt(17)
	v_fma_f64 v[131:132], v[157:158], v[133:134], v[131:132]
	buffer_load_dword v152, off, s[0:3], 0 offset:324
	buffer_load_dword v153, off, s[0:3], 0 offset:344
	;; [unrolled: 1-line block ×8, first 2 shown]
	s_waitcnt vmcnt(24) lgkmcnt(0)
	v_fma_f64 v[131:132], v[155:156], v[135:136], v[131:132]
	s_waitcnt vmcnt(19)
	v_fma_f64 v[139:140], v[139:140], v[137:138], v[131:132]
	ds_read2_b64 v[131:134], v130 offset0:97 offset1:98
	ds_read2_b64 v[135:138], v130 offset0:99 offset1:100
	s_waitcnt vmcnt(18) lgkmcnt(1)
	v_fma_f64 v[131:132], v[163:164], v[131:132], v[139:140]
	s_waitcnt vmcnt(17)
	v_fma_f64 v[131:132], v[161:162], v[133:134], v[131:132]
	buffer_load_dword v140, off, s[0:3], 0 offset:356
	buffer_load_dword v155, off, s[0:3], 0 offset:376
	;; [unrolled: 1-line block ×8, first 2 shown]
	s_waitcnt vmcnt(24) lgkmcnt(0)
	v_fma_f64 v[131:132], v[141:142], v[135:136], v[131:132]
	s_waitcnt vmcnt(19)
	v_fma_f64 v[141:142], v[143:144], v[137:138], v[131:132]
	ds_read2_b64 v[131:134], v130 offset0:101 offset1:102
	ds_read2_b64 v[135:138], v130 offset0:103 offset1:104
	s_waitcnt vmcnt(18) lgkmcnt(1)
	v_fma_f64 v[131:132], v[149:150], v[131:132], v[141:142]
	s_waitcnt vmcnt(17)
	v_fma_f64 v[131:132], v[147:148], v[133:134], v[131:132]
	buffer_load_dword v142, off, s[0:3], 0 offset:388
	buffer_load_dword v143, off, s[0:3], 0 offset:408
	;; [unrolled: 1-line block ×7, first 2 shown]
	s_waitcnt vmcnt(23) lgkmcnt(0)
	v_fma_f64 v[131:132], v[145:146], v[135:136], v[131:132]
	s_waitcnt vmcnt(18)
	v_fma_f64 v[144:145], v[151:152], v[137:138], v[131:132]
	ds_read2_b64 v[131:134], v130 offset0:105 offset1:106
	ds_read2_b64 v[135:138], v130 offset0:107 offset1:108
	s_waitcnt vmcnt(17) lgkmcnt(1)
	v_fma_f64 v[131:132], v[159:160], v[131:132], v[144:145]
	buffer_load_dword v144, off, s[0:3], 0 offset:412
	s_waitcnt vmcnt(17)
	v_fma_f64 v[131:132], v[157:158], v[133:134], v[131:132]
	buffer_load_dword v146, off, s[0:3], 0 offset:420
	buffer_load_dword v151, off, s[0:3], 0 offset:440
	buffer_load_dword v157, off, s[0:3], 0 offset:432
	buffer_load_dword v159, off, s[0:3], 0 offset:424
	buffer_load_dword v145, off, s[0:3], 0 offset:416
	buffer_load_dword v160, off, s[0:3], 0 offset:428
	buffer_load_dword v158, off, s[0:3], 0 offset:436
	buffer_load_dword v152, off, s[0:3], 0 offset:444
	s_waitcnt vmcnt(24) lgkmcnt(0)
	v_fma_f64 v[131:132], v[153:154], v[135:136], v[131:132]
	s_waitcnt vmcnt(19)
	v_fma_f64 v[139:140], v[139:140], v[137:138], v[131:132]
	ds_read2_b64 v[131:134], v130 offset0:109 offset1:110
	ds_read2_b64 v[135:138], v130 offset0:111 offset1:112
	s_waitcnt vmcnt(18) lgkmcnt(1)
	v_fma_f64 v[131:132], v[163:164], v[131:132], v[139:140]
	s_waitcnt vmcnt(17)
	v_fma_f64 v[131:132], v[161:162], v[133:134], v[131:132]
	buffer_load_dword v140, off, s[0:3], 0 offset:452
	buffer_load_dword v153, off, s[0:3], 0 offset:472
	buffer_load_dword v161, off, s[0:3], 0 offset:464
	buffer_load_dword v163, off, s[0:3], 0 offset:456
	buffer_load_dword v139, off, s[0:3], 0 offset:448
	buffer_load_dword v164, off, s[0:3], 0 offset:460
	buffer_load_dword v162, off, s[0:3], 0 offset:468
	buffer_load_dword v154, off, s[0:3], 0 offset:476
	s_waitcnt vmcnt(24) lgkmcnt(0)
	v_fma_f64 v[131:132], v[155:156], v[135:136], v[131:132]
	s_waitcnt vmcnt(19)
	v_fma_f64 v[141:142], v[141:142], v[137:138], v[131:132]
	ds_read2_b64 v[131:134], v130 offset0:113 offset1:114
	ds_read2_b64 v[135:138], v130 offset0:115 offset1:116
	s_waitcnt vmcnt(18) lgkmcnt(1)
	v_fma_f64 v[131:132], v[149:150], v[131:132], v[141:142]
	;; [unrolled: 18-line block ×3, first 2 shown]
	buffer_load_dword v143, off, s[0:3], 0 offset:160
	buffer_load_dword v144, off, s[0:3], 0 offset:164
	s_waitcnt vmcnt(19)
	v_fma_f64 v[131:132], v[157:158], v[133:134], v[131:132]
	s_waitcnt vmcnt(18) lgkmcnt(0)
	v_fma_f64 v[131:132], v[151:152], v[135:136], v[131:132]
	s_waitcnt vmcnt(13)
	v_fma_f64 v[139:140], v[139:140], v[137:138], v[131:132]
	ds_read2_b64 v[131:134], v130 offset0:121 offset1:122
	ds_read2_b64 v[135:138], v130 offset0:123 offset1:124
	s_waitcnt vmcnt(12) lgkmcnt(1)
	v_fma_f64 v[131:132], v[163:164], v[131:132], v[139:140]
	s_waitcnt vmcnt(11)
	v_fma_f64 v[131:132], v[161:162], v[133:134], v[131:132]
	s_waitcnt vmcnt(10) lgkmcnt(0)
	v_fma_f64 v[131:132], v[153:154], v[135:136], v[131:132]
	s_waitcnt vmcnt(5)
	v_fma_f64 v[135:136], v[141:142], v[137:138], v[131:132]
	ds_read2_b64 v[131:134], v130 offset0:125 offset1:126
	ds_read_b64 v[137:138], v130 offset:1016
	s_waitcnt vmcnt(4) lgkmcnt(1)
	v_fma_f64 v[131:132], v[155:156], v[131:132], v[135:136]
	s_waitcnt vmcnt(3)
	v_fma_f64 v[131:132], v[149:150], v[133:134], v[131:132]
	s_waitcnt vmcnt(2) lgkmcnt(0)
	v_fma_f64 v[131:132], v[147:148], v[137:138], v[131:132]
	s_waitcnt vmcnt(0)
	v_add_f64 v[131:132], v[143:144], -v[131:132]
	buffer_store_dword v132, off, s[0:3], 0 offset:164
	buffer_store_dword v131, off, s[0:3], 0 offset:160
	s_and_saveexec_b64 s[4:5], vcc
	s_cbranch_execz .LBB127_353
; %bb.352:
	buffer_load_dword v131, off, s[0:3], 0 offset:152
	buffer_load_dword v132, off, s[0:3], 0 offset:156
	s_waitcnt vmcnt(0)
	ds_write_b64 v129, v[131:132]
	buffer_store_dword v130, off, s[0:3], 0 offset:152
	buffer_store_dword v130, off, s[0:3], 0 offset:156
.LBB127_353:
	s_or_b64 exec, exec, s[4:5]
	s_waitcnt lgkmcnt(0)
	; wave barrier
	buffer_load_dword v139, off, s[0:3], 0 offset:160
	buffer_load_dword v140, off, s[0:3], 0 offset:164
	;; [unrolled: 1-line block ×22, first 2 shown]
	ds_read_b128 v[131:134], v130 offset:672
	ds_read_b128 v[135:138], v130 offset:688
	v_cmp_lt_u32_e32 vcc, 18, v0
	s_waitcnt vmcnt(20) lgkmcnt(1)
	v_fma_f64 v[131:132], v[139:140], v[131:132], 0
	s_waitcnt vmcnt(18)
	v_fma_f64 v[131:132], v[141:142], v[133:134], v[131:132]
	buffer_load_dword v140, off, s[0:3], 0 offset:252
	buffer_load_dword v141, off, s[0:3], 0 offset:272
	;; [unrolled: 1-line block ×7, first 2 shown]
	s_waitcnt vmcnt(23) lgkmcnt(0)
	v_fma_f64 v[131:132], v[143:144], v[135:136], v[131:132]
	s_waitcnt vmcnt(21)
	v_fma_f64 v[142:143], v[145:146], v[137:138], v[131:132]
	ds_read_b128 v[131:134], v130 offset:704
	ds_read_b128 v[135:138], v130 offset:720
	s_waitcnt vmcnt(19) lgkmcnt(1)
	v_fma_f64 v[131:132], v[147:148], v[131:132], v[142:143]
	buffer_load_dword v142, off, s[0:3], 0 offset:276
	s_waitcnt vmcnt(18)
	v_fma_f64 v[131:132], v[149:150], v[133:134], v[131:132]
	buffer_load_dword v144, off, s[0:3], 0 offset:284
	buffer_load_dword v145, off, s[0:3], 0 offset:304
	buffer_load_dword v147, off, s[0:3], 0 offset:296
	buffer_load_dword v149, off, s[0:3], 0 offset:288
	buffer_load_dword v143, off, s[0:3], 0 offset:280
	buffer_load_dword v150, off, s[0:3], 0 offset:292
	buffer_load_dword v148, off, s[0:3], 0 offset:300
	s_waitcnt vmcnt(23) lgkmcnt(0)
	v_fma_f64 v[131:132], v[151:152], v[135:136], v[131:132]
	s_waitcnt vmcnt(18)
	v_fma_f64 v[151:152], v[153:154], v[137:138], v[131:132]
	ds_read_b128 v[131:134], v130 offset:736
	ds_read_b128 v[135:138], v130 offset:752
	buffer_load_dword v146, off, s[0:3], 0 offset:308
	s_waitcnt vmcnt(18) lgkmcnt(1)
	v_fma_f64 v[131:132], v[159:160], v[131:132], v[151:152]
	s_waitcnt vmcnt(17)
	v_fma_f64 v[131:132], v[157:158], v[133:134], v[131:132]
	buffer_load_dword v152, off, s[0:3], 0 offset:316
	buffer_load_dword v153, off, s[0:3], 0 offset:336
	;; [unrolled: 1-line block ×8, first 2 shown]
	s_waitcnt vmcnt(24) lgkmcnt(0)
	v_fma_f64 v[131:132], v[155:156], v[135:136], v[131:132]
	s_waitcnt vmcnt(19)
	v_fma_f64 v[139:140], v[139:140], v[137:138], v[131:132]
	ds_read_b128 v[131:134], v130 offset:768
	ds_read_b128 v[135:138], v130 offset:784
	s_waitcnt vmcnt(18) lgkmcnt(1)
	v_fma_f64 v[131:132], v[163:164], v[131:132], v[139:140]
	s_waitcnt vmcnt(17)
	v_fma_f64 v[131:132], v[161:162], v[133:134], v[131:132]
	buffer_load_dword v140, off, s[0:3], 0 offset:348
	buffer_load_dword v155, off, s[0:3], 0 offset:368
	;; [unrolled: 1-line block ×8, first 2 shown]
	s_waitcnt vmcnt(24) lgkmcnt(0)
	v_fma_f64 v[131:132], v[141:142], v[135:136], v[131:132]
	s_waitcnt vmcnt(19)
	v_fma_f64 v[141:142], v[143:144], v[137:138], v[131:132]
	ds_read_b128 v[131:134], v130 offset:800
	ds_read_b128 v[135:138], v130 offset:816
	s_waitcnt vmcnt(18) lgkmcnt(1)
	v_fma_f64 v[131:132], v[149:150], v[131:132], v[141:142]
	s_waitcnt vmcnt(17)
	v_fma_f64 v[131:132], v[147:148], v[133:134], v[131:132]
	buffer_load_dword v142, off, s[0:3], 0 offset:380
	buffer_load_dword v143, off, s[0:3], 0 offset:400
	;; [unrolled: 1-line block ×7, first 2 shown]
	s_waitcnt vmcnt(23) lgkmcnt(0)
	v_fma_f64 v[131:132], v[145:146], v[135:136], v[131:132]
	s_waitcnt vmcnt(18)
	v_fma_f64 v[144:145], v[151:152], v[137:138], v[131:132]
	ds_read_b128 v[131:134], v130 offset:832
	ds_read_b128 v[135:138], v130 offset:848
	s_waitcnt vmcnt(17) lgkmcnt(1)
	v_fma_f64 v[131:132], v[159:160], v[131:132], v[144:145]
	buffer_load_dword v144, off, s[0:3], 0 offset:404
	s_waitcnt vmcnt(17)
	v_fma_f64 v[131:132], v[157:158], v[133:134], v[131:132]
	buffer_load_dword v146, off, s[0:3], 0 offset:412
	buffer_load_dword v151, off, s[0:3], 0 offset:432
	buffer_load_dword v157, off, s[0:3], 0 offset:424
	buffer_load_dword v159, off, s[0:3], 0 offset:416
	buffer_load_dword v145, off, s[0:3], 0 offset:408
	buffer_load_dword v160, off, s[0:3], 0 offset:420
	buffer_load_dword v158, off, s[0:3], 0 offset:428
	buffer_load_dword v152, off, s[0:3], 0 offset:436
	s_waitcnt vmcnt(24) lgkmcnt(0)
	v_fma_f64 v[131:132], v[153:154], v[135:136], v[131:132]
	s_waitcnt vmcnt(19)
	v_fma_f64 v[139:140], v[139:140], v[137:138], v[131:132]
	ds_read_b128 v[131:134], v130 offset:864
	ds_read_b128 v[135:138], v130 offset:880
	s_waitcnt vmcnt(18) lgkmcnt(1)
	v_fma_f64 v[131:132], v[163:164], v[131:132], v[139:140]
	s_waitcnt vmcnt(17)
	v_fma_f64 v[131:132], v[161:162], v[133:134], v[131:132]
	buffer_load_dword v140, off, s[0:3], 0 offset:444
	buffer_load_dword v153, off, s[0:3], 0 offset:464
	buffer_load_dword v161, off, s[0:3], 0 offset:456
	buffer_load_dword v163, off, s[0:3], 0 offset:448
	buffer_load_dword v139, off, s[0:3], 0 offset:440
	buffer_load_dword v164, off, s[0:3], 0 offset:452
	buffer_load_dword v162, off, s[0:3], 0 offset:460
	buffer_load_dword v154, off, s[0:3], 0 offset:468
	s_waitcnt vmcnt(24) lgkmcnt(0)
	v_fma_f64 v[131:132], v[155:156], v[135:136], v[131:132]
	s_waitcnt vmcnt(19)
	v_fma_f64 v[141:142], v[141:142], v[137:138], v[131:132]
	ds_read_b128 v[131:134], v130 offset:896
	ds_read_b128 v[135:138], v130 offset:912
	s_waitcnt vmcnt(18) lgkmcnt(1)
	v_fma_f64 v[131:132], v[149:150], v[131:132], v[141:142]
	;; [unrolled: 18-line block ×3, first 2 shown]
	buffer_load_dword v144, off, s[0:3], 0 offset:508
	buffer_load_dword v143, off, s[0:3], 0 offset:504
	;; [unrolled: 1-line block ×4, first 2 shown]
	s_waitcnt vmcnt(21)
	v_fma_f64 v[131:132], v[157:158], v[133:134], v[131:132]
	s_waitcnt vmcnt(20) lgkmcnt(0)
	v_fma_f64 v[131:132], v[151:152], v[135:136], v[131:132]
	s_waitcnt vmcnt(15)
	v_fma_f64 v[139:140], v[139:140], v[137:138], v[131:132]
	ds_read_b128 v[131:134], v130 offset:960
	ds_read_b128 v[135:138], v130 offset:976
	s_waitcnt vmcnt(14) lgkmcnt(1)
	v_fma_f64 v[131:132], v[163:164], v[131:132], v[139:140]
	s_waitcnt vmcnt(13)
	v_fma_f64 v[131:132], v[161:162], v[133:134], v[131:132]
	s_waitcnt vmcnt(12) lgkmcnt(0)
	v_fma_f64 v[131:132], v[153:154], v[135:136], v[131:132]
	s_waitcnt vmcnt(7)
	v_fma_f64 v[139:140], v[141:142], v[137:138], v[131:132]
	ds_read_b128 v[131:134], v130 offset:992
	ds_read_b128 v[135:138], v130 offset:1008
	s_waitcnt vmcnt(6) lgkmcnt(1)
	v_fma_f64 v[130:131], v[155:156], v[131:132], v[139:140]
	s_waitcnt vmcnt(5)
	v_fma_f64 v[130:131], v[149:150], v[133:134], v[130:131]
	s_waitcnt vmcnt(4) lgkmcnt(0)
	v_fma_f64 v[130:131], v[147:148], v[135:136], v[130:131]
	s_waitcnt vmcnt(2)
	v_fma_f64 v[130:131], v[143:144], v[137:138], v[130:131]
	s_waitcnt vmcnt(0)
	v_add_f64 v[130:131], v[145:146], -v[130:131]
	buffer_store_dword v131, off, s[0:3], 0 offset:156
	buffer_store_dword v130, off, s[0:3], 0 offset:152
	s_and_saveexec_b64 s[4:5], vcc
	s_cbranch_execz .LBB127_355
; %bb.354:
	buffer_load_dword v130, off, s[0:3], 0 offset:144
	buffer_load_dword v131, off, s[0:3], 0 offset:148
	v_mov_b32_e32 v132, 0
	buffer_store_dword v132, off, s[0:3], 0 offset:144
	buffer_store_dword v132, off, s[0:3], 0 offset:148
	s_waitcnt vmcnt(2)
	ds_write_b64 v129, v[130:131]
.LBB127_355:
	s_or_b64 exec, exec, s[4:5]
	s_waitcnt lgkmcnt(0)
	; wave barrier
	buffer_load_dword v139, off, s[0:3], 0 offset:152
	buffer_load_dword v140, off, s[0:3], 0 offset:156
	;; [unrolled: 1-line block ×21, first 2 shown]
	v_mov_b32_e32 v130, 0
	ds_read2_b64 v[131:134], v130 offset0:83 offset1:84
	ds_read2_b64 v[135:138], v130 offset0:85 offset1:86
	buffer_load_dword v156, off, s[0:3], 0 offset:236
	v_cmp_lt_u32_e32 vcc, 17, v0
	s_waitcnt vmcnt(20) lgkmcnt(1)
	v_fma_f64 v[131:132], v[139:140], v[131:132], 0
	s_waitcnt vmcnt(18)
	v_fma_f64 v[131:132], v[141:142], v[133:134], v[131:132]
	buffer_load_dword v140, off, s[0:3], 0 offset:244
	buffer_load_dword v141, off, s[0:3], 0 offset:264
	;; [unrolled: 1-line block ×7, first 2 shown]
	s_waitcnt vmcnt(23) lgkmcnt(0)
	v_fma_f64 v[131:132], v[143:144], v[135:136], v[131:132]
	s_waitcnt vmcnt(21)
	v_fma_f64 v[142:143], v[145:146], v[137:138], v[131:132]
	ds_read2_b64 v[131:134], v130 offset0:87 offset1:88
	ds_read2_b64 v[135:138], v130 offset0:89 offset1:90
	s_waitcnt vmcnt(19) lgkmcnt(1)
	v_fma_f64 v[131:132], v[147:148], v[131:132], v[142:143]
	buffer_load_dword v142, off, s[0:3], 0 offset:268
	s_waitcnt vmcnt(18)
	v_fma_f64 v[131:132], v[149:150], v[133:134], v[131:132]
	buffer_load_dword v144, off, s[0:3], 0 offset:276
	buffer_load_dword v145, off, s[0:3], 0 offset:296
	;; [unrolled: 1-line block ×7, first 2 shown]
	s_waitcnt vmcnt(23) lgkmcnt(0)
	v_fma_f64 v[131:132], v[151:152], v[135:136], v[131:132]
	s_waitcnt vmcnt(18)
	v_fma_f64 v[151:152], v[153:154], v[137:138], v[131:132]
	ds_read2_b64 v[131:134], v130 offset0:91 offset1:92
	ds_read2_b64 v[135:138], v130 offset0:93 offset1:94
	buffer_load_dword v146, off, s[0:3], 0 offset:300
	s_waitcnt vmcnt(18) lgkmcnt(1)
	v_fma_f64 v[131:132], v[159:160], v[131:132], v[151:152]
	s_waitcnt vmcnt(17)
	v_fma_f64 v[131:132], v[157:158], v[133:134], v[131:132]
	buffer_load_dword v152, off, s[0:3], 0 offset:308
	buffer_load_dword v153, off, s[0:3], 0 offset:328
	;; [unrolled: 1-line block ×7, first 2 shown]
	s_waitcnt vmcnt(23) lgkmcnt(0)
	v_fma_f64 v[131:132], v[155:156], v[135:136], v[131:132]
	s_waitcnt vmcnt(18)
	v_fma_f64 v[139:140], v[139:140], v[137:138], v[131:132]
	ds_read2_b64 v[131:134], v130 offset0:95 offset1:96
	ds_read2_b64 v[135:138], v130 offset0:97 offset1:98
	buffer_load_dword v154, off, s[0:3], 0 offset:332
	s_waitcnt vmcnt(18) lgkmcnt(1)
	v_fma_f64 v[131:132], v[163:164], v[131:132], v[139:140]
	s_waitcnt vmcnt(17)
	v_fma_f64 v[131:132], v[161:162], v[133:134], v[131:132]
	buffer_load_dword v140, off, s[0:3], 0 offset:340
	buffer_load_dword v155, off, s[0:3], 0 offset:360
	;; [unrolled: 1-line block ×8, first 2 shown]
	s_waitcnt vmcnt(24) lgkmcnt(0)
	v_fma_f64 v[131:132], v[141:142], v[135:136], v[131:132]
	s_waitcnt vmcnt(19)
	v_fma_f64 v[141:142], v[143:144], v[137:138], v[131:132]
	ds_read2_b64 v[131:134], v130 offset0:99 offset1:100
	ds_read2_b64 v[135:138], v130 offset0:101 offset1:102
	s_waitcnt vmcnt(18) lgkmcnt(1)
	v_fma_f64 v[131:132], v[149:150], v[131:132], v[141:142]
	s_waitcnt vmcnt(17)
	v_fma_f64 v[131:132], v[147:148], v[133:134], v[131:132]
	buffer_load_dword v142, off, s[0:3], 0 offset:372
	buffer_load_dword v143, off, s[0:3], 0 offset:392
	buffer_load_dword v147, off, s[0:3], 0 offset:384
	buffer_load_dword v149, off, s[0:3], 0 offset:376
	buffer_load_dword v141, off, s[0:3], 0 offset:368
	buffer_load_dword v150, off, s[0:3], 0 offset:380
	buffer_load_dword v148, off, s[0:3], 0 offset:388
	s_waitcnt vmcnt(23) lgkmcnt(0)
	v_fma_f64 v[131:132], v[145:146], v[135:136], v[131:132]
	s_waitcnt vmcnt(18)
	v_fma_f64 v[144:145], v[151:152], v[137:138], v[131:132]
	ds_read2_b64 v[131:134], v130 offset0:103 offset1:104
	ds_read2_b64 v[135:138], v130 offset0:105 offset1:106
	s_waitcnt vmcnt(17) lgkmcnt(1)
	v_fma_f64 v[131:132], v[159:160], v[131:132], v[144:145]
	buffer_load_dword v144, off, s[0:3], 0 offset:396
	s_waitcnt vmcnt(17)
	v_fma_f64 v[131:132], v[157:158], v[133:134], v[131:132]
	buffer_load_dword v146, off, s[0:3], 0 offset:404
	buffer_load_dword v151, off, s[0:3], 0 offset:424
	;; [unrolled: 1-line block ×7, first 2 shown]
	s_waitcnt vmcnt(23) lgkmcnt(0)
	v_fma_f64 v[131:132], v[153:154], v[135:136], v[131:132]
	s_waitcnt vmcnt(18)
	v_fma_f64 v[139:140], v[139:140], v[137:138], v[131:132]
	ds_read2_b64 v[131:134], v130 offset0:107 offset1:108
	ds_read2_b64 v[135:138], v130 offset0:109 offset1:110
	buffer_load_dword v152, off, s[0:3], 0 offset:428
	s_waitcnt vmcnt(18) lgkmcnt(1)
	v_fma_f64 v[131:132], v[163:164], v[131:132], v[139:140]
	s_waitcnt vmcnt(17)
	v_fma_f64 v[131:132], v[161:162], v[133:134], v[131:132]
	buffer_load_dword v140, off, s[0:3], 0 offset:436
	buffer_load_dword v153, off, s[0:3], 0 offset:456
	;; [unrolled: 1-line block ×8, first 2 shown]
	s_waitcnt vmcnt(24) lgkmcnt(0)
	v_fma_f64 v[131:132], v[155:156], v[135:136], v[131:132]
	s_waitcnt vmcnt(19)
	v_fma_f64 v[141:142], v[141:142], v[137:138], v[131:132]
	ds_read2_b64 v[131:134], v130 offset0:111 offset1:112
	ds_read2_b64 v[135:138], v130 offset0:113 offset1:114
	s_waitcnt vmcnt(18) lgkmcnt(1)
	v_fma_f64 v[131:132], v[149:150], v[131:132], v[141:142]
	s_waitcnt vmcnt(17)
	v_fma_f64 v[131:132], v[147:148], v[133:134], v[131:132]
	buffer_load_dword v142, off, s[0:3], 0 offset:468
	buffer_load_dword v147, off, s[0:3], 0 offset:488
	buffer_load_dword v149, off, s[0:3], 0 offset:480
	buffer_load_dword v155, off, s[0:3], 0 offset:472
	buffer_load_dword v141, off, s[0:3], 0 offset:464
	buffer_load_dword v156, off, s[0:3], 0 offset:476
	buffer_load_dword v150, off, s[0:3], 0 offset:484
	s_waitcnt vmcnt(23) lgkmcnt(0)
	v_fma_f64 v[131:132], v[143:144], v[135:136], v[131:132]
	s_waitcnt vmcnt(18)
	v_fma_f64 v[143:144], v[145:146], v[137:138], v[131:132]
	ds_read2_b64 v[131:134], v130 offset0:115 offset1:116
	ds_read2_b64 v[135:138], v130 offset0:117 offset1:118
	buffer_load_dword v148, off, s[0:3], 0 offset:492
	s_waitcnt vmcnt(18) lgkmcnt(1)
	v_fma_f64 v[131:132], v[159:160], v[131:132], v[143:144]
	buffer_load_dword v144, off, s[0:3], 0 offset:500
	buffer_load_dword v145, off, s[0:3], 0 offset:504
	;; [unrolled: 1-line block ×4, first 2 shown]
	s_waitcnt vmcnt(21)
	v_fma_f64 v[131:132], v[157:158], v[133:134], v[131:132]
	s_waitcnt vmcnt(20) lgkmcnt(0)
	v_fma_f64 v[131:132], v[151:152], v[135:136], v[131:132]
	buffer_load_dword v151, off, s[0:3], 0 offset:144
	buffer_load_dword v152, off, s[0:3], 0 offset:148
	s_waitcnt vmcnt(17)
	v_fma_f64 v[139:140], v[139:140], v[137:138], v[131:132]
	ds_read2_b64 v[131:134], v130 offset0:119 offset1:120
	ds_read2_b64 v[135:138], v130 offset0:121 offset1:122
	s_waitcnt vmcnt(16) lgkmcnt(1)
	v_fma_f64 v[131:132], v[163:164], v[131:132], v[139:140]
	s_waitcnt vmcnt(15)
	v_fma_f64 v[131:132], v[161:162], v[133:134], v[131:132]
	s_waitcnt vmcnt(14) lgkmcnt(0)
	v_fma_f64 v[131:132], v[153:154], v[135:136], v[131:132]
	s_waitcnt vmcnt(9)
	v_fma_f64 v[139:140], v[141:142], v[137:138], v[131:132]
	ds_read2_b64 v[131:134], v130 offset0:123 offset1:124
	ds_read2_b64 v[135:138], v130 offset0:125 offset1:126
	s_waitcnt vmcnt(8) lgkmcnt(1)
	v_fma_f64 v[131:132], v[155:156], v[131:132], v[139:140]
	s_waitcnt vmcnt(7)
	v_fma_f64 v[131:132], v[149:150], v[133:134], v[131:132]
	ds_read_b64 v[133:134], v130 offset:1016
	s_waitcnt vmcnt(6) lgkmcnt(1)
	v_fma_f64 v[131:132], v[147:148], v[135:136], v[131:132]
	s_waitcnt vmcnt(3)
	v_fma_f64 v[131:132], v[143:144], v[137:138], v[131:132]
	s_waitcnt vmcnt(2) lgkmcnt(0)
	v_fma_f64 v[131:132], v[145:146], v[133:134], v[131:132]
	s_waitcnt vmcnt(0)
	v_add_f64 v[131:132], v[151:152], -v[131:132]
	buffer_store_dword v132, off, s[0:3], 0 offset:148
	buffer_store_dword v131, off, s[0:3], 0 offset:144
	s_and_saveexec_b64 s[4:5], vcc
	s_cbranch_execz .LBB127_357
; %bb.356:
	buffer_load_dword v131, off, s[0:3], 0 offset:136
	buffer_load_dword v132, off, s[0:3], 0 offset:140
	s_waitcnt vmcnt(0)
	ds_write_b64 v129, v[131:132]
	buffer_store_dword v130, off, s[0:3], 0 offset:136
	buffer_store_dword v130, off, s[0:3], 0 offset:140
.LBB127_357:
	s_or_b64 exec, exec, s[4:5]
	s_waitcnt lgkmcnt(0)
	; wave barrier
	buffer_load_dword v139, off, s[0:3], 0 offset:144
	buffer_load_dword v140, off, s[0:3], 0 offset:148
	;; [unrolled: 1-line block ×21, first 2 shown]
	ds_read_b128 v[131:134], v130 offset:656
	ds_read_b128 v[135:138], v130 offset:672
	buffer_load_dword v156, off, s[0:3], 0 offset:228
	v_cmp_lt_u32_e32 vcc, 16, v0
	s_waitcnt vmcnt(20) lgkmcnt(1)
	v_fma_f64 v[131:132], v[139:140], v[131:132], 0
	s_waitcnt vmcnt(18)
	v_fma_f64 v[131:132], v[141:142], v[133:134], v[131:132]
	buffer_load_dword v140, off, s[0:3], 0 offset:236
	buffer_load_dword v141, off, s[0:3], 0 offset:256
	;; [unrolled: 1-line block ×7, first 2 shown]
	s_waitcnt vmcnt(23) lgkmcnt(0)
	v_fma_f64 v[131:132], v[143:144], v[135:136], v[131:132]
	s_waitcnt vmcnt(21)
	v_fma_f64 v[142:143], v[145:146], v[137:138], v[131:132]
	ds_read_b128 v[131:134], v130 offset:688
	ds_read_b128 v[135:138], v130 offset:704
	s_waitcnt vmcnt(19) lgkmcnt(1)
	v_fma_f64 v[131:132], v[147:148], v[131:132], v[142:143]
	buffer_load_dword v142, off, s[0:3], 0 offset:260
	s_waitcnt vmcnt(18)
	v_fma_f64 v[131:132], v[149:150], v[133:134], v[131:132]
	buffer_load_dword v144, off, s[0:3], 0 offset:268
	buffer_load_dword v145, off, s[0:3], 0 offset:288
	;; [unrolled: 1-line block ×8, first 2 shown]
	s_waitcnt vmcnt(24) lgkmcnt(0)
	v_fma_f64 v[131:132], v[151:152], v[135:136], v[131:132]
	s_waitcnt vmcnt(19)
	v_fma_f64 v[151:152], v[153:154], v[137:138], v[131:132]
	ds_read_b128 v[131:134], v130 offset:720
	ds_read_b128 v[135:138], v130 offset:736
	s_waitcnt vmcnt(18) lgkmcnt(1)
	v_fma_f64 v[131:132], v[159:160], v[131:132], v[151:152]
	s_waitcnt vmcnt(17)
	v_fma_f64 v[131:132], v[157:158], v[133:134], v[131:132]
	buffer_load_dword v152, off, s[0:3], 0 offset:300
	buffer_load_dword v153, off, s[0:3], 0 offset:320
	;; [unrolled: 1-line block ×7, first 2 shown]
	s_waitcnt vmcnt(23) lgkmcnt(0)
	v_fma_f64 v[131:132], v[155:156], v[135:136], v[131:132]
	s_waitcnt vmcnt(18)
	v_fma_f64 v[139:140], v[139:140], v[137:138], v[131:132]
	ds_read_b128 v[131:134], v130 offset:752
	ds_read_b128 v[135:138], v130 offset:768
	buffer_load_dword v154, off, s[0:3], 0 offset:324
	s_waitcnt vmcnt(18) lgkmcnt(1)
	v_fma_f64 v[131:132], v[163:164], v[131:132], v[139:140]
	s_waitcnt vmcnt(17)
	v_fma_f64 v[131:132], v[161:162], v[133:134], v[131:132]
	buffer_load_dword v140, off, s[0:3], 0 offset:332
	buffer_load_dword v155, off, s[0:3], 0 offset:352
	;; [unrolled: 1-line block ×8, first 2 shown]
	s_waitcnt vmcnt(24) lgkmcnt(0)
	v_fma_f64 v[131:132], v[141:142], v[135:136], v[131:132]
	s_waitcnt vmcnt(19)
	v_fma_f64 v[141:142], v[143:144], v[137:138], v[131:132]
	ds_read_b128 v[131:134], v130 offset:784
	ds_read_b128 v[135:138], v130 offset:800
	s_waitcnt vmcnt(18) lgkmcnt(1)
	v_fma_f64 v[131:132], v[149:150], v[131:132], v[141:142]
	s_waitcnt vmcnt(17)
	v_fma_f64 v[131:132], v[147:148], v[133:134], v[131:132]
	buffer_load_dword v142, off, s[0:3], 0 offset:364
	buffer_load_dword v143, off, s[0:3], 0 offset:384
	;; [unrolled: 1-line block ×7, first 2 shown]
	s_waitcnt vmcnt(23) lgkmcnt(0)
	v_fma_f64 v[131:132], v[145:146], v[135:136], v[131:132]
	s_waitcnt vmcnt(18)
	v_fma_f64 v[144:145], v[151:152], v[137:138], v[131:132]
	ds_read_b128 v[131:134], v130 offset:816
	ds_read_b128 v[135:138], v130 offset:832
	s_waitcnt vmcnt(17) lgkmcnt(1)
	v_fma_f64 v[131:132], v[159:160], v[131:132], v[144:145]
	buffer_load_dword v144, off, s[0:3], 0 offset:388
	s_waitcnt vmcnt(17)
	v_fma_f64 v[131:132], v[157:158], v[133:134], v[131:132]
	buffer_load_dword v146, off, s[0:3], 0 offset:396
	buffer_load_dword v151, off, s[0:3], 0 offset:416
	;; [unrolled: 1-line block ×7, first 2 shown]
	s_waitcnt vmcnt(23) lgkmcnt(0)
	v_fma_f64 v[131:132], v[153:154], v[135:136], v[131:132]
	s_waitcnt vmcnt(18)
	v_fma_f64 v[139:140], v[139:140], v[137:138], v[131:132]
	ds_read_b128 v[131:134], v130 offset:848
	ds_read_b128 v[135:138], v130 offset:864
	buffer_load_dword v152, off, s[0:3], 0 offset:420
	s_waitcnt vmcnt(18) lgkmcnt(1)
	v_fma_f64 v[131:132], v[163:164], v[131:132], v[139:140]
	s_waitcnt vmcnt(17)
	v_fma_f64 v[131:132], v[161:162], v[133:134], v[131:132]
	buffer_load_dword v140, off, s[0:3], 0 offset:428
	buffer_load_dword v153, off, s[0:3], 0 offset:448
	;; [unrolled: 1-line block ×8, first 2 shown]
	s_waitcnt vmcnt(24) lgkmcnt(0)
	v_fma_f64 v[131:132], v[155:156], v[135:136], v[131:132]
	s_waitcnt vmcnt(19)
	v_fma_f64 v[141:142], v[141:142], v[137:138], v[131:132]
	ds_read_b128 v[131:134], v130 offset:880
	ds_read_b128 v[135:138], v130 offset:896
	s_waitcnt vmcnt(18) lgkmcnt(1)
	v_fma_f64 v[131:132], v[149:150], v[131:132], v[141:142]
	s_waitcnt vmcnt(17)
	v_fma_f64 v[131:132], v[147:148], v[133:134], v[131:132]
	buffer_load_dword v142, off, s[0:3], 0 offset:460
	buffer_load_dword v147, off, s[0:3], 0 offset:480
	;; [unrolled: 1-line block ×8, first 2 shown]
	s_waitcnt vmcnt(24) lgkmcnt(0)
	v_fma_f64 v[131:132], v[143:144], v[135:136], v[131:132]
	s_waitcnt vmcnt(19)
	v_fma_f64 v[143:144], v[145:146], v[137:138], v[131:132]
	ds_read_b128 v[131:134], v130 offset:912
	ds_read_b128 v[135:138], v130 offset:928
	s_waitcnt vmcnt(18) lgkmcnt(1)
	v_fma_f64 v[131:132], v[159:160], v[131:132], v[143:144]
	s_waitcnt vmcnt(17)
	v_fma_f64 v[131:132], v[157:158], v[133:134], v[131:132]
	buffer_load_dword v144, off, s[0:3], 0 offset:492
	buffer_load_dword v145, off, s[0:3], 0 offset:504
	;; [unrolled: 1-line block ×6, first 2 shown]
	s_waitcnt vmcnt(22) lgkmcnt(0)
	v_fma_f64 v[131:132], v[151:152], v[135:136], v[131:132]
	s_waitcnt vmcnt(17)
	v_fma_f64 v[139:140], v[139:140], v[137:138], v[131:132]
	ds_read_b128 v[131:134], v130 offset:944
	buffer_load_dword v151, off, s[0:3], 0 offset:136
	buffer_load_dword v152, off, s[0:3], 0 offset:140
	ds_read_b128 v[135:138], v130 offset:960
	s_waitcnt vmcnt(18) lgkmcnt(1)
	v_fma_f64 v[131:132], v[163:164], v[131:132], v[139:140]
	s_waitcnt vmcnt(17)
	v_fma_f64 v[131:132], v[161:162], v[133:134], v[131:132]
	s_waitcnt vmcnt(16) lgkmcnt(0)
	v_fma_f64 v[131:132], v[153:154], v[135:136], v[131:132]
	s_waitcnt vmcnt(11)
	v_fma_f64 v[139:140], v[141:142], v[137:138], v[131:132]
	ds_read_b128 v[131:134], v130 offset:976
	ds_read_b128 v[135:138], v130 offset:992
	s_waitcnt vmcnt(10) lgkmcnt(1)
	v_fma_f64 v[131:132], v[155:156], v[131:132], v[139:140]
	s_waitcnt vmcnt(9)
	v_fma_f64 v[131:132], v[149:150], v[133:134], v[131:132]
	s_waitcnt vmcnt(8) lgkmcnt(0)
	v_fma_f64 v[131:132], v[147:148], v[135:136], v[131:132]
	s_waitcnt vmcnt(4)
	v_fma_f64 v[134:135], v[143:144], v[137:138], v[131:132]
	ds_read_b128 v[130:133], v130 offset:1008
	s_waitcnt vmcnt(3) lgkmcnt(0)
	v_fma_f64 v[130:131], v[157:158], v[130:131], v[134:135]
	s_waitcnt vmcnt(2)
	v_fma_f64 v[130:131], v[145:146], v[132:133], v[130:131]
	s_waitcnt vmcnt(0)
	v_add_f64 v[130:131], v[151:152], -v[130:131]
	buffer_store_dword v131, off, s[0:3], 0 offset:140
	buffer_store_dword v130, off, s[0:3], 0 offset:136
	s_and_saveexec_b64 s[4:5], vcc
	s_cbranch_execz .LBB127_359
; %bb.358:
	buffer_load_dword v130, off, s[0:3], 0 offset:128
	buffer_load_dword v131, off, s[0:3], 0 offset:132
	v_mov_b32_e32 v132, 0
	buffer_store_dword v132, off, s[0:3], 0 offset:128
	buffer_store_dword v132, off, s[0:3], 0 offset:132
	s_waitcnt vmcnt(2)
	ds_write_b64 v129, v[130:131]
.LBB127_359:
	s_or_b64 exec, exec, s[4:5]
	s_waitcnt lgkmcnt(0)
	; wave barrier
	buffer_load_dword v139, off, s[0:3], 0 offset:136
	buffer_load_dword v140, off, s[0:3], 0 offset:140
	;; [unrolled: 1-line block ×21, first 2 shown]
	v_mov_b32_e32 v130, 0
	ds_read2_b64 v[131:134], v130 offset0:81 offset1:82
	ds_read2_b64 v[135:138], v130 offset0:83 offset1:84
	buffer_load_dword v156, off, s[0:3], 0 offset:220
	v_cmp_lt_u32_e32 vcc, 15, v0
	s_waitcnt vmcnt(20) lgkmcnt(1)
	v_fma_f64 v[131:132], v[139:140], v[131:132], 0
	s_waitcnt vmcnt(18)
	v_fma_f64 v[131:132], v[141:142], v[133:134], v[131:132]
	buffer_load_dword v140, off, s[0:3], 0 offset:228
	buffer_load_dword v141, off, s[0:3], 0 offset:248
	;; [unrolled: 1-line block ×7, first 2 shown]
	s_waitcnt vmcnt(23) lgkmcnt(0)
	v_fma_f64 v[131:132], v[143:144], v[135:136], v[131:132]
	s_waitcnt vmcnt(21)
	v_fma_f64 v[142:143], v[145:146], v[137:138], v[131:132]
	ds_read2_b64 v[131:134], v130 offset0:85 offset1:86
	ds_read2_b64 v[135:138], v130 offset0:87 offset1:88
	s_waitcnt vmcnt(19) lgkmcnt(1)
	v_fma_f64 v[131:132], v[147:148], v[131:132], v[142:143]
	buffer_load_dword v142, off, s[0:3], 0 offset:252
	s_waitcnt vmcnt(18)
	v_fma_f64 v[131:132], v[149:150], v[133:134], v[131:132]
	buffer_load_dword v144, off, s[0:3], 0 offset:260
	buffer_load_dword v145, off, s[0:3], 0 offset:280
	;; [unrolled: 1-line block ×8, first 2 shown]
	s_waitcnt vmcnt(24) lgkmcnt(0)
	v_fma_f64 v[131:132], v[151:152], v[135:136], v[131:132]
	s_waitcnt vmcnt(19)
	v_fma_f64 v[151:152], v[153:154], v[137:138], v[131:132]
	ds_read2_b64 v[131:134], v130 offset0:89 offset1:90
	ds_read2_b64 v[135:138], v130 offset0:91 offset1:92
	s_waitcnt vmcnt(18) lgkmcnt(1)
	v_fma_f64 v[131:132], v[159:160], v[131:132], v[151:152]
	s_waitcnt vmcnt(17)
	v_fma_f64 v[131:132], v[157:158], v[133:134], v[131:132]
	buffer_load_dword v152, off, s[0:3], 0 offset:292
	buffer_load_dword v153, off, s[0:3], 0 offset:312
	;; [unrolled: 1-line block ×7, first 2 shown]
	s_waitcnt vmcnt(23) lgkmcnt(0)
	v_fma_f64 v[131:132], v[155:156], v[135:136], v[131:132]
	s_waitcnt vmcnt(18)
	v_fma_f64 v[139:140], v[139:140], v[137:138], v[131:132]
	ds_read2_b64 v[131:134], v130 offset0:93 offset1:94
	ds_read2_b64 v[135:138], v130 offset0:95 offset1:96
	buffer_load_dword v154, off, s[0:3], 0 offset:316
	s_waitcnt vmcnt(18) lgkmcnt(1)
	v_fma_f64 v[131:132], v[163:164], v[131:132], v[139:140]
	s_waitcnt vmcnt(17)
	v_fma_f64 v[131:132], v[161:162], v[133:134], v[131:132]
	buffer_load_dword v140, off, s[0:3], 0 offset:324
	buffer_load_dword v155, off, s[0:3], 0 offset:344
	;; [unrolled: 1-line block ×8, first 2 shown]
	s_waitcnt vmcnt(24) lgkmcnt(0)
	v_fma_f64 v[131:132], v[141:142], v[135:136], v[131:132]
	s_waitcnt vmcnt(19)
	v_fma_f64 v[141:142], v[143:144], v[137:138], v[131:132]
	ds_read2_b64 v[131:134], v130 offset0:97 offset1:98
	ds_read2_b64 v[135:138], v130 offset0:99 offset1:100
	s_waitcnt vmcnt(18) lgkmcnt(1)
	v_fma_f64 v[131:132], v[149:150], v[131:132], v[141:142]
	s_waitcnt vmcnt(17)
	v_fma_f64 v[131:132], v[147:148], v[133:134], v[131:132]
	buffer_load_dword v142, off, s[0:3], 0 offset:356
	buffer_load_dword v143, off, s[0:3], 0 offset:376
	;; [unrolled: 1-line block ×7, first 2 shown]
	s_waitcnt vmcnt(23) lgkmcnt(0)
	v_fma_f64 v[131:132], v[145:146], v[135:136], v[131:132]
	s_waitcnt vmcnt(18)
	v_fma_f64 v[144:145], v[151:152], v[137:138], v[131:132]
	ds_read2_b64 v[131:134], v130 offset0:101 offset1:102
	ds_read2_b64 v[135:138], v130 offset0:103 offset1:104
	s_waitcnt vmcnt(17) lgkmcnt(1)
	v_fma_f64 v[131:132], v[159:160], v[131:132], v[144:145]
	buffer_load_dword v144, off, s[0:3], 0 offset:380
	s_waitcnt vmcnt(17)
	v_fma_f64 v[131:132], v[157:158], v[133:134], v[131:132]
	buffer_load_dword v146, off, s[0:3], 0 offset:388
	buffer_load_dword v151, off, s[0:3], 0 offset:408
	;; [unrolled: 1-line block ×7, first 2 shown]
	s_waitcnt vmcnt(23) lgkmcnt(0)
	v_fma_f64 v[131:132], v[153:154], v[135:136], v[131:132]
	s_waitcnt vmcnt(18)
	v_fma_f64 v[139:140], v[139:140], v[137:138], v[131:132]
	ds_read2_b64 v[131:134], v130 offset0:105 offset1:106
	ds_read2_b64 v[135:138], v130 offset0:107 offset1:108
	buffer_load_dword v152, off, s[0:3], 0 offset:412
	s_waitcnt vmcnt(18) lgkmcnt(1)
	v_fma_f64 v[131:132], v[163:164], v[131:132], v[139:140]
	s_waitcnt vmcnt(17)
	v_fma_f64 v[131:132], v[161:162], v[133:134], v[131:132]
	buffer_load_dword v140, off, s[0:3], 0 offset:420
	buffer_load_dword v153, off, s[0:3], 0 offset:440
	buffer_load_dword v161, off, s[0:3], 0 offset:432
	buffer_load_dword v163, off, s[0:3], 0 offset:424
	buffer_load_dword v139, off, s[0:3], 0 offset:416
	buffer_load_dword v164, off, s[0:3], 0 offset:428
	buffer_load_dword v162, off, s[0:3], 0 offset:436
	buffer_load_dword v154, off, s[0:3], 0 offset:444
	s_waitcnt vmcnt(24) lgkmcnt(0)
	v_fma_f64 v[131:132], v[155:156], v[135:136], v[131:132]
	s_waitcnt vmcnt(19)
	v_fma_f64 v[141:142], v[141:142], v[137:138], v[131:132]
	ds_read2_b64 v[131:134], v130 offset0:109 offset1:110
	ds_read2_b64 v[135:138], v130 offset0:111 offset1:112
	s_waitcnt vmcnt(18) lgkmcnt(1)
	v_fma_f64 v[131:132], v[149:150], v[131:132], v[141:142]
	s_waitcnt vmcnt(17)
	v_fma_f64 v[131:132], v[147:148], v[133:134], v[131:132]
	buffer_load_dword v142, off, s[0:3], 0 offset:452
	buffer_load_dword v147, off, s[0:3], 0 offset:472
	buffer_load_dword v149, off, s[0:3], 0 offset:464
	buffer_load_dword v155, off, s[0:3], 0 offset:456
	buffer_load_dword v141, off, s[0:3], 0 offset:448
	buffer_load_dword v156, off, s[0:3], 0 offset:460
	buffer_load_dword v150, off, s[0:3], 0 offset:468
	buffer_load_dword v148, off, s[0:3], 0 offset:476
	s_waitcnt vmcnt(24) lgkmcnt(0)
	v_fma_f64 v[131:132], v[143:144], v[135:136], v[131:132]
	s_waitcnt vmcnt(19)
	v_fma_f64 v[143:144], v[145:146], v[137:138], v[131:132]
	ds_read2_b64 v[131:134], v130 offset0:113 offset1:114
	ds_read2_b64 v[135:138], v130 offset0:115 offset1:116
	s_waitcnt vmcnt(18) lgkmcnt(1)
	v_fma_f64 v[131:132], v[159:160], v[131:132], v[143:144]
	s_waitcnt vmcnt(17)
	v_fma_f64 v[131:132], v[157:158], v[133:134], v[131:132]
	buffer_load_dword v144, off, s[0:3], 0 offset:484
	buffer_load_dword v145, off, s[0:3], 0 offset:504
	buffer_load_dword v157, off, s[0:3], 0 offset:496
	buffer_load_dword v159, off, s[0:3], 0 offset:488
	buffer_load_dword v143, off, s[0:3], 0 offset:480
	buffer_load_dword v160, off, s[0:3], 0 offset:492
	buffer_load_dword v158, off, s[0:3], 0 offset:500
	buffer_load_dword v146, off, s[0:3], 0 offset:508
	s_waitcnt vmcnt(24) lgkmcnt(0)
	v_fma_f64 v[131:132], v[151:152], v[135:136], v[131:132]
	s_waitcnt vmcnt(19)
	v_fma_f64 v[139:140], v[139:140], v[137:138], v[131:132]
	ds_read2_b64 v[131:134], v130 offset0:117 offset1:118
	ds_read2_b64 v[135:138], v130 offset0:119 offset1:120
	s_waitcnt vmcnt(18) lgkmcnt(1)
	v_fma_f64 v[131:132], v[163:164], v[131:132], v[139:140]
	buffer_load_dword v139, off, s[0:3], 0 offset:128
	buffer_load_dword v140, off, s[0:3], 0 offset:132
	s_waitcnt vmcnt(19)
	v_fma_f64 v[131:132], v[161:162], v[133:134], v[131:132]
	s_waitcnt vmcnt(18) lgkmcnt(0)
	v_fma_f64 v[131:132], v[153:154], v[135:136], v[131:132]
	s_waitcnt vmcnt(13)
	v_fma_f64 v[141:142], v[141:142], v[137:138], v[131:132]
	ds_read2_b64 v[131:134], v130 offset0:121 offset1:122
	ds_read2_b64 v[135:138], v130 offset0:123 offset1:124
	s_waitcnt vmcnt(12) lgkmcnt(1)
	v_fma_f64 v[131:132], v[155:156], v[131:132], v[141:142]
	s_waitcnt vmcnt(11)
	v_fma_f64 v[131:132], v[149:150], v[133:134], v[131:132]
	s_waitcnt vmcnt(10) lgkmcnt(0)
	v_fma_f64 v[131:132], v[147:148], v[135:136], v[131:132]
	s_waitcnt vmcnt(5)
	v_fma_f64 v[135:136], v[143:144], v[137:138], v[131:132]
	ds_read2_b64 v[131:134], v130 offset0:125 offset1:126
	ds_read_b64 v[137:138], v130 offset:1016
	s_waitcnt vmcnt(4) lgkmcnt(1)
	v_fma_f64 v[131:132], v[159:160], v[131:132], v[135:136]
	s_waitcnt vmcnt(3)
	v_fma_f64 v[131:132], v[157:158], v[133:134], v[131:132]
	s_waitcnt vmcnt(2) lgkmcnt(0)
	v_fma_f64 v[131:132], v[145:146], v[137:138], v[131:132]
	s_waitcnt vmcnt(0)
	v_add_f64 v[131:132], v[139:140], -v[131:132]
	buffer_store_dword v132, off, s[0:3], 0 offset:132
	buffer_store_dword v131, off, s[0:3], 0 offset:128
	s_and_saveexec_b64 s[4:5], vcc
	s_cbranch_execz .LBB127_361
; %bb.360:
	buffer_load_dword v131, off, s[0:3], 0 offset:120
	buffer_load_dword v132, off, s[0:3], 0 offset:124
	s_waitcnt vmcnt(0)
	ds_write_b64 v129, v[131:132]
	buffer_store_dword v130, off, s[0:3], 0 offset:120
	buffer_store_dword v130, off, s[0:3], 0 offset:124
.LBB127_361:
	s_or_b64 exec, exec, s[4:5]
	s_waitcnt lgkmcnt(0)
	; wave barrier
	buffer_load_dword v139, off, s[0:3], 0 offset:128
	buffer_load_dword v140, off, s[0:3], 0 offset:132
	;; [unrolled: 1-line block ×21, first 2 shown]
	ds_read_b128 v[131:134], v130 offset:640
	ds_read_b128 v[135:138], v130 offset:656
	buffer_load_dword v156, off, s[0:3], 0 offset:212
	v_cmp_lt_u32_e32 vcc, 14, v0
	s_waitcnt vmcnt(20) lgkmcnt(1)
	v_fma_f64 v[131:132], v[139:140], v[131:132], 0
	s_waitcnt vmcnt(18)
	v_fma_f64 v[131:132], v[141:142], v[133:134], v[131:132]
	buffer_load_dword v140, off, s[0:3], 0 offset:220
	buffer_load_dword v141, off, s[0:3], 0 offset:240
	;; [unrolled: 1-line block ×7, first 2 shown]
	s_waitcnt vmcnt(23) lgkmcnt(0)
	v_fma_f64 v[131:132], v[143:144], v[135:136], v[131:132]
	s_waitcnt vmcnt(21)
	v_fma_f64 v[142:143], v[145:146], v[137:138], v[131:132]
	ds_read_b128 v[131:134], v130 offset:672
	ds_read_b128 v[135:138], v130 offset:688
	s_waitcnt vmcnt(19) lgkmcnt(1)
	v_fma_f64 v[131:132], v[147:148], v[131:132], v[142:143]
	buffer_load_dword v142, off, s[0:3], 0 offset:244
	s_waitcnt vmcnt(18)
	v_fma_f64 v[131:132], v[149:150], v[133:134], v[131:132]
	buffer_load_dword v144, off, s[0:3], 0 offset:252
	buffer_load_dword v145, off, s[0:3], 0 offset:272
	;; [unrolled: 1-line block ×8, first 2 shown]
	s_waitcnt vmcnt(24) lgkmcnt(0)
	v_fma_f64 v[131:132], v[151:152], v[135:136], v[131:132]
	s_waitcnt vmcnt(19)
	v_fma_f64 v[151:152], v[153:154], v[137:138], v[131:132]
	ds_read_b128 v[131:134], v130 offset:704
	ds_read_b128 v[135:138], v130 offset:720
	s_waitcnt vmcnt(18) lgkmcnt(1)
	v_fma_f64 v[131:132], v[159:160], v[131:132], v[151:152]
	s_waitcnt vmcnt(17)
	v_fma_f64 v[131:132], v[157:158], v[133:134], v[131:132]
	buffer_load_dword v152, off, s[0:3], 0 offset:284
	buffer_load_dword v153, off, s[0:3], 0 offset:304
	;; [unrolled: 1-line block ×7, first 2 shown]
	s_waitcnt vmcnt(23) lgkmcnt(0)
	v_fma_f64 v[131:132], v[155:156], v[135:136], v[131:132]
	s_waitcnt vmcnt(18)
	v_fma_f64 v[139:140], v[139:140], v[137:138], v[131:132]
	ds_read_b128 v[131:134], v130 offset:736
	ds_read_b128 v[135:138], v130 offset:752
	buffer_load_dword v154, off, s[0:3], 0 offset:308
	s_waitcnt vmcnt(18) lgkmcnt(1)
	v_fma_f64 v[131:132], v[163:164], v[131:132], v[139:140]
	s_waitcnt vmcnt(17)
	v_fma_f64 v[131:132], v[161:162], v[133:134], v[131:132]
	buffer_load_dword v140, off, s[0:3], 0 offset:316
	buffer_load_dword v155, off, s[0:3], 0 offset:336
	;; [unrolled: 1-line block ×8, first 2 shown]
	s_waitcnt vmcnt(24) lgkmcnt(0)
	v_fma_f64 v[131:132], v[141:142], v[135:136], v[131:132]
	s_waitcnt vmcnt(19)
	v_fma_f64 v[141:142], v[143:144], v[137:138], v[131:132]
	ds_read_b128 v[131:134], v130 offset:768
	ds_read_b128 v[135:138], v130 offset:784
	s_waitcnt vmcnt(18) lgkmcnt(1)
	v_fma_f64 v[131:132], v[149:150], v[131:132], v[141:142]
	s_waitcnt vmcnt(17)
	v_fma_f64 v[131:132], v[147:148], v[133:134], v[131:132]
	buffer_load_dword v142, off, s[0:3], 0 offset:348
	buffer_load_dword v143, off, s[0:3], 0 offset:368
	;; [unrolled: 1-line block ×7, first 2 shown]
	s_waitcnt vmcnt(23) lgkmcnt(0)
	v_fma_f64 v[131:132], v[145:146], v[135:136], v[131:132]
	s_waitcnt vmcnt(18)
	v_fma_f64 v[144:145], v[151:152], v[137:138], v[131:132]
	ds_read_b128 v[131:134], v130 offset:800
	ds_read_b128 v[135:138], v130 offset:816
	s_waitcnt vmcnt(17) lgkmcnt(1)
	v_fma_f64 v[131:132], v[159:160], v[131:132], v[144:145]
	buffer_load_dword v144, off, s[0:3], 0 offset:372
	s_waitcnt vmcnt(17)
	v_fma_f64 v[131:132], v[157:158], v[133:134], v[131:132]
	buffer_load_dword v146, off, s[0:3], 0 offset:380
	buffer_load_dword v151, off, s[0:3], 0 offset:400
	;; [unrolled: 1-line block ×7, first 2 shown]
	s_waitcnt vmcnt(23) lgkmcnt(0)
	v_fma_f64 v[131:132], v[153:154], v[135:136], v[131:132]
	s_waitcnt vmcnt(18)
	v_fma_f64 v[139:140], v[139:140], v[137:138], v[131:132]
	ds_read_b128 v[131:134], v130 offset:832
	ds_read_b128 v[135:138], v130 offset:848
	buffer_load_dword v152, off, s[0:3], 0 offset:404
	s_waitcnt vmcnt(18) lgkmcnt(1)
	v_fma_f64 v[131:132], v[163:164], v[131:132], v[139:140]
	s_waitcnt vmcnt(17)
	v_fma_f64 v[131:132], v[161:162], v[133:134], v[131:132]
	buffer_load_dword v140, off, s[0:3], 0 offset:412
	buffer_load_dword v153, off, s[0:3], 0 offset:432
	buffer_load_dword v161, off, s[0:3], 0 offset:424
	buffer_load_dword v163, off, s[0:3], 0 offset:416
	buffer_load_dword v139, off, s[0:3], 0 offset:408
	buffer_load_dword v164, off, s[0:3], 0 offset:420
	buffer_load_dword v162, off, s[0:3], 0 offset:428
	buffer_load_dword v154, off, s[0:3], 0 offset:436
	s_waitcnt vmcnt(24) lgkmcnt(0)
	v_fma_f64 v[131:132], v[155:156], v[135:136], v[131:132]
	s_waitcnt vmcnt(19)
	v_fma_f64 v[141:142], v[141:142], v[137:138], v[131:132]
	ds_read_b128 v[131:134], v130 offset:864
	ds_read_b128 v[135:138], v130 offset:880
	s_waitcnt vmcnt(18) lgkmcnt(1)
	v_fma_f64 v[131:132], v[149:150], v[131:132], v[141:142]
	s_waitcnt vmcnt(17)
	v_fma_f64 v[131:132], v[147:148], v[133:134], v[131:132]
	buffer_load_dword v142, off, s[0:3], 0 offset:444
	buffer_load_dword v147, off, s[0:3], 0 offset:464
	buffer_load_dword v149, off, s[0:3], 0 offset:456
	buffer_load_dword v155, off, s[0:3], 0 offset:448
	buffer_load_dword v141, off, s[0:3], 0 offset:440
	buffer_load_dword v156, off, s[0:3], 0 offset:452
	buffer_load_dword v150, off, s[0:3], 0 offset:460
	buffer_load_dword v148, off, s[0:3], 0 offset:468
	s_waitcnt vmcnt(24) lgkmcnt(0)
	v_fma_f64 v[131:132], v[143:144], v[135:136], v[131:132]
	s_waitcnt vmcnt(19)
	v_fma_f64 v[143:144], v[145:146], v[137:138], v[131:132]
	ds_read_b128 v[131:134], v130 offset:896
	ds_read_b128 v[135:138], v130 offset:912
	;; [unrolled: 18-line block ×3, first 2 shown]
	s_waitcnt vmcnt(18) lgkmcnt(1)
	v_fma_f64 v[131:132], v[163:164], v[131:132], v[139:140]
	buffer_load_dword v140, off, s[0:3], 0 offset:508
	buffer_load_dword v139, off, s[0:3], 0 offset:504
	;; [unrolled: 1-line block ×4, first 2 shown]
	s_waitcnt vmcnt(21)
	v_fma_f64 v[131:132], v[161:162], v[133:134], v[131:132]
	s_waitcnt vmcnt(20) lgkmcnt(0)
	v_fma_f64 v[131:132], v[153:154], v[135:136], v[131:132]
	s_waitcnt vmcnt(15)
	v_fma_f64 v[141:142], v[141:142], v[137:138], v[131:132]
	ds_read_b128 v[131:134], v130 offset:960
	ds_read_b128 v[135:138], v130 offset:976
	s_waitcnt vmcnt(14) lgkmcnt(1)
	v_fma_f64 v[131:132], v[155:156], v[131:132], v[141:142]
	s_waitcnt vmcnt(13)
	v_fma_f64 v[131:132], v[149:150], v[133:134], v[131:132]
	s_waitcnt vmcnt(12) lgkmcnt(0)
	v_fma_f64 v[131:132], v[147:148], v[135:136], v[131:132]
	s_waitcnt vmcnt(7)
	v_fma_f64 v[141:142], v[143:144], v[137:138], v[131:132]
	ds_read_b128 v[131:134], v130 offset:992
	ds_read_b128 v[135:138], v130 offset:1008
	s_waitcnt vmcnt(6) lgkmcnt(1)
	v_fma_f64 v[130:131], v[159:160], v[131:132], v[141:142]
	s_waitcnt vmcnt(5)
	v_fma_f64 v[130:131], v[157:158], v[133:134], v[130:131]
	s_waitcnt vmcnt(4) lgkmcnt(0)
	v_fma_f64 v[130:131], v[145:146], v[135:136], v[130:131]
	s_waitcnt vmcnt(2)
	v_fma_f64 v[130:131], v[139:140], v[137:138], v[130:131]
	s_waitcnt vmcnt(0)
	v_add_f64 v[130:131], v[151:152], -v[130:131]
	buffer_store_dword v131, off, s[0:3], 0 offset:124
	buffer_store_dword v130, off, s[0:3], 0 offset:120
	s_and_saveexec_b64 s[4:5], vcc
	s_cbranch_execz .LBB127_363
; %bb.362:
	buffer_load_dword v130, off, s[0:3], 0 offset:112
	buffer_load_dword v131, off, s[0:3], 0 offset:116
	v_mov_b32_e32 v132, 0
	buffer_store_dword v132, off, s[0:3], 0 offset:112
	buffer_store_dword v132, off, s[0:3], 0 offset:116
	s_waitcnt vmcnt(2)
	ds_write_b64 v129, v[130:131]
.LBB127_363:
	s_or_b64 exec, exec, s[4:5]
	s_waitcnt lgkmcnt(0)
	; wave barrier
	buffer_load_dword v139, off, s[0:3], 0 offset:120
	buffer_load_dword v140, off, s[0:3], 0 offset:124
	;; [unrolled: 1-line block ×21, first 2 shown]
	v_mov_b32_e32 v130, 0
	ds_read2_b64 v[131:134], v130 offset0:79 offset1:80
	ds_read2_b64 v[135:138], v130 offset0:81 offset1:82
	buffer_load_dword v156, off, s[0:3], 0 offset:204
	v_cmp_lt_u32_e32 vcc, 13, v0
	s_waitcnt vmcnt(20) lgkmcnt(1)
	v_fma_f64 v[131:132], v[139:140], v[131:132], 0
	s_waitcnt vmcnt(18)
	v_fma_f64 v[131:132], v[141:142], v[133:134], v[131:132]
	buffer_load_dword v140, off, s[0:3], 0 offset:212
	buffer_load_dword v141, off, s[0:3], 0 offset:232
	;; [unrolled: 1-line block ×7, first 2 shown]
	s_waitcnt vmcnt(23) lgkmcnt(0)
	v_fma_f64 v[131:132], v[143:144], v[135:136], v[131:132]
	s_waitcnt vmcnt(21)
	v_fma_f64 v[142:143], v[145:146], v[137:138], v[131:132]
	ds_read2_b64 v[131:134], v130 offset0:83 offset1:84
	ds_read2_b64 v[135:138], v130 offset0:85 offset1:86
	s_waitcnt vmcnt(19) lgkmcnt(1)
	v_fma_f64 v[131:132], v[147:148], v[131:132], v[142:143]
	buffer_load_dword v142, off, s[0:3], 0 offset:236
	s_waitcnt vmcnt(18)
	v_fma_f64 v[131:132], v[149:150], v[133:134], v[131:132]
	buffer_load_dword v144, off, s[0:3], 0 offset:244
	buffer_load_dword v145, off, s[0:3], 0 offset:264
	;; [unrolled: 1-line block ×8, first 2 shown]
	s_waitcnt vmcnt(24) lgkmcnt(0)
	v_fma_f64 v[131:132], v[151:152], v[135:136], v[131:132]
	s_waitcnt vmcnt(19)
	v_fma_f64 v[151:152], v[153:154], v[137:138], v[131:132]
	ds_read2_b64 v[131:134], v130 offset0:87 offset1:88
	ds_read2_b64 v[135:138], v130 offset0:89 offset1:90
	s_waitcnt vmcnt(18) lgkmcnt(1)
	v_fma_f64 v[131:132], v[159:160], v[131:132], v[151:152]
	s_waitcnt vmcnt(17)
	v_fma_f64 v[131:132], v[157:158], v[133:134], v[131:132]
	buffer_load_dword v152, off, s[0:3], 0 offset:276
	buffer_load_dword v153, off, s[0:3], 0 offset:296
	;; [unrolled: 1-line block ×7, first 2 shown]
	s_waitcnt vmcnt(23) lgkmcnt(0)
	v_fma_f64 v[131:132], v[155:156], v[135:136], v[131:132]
	s_waitcnt vmcnt(18)
	v_fma_f64 v[139:140], v[139:140], v[137:138], v[131:132]
	ds_read2_b64 v[131:134], v130 offset0:91 offset1:92
	ds_read2_b64 v[135:138], v130 offset0:93 offset1:94
	buffer_load_dword v154, off, s[0:3], 0 offset:300
	s_waitcnt vmcnt(18) lgkmcnt(1)
	v_fma_f64 v[131:132], v[163:164], v[131:132], v[139:140]
	s_waitcnt vmcnt(17)
	v_fma_f64 v[131:132], v[161:162], v[133:134], v[131:132]
	buffer_load_dword v140, off, s[0:3], 0 offset:308
	buffer_load_dword v155, off, s[0:3], 0 offset:328
	;; [unrolled: 1-line block ×7, first 2 shown]
	s_waitcnt vmcnt(23) lgkmcnt(0)
	v_fma_f64 v[131:132], v[141:142], v[135:136], v[131:132]
	s_waitcnt vmcnt(18)
	v_fma_f64 v[141:142], v[143:144], v[137:138], v[131:132]
	ds_read2_b64 v[131:134], v130 offset0:95 offset1:96
	ds_read2_b64 v[135:138], v130 offset0:97 offset1:98
	buffer_load_dword v156, off, s[0:3], 0 offset:332
	s_waitcnt vmcnt(18) lgkmcnt(1)
	v_fma_f64 v[131:132], v[149:150], v[131:132], v[141:142]
	s_waitcnt vmcnt(17)
	v_fma_f64 v[131:132], v[147:148], v[133:134], v[131:132]
	buffer_load_dword v142, off, s[0:3], 0 offset:340
	buffer_load_dword v143, off, s[0:3], 0 offset:360
	buffer_load_dword v147, off, s[0:3], 0 offset:352
	buffer_load_dword v149, off, s[0:3], 0 offset:344
	buffer_load_dword v141, off, s[0:3], 0 offset:336
	buffer_load_dword v150, off, s[0:3], 0 offset:348
	buffer_load_dword v148, off, s[0:3], 0 offset:356
	s_waitcnt vmcnt(23) lgkmcnt(0)
	v_fma_f64 v[131:132], v[145:146], v[135:136], v[131:132]
	s_waitcnt vmcnt(18)
	v_fma_f64 v[144:145], v[151:152], v[137:138], v[131:132]
	ds_read2_b64 v[131:134], v130 offset0:99 offset1:100
	ds_read2_b64 v[135:138], v130 offset0:101 offset1:102
	s_waitcnt vmcnt(17) lgkmcnt(1)
	v_fma_f64 v[131:132], v[159:160], v[131:132], v[144:145]
	buffer_load_dword v144, off, s[0:3], 0 offset:364
	s_waitcnt vmcnt(17)
	v_fma_f64 v[131:132], v[157:158], v[133:134], v[131:132]
	buffer_load_dword v146, off, s[0:3], 0 offset:372
	buffer_load_dword v151, off, s[0:3], 0 offset:392
	;; [unrolled: 1-line block ×7, first 2 shown]
	s_waitcnt vmcnt(23) lgkmcnt(0)
	v_fma_f64 v[131:132], v[153:154], v[135:136], v[131:132]
	s_waitcnt vmcnt(18)
	v_fma_f64 v[139:140], v[139:140], v[137:138], v[131:132]
	ds_read2_b64 v[131:134], v130 offset0:103 offset1:104
	ds_read2_b64 v[135:138], v130 offset0:105 offset1:106
	buffer_load_dword v152, off, s[0:3], 0 offset:396
	s_waitcnt vmcnt(18) lgkmcnt(1)
	v_fma_f64 v[131:132], v[163:164], v[131:132], v[139:140]
	s_waitcnt vmcnt(17)
	v_fma_f64 v[131:132], v[161:162], v[133:134], v[131:132]
	buffer_load_dword v140, off, s[0:3], 0 offset:404
	buffer_load_dword v153, off, s[0:3], 0 offset:424
	;; [unrolled: 1-line block ×7, first 2 shown]
	s_waitcnt vmcnt(23) lgkmcnt(0)
	v_fma_f64 v[131:132], v[155:156], v[135:136], v[131:132]
	s_waitcnt vmcnt(18)
	v_fma_f64 v[141:142], v[141:142], v[137:138], v[131:132]
	ds_read2_b64 v[131:134], v130 offset0:107 offset1:108
	ds_read2_b64 v[135:138], v130 offset0:109 offset1:110
	buffer_load_dword v154, off, s[0:3], 0 offset:428
	s_waitcnt vmcnt(18) lgkmcnt(1)
	v_fma_f64 v[131:132], v[149:150], v[131:132], v[141:142]
	s_waitcnt vmcnt(17)
	v_fma_f64 v[131:132], v[147:148], v[133:134], v[131:132]
	buffer_load_dword v142, off, s[0:3], 0 offset:436
	buffer_load_dword v147, off, s[0:3], 0 offset:456
	;; [unrolled: 1-line block ×8, first 2 shown]
	s_waitcnt vmcnt(24) lgkmcnt(0)
	v_fma_f64 v[131:132], v[143:144], v[135:136], v[131:132]
	s_waitcnt vmcnt(19)
	v_fma_f64 v[143:144], v[145:146], v[137:138], v[131:132]
	ds_read2_b64 v[131:134], v130 offset0:111 offset1:112
	ds_read2_b64 v[135:138], v130 offset0:113 offset1:114
	s_waitcnt vmcnt(18) lgkmcnt(1)
	v_fma_f64 v[131:132], v[159:160], v[131:132], v[143:144]
	s_waitcnt vmcnt(17)
	v_fma_f64 v[131:132], v[157:158], v[133:134], v[131:132]
	buffer_load_dword v144, off, s[0:3], 0 offset:468
	buffer_load_dword v145, off, s[0:3], 0 offset:488
	buffer_load_dword v157, off, s[0:3], 0 offset:480
	buffer_load_dword v159, off, s[0:3], 0 offset:472
	buffer_load_dword v143, off, s[0:3], 0 offset:464
	buffer_load_dword v160, off, s[0:3], 0 offset:476
	buffer_load_dword v158, off, s[0:3], 0 offset:484
	s_waitcnt vmcnt(23) lgkmcnt(0)
	v_fma_f64 v[131:132], v[151:152], v[135:136], v[131:132]
	s_waitcnt vmcnt(18)
	v_fma_f64 v[139:140], v[139:140], v[137:138], v[131:132]
	ds_read2_b64 v[131:134], v130 offset0:115 offset1:116
	ds_read2_b64 v[135:138], v130 offset0:117 offset1:118
	buffer_load_dword v146, off, s[0:3], 0 offset:492
	s_waitcnt vmcnt(18) lgkmcnt(1)
	v_fma_f64 v[131:132], v[163:164], v[131:132], v[139:140]
	buffer_load_dword v140, off, s[0:3], 0 offset:500
	buffer_load_dword v151, off, s[0:3], 0 offset:504
	;; [unrolled: 1-line block ×4, first 2 shown]
	s_waitcnt vmcnt(21)
	v_fma_f64 v[131:132], v[161:162], v[133:134], v[131:132]
	s_waitcnt vmcnt(20) lgkmcnt(0)
	v_fma_f64 v[131:132], v[153:154], v[135:136], v[131:132]
	buffer_load_dword v153, off, s[0:3], 0 offset:112
	buffer_load_dword v154, off, s[0:3], 0 offset:116
	s_waitcnt vmcnt(17)
	v_fma_f64 v[141:142], v[141:142], v[137:138], v[131:132]
	ds_read2_b64 v[131:134], v130 offset0:119 offset1:120
	ds_read2_b64 v[135:138], v130 offset0:121 offset1:122
	s_waitcnt vmcnt(16) lgkmcnt(1)
	v_fma_f64 v[131:132], v[155:156], v[131:132], v[141:142]
	s_waitcnt vmcnt(15)
	v_fma_f64 v[131:132], v[149:150], v[133:134], v[131:132]
	s_waitcnt vmcnt(14) lgkmcnt(0)
	v_fma_f64 v[131:132], v[147:148], v[135:136], v[131:132]
	s_waitcnt vmcnt(9)
	v_fma_f64 v[141:142], v[143:144], v[137:138], v[131:132]
	ds_read2_b64 v[131:134], v130 offset0:123 offset1:124
	ds_read2_b64 v[135:138], v130 offset0:125 offset1:126
	s_waitcnt vmcnt(8) lgkmcnt(1)
	v_fma_f64 v[131:132], v[159:160], v[131:132], v[141:142]
	s_waitcnt vmcnt(7)
	v_fma_f64 v[131:132], v[157:158], v[133:134], v[131:132]
	ds_read_b64 v[133:134], v130 offset:1016
	s_waitcnt vmcnt(6) lgkmcnt(1)
	v_fma_f64 v[131:132], v[145:146], v[135:136], v[131:132]
	s_waitcnt vmcnt(3)
	v_fma_f64 v[131:132], v[139:140], v[137:138], v[131:132]
	s_waitcnt vmcnt(2) lgkmcnt(0)
	v_fma_f64 v[131:132], v[151:152], v[133:134], v[131:132]
	s_waitcnt vmcnt(0)
	v_add_f64 v[131:132], v[153:154], -v[131:132]
	buffer_store_dword v132, off, s[0:3], 0 offset:116
	buffer_store_dword v131, off, s[0:3], 0 offset:112
	s_and_saveexec_b64 s[4:5], vcc
	s_cbranch_execz .LBB127_365
; %bb.364:
	buffer_load_dword v131, off, s[0:3], 0 offset:104
	buffer_load_dword v132, off, s[0:3], 0 offset:108
	s_waitcnt vmcnt(0)
	ds_write_b64 v129, v[131:132]
	buffer_store_dword v130, off, s[0:3], 0 offset:104
	buffer_store_dword v130, off, s[0:3], 0 offset:108
.LBB127_365:
	s_or_b64 exec, exec, s[4:5]
	s_waitcnt lgkmcnt(0)
	; wave barrier
	buffer_load_dword v139, off, s[0:3], 0 offset:112
	buffer_load_dword v140, off, s[0:3], 0 offset:116
	;; [unrolled: 1-line block ×22, first 2 shown]
	ds_read_b128 v[131:134], v130 offset:624
	ds_read_b128 v[135:138], v130 offset:640
	v_cmp_lt_u32_e32 vcc, 12, v0
	s_waitcnt vmcnt(20) lgkmcnt(1)
	v_fma_f64 v[131:132], v[139:140], v[131:132], 0
	s_waitcnt vmcnt(18)
	v_fma_f64 v[131:132], v[141:142], v[133:134], v[131:132]
	buffer_load_dword v140, off, s[0:3], 0 offset:204
	buffer_load_dword v141, off, s[0:3], 0 offset:224
	;; [unrolled: 1-line block ×7, first 2 shown]
	s_waitcnt vmcnt(23) lgkmcnt(0)
	v_fma_f64 v[131:132], v[143:144], v[135:136], v[131:132]
	s_waitcnt vmcnt(21)
	v_fma_f64 v[142:143], v[145:146], v[137:138], v[131:132]
	ds_read_b128 v[131:134], v130 offset:656
	ds_read_b128 v[135:138], v130 offset:672
	s_waitcnt vmcnt(19) lgkmcnt(1)
	v_fma_f64 v[131:132], v[147:148], v[131:132], v[142:143]
	buffer_load_dword v142, off, s[0:3], 0 offset:228
	s_waitcnt vmcnt(18)
	v_fma_f64 v[131:132], v[149:150], v[133:134], v[131:132]
	buffer_load_dword v144, off, s[0:3], 0 offset:236
	buffer_load_dword v145, off, s[0:3], 0 offset:256
	;; [unrolled: 1-line block ×8, first 2 shown]
	s_waitcnt vmcnt(24) lgkmcnt(0)
	v_fma_f64 v[131:132], v[151:152], v[135:136], v[131:132]
	s_waitcnt vmcnt(19)
	v_fma_f64 v[151:152], v[153:154], v[137:138], v[131:132]
	ds_read_b128 v[131:134], v130 offset:688
	ds_read_b128 v[135:138], v130 offset:704
	s_waitcnt vmcnt(18) lgkmcnt(1)
	v_fma_f64 v[131:132], v[159:160], v[131:132], v[151:152]
	s_waitcnt vmcnt(17)
	v_fma_f64 v[131:132], v[157:158], v[133:134], v[131:132]
	buffer_load_dword v152, off, s[0:3], 0 offset:268
	buffer_load_dword v153, off, s[0:3], 0 offset:288
	;; [unrolled: 1-line block ×8, first 2 shown]
	s_waitcnt vmcnt(24) lgkmcnt(0)
	v_fma_f64 v[131:132], v[155:156], v[135:136], v[131:132]
	s_waitcnt vmcnt(19)
	v_fma_f64 v[139:140], v[139:140], v[137:138], v[131:132]
	ds_read_b128 v[131:134], v130 offset:720
	ds_read_b128 v[135:138], v130 offset:736
	s_waitcnt vmcnt(18) lgkmcnt(1)
	v_fma_f64 v[131:132], v[163:164], v[131:132], v[139:140]
	s_waitcnt vmcnt(17)
	v_fma_f64 v[131:132], v[161:162], v[133:134], v[131:132]
	buffer_load_dword v140, off, s[0:3], 0 offset:300
	buffer_load_dword v155, off, s[0:3], 0 offset:320
	;; [unrolled: 1-line block ×7, first 2 shown]
	s_waitcnt vmcnt(23) lgkmcnt(0)
	v_fma_f64 v[131:132], v[141:142], v[135:136], v[131:132]
	s_waitcnt vmcnt(18)
	v_fma_f64 v[141:142], v[143:144], v[137:138], v[131:132]
	ds_read_b128 v[131:134], v130 offset:752
	ds_read_b128 v[135:138], v130 offset:768
	buffer_load_dword v156, off, s[0:3], 0 offset:324
	s_waitcnt vmcnt(18) lgkmcnt(1)
	v_fma_f64 v[131:132], v[149:150], v[131:132], v[141:142]
	s_waitcnt vmcnt(17)
	v_fma_f64 v[131:132], v[147:148], v[133:134], v[131:132]
	buffer_load_dword v142, off, s[0:3], 0 offset:332
	buffer_load_dword v143, off, s[0:3], 0 offset:352
	;; [unrolled: 1-line block ×7, first 2 shown]
	s_waitcnt vmcnt(23) lgkmcnt(0)
	v_fma_f64 v[131:132], v[145:146], v[135:136], v[131:132]
	s_waitcnt vmcnt(18)
	v_fma_f64 v[144:145], v[151:152], v[137:138], v[131:132]
	ds_read_b128 v[131:134], v130 offset:784
	ds_read_b128 v[135:138], v130 offset:800
	s_waitcnt vmcnt(17) lgkmcnt(1)
	v_fma_f64 v[131:132], v[159:160], v[131:132], v[144:145]
	buffer_load_dword v144, off, s[0:3], 0 offset:356
	s_waitcnt vmcnt(17)
	v_fma_f64 v[131:132], v[157:158], v[133:134], v[131:132]
	buffer_load_dword v146, off, s[0:3], 0 offset:364
	buffer_load_dword v151, off, s[0:3], 0 offset:384
	;; [unrolled: 1-line block ×8, first 2 shown]
	s_waitcnt vmcnt(24) lgkmcnt(0)
	v_fma_f64 v[131:132], v[153:154], v[135:136], v[131:132]
	s_waitcnt vmcnt(19)
	v_fma_f64 v[139:140], v[139:140], v[137:138], v[131:132]
	ds_read_b128 v[131:134], v130 offset:816
	ds_read_b128 v[135:138], v130 offset:832
	s_waitcnt vmcnt(18) lgkmcnt(1)
	v_fma_f64 v[131:132], v[163:164], v[131:132], v[139:140]
	s_waitcnt vmcnt(17)
	v_fma_f64 v[131:132], v[161:162], v[133:134], v[131:132]
	buffer_load_dword v140, off, s[0:3], 0 offset:396
	buffer_load_dword v153, off, s[0:3], 0 offset:416
	;; [unrolled: 1-line block ×7, first 2 shown]
	s_waitcnt vmcnt(23) lgkmcnt(0)
	v_fma_f64 v[131:132], v[155:156], v[135:136], v[131:132]
	s_waitcnt vmcnt(18)
	v_fma_f64 v[141:142], v[141:142], v[137:138], v[131:132]
	ds_read_b128 v[131:134], v130 offset:848
	ds_read_b128 v[135:138], v130 offset:864
	buffer_load_dword v154, off, s[0:3], 0 offset:420
	s_waitcnt vmcnt(18) lgkmcnt(1)
	v_fma_f64 v[131:132], v[149:150], v[131:132], v[141:142]
	s_waitcnt vmcnt(17)
	v_fma_f64 v[131:132], v[147:148], v[133:134], v[131:132]
	buffer_load_dword v142, off, s[0:3], 0 offset:428
	buffer_load_dword v147, off, s[0:3], 0 offset:448
	;; [unrolled: 1-line block ×8, first 2 shown]
	s_waitcnt vmcnt(24) lgkmcnt(0)
	v_fma_f64 v[131:132], v[143:144], v[135:136], v[131:132]
	s_waitcnt vmcnt(19)
	v_fma_f64 v[143:144], v[145:146], v[137:138], v[131:132]
	ds_read_b128 v[131:134], v130 offset:880
	ds_read_b128 v[135:138], v130 offset:896
	s_waitcnt vmcnt(18) lgkmcnt(1)
	v_fma_f64 v[131:132], v[159:160], v[131:132], v[143:144]
	s_waitcnt vmcnt(17)
	v_fma_f64 v[131:132], v[157:158], v[133:134], v[131:132]
	buffer_load_dword v144, off, s[0:3], 0 offset:460
	buffer_load_dword v145, off, s[0:3], 0 offset:480
	;; [unrolled: 1-line block ×8, first 2 shown]
	s_waitcnt vmcnt(24) lgkmcnt(0)
	v_fma_f64 v[131:132], v[151:152], v[135:136], v[131:132]
	s_waitcnt vmcnt(19)
	v_fma_f64 v[139:140], v[139:140], v[137:138], v[131:132]
	ds_read_b128 v[131:134], v130 offset:912
	ds_read_b128 v[135:138], v130 offset:928
	s_waitcnt vmcnt(18) lgkmcnt(1)
	v_fma_f64 v[131:132], v[163:164], v[131:132], v[139:140]
	s_waitcnt vmcnt(17)
	v_fma_f64 v[131:132], v[161:162], v[133:134], v[131:132]
	buffer_load_dword v140, off, s[0:3], 0 offset:492
	buffer_load_dword v151, off, s[0:3], 0 offset:504
	;; [unrolled: 1-line block ×6, first 2 shown]
	s_waitcnt vmcnt(22) lgkmcnt(0)
	v_fma_f64 v[131:132], v[153:154], v[135:136], v[131:132]
	s_waitcnt vmcnt(17)
	v_fma_f64 v[141:142], v[141:142], v[137:138], v[131:132]
	ds_read_b128 v[131:134], v130 offset:944
	buffer_load_dword v153, off, s[0:3], 0 offset:104
	buffer_load_dword v154, off, s[0:3], 0 offset:108
	ds_read_b128 v[135:138], v130 offset:960
	s_waitcnt vmcnt(18) lgkmcnt(1)
	v_fma_f64 v[131:132], v[155:156], v[131:132], v[141:142]
	s_waitcnt vmcnt(17)
	v_fma_f64 v[131:132], v[149:150], v[133:134], v[131:132]
	s_waitcnt vmcnt(16) lgkmcnt(0)
	v_fma_f64 v[131:132], v[147:148], v[135:136], v[131:132]
	s_waitcnt vmcnt(11)
	v_fma_f64 v[141:142], v[143:144], v[137:138], v[131:132]
	ds_read_b128 v[131:134], v130 offset:976
	ds_read_b128 v[135:138], v130 offset:992
	s_waitcnt vmcnt(10) lgkmcnt(1)
	v_fma_f64 v[131:132], v[159:160], v[131:132], v[141:142]
	s_waitcnt vmcnt(9)
	v_fma_f64 v[131:132], v[157:158], v[133:134], v[131:132]
	s_waitcnt vmcnt(8) lgkmcnt(0)
	v_fma_f64 v[131:132], v[145:146], v[135:136], v[131:132]
	s_waitcnt vmcnt(4)
	v_fma_f64 v[134:135], v[139:140], v[137:138], v[131:132]
	ds_read_b128 v[130:133], v130 offset:1008
	s_waitcnt vmcnt(3) lgkmcnt(0)
	v_fma_f64 v[130:131], v[161:162], v[130:131], v[134:135]
	s_waitcnt vmcnt(2)
	v_fma_f64 v[130:131], v[151:152], v[132:133], v[130:131]
	s_waitcnt vmcnt(0)
	v_add_f64 v[130:131], v[153:154], -v[130:131]
	buffer_store_dword v131, off, s[0:3], 0 offset:108
	buffer_store_dword v130, off, s[0:3], 0 offset:104
	s_and_saveexec_b64 s[4:5], vcc
	s_cbranch_execz .LBB127_367
; %bb.366:
	buffer_load_dword v130, off, s[0:3], 0 offset:96
	buffer_load_dword v131, off, s[0:3], 0 offset:100
	v_mov_b32_e32 v132, 0
	buffer_store_dword v132, off, s[0:3], 0 offset:96
	buffer_store_dword v132, off, s[0:3], 0 offset:100
	s_waitcnt vmcnt(2)
	ds_write_b64 v129, v[130:131]
.LBB127_367:
	s_or_b64 exec, exec, s[4:5]
	s_waitcnt lgkmcnt(0)
	; wave barrier
	buffer_load_dword v139, off, s[0:3], 0 offset:104
	buffer_load_dword v140, off, s[0:3], 0 offset:108
	;; [unrolled: 1-line block ×22, first 2 shown]
	v_mov_b32_e32 v130, 0
	ds_read2_b64 v[131:134], v130 offset0:77 offset1:78
	ds_read2_b64 v[135:138], v130 offset0:79 offset1:80
	v_cmp_lt_u32_e32 vcc, 11, v0
	s_waitcnt vmcnt(20) lgkmcnt(1)
	v_fma_f64 v[131:132], v[139:140], v[131:132], 0
	s_waitcnt vmcnt(18)
	v_fma_f64 v[131:132], v[141:142], v[133:134], v[131:132]
	buffer_load_dword v140, off, s[0:3], 0 offset:196
	buffer_load_dword v141, off, s[0:3], 0 offset:216
	;; [unrolled: 1-line block ×7, first 2 shown]
	s_waitcnt vmcnt(23) lgkmcnt(0)
	v_fma_f64 v[131:132], v[143:144], v[135:136], v[131:132]
	s_waitcnt vmcnt(21)
	v_fma_f64 v[142:143], v[145:146], v[137:138], v[131:132]
	ds_read2_b64 v[131:134], v130 offset0:81 offset1:82
	ds_read2_b64 v[135:138], v130 offset0:83 offset1:84
	s_waitcnt vmcnt(19) lgkmcnt(1)
	v_fma_f64 v[131:132], v[147:148], v[131:132], v[142:143]
	buffer_load_dword v142, off, s[0:3], 0 offset:220
	s_waitcnt vmcnt(18)
	v_fma_f64 v[131:132], v[149:150], v[133:134], v[131:132]
	buffer_load_dword v144, off, s[0:3], 0 offset:228
	buffer_load_dword v145, off, s[0:3], 0 offset:248
	;; [unrolled: 1-line block ×8, first 2 shown]
	s_waitcnt vmcnt(24) lgkmcnt(0)
	v_fma_f64 v[131:132], v[151:152], v[135:136], v[131:132]
	s_waitcnt vmcnt(19)
	v_fma_f64 v[151:152], v[153:154], v[137:138], v[131:132]
	ds_read2_b64 v[131:134], v130 offset0:85 offset1:86
	ds_read2_b64 v[135:138], v130 offset0:87 offset1:88
	s_waitcnt vmcnt(18) lgkmcnt(1)
	v_fma_f64 v[131:132], v[159:160], v[131:132], v[151:152]
	s_waitcnt vmcnt(17)
	v_fma_f64 v[131:132], v[157:158], v[133:134], v[131:132]
	buffer_load_dword v152, off, s[0:3], 0 offset:260
	buffer_load_dword v153, off, s[0:3], 0 offset:280
	buffer_load_dword v157, off, s[0:3], 0 offset:272
	buffer_load_dword v159, off, s[0:3], 0 offset:264
	buffer_load_dword v151, off, s[0:3], 0 offset:256
	buffer_load_dword v160, off, s[0:3], 0 offset:268
	buffer_load_dword v158, off, s[0:3], 0 offset:276
	buffer_load_dword v154, off, s[0:3], 0 offset:284
	s_waitcnt vmcnt(24) lgkmcnt(0)
	v_fma_f64 v[131:132], v[155:156], v[135:136], v[131:132]
	s_waitcnt vmcnt(19)
	v_fma_f64 v[139:140], v[139:140], v[137:138], v[131:132]
	ds_read2_b64 v[131:134], v130 offset0:89 offset1:90
	ds_read2_b64 v[135:138], v130 offset0:91 offset1:92
	s_waitcnt vmcnt(18) lgkmcnt(1)
	v_fma_f64 v[131:132], v[163:164], v[131:132], v[139:140]
	s_waitcnt vmcnt(17)
	v_fma_f64 v[131:132], v[161:162], v[133:134], v[131:132]
	buffer_load_dword v140, off, s[0:3], 0 offset:292
	buffer_load_dword v155, off, s[0:3], 0 offset:312
	;; [unrolled: 1-line block ×7, first 2 shown]
	s_waitcnt vmcnt(23) lgkmcnt(0)
	v_fma_f64 v[131:132], v[141:142], v[135:136], v[131:132]
	s_waitcnt vmcnt(18)
	v_fma_f64 v[141:142], v[143:144], v[137:138], v[131:132]
	ds_read2_b64 v[131:134], v130 offset0:93 offset1:94
	ds_read2_b64 v[135:138], v130 offset0:95 offset1:96
	buffer_load_dword v156, off, s[0:3], 0 offset:316
	s_waitcnt vmcnt(18) lgkmcnt(1)
	v_fma_f64 v[131:132], v[149:150], v[131:132], v[141:142]
	s_waitcnt vmcnt(17)
	v_fma_f64 v[131:132], v[147:148], v[133:134], v[131:132]
	buffer_load_dword v142, off, s[0:3], 0 offset:324
	buffer_load_dword v143, off, s[0:3], 0 offset:344
	buffer_load_dword v147, off, s[0:3], 0 offset:336
	buffer_load_dword v149, off, s[0:3], 0 offset:328
	buffer_load_dword v141, off, s[0:3], 0 offset:320
	buffer_load_dword v150, off, s[0:3], 0 offset:332
	buffer_load_dword v148, off, s[0:3], 0 offset:340
	s_waitcnt vmcnt(23) lgkmcnt(0)
	v_fma_f64 v[131:132], v[145:146], v[135:136], v[131:132]
	s_waitcnt vmcnt(18)
	v_fma_f64 v[144:145], v[151:152], v[137:138], v[131:132]
	ds_read2_b64 v[131:134], v130 offset0:97 offset1:98
	ds_read2_b64 v[135:138], v130 offset0:99 offset1:100
	s_waitcnt vmcnt(17) lgkmcnt(1)
	v_fma_f64 v[131:132], v[159:160], v[131:132], v[144:145]
	buffer_load_dword v144, off, s[0:3], 0 offset:348
	s_waitcnt vmcnt(17)
	v_fma_f64 v[131:132], v[157:158], v[133:134], v[131:132]
	buffer_load_dword v146, off, s[0:3], 0 offset:356
	buffer_load_dword v151, off, s[0:3], 0 offset:376
	;; [unrolled: 1-line block ×8, first 2 shown]
	s_waitcnt vmcnt(24) lgkmcnt(0)
	v_fma_f64 v[131:132], v[153:154], v[135:136], v[131:132]
	s_waitcnt vmcnt(19)
	v_fma_f64 v[139:140], v[139:140], v[137:138], v[131:132]
	ds_read2_b64 v[131:134], v130 offset0:101 offset1:102
	ds_read2_b64 v[135:138], v130 offset0:103 offset1:104
	s_waitcnt vmcnt(18) lgkmcnt(1)
	v_fma_f64 v[131:132], v[163:164], v[131:132], v[139:140]
	s_waitcnt vmcnt(17)
	v_fma_f64 v[131:132], v[161:162], v[133:134], v[131:132]
	buffer_load_dword v140, off, s[0:3], 0 offset:388
	buffer_load_dword v153, off, s[0:3], 0 offset:408
	;; [unrolled: 1-line block ×7, first 2 shown]
	s_waitcnt vmcnt(23) lgkmcnt(0)
	v_fma_f64 v[131:132], v[155:156], v[135:136], v[131:132]
	s_waitcnt vmcnt(18)
	v_fma_f64 v[141:142], v[141:142], v[137:138], v[131:132]
	ds_read2_b64 v[131:134], v130 offset0:105 offset1:106
	ds_read2_b64 v[135:138], v130 offset0:107 offset1:108
	buffer_load_dword v154, off, s[0:3], 0 offset:412
	s_waitcnt vmcnt(18) lgkmcnt(1)
	v_fma_f64 v[131:132], v[149:150], v[131:132], v[141:142]
	s_waitcnt vmcnt(17)
	v_fma_f64 v[131:132], v[147:148], v[133:134], v[131:132]
	buffer_load_dword v142, off, s[0:3], 0 offset:420
	buffer_load_dword v147, off, s[0:3], 0 offset:440
	buffer_load_dword v149, off, s[0:3], 0 offset:432
	buffer_load_dword v155, off, s[0:3], 0 offset:424
	buffer_load_dword v141, off, s[0:3], 0 offset:416
	buffer_load_dword v156, off, s[0:3], 0 offset:428
	buffer_load_dword v150, off, s[0:3], 0 offset:436
	buffer_load_dword v148, off, s[0:3], 0 offset:444
	s_waitcnt vmcnt(24) lgkmcnt(0)
	v_fma_f64 v[131:132], v[143:144], v[135:136], v[131:132]
	s_waitcnt vmcnt(19)
	v_fma_f64 v[143:144], v[145:146], v[137:138], v[131:132]
	ds_read2_b64 v[131:134], v130 offset0:109 offset1:110
	ds_read2_b64 v[135:138], v130 offset0:111 offset1:112
	s_waitcnt vmcnt(18) lgkmcnt(1)
	v_fma_f64 v[131:132], v[159:160], v[131:132], v[143:144]
	s_waitcnt vmcnt(17)
	v_fma_f64 v[131:132], v[157:158], v[133:134], v[131:132]
	buffer_load_dword v144, off, s[0:3], 0 offset:452
	buffer_load_dword v145, off, s[0:3], 0 offset:472
	buffer_load_dword v157, off, s[0:3], 0 offset:464
	buffer_load_dword v159, off, s[0:3], 0 offset:456
	buffer_load_dword v143, off, s[0:3], 0 offset:448
	buffer_load_dword v160, off, s[0:3], 0 offset:460
	buffer_load_dword v158, off, s[0:3], 0 offset:468
	buffer_load_dword v146, off, s[0:3], 0 offset:476
	s_waitcnt vmcnt(24) lgkmcnt(0)
	v_fma_f64 v[131:132], v[151:152], v[135:136], v[131:132]
	s_waitcnt vmcnt(19)
	v_fma_f64 v[139:140], v[139:140], v[137:138], v[131:132]
	ds_read2_b64 v[131:134], v130 offset0:113 offset1:114
	ds_read2_b64 v[135:138], v130 offset0:115 offset1:116
	;; [unrolled: 18-line block ×3, first 2 shown]
	s_waitcnt vmcnt(18) lgkmcnt(1)
	v_fma_f64 v[131:132], v[155:156], v[131:132], v[141:142]
	buffer_load_dword v141, off, s[0:3], 0 offset:96
	buffer_load_dword v142, off, s[0:3], 0 offset:100
	s_waitcnt vmcnt(19)
	v_fma_f64 v[131:132], v[149:150], v[133:134], v[131:132]
	s_waitcnt vmcnt(18) lgkmcnt(0)
	v_fma_f64 v[131:132], v[147:148], v[135:136], v[131:132]
	s_waitcnt vmcnt(13)
	v_fma_f64 v[143:144], v[143:144], v[137:138], v[131:132]
	ds_read2_b64 v[131:134], v130 offset0:121 offset1:122
	ds_read2_b64 v[135:138], v130 offset0:123 offset1:124
	s_waitcnt vmcnt(12) lgkmcnt(1)
	v_fma_f64 v[131:132], v[159:160], v[131:132], v[143:144]
	s_waitcnt vmcnt(11)
	v_fma_f64 v[131:132], v[157:158], v[133:134], v[131:132]
	s_waitcnt vmcnt(10) lgkmcnt(0)
	v_fma_f64 v[131:132], v[145:146], v[135:136], v[131:132]
	s_waitcnt vmcnt(5)
	v_fma_f64 v[135:136], v[139:140], v[137:138], v[131:132]
	ds_read2_b64 v[131:134], v130 offset0:125 offset1:126
	ds_read_b64 v[137:138], v130 offset:1016
	s_waitcnt vmcnt(4) lgkmcnt(1)
	v_fma_f64 v[131:132], v[163:164], v[131:132], v[135:136]
	s_waitcnt vmcnt(3)
	v_fma_f64 v[131:132], v[161:162], v[133:134], v[131:132]
	s_waitcnt vmcnt(2) lgkmcnt(0)
	v_fma_f64 v[131:132], v[151:152], v[137:138], v[131:132]
	s_waitcnt vmcnt(0)
	v_add_f64 v[131:132], v[141:142], -v[131:132]
	buffer_store_dword v132, off, s[0:3], 0 offset:100
	buffer_store_dword v131, off, s[0:3], 0 offset:96
	s_and_saveexec_b64 s[4:5], vcc
	s_cbranch_execz .LBB127_369
; %bb.368:
	buffer_load_dword v131, off, s[0:3], 0 offset:88
	buffer_load_dword v132, off, s[0:3], 0 offset:92
	s_waitcnt vmcnt(0)
	ds_write_b64 v129, v[131:132]
	buffer_store_dword v130, off, s[0:3], 0 offset:88
	buffer_store_dword v130, off, s[0:3], 0 offset:92
.LBB127_369:
	s_or_b64 exec, exec, s[4:5]
	s_waitcnt lgkmcnt(0)
	; wave barrier
	buffer_load_dword v139, off, s[0:3], 0 offset:96
	buffer_load_dword v140, off, s[0:3], 0 offset:100
	;; [unrolled: 1-line block ×22, first 2 shown]
	ds_read_b128 v[131:134], v130 offset:608
	ds_read_b128 v[135:138], v130 offset:624
	v_cmp_lt_u32_e32 vcc, 10, v0
	s_waitcnt vmcnt(20) lgkmcnt(1)
	v_fma_f64 v[131:132], v[139:140], v[131:132], 0
	s_waitcnt vmcnt(18)
	v_fma_f64 v[131:132], v[141:142], v[133:134], v[131:132]
	buffer_load_dword v140, off, s[0:3], 0 offset:188
	buffer_load_dword v141, off, s[0:3], 0 offset:208
	;; [unrolled: 1-line block ×7, first 2 shown]
	s_waitcnt vmcnt(23) lgkmcnt(0)
	v_fma_f64 v[131:132], v[143:144], v[135:136], v[131:132]
	s_waitcnt vmcnt(21)
	v_fma_f64 v[142:143], v[145:146], v[137:138], v[131:132]
	ds_read_b128 v[131:134], v130 offset:640
	ds_read_b128 v[135:138], v130 offset:656
	s_waitcnt vmcnt(19) lgkmcnt(1)
	v_fma_f64 v[131:132], v[147:148], v[131:132], v[142:143]
	buffer_load_dword v142, off, s[0:3], 0 offset:212
	s_waitcnt vmcnt(18)
	v_fma_f64 v[131:132], v[149:150], v[133:134], v[131:132]
	buffer_load_dword v144, off, s[0:3], 0 offset:220
	buffer_load_dword v145, off, s[0:3], 0 offset:240
	;; [unrolled: 1-line block ×8, first 2 shown]
	s_waitcnt vmcnt(24) lgkmcnt(0)
	v_fma_f64 v[131:132], v[151:152], v[135:136], v[131:132]
	s_waitcnt vmcnt(19)
	v_fma_f64 v[151:152], v[153:154], v[137:138], v[131:132]
	ds_read_b128 v[131:134], v130 offset:672
	ds_read_b128 v[135:138], v130 offset:688
	s_waitcnt vmcnt(18) lgkmcnt(1)
	v_fma_f64 v[131:132], v[159:160], v[131:132], v[151:152]
	s_waitcnt vmcnt(17)
	v_fma_f64 v[131:132], v[157:158], v[133:134], v[131:132]
	buffer_load_dword v152, off, s[0:3], 0 offset:252
	buffer_load_dword v153, off, s[0:3], 0 offset:272
	;; [unrolled: 1-line block ×8, first 2 shown]
	s_waitcnt vmcnt(24) lgkmcnt(0)
	v_fma_f64 v[131:132], v[155:156], v[135:136], v[131:132]
	s_waitcnt vmcnt(19)
	v_fma_f64 v[139:140], v[139:140], v[137:138], v[131:132]
	ds_read_b128 v[131:134], v130 offset:704
	ds_read_b128 v[135:138], v130 offset:720
	s_waitcnt vmcnt(18) lgkmcnt(1)
	v_fma_f64 v[131:132], v[163:164], v[131:132], v[139:140]
	s_waitcnt vmcnt(17)
	v_fma_f64 v[131:132], v[161:162], v[133:134], v[131:132]
	buffer_load_dword v140, off, s[0:3], 0 offset:284
	buffer_load_dword v155, off, s[0:3], 0 offset:304
	;; [unrolled: 1-line block ×7, first 2 shown]
	s_waitcnt vmcnt(23) lgkmcnt(0)
	v_fma_f64 v[131:132], v[141:142], v[135:136], v[131:132]
	s_waitcnt vmcnt(18)
	v_fma_f64 v[141:142], v[143:144], v[137:138], v[131:132]
	ds_read_b128 v[131:134], v130 offset:736
	ds_read_b128 v[135:138], v130 offset:752
	buffer_load_dword v156, off, s[0:3], 0 offset:308
	s_waitcnt vmcnt(18) lgkmcnt(1)
	v_fma_f64 v[131:132], v[149:150], v[131:132], v[141:142]
	s_waitcnt vmcnt(17)
	v_fma_f64 v[131:132], v[147:148], v[133:134], v[131:132]
	buffer_load_dword v142, off, s[0:3], 0 offset:316
	buffer_load_dword v143, off, s[0:3], 0 offset:336
	buffer_load_dword v147, off, s[0:3], 0 offset:328
	buffer_load_dword v149, off, s[0:3], 0 offset:320
	buffer_load_dword v141, off, s[0:3], 0 offset:312
	buffer_load_dword v150, off, s[0:3], 0 offset:324
	buffer_load_dword v148, off, s[0:3], 0 offset:332
	s_waitcnt vmcnt(23) lgkmcnt(0)
	v_fma_f64 v[131:132], v[145:146], v[135:136], v[131:132]
	s_waitcnt vmcnt(18)
	v_fma_f64 v[144:145], v[151:152], v[137:138], v[131:132]
	ds_read_b128 v[131:134], v130 offset:768
	ds_read_b128 v[135:138], v130 offset:784
	s_waitcnt vmcnt(17) lgkmcnt(1)
	v_fma_f64 v[131:132], v[159:160], v[131:132], v[144:145]
	buffer_load_dword v144, off, s[0:3], 0 offset:340
	s_waitcnt vmcnt(17)
	v_fma_f64 v[131:132], v[157:158], v[133:134], v[131:132]
	buffer_load_dword v146, off, s[0:3], 0 offset:348
	buffer_load_dword v151, off, s[0:3], 0 offset:368
	;; [unrolled: 1-line block ×8, first 2 shown]
	s_waitcnt vmcnt(24) lgkmcnt(0)
	v_fma_f64 v[131:132], v[153:154], v[135:136], v[131:132]
	s_waitcnt vmcnt(19)
	v_fma_f64 v[139:140], v[139:140], v[137:138], v[131:132]
	ds_read_b128 v[131:134], v130 offset:800
	ds_read_b128 v[135:138], v130 offset:816
	s_waitcnt vmcnt(18) lgkmcnt(1)
	v_fma_f64 v[131:132], v[163:164], v[131:132], v[139:140]
	s_waitcnt vmcnt(17)
	v_fma_f64 v[131:132], v[161:162], v[133:134], v[131:132]
	buffer_load_dword v140, off, s[0:3], 0 offset:380
	buffer_load_dword v153, off, s[0:3], 0 offset:400
	;; [unrolled: 1-line block ×7, first 2 shown]
	s_waitcnt vmcnt(23) lgkmcnt(0)
	v_fma_f64 v[131:132], v[155:156], v[135:136], v[131:132]
	s_waitcnt vmcnt(18)
	v_fma_f64 v[141:142], v[141:142], v[137:138], v[131:132]
	ds_read_b128 v[131:134], v130 offset:832
	ds_read_b128 v[135:138], v130 offset:848
	buffer_load_dword v154, off, s[0:3], 0 offset:404
	s_waitcnt vmcnt(18) lgkmcnt(1)
	v_fma_f64 v[131:132], v[149:150], v[131:132], v[141:142]
	s_waitcnt vmcnt(17)
	v_fma_f64 v[131:132], v[147:148], v[133:134], v[131:132]
	buffer_load_dword v142, off, s[0:3], 0 offset:412
	buffer_load_dword v147, off, s[0:3], 0 offset:432
	buffer_load_dword v149, off, s[0:3], 0 offset:424
	buffer_load_dword v155, off, s[0:3], 0 offset:416
	buffer_load_dword v141, off, s[0:3], 0 offset:408
	buffer_load_dword v156, off, s[0:3], 0 offset:420
	buffer_load_dword v150, off, s[0:3], 0 offset:428
	buffer_load_dword v148, off, s[0:3], 0 offset:436
	s_waitcnt vmcnt(24) lgkmcnt(0)
	v_fma_f64 v[131:132], v[143:144], v[135:136], v[131:132]
	s_waitcnt vmcnt(19)
	v_fma_f64 v[143:144], v[145:146], v[137:138], v[131:132]
	ds_read_b128 v[131:134], v130 offset:864
	ds_read_b128 v[135:138], v130 offset:880
	s_waitcnt vmcnt(18) lgkmcnt(1)
	v_fma_f64 v[131:132], v[159:160], v[131:132], v[143:144]
	s_waitcnt vmcnt(17)
	v_fma_f64 v[131:132], v[157:158], v[133:134], v[131:132]
	buffer_load_dword v144, off, s[0:3], 0 offset:444
	buffer_load_dword v145, off, s[0:3], 0 offset:464
	buffer_load_dword v157, off, s[0:3], 0 offset:456
	buffer_load_dword v159, off, s[0:3], 0 offset:448
	buffer_load_dword v143, off, s[0:3], 0 offset:440
	buffer_load_dword v160, off, s[0:3], 0 offset:452
	buffer_load_dword v158, off, s[0:3], 0 offset:460
	buffer_load_dword v146, off, s[0:3], 0 offset:468
	s_waitcnt vmcnt(24) lgkmcnt(0)
	v_fma_f64 v[131:132], v[151:152], v[135:136], v[131:132]
	s_waitcnt vmcnt(19)
	v_fma_f64 v[139:140], v[139:140], v[137:138], v[131:132]
	ds_read_b128 v[131:134], v130 offset:896
	ds_read_b128 v[135:138], v130 offset:912
	;; [unrolled: 18-line block ×3, first 2 shown]
	s_waitcnt vmcnt(18) lgkmcnt(1)
	v_fma_f64 v[131:132], v[155:156], v[131:132], v[141:142]
	buffer_load_dword v142, off, s[0:3], 0 offset:508
	buffer_load_dword v141, off, s[0:3], 0 offset:504
	s_waitcnt vmcnt(19)
	v_fma_f64 v[131:132], v[149:150], v[133:134], v[131:132]
	buffer_load_dword v149, off, s[0:3], 0 offset:88
	buffer_load_dword v150, off, s[0:3], 0 offset:92
	s_waitcnt vmcnt(20) lgkmcnt(0)
	v_fma_f64 v[131:132], v[147:148], v[135:136], v[131:132]
	s_waitcnt vmcnt(15)
	v_fma_f64 v[143:144], v[143:144], v[137:138], v[131:132]
	ds_read_b128 v[131:134], v130 offset:960
	ds_read_b128 v[135:138], v130 offset:976
	s_waitcnt vmcnt(14) lgkmcnt(1)
	v_fma_f64 v[131:132], v[159:160], v[131:132], v[143:144]
	s_waitcnt vmcnt(13)
	v_fma_f64 v[131:132], v[157:158], v[133:134], v[131:132]
	s_waitcnt vmcnt(12) lgkmcnt(0)
	v_fma_f64 v[131:132], v[145:146], v[135:136], v[131:132]
	s_waitcnt vmcnt(7)
	v_fma_f64 v[139:140], v[139:140], v[137:138], v[131:132]
	ds_read_b128 v[131:134], v130 offset:992
	ds_read_b128 v[135:138], v130 offset:1008
	s_waitcnt vmcnt(6) lgkmcnt(1)
	v_fma_f64 v[130:131], v[163:164], v[131:132], v[139:140]
	s_waitcnt vmcnt(5)
	v_fma_f64 v[130:131], v[161:162], v[133:134], v[130:131]
	s_waitcnt vmcnt(4) lgkmcnt(0)
	v_fma_f64 v[130:131], v[151:152], v[135:136], v[130:131]
	s_waitcnt vmcnt(2)
	v_fma_f64 v[130:131], v[141:142], v[137:138], v[130:131]
	s_waitcnt vmcnt(0)
	v_add_f64 v[130:131], v[149:150], -v[130:131]
	buffer_store_dword v131, off, s[0:3], 0 offset:92
	buffer_store_dword v130, off, s[0:3], 0 offset:88
	s_and_saveexec_b64 s[4:5], vcc
	s_cbranch_execz .LBB127_371
; %bb.370:
	buffer_load_dword v130, off, s[0:3], 0 offset:80
	buffer_load_dword v131, off, s[0:3], 0 offset:84
	v_mov_b32_e32 v132, 0
	buffer_store_dword v132, off, s[0:3], 0 offset:80
	buffer_store_dword v132, off, s[0:3], 0 offset:84
	s_waitcnt vmcnt(2)
	ds_write_b64 v129, v[130:131]
.LBB127_371:
	s_or_b64 exec, exec, s[4:5]
	s_waitcnt lgkmcnt(0)
	; wave barrier
	buffer_load_dword v139, off, s[0:3], 0 offset:88
	buffer_load_dword v140, off, s[0:3], 0 offset:92
	;; [unrolled: 1-line block ×22, first 2 shown]
	v_mov_b32_e32 v130, 0
	ds_read2_b64 v[131:134], v130 offset0:75 offset1:76
	ds_read2_b64 v[135:138], v130 offset0:77 offset1:78
	v_cmp_lt_u32_e32 vcc, 9, v0
	s_waitcnt vmcnt(20) lgkmcnt(1)
	v_fma_f64 v[131:132], v[139:140], v[131:132], 0
	s_waitcnt vmcnt(18)
	v_fma_f64 v[131:132], v[141:142], v[133:134], v[131:132]
	buffer_load_dword v140, off, s[0:3], 0 offset:180
	buffer_load_dword v141, off, s[0:3], 0 offset:200
	;; [unrolled: 1-line block ×7, first 2 shown]
	s_waitcnt vmcnt(23) lgkmcnt(0)
	v_fma_f64 v[131:132], v[143:144], v[135:136], v[131:132]
	s_waitcnt vmcnt(21)
	v_fma_f64 v[142:143], v[145:146], v[137:138], v[131:132]
	ds_read2_b64 v[131:134], v130 offset0:79 offset1:80
	ds_read2_b64 v[135:138], v130 offset0:81 offset1:82
	s_waitcnt vmcnt(19) lgkmcnt(1)
	v_fma_f64 v[131:132], v[147:148], v[131:132], v[142:143]
	buffer_load_dword v142, off, s[0:3], 0 offset:204
	s_waitcnt vmcnt(18)
	v_fma_f64 v[131:132], v[149:150], v[133:134], v[131:132]
	buffer_load_dword v144, off, s[0:3], 0 offset:212
	buffer_load_dword v145, off, s[0:3], 0 offset:232
	;; [unrolled: 1-line block ×7, first 2 shown]
	s_waitcnt vmcnt(23) lgkmcnt(0)
	v_fma_f64 v[131:132], v[151:152], v[135:136], v[131:132]
	s_waitcnt vmcnt(18)
	v_fma_f64 v[151:152], v[153:154], v[137:138], v[131:132]
	ds_read2_b64 v[131:134], v130 offset0:83 offset1:84
	ds_read2_b64 v[135:138], v130 offset0:85 offset1:86
	buffer_load_dword v146, off, s[0:3], 0 offset:236
	s_waitcnt vmcnt(18) lgkmcnt(1)
	v_fma_f64 v[131:132], v[159:160], v[131:132], v[151:152]
	s_waitcnt vmcnt(17)
	v_fma_f64 v[131:132], v[157:158], v[133:134], v[131:132]
	buffer_load_dword v152, off, s[0:3], 0 offset:244
	buffer_load_dword v153, off, s[0:3], 0 offset:264
	;; [unrolled: 1-line block ×8, first 2 shown]
	s_waitcnt vmcnt(24) lgkmcnt(0)
	v_fma_f64 v[131:132], v[155:156], v[135:136], v[131:132]
	s_waitcnt vmcnt(19)
	v_fma_f64 v[139:140], v[139:140], v[137:138], v[131:132]
	ds_read2_b64 v[131:134], v130 offset0:87 offset1:88
	ds_read2_b64 v[135:138], v130 offset0:89 offset1:90
	s_waitcnt vmcnt(18) lgkmcnt(1)
	v_fma_f64 v[131:132], v[163:164], v[131:132], v[139:140]
	s_waitcnt vmcnt(17)
	v_fma_f64 v[131:132], v[161:162], v[133:134], v[131:132]
	buffer_load_dword v140, off, s[0:3], 0 offset:276
	buffer_load_dword v155, off, s[0:3], 0 offset:296
	;; [unrolled: 1-line block ×7, first 2 shown]
	s_waitcnt vmcnt(23) lgkmcnt(0)
	v_fma_f64 v[131:132], v[141:142], v[135:136], v[131:132]
	s_waitcnt vmcnt(18)
	v_fma_f64 v[141:142], v[143:144], v[137:138], v[131:132]
	ds_read2_b64 v[131:134], v130 offset0:91 offset1:92
	ds_read2_b64 v[135:138], v130 offset0:93 offset1:94
	buffer_load_dword v156, off, s[0:3], 0 offset:300
	s_waitcnt vmcnt(18) lgkmcnt(1)
	v_fma_f64 v[131:132], v[149:150], v[131:132], v[141:142]
	s_waitcnt vmcnt(17)
	v_fma_f64 v[131:132], v[147:148], v[133:134], v[131:132]
	buffer_load_dword v142, off, s[0:3], 0 offset:308
	buffer_load_dword v143, off, s[0:3], 0 offset:328
	;; [unrolled: 1-line block ×7, first 2 shown]
	s_waitcnt vmcnt(23) lgkmcnt(0)
	v_fma_f64 v[131:132], v[145:146], v[135:136], v[131:132]
	s_waitcnt vmcnt(18)
	v_fma_f64 v[144:145], v[151:152], v[137:138], v[131:132]
	ds_read2_b64 v[131:134], v130 offset0:95 offset1:96
	ds_read2_b64 v[135:138], v130 offset0:97 offset1:98
	s_waitcnt vmcnt(17) lgkmcnt(1)
	v_fma_f64 v[131:132], v[159:160], v[131:132], v[144:145]
	buffer_load_dword v144, off, s[0:3], 0 offset:332
	s_waitcnt vmcnt(17)
	v_fma_f64 v[131:132], v[157:158], v[133:134], v[131:132]
	buffer_load_dword v146, off, s[0:3], 0 offset:340
	buffer_load_dword v151, off, s[0:3], 0 offset:360
	;; [unrolled: 1-line block ×8, first 2 shown]
	s_waitcnt vmcnt(24) lgkmcnt(0)
	v_fma_f64 v[131:132], v[153:154], v[135:136], v[131:132]
	s_waitcnt vmcnt(19)
	v_fma_f64 v[139:140], v[139:140], v[137:138], v[131:132]
	ds_read2_b64 v[131:134], v130 offset0:99 offset1:100
	ds_read2_b64 v[135:138], v130 offset0:101 offset1:102
	s_waitcnt vmcnt(18) lgkmcnt(1)
	v_fma_f64 v[131:132], v[163:164], v[131:132], v[139:140]
	s_waitcnt vmcnt(17)
	v_fma_f64 v[131:132], v[161:162], v[133:134], v[131:132]
	buffer_load_dword v140, off, s[0:3], 0 offset:372
	buffer_load_dword v153, off, s[0:3], 0 offset:392
	;; [unrolled: 1-line block ×7, first 2 shown]
	s_waitcnt vmcnt(23) lgkmcnt(0)
	v_fma_f64 v[131:132], v[155:156], v[135:136], v[131:132]
	s_waitcnt vmcnt(18)
	v_fma_f64 v[141:142], v[141:142], v[137:138], v[131:132]
	ds_read2_b64 v[131:134], v130 offset0:103 offset1:104
	ds_read2_b64 v[135:138], v130 offset0:105 offset1:106
	buffer_load_dword v154, off, s[0:3], 0 offset:396
	s_waitcnt vmcnt(18) lgkmcnt(1)
	v_fma_f64 v[131:132], v[149:150], v[131:132], v[141:142]
	s_waitcnt vmcnt(17)
	v_fma_f64 v[131:132], v[147:148], v[133:134], v[131:132]
	buffer_load_dword v142, off, s[0:3], 0 offset:404
	buffer_load_dword v147, off, s[0:3], 0 offset:424
	;; [unrolled: 1-line block ×7, first 2 shown]
	s_waitcnt vmcnt(23) lgkmcnt(0)
	v_fma_f64 v[131:132], v[143:144], v[135:136], v[131:132]
	s_waitcnt vmcnt(18)
	v_fma_f64 v[143:144], v[145:146], v[137:138], v[131:132]
	ds_read2_b64 v[131:134], v130 offset0:107 offset1:108
	ds_read2_b64 v[135:138], v130 offset0:109 offset1:110
	buffer_load_dword v148, off, s[0:3], 0 offset:428
	s_waitcnt vmcnt(18) lgkmcnt(1)
	v_fma_f64 v[131:132], v[159:160], v[131:132], v[143:144]
	s_waitcnt vmcnt(17)
	v_fma_f64 v[131:132], v[157:158], v[133:134], v[131:132]
	buffer_load_dword v144, off, s[0:3], 0 offset:436
	buffer_load_dword v145, off, s[0:3], 0 offset:456
	;; [unrolled: 1-line block ×8, first 2 shown]
	s_waitcnt vmcnt(24) lgkmcnt(0)
	v_fma_f64 v[131:132], v[151:152], v[135:136], v[131:132]
	s_waitcnt vmcnt(19)
	v_fma_f64 v[139:140], v[139:140], v[137:138], v[131:132]
	ds_read2_b64 v[131:134], v130 offset0:111 offset1:112
	ds_read2_b64 v[135:138], v130 offset0:113 offset1:114
	s_waitcnt vmcnt(18) lgkmcnt(1)
	v_fma_f64 v[131:132], v[163:164], v[131:132], v[139:140]
	s_waitcnt vmcnt(17)
	v_fma_f64 v[131:132], v[161:162], v[133:134], v[131:132]
	buffer_load_dword v140, off, s[0:3], 0 offset:468
	buffer_load_dword v151, off, s[0:3], 0 offset:488
	;; [unrolled: 1-line block ×7, first 2 shown]
	s_waitcnt vmcnt(23) lgkmcnt(0)
	v_fma_f64 v[131:132], v[153:154], v[135:136], v[131:132]
	s_waitcnt vmcnt(18)
	v_fma_f64 v[141:142], v[141:142], v[137:138], v[131:132]
	ds_read2_b64 v[131:134], v130 offset0:115 offset1:116
	ds_read2_b64 v[135:138], v130 offset0:117 offset1:118
	buffer_load_dword v152, off, s[0:3], 0 offset:492
	s_waitcnt vmcnt(18) lgkmcnt(1)
	v_fma_f64 v[131:132], v[155:156], v[131:132], v[141:142]
	s_waitcnt vmcnt(17)
	v_fma_f64 v[131:132], v[149:150], v[133:134], v[131:132]
	buffer_load_dword v142, off, s[0:3], 0 offset:500
	buffer_load_dword v149, off, s[0:3], 0 offset:504
	;; [unrolled: 1-line block ×4, first 2 shown]
	s_waitcnt vmcnt(20) lgkmcnt(0)
	v_fma_f64 v[131:132], v[147:148], v[135:136], v[131:132]
	buffer_load_dword v147, off, s[0:3], 0 offset:80
	buffer_load_dword v148, off, s[0:3], 0 offset:84
	s_waitcnt vmcnt(17)
	v_fma_f64 v[143:144], v[143:144], v[137:138], v[131:132]
	ds_read2_b64 v[131:134], v130 offset0:119 offset1:120
	ds_read2_b64 v[135:138], v130 offset0:121 offset1:122
	s_waitcnt vmcnt(16) lgkmcnt(1)
	v_fma_f64 v[131:132], v[159:160], v[131:132], v[143:144]
	s_waitcnt vmcnt(15)
	v_fma_f64 v[131:132], v[157:158], v[133:134], v[131:132]
	s_waitcnt vmcnt(14) lgkmcnt(0)
	v_fma_f64 v[131:132], v[145:146], v[135:136], v[131:132]
	s_waitcnt vmcnt(9)
	v_fma_f64 v[139:140], v[139:140], v[137:138], v[131:132]
	ds_read2_b64 v[131:134], v130 offset0:123 offset1:124
	ds_read2_b64 v[135:138], v130 offset0:125 offset1:126
	s_waitcnt vmcnt(8) lgkmcnt(1)
	v_fma_f64 v[131:132], v[163:164], v[131:132], v[139:140]
	s_waitcnt vmcnt(7)
	v_fma_f64 v[131:132], v[161:162], v[133:134], v[131:132]
	ds_read_b64 v[133:134], v130 offset:1016
	s_waitcnt vmcnt(6) lgkmcnt(1)
	v_fma_f64 v[131:132], v[151:152], v[135:136], v[131:132]
	s_waitcnt vmcnt(3)
	v_fma_f64 v[131:132], v[141:142], v[137:138], v[131:132]
	s_waitcnt vmcnt(2) lgkmcnt(0)
	v_fma_f64 v[131:132], v[149:150], v[133:134], v[131:132]
	s_waitcnt vmcnt(0)
	v_add_f64 v[131:132], v[147:148], -v[131:132]
	buffer_store_dword v132, off, s[0:3], 0 offset:84
	buffer_store_dword v131, off, s[0:3], 0 offset:80
	s_and_saveexec_b64 s[4:5], vcc
	s_cbranch_execz .LBB127_373
; %bb.372:
	buffer_load_dword v131, off, s[0:3], 0 offset:72
	buffer_load_dword v132, off, s[0:3], 0 offset:76
	s_waitcnt vmcnt(0)
	ds_write_b64 v129, v[131:132]
	buffer_store_dword v130, off, s[0:3], 0 offset:72
	buffer_store_dword v130, off, s[0:3], 0 offset:76
.LBB127_373:
	s_or_b64 exec, exec, s[4:5]
	s_waitcnt lgkmcnt(0)
	; wave barrier
	buffer_load_dword v139, off, s[0:3], 0 offset:80
	buffer_load_dword v140, off, s[0:3], 0 offset:84
	;; [unrolled: 1-line block ×22, first 2 shown]
	ds_read_b128 v[131:134], v130 offset:592
	ds_read_b128 v[135:138], v130 offset:608
	v_cmp_lt_u32_e32 vcc, 8, v0
	s_waitcnt vmcnt(20) lgkmcnt(1)
	v_fma_f64 v[131:132], v[139:140], v[131:132], 0
	s_waitcnt vmcnt(18)
	v_fma_f64 v[131:132], v[141:142], v[133:134], v[131:132]
	buffer_load_dword v140, off, s[0:3], 0 offset:172
	buffer_load_dword v141, off, s[0:3], 0 offset:192
	;; [unrolled: 1-line block ×7, first 2 shown]
	s_waitcnt vmcnt(23) lgkmcnt(0)
	v_fma_f64 v[131:132], v[143:144], v[135:136], v[131:132]
	s_waitcnt vmcnt(21)
	v_fma_f64 v[142:143], v[145:146], v[137:138], v[131:132]
	ds_read_b128 v[131:134], v130 offset:624
	ds_read_b128 v[135:138], v130 offset:640
	s_waitcnt vmcnt(19) lgkmcnt(1)
	v_fma_f64 v[131:132], v[147:148], v[131:132], v[142:143]
	buffer_load_dword v142, off, s[0:3], 0 offset:196
	s_waitcnt vmcnt(18)
	v_fma_f64 v[131:132], v[149:150], v[133:134], v[131:132]
	buffer_load_dword v144, off, s[0:3], 0 offset:204
	buffer_load_dword v145, off, s[0:3], 0 offset:224
	buffer_load_dword v147, off, s[0:3], 0 offset:216
	buffer_load_dword v149, off, s[0:3], 0 offset:208
	buffer_load_dword v143, off, s[0:3], 0 offset:200
	buffer_load_dword v150, off, s[0:3], 0 offset:212
	buffer_load_dword v148, off, s[0:3], 0 offset:220
	s_waitcnt vmcnt(23) lgkmcnt(0)
	v_fma_f64 v[131:132], v[151:152], v[135:136], v[131:132]
	s_waitcnt vmcnt(18)
	v_fma_f64 v[151:152], v[153:154], v[137:138], v[131:132]
	ds_read_b128 v[131:134], v130 offset:656
	ds_read_b128 v[135:138], v130 offset:672
	buffer_load_dword v146, off, s[0:3], 0 offset:228
	s_waitcnt vmcnt(18) lgkmcnt(1)
	v_fma_f64 v[131:132], v[159:160], v[131:132], v[151:152]
	s_waitcnt vmcnt(17)
	v_fma_f64 v[131:132], v[157:158], v[133:134], v[131:132]
	buffer_load_dword v152, off, s[0:3], 0 offset:236
	buffer_load_dword v153, off, s[0:3], 0 offset:256
	;; [unrolled: 1-line block ×8, first 2 shown]
	s_waitcnt vmcnt(24) lgkmcnt(0)
	v_fma_f64 v[131:132], v[155:156], v[135:136], v[131:132]
	s_waitcnt vmcnt(19)
	v_fma_f64 v[139:140], v[139:140], v[137:138], v[131:132]
	ds_read_b128 v[131:134], v130 offset:688
	ds_read_b128 v[135:138], v130 offset:704
	s_waitcnt vmcnt(18) lgkmcnt(1)
	v_fma_f64 v[131:132], v[163:164], v[131:132], v[139:140]
	s_waitcnt vmcnt(17)
	v_fma_f64 v[131:132], v[161:162], v[133:134], v[131:132]
	buffer_load_dword v140, off, s[0:3], 0 offset:268
	buffer_load_dword v155, off, s[0:3], 0 offset:288
	;; [unrolled: 1-line block ×8, first 2 shown]
	s_waitcnt vmcnt(24) lgkmcnt(0)
	v_fma_f64 v[131:132], v[141:142], v[135:136], v[131:132]
	s_waitcnt vmcnt(19)
	v_fma_f64 v[141:142], v[143:144], v[137:138], v[131:132]
	ds_read_b128 v[131:134], v130 offset:720
	ds_read_b128 v[135:138], v130 offset:736
	s_waitcnt vmcnt(18) lgkmcnt(1)
	v_fma_f64 v[131:132], v[149:150], v[131:132], v[141:142]
	s_waitcnt vmcnt(17)
	v_fma_f64 v[131:132], v[147:148], v[133:134], v[131:132]
	buffer_load_dword v142, off, s[0:3], 0 offset:300
	buffer_load_dword v143, off, s[0:3], 0 offset:320
	;; [unrolled: 1-line block ×7, first 2 shown]
	s_waitcnt vmcnt(23) lgkmcnt(0)
	v_fma_f64 v[131:132], v[145:146], v[135:136], v[131:132]
	s_waitcnt vmcnt(18)
	v_fma_f64 v[144:145], v[151:152], v[137:138], v[131:132]
	ds_read_b128 v[131:134], v130 offset:752
	ds_read_b128 v[135:138], v130 offset:768
	s_waitcnt vmcnt(17) lgkmcnt(1)
	v_fma_f64 v[131:132], v[159:160], v[131:132], v[144:145]
	buffer_load_dword v144, off, s[0:3], 0 offset:324
	s_waitcnt vmcnt(17)
	v_fma_f64 v[131:132], v[157:158], v[133:134], v[131:132]
	buffer_load_dword v146, off, s[0:3], 0 offset:332
	buffer_load_dword v151, off, s[0:3], 0 offset:352
	;; [unrolled: 1-line block ×8, first 2 shown]
	s_waitcnt vmcnt(24) lgkmcnt(0)
	v_fma_f64 v[131:132], v[153:154], v[135:136], v[131:132]
	s_waitcnt vmcnt(19)
	v_fma_f64 v[139:140], v[139:140], v[137:138], v[131:132]
	ds_read_b128 v[131:134], v130 offset:784
	ds_read_b128 v[135:138], v130 offset:800
	s_waitcnt vmcnt(18) lgkmcnt(1)
	v_fma_f64 v[131:132], v[163:164], v[131:132], v[139:140]
	s_waitcnt vmcnt(17)
	v_fma_f64 v[131:132], v[161:162], v[133:134], v[131:132]
	buffer_load_dword v140, off, s[0:3], 0 offset:364
	buffer_load_dword v153, off, s[0:3], 0 offset:384
	;; [unrolled: 1-line block ×8, first 2 shown]
	s_waitcnt vmcnt(24) lgkmcnt(0)
	v_fma_f64 v[131:132], v[155:156], v[135:136], v[131:132]
	s_waitcnt vmcnt(19)
	v_fma_f64 v[141:142], v[141:142], v[137:138], v[131:132]
	ds_read_b128 v[131:134], v130 offset:816
	ds_read_b128 v[135:138], v130 offset:832
	s_waitcnt vmcnt(18) lgkmcnt(1)
	v_fma_f64 v[131:132], v[149:150], v[131:132], v[141:142]
	s_waitcnt vmcnt(17)
	v_fma_f64 v[131:132], v[147:148], v[133:134], v[131:132]
	buffer_load_dword v142, off, s[0:3], 0 offset:396
	buffer_load_dword v147, off, s[0:3], 0 offset:416
	;; [unrolled: 1-line block ×7, first 2 shown]
	s_waitcnt vmcnt(23) lgkmcnt(0)
	v_fma_f64 v[131:132], v[143:144], v[135:136], v[131:132]
	s_waitcnt vmcnt(18)
	v_fma_f64 v[143:144], v[145:146], v[137:138], v[131:132]
	ds_read_b128 v[131:134], v130 offset:848
	ds_read_b128 v[135:138], v130 offset:864
	buffer_load_dword v148, off, s[0:3], 0 offset:420
	s_waitcnt vmcnt(18) lgkmcnt(1)
	v_fma_f64 v[131:132], v[159:160], v[131:132], v[143:144]
	s_waitcnt vmcnt(17)
	v_fma_f64 v[131:132], v[157:158], v[133:134], v[131:132]
	buffer_load_dword v144, off, s[0:3], 0 offset:428
	buffer_load_dword v145, off, s[0:3], 0 offset:448
	;; [unrolled: 1-line block ×8, first 2 shown]
	s_waitcnt vmcnt(24) lgkmcnt(0)
	v_fma_f64 v[131:132], v[151:152], v[135:136], v[131:132]
	s_waitcnt vmcnt(19)
	v_fma_f64 v[139:140], v[139:140], v[137:138], v[131:132]
	ds_read_b128 v[131:134], v130 offset:880
	ds_read_b128 v[135:138], v130 offset:896
	s_waitcnt vmcnt(18) lgkmcnt(1)
	v_fma_f64 v[131:132], v[163:164], v[131:132], v[139:140]
	s_waitcnt vmcnt(17)
	v_fma_f64 v[131:132], v[161:162], v[133:134], v[131:132]
	buffer_load_dword v140, off, s[0:3], 0 offset:460
	buffer_load_dword v151, off, s[0:3], 0 offset:480
	;; [unrolled: 1-line block ×8, first 2 shown]
	s_waitcnt vmcnt(24) lgkmcnt(0)
	v_fma_f64 v[131:132], v[153:154], v[135:136], v[131:132]
	s_waitcnt vmcnt(19)
	v_fma_f64 v[141:142], v[141:142], v[137:138], v[131:132]
	ds_read_b128 v[131:134], v130 offset:912
	ds_read_b128 v[135:138], v130 offset:928
	s_waitcnt vmcnt(18) lgkmcnt(1)
	v_fma_f64 v[131:132], v[155:156], v[131:132], v[141:142]
	s_waitcnt vmcnt(17)
	v_fma_f64 v[131:132], v[149:150], v[133:134], v[131:132]
	buffer_load_dword v142, off, s[0:3], 0 offset:492
	buffer_load_dword v149, off, s[0:3], 0 offset:504
	;; [unrolled: 1-line block ×6, first 2 shown]
	s_waitcnt vmcnt(22) lgkmcnt(0)
	v_fma_f64 v[131:132], v[147:148], v[135:136], v[131:132]
	s_waitcnt vmcnt(17)
	v_fma_f64 v[143:144], v[143:144], v[137:138], v[131:132]
	ds_read_b128 v[131:134], v130 offset:944
	buffer_load_dword v147, off, s[0:3], 0 offset:72
	buffer_load_dword v148, off, s[0:3], 0 offset:76
	ds_read_b128 v[135:138], v130 offset:960
	s_waitcnt vmcnt(18) lgkmcnt(1)
	v_fma_f64 v[131:132], v[159:160], v[131:132], v[143:144]
	s_waitcnt vmcnt(17)
	v_fma_f64 v[131:132], v[157:158], v[133:134], v[131:132]
	s_waitcnt vmcnt(16) lgkmcnt(0)
	v_fma_f64 v[131:132], v[145:146], v[135:136], v[131:132]
	s_waitcnt vmcnt(11)
	v_fma_f64 v[139:140], v[139:140], v[137:138], v[131:132]
	ds_read_b128 v[131:134], v130 offset:976
	ds_read_b128 v[135:138], v130 offset:992
	s_waitcnt vmcnt(10) lgkmcnt(1)
	v_fma_f64 v[131:132], v[163:164], v[131:132], v[139:140]
	s_waitcnt vmcnt(9)
	v_fma_f64 v[131:132], v[161:162], v[133:134], v[131:132]
	s_waitcnt vmcnt(8) lgkmcnt(0)
	v_fma_f64 v[131:132], v[151:152], v[135:136], v[131:132]
	s_waitcnt vmcnt(4)
	v_fma_f64 v[134:135], v[141:142], v[137:138], v[131:132]
	ds_read_b128 v[130:133], v130 offset:1008
	s_waitcnt vmcnt(3) lgkmcnt(0)
	v_fma_f64 v[130:131], v[153:154], v[130:131], v[134:135]
	s_waitcnt vmcnt(2)
	v_fma_f64 v[130:131], v[149:150], v[132:133], v[130:131]
	s_waitcnt vmcnt(0)
	v_add_f64 v[130:131], v[147:148], -v[130:131]
	buffer_store_dword v131, off, s[0:3], 0 offset:76
	buffer_store_dword v130, off, s[0:3], 0 offset:72
	s_and_saveexec_b64 s[4:5], vcc
	s_cbranch_execz .LBB127_375
; %bb.374:
	buffer_load_dword v130, off, s[0:3], 0 offset:64
	buffer_load_dword v131, off, s[0:3], 0 offset:68
	v_mov_b32_e32 v132, 0
	buffer_store_dword v132, off, s[0:3], 0 offset:64
	buffer_store_dword v132, off, s[0:3], 0 offset:68
	s_waitcnt vmcnt(2)
	ds_write_b64 v129, v[130:131]
.LBB127_375:
	s_or_b64 exec, exec, s[4:5]
	s_waitcnt lgkmcnt(0)
	; wave barrier
	buffer_load_dword v139, off, s[0:3], 0 offset:72
	buffer_load_dword v140, off, s[0:3], 0 offset:76
	;; [unrolled: 1-line block ×22, first 2 shown]
	v_mov_b32_e32 v130, 0
	ds_read2_b64 v[131:134], v130 offset0:73 offset1:74
	ds_read2_b64 v[135:138], v130 offset0:75 offset1:76
	v_cmp_lt_u32_e32 vcc, 7, v0
	s_waitcnt vmcnt(20) lgkmcnt(1)
	v_fma_f64 v[131:132], v[139:140], v[131:132], 0
	s_waitcnt vmcnt(18)
	v_fma_f64 v[131:132], v[141:142], v[133:134], v[131:132]
	buffer_load_dword v140, off, s[0:3], 0 offset:164
	buffer_load_dword v141, off, s[0:3], 0 offset:184
	;; [unrolled: 1-line block ×7, first 2 shown]
	s_waitcnt vmcnt(23) lgkmcnt(0)
	v_fma_f64 v[131:132], v[143:144], v[135:136], v[131:132]
	s_waitcnt vmcnt(21)
	v_fma_f64 v[142:143], v[145:146], v[137:138], v[131:132]
	ds_read2_b64 v[131:134], v130 offset0:77 offset1:78
	ds_read2_b64 v[135:138], v130 offset0:79 offset1:80
	s_waitcnt vmcnt(19) lgkmcnt(1)
	v_fma_f64 v[131:132], v[147:148], v[131:132], v[142:143]
	buffer_load_dword v142, off, s[0:3], 0 offset:188
	s_waitcnt vmcnt(18)
	v_fma_f64 v[131:132], v[149:150], v[133:134], v[131:132]
	buffer_load_dword v144, off, s[0:3], 0 offset:196
	buffer_load_dword v145, off, s[0:3], 0 offset:216
	;; [unrolled: 1-line block ×7, first 2 shown]
	s_waitcnt vmcnt(23) lgkmcnt(0)
	v_fma_f64 v[131:132], v[151:152], v[135:136], v[131:132]
	s_waitcnt vmcnt(18)
	v_fma_f64 v[151:152], v[153:154], v[137:138], v[131:132]
	ds_read2_b64 v[131:134], v130 offset0:81 offset1:82
	ds_read2_b64 v[135:138], v130 offset0:83 offset1:84
	buffer_load_dword v146, off, s[0:3], 0 offset:220
	s_waitcnt vmcnt(18) lgkmcnt(1)
	v_fma_f64 v[131:132], v[159:160], v[131:132], v[151:152]
	s_waitcnt vmcnt(17)
	v_fma_f64 v[131:132], v[157:158], v[133:134], v[131:132]
	buffer_load_dword v152, off, s[0:3], 0 offset:228
	buffer_load_dword v153, off, s[0:3], 0 offset:248
	;; [unrolled: 1-line block ×8, first 2 shown]
	s_waitcnt vmcnt(24) lgkmcnt(0)
	v_fma_f64 v[131:132], v[155:156], v[135:136], v[131:132]
	s_waitcnt vmcnt(19)
	v_fma_f64 v[139:140], v[139:140], v[137:138], v[131:132]
	ds_read2_b64 v[131:134], v130 offset0:85 offset1:86
	ds_read2_b64 v[135:138], v130 offset0:87 offset1:88
	s_waitcnt vmcnt(18) lgkmcnt(1)
	v_fma_f64 v[131:132], v[163:164], v[131:132], v[139:140]
	s_waitcnt vmcnt(17)
	v_fma_f64 v[131:132], v[161:162], v[133:134], v[131:132]
	buffer_load_dword v140, off, s[0:3], 0 offset:260
	buffer_load_dword v155, off, s[0:3], 0 offset:280
	;; [unrolled: 1-line block ×8, first 2 shown]
	s_waitcnt vmcnt(24) lgkmcnt(0)
	v_fma_f64 v[131:132], v[141:142], v[135:136], v[131:132]
	s_waitcnt vmcnt(19)
	v_fma_f64 v[141:142], v[143:144], v[137:138], v[131:132]
	ds_read2_b64 v[131:134], v130 offset0:89 offset1:90
	ds_read2_b64 v[135:138], v130 offset0:91 offset1:92
	s_waitcnt vmcnt(18) lgkmcnt(1)
	v_fma_f64 v[131:132], v[149:150], v[131:132], v[141:142]
	s_waitcnt vmcnt(17)
	v_fma_f64 v[131:132], v[147:148], v[133:134], v[131:132]
	buffer_load_dword v142, off, s[0:3], 0 offset:292
	buffer_load_dword v143, off, s[0:3], 0 offset:312
	buffer_load_dword v147, off, s[0:3], 0 offset:304
	buffer_load_dword v149, off, s[0:3], 0 offset:296
	buffer_load_dword v141, off, s[0:3], 0 offset:288
	buffer_load_dword v150, off, s[0:3], 0 offset:300
	buffer_load_dword v148, off, s[0:3], 0 offset:308
	s_waitcnt vmcnt(23) lgkmcnt(0)
	v_fma_f64 v[131:132], v[145:146], v[135:136], v[131:132]
	s_waitcnt vmcnt(18)
	v_fma_f64 v[144:145], v[151:152], v[137:138], v[131:132]
	ds_read2_b64 v[131:134], v130 offset0:93 offset1:94
	ds_read2_b64 v[135:138], v130 offset0:95 offset1:96
	s_waitcnt vmcnt(17) lgkmcnt(1)
	v_fma_f64 v[131:132], v[159:160], v[131:132], v[144:145]
	buffer_load_dword v144, off, s[0:3], 0 offset:316
	s_waitcnt vmcnt(17)
	v_fma_f64 v[131:132], v[157:158], v[133:134], v[131:132]
	buffer_load_dword v146, off, s[0:3], 0 offset:324
	buffer_load_dword v151, off, s[0:3], 0 offset:344
	;; [unrolled: 1-line block ×8, first 2 shown]
	s_waitcnt vmcnt(24) lgkmcnt(0)
	v_fma_f64 v[131:132], v[153:154], v[135:136], v[131:132]
	s_waitcnt vmcnt(19)
	v_fma_f64 v[139:140], v[139:140], v[137:138], v[131:132]
	ds_read2_b64 v[131:134], v130 offset0:97 offset1:98
	ds_read2_b64 v[135:138], v130 offset0:99 offset1:100
	s_waitcnt vmcnt(18) lgkmcnt(1)
	v_fma_f64 v[131:132], v[163:164], v[131:132], v[139:140]
	s_waitcnt vmcnt(17)
	v_fma_f64 v[131:132], v[161:162], v[133:134], v[131:132]
	buffer_load_dword v140, off, s[0:3], 0 offset:356
	buffer_load_dword v153, off, s[0:3], 0 offset:376
	;; [unrolled: 1-line block ×8, first 2 shown]
	s_waitcnt vmcnt(24) lgkmcnt(0)
	v_fma_f64 v[131:132], v[155:156], v[135:136], v[131:132]
	s_waitcnt vmcnt(19)
	v_fma_f64 v[141:142], v[141:142], v[137:138], v[131:132]
	ds_read2_b64 v[131:134], v130 offset0:101 offset1:102
	ds_read2_b64 v[135:138], v130 offset0:103 offset1:104
	s_waitcnt vmcnt(18) lgkmcnt(1)
	v_fma_f64 v[131:132], v[149:150], v[131:132], v[141:142]
	s_waitcnt vmcnt(17)
	v_fma_f64 v[131:132], v[147:148], v[133:134], v[131:132]
	buffer_load_dword v142, off, s[0:3], 0 offset:388
	buffer_load_dword v147, off, s[0:3], 0 offset:408
	;; [unrolled: 1-line block ×7, first 2 shown]
	s_waitcnt vmcnt(23) lgkmcnt(0)
	v_fma_f64 v[131:132], v[143:144], v[135:136], v[131:132]
	s_waitcnt vmcnt(18)
	v_fma_f64 v[143:144], v[145:146], v[137:138], v[131:132]
	ds_read2_b64 v[131:134], v130 offset0:105 offset1:106
	ds_read2_b64 v[135:138], v130 offset0:107 offset1:108
	buffer_load_dword v148, off, s[0:3], 0 offset:412
	s_waitcnt vmcnt(18) lgkmcnt(1)
	v_fma_f64 v[131:132], v[159:160], v[131:132], v[143:144]
	s_waitcnt vmcnt(17)
	v_fma_f64 v[131:132], v[157:158], v[133:134], v[131:132]
	buffer_load_dword v144, off, s[0:3], 0 offset:420
	buffer_load_dword v145, off, s[0:3], 0 offset:440
	buffer_load_dword v157, off, s[0:3], 0 offset:432
	buffer_load_dword v159, off, s[0:3], 0 offset:424
	buffer_load_dword v143, off, s[0:3], 0 offset:416
	buffer_load_dword v160, off, s[0:3], 0 offset:428
	buffer_load_dword v158, off, s[0:3], 0 offset:436
	buffer_load_dword v146, off, s[0:3], 0 offset:444
	s_waitcnt vmcnt(24) lgkmcnt(0)
	v_fma_f64 v[131:132], v[151:152], v[135:136], v[131:132]
	s_waitcnt vmcnt(19)
	v_fma_f64 v[139:140], v[139:140], v[137:138], v[131:132]
	ds_read2_b64 v[131:134], v130 offset0:109 offset1:110
	ds_read2_b64 v[135:138], v130 offset0:111 offset1:112
	s_waitcnt vmcnt(18) lgkmcnt(1)
	v_fma_f64 v[131:132], v[163:164], v[131:132], v[139:140]
	s_waitcnt vmcnt(17)
	v_fma_f64 v[131:132], v[161:162], v[133:134], v[131:132]
	buffer_load_dword v140, off, s[0:3], 0 offset:452
	buffer_load_dword v151, off, s[0:3], 0 offset:472
	buffer_load_dword v161, off, s[0:3], 0 offset:464
	buffer_load_dword v163, off, s[0:3], 0 offset:456
	buffer_load_dword v139, off, s[0:3], 0 offset:448
	buffer_load_dword v164, off, s[0:3], 0 offset:460
	buffer_load_dword v162, off, s[0:3], 0 offset:468
	buffer_load_dword v152, off, s[0:3], 0 offset:476
	s_waitcnt vmcnt(24) lgkmcnt(0)
	v_fma_f64 v[131:132], v[153:154], v[135:136], v[131:132]
	s_waitcnt vmcnt(19)
	v_fma_f64 v[141:142], v[141:142], v[137:138], v[131:132]
	ds_read2_b64 v[131:134], v130 offset0:113 offset1:114
	ds_read2_b64 v[135:138], v130 offset0:115 offset1:116
	;; [unrolled: 18-line block ×3, first 2 shown]
	s_waitcnt vmcnt(18) lgkmcnt(1)
	v_fma_f64 v[131:132], v[159:160], v[131:132], v[143:144]
	buffer_load_dword v143, off, s[0:3], 0 offset:64
	buffer_load_dword v144, off, s[0:3], 0 offset:68
	s_waitcnt vmcnt(19)
	v_fma_f64 v[131:132], v[157:158], v[133:134], v[131:132]
	s_waitcnt vmcnt(18) lgkmcnt(0)
	v_fma_f64 v[131:132], v[145:146], v[135:136], v[131:132]
	s_waitcnt vmcnt(13)
	v_fma_f64 v[139:140], v[139:140], v[137:138], v[131:132]
	ds_read2_b64 v[131:134], v130 offset0:121 offset1:122
	ds_read2_b64 v[135:138], v130 offset0:123 offset1:124
	s_waitcnt vmcnt(12) lgkmcnt(1)
	v_fma_f64 v[131:132], v[163:164], v[131:132], v[139:140]
	s_waitcnt vmcnt(11)
	v_fma_f64 v[131:132], v[161:162], v[133:134], v[131:132]
	s_waitcnt vmcnt(10) lgkmcnt(0)
	v_fma_f64 v[131:132], v[151:152], v[135:136], v[131:132]
	s_waitcnt vmcnt(5)
	v_fma_f64 v[135:136], v[141:142], v[137:138], v[131:132]
	ds_read2_b64 v[131:134], v130 offset0:125 offset1:126
	ds_read_b64 v[137:138], v130 offset:1016
	s_waitcnt vmcnt(4) lgkmcnt(1)
	v_fma_f64 v[131:132], v[155:156], v[131:132], v[135:136]
	s_waitcnt vmcnt(3)
	v_fma_f64 v[131:132], v[153:154], v[133:134], v[131:132]
	s_waitcnt vmcnt(2) lgkmcnt(0)
	v_fma_f64 v[131:132], v[149:150], v[137:138], v[131:132]
	s_waitcnt vmcnt(0)
	v_add_f64 v[131:132], v[143:144], -v[131:132]
	buffer_store_dword v132, off, s[0:3], 0 offset:68
	buffer_store_dword v131, off, s[0:3], 0 offset:64
	s_and_saveexec_b64 s[4:5], vcc
	s_cbranch_execz .LBB127_377
; %bb.376:
	buffer_load_dword v131, off, s[0:3], 0 offset:56
	buffer_load_dword v132, off, s[0:3], 0 offset:60
	s_waitcnt vmcnt(0)
	ds_write_b64 v129, v[131:132]
	buffer_store_dword v130, off, s[0:3], 0 offset:56
	buffer_store_dword v130, off, s[0:3], 0 offset:60
.LBB127_377:
	s_or_b64 exec, exec, s[4:5]
	s_waitcnt lgkmcnt(0)
	; wave barrier
	buffer_load_dword v139, off, s[0:3], 0 offset:64
	buffer_load_dword v140, off, s[0:3], 0 offset:68
	;; [unrolled: 1-line block ×22, first 2 shown]
	ds_read_b128 v[131:134], v130 offset:576
	ds_read_b128 v[135:138], v130 offset:592
	v_cmp_lt_u32_e32 vcc, 6, v0
	s_waitcnt vmcnt(20) lgkmcnt(1)
	v_fma_f64 v[131:132], v[139:140], v[131:132], 0
	s_waitcnt vmcnt(18)
	v_fma_f64 v[131:132], v[141:142], v[133:134], v[131:132]
	buffer_load_dword v140, off, s[0:3], 0 offset:156
	buffer_load_dword v141, off, s[0:3], 0 offset:176
	;; [unrolled: 1-line block ×7, first 2 shown]
	s_waitcnt vmcnt(23) lgkmcnt(0)
	v_fma_f64 v[131:132], v[143:144], v[135:136], v[131:132]
	s_waitcnt vmcnt(21)
	v_fma_f64 v[142:143], v[145:146], v[137:138], v[131:132]
	ds_read_b128 v[131:134], v130 offset:608
	ds_read_b128 v[135:138], v130 offset:624
	s_waitcnt vmcnt(19) lgkmcnt(1)
	v_fma_f64 v[131:132], v[147:148], v[131:132], v[142:143]
	buffer_load_dword v142, off, s[0:3], 0 offset:180
	s_waitcnt vmcnt(18)
	v_fma_f64 v[131:132], v[149:150], v[133:134], v[131:132]
	buffer_load_dword v144, off, s[0:3], 0 offset:188
	buffer_load_dword v145, off, s[0:3], 0 offset:208
	;; [unrolled: 1-line block ×7, first 2 shown]
	s_waitcnt vmcnt(23) lgkmcnt(0)
	v_fma_f64 v[131:132], v[151:152], v[135:136], v[131:132]
	s_waitcnt vmcnt(18)
	v_fma_f64 v[151:152], v[153:154], v[137:138], v[131:132]
	ds_read_b128 v[131:134], v130 offset:640
	ds_read_b128 v[135:138], v130 offset:656
	buffer_load_dword v146, off, s[0:3], 0 offset:212
	s_waitcnt vmcnt(18) lgkmcnt(1)
	v_fma_f64 v[131:132], v[159:160], v[131:132], v[151:152]
	s_waitcnt vmcnt(17)
	v_fma_f64 v[131:132], v[157:158], v[133:134], v[131:132]
	buffer_load_dword v152, off, s[0:3], 0 offset:220
	buffer_load_dword v153, off, s[0:3], 0 offset:240
	;; [unrolled: 1-line block ×8, first 2 shown]
	s_waitcnt vmcnt(24) lgkmcnt(0)
	v_fma_f64 v[131:132], v[155:156], v[135:136], v[131:132]
	s_waitcnt vmcnt(19)
	v_fma_f64 v[139:140], v[139:140], v[137:138], v[131:132]
	ds_read_b128 v[131:134], v130 offset:672
	ds_read_b128 v[135:138], v130 offset:688
	s_waitcnt vmcnt(18) lgkmcnt(1)
	v_fma_f64 v[131:132], v[163:164], v[131:132], v[139:140]
	s_waitcnt vmcnt(17)
	v_fma_f64 v[131:132], v[161:162], v[133:134], v[131:132]
	buffer_load_dword v140, off, s[0:3], 0 offset:252
	buffer_load_dword v155, off, s[0:3], 0 offset:272
	buffer_load_dword v161, off, s[0:3], 0 offset:264
	buffer_load_dword v163, off, s[0:3], 0 offset:256
	buffer_load_dword v139, off, s[0:3], 0 offset:248
	buffer_load_dword v164, off, s[0:3], 0 offset:260
	buffer_load_dword v162, off, s[0:3], 0 offset:268
	buffer_load_dword v156, off, s[0:3], 0 offset:276
	s_waitcnt vmcnt(24) lgkmcnt(0)
	v_fma_f64 v[131:132], v[141:142], v[135:136], v[131:132]
	s_waitcnt vmcnt(19)
	v_fma_f64 v[141:142], v[143:144], v[137:138], v[131:132]
	ds_read_b128 v[131:134], v130 offset:704
	ds_read_b128 v[135:138], v130 offset:720
	s_waitcnt vmcnt(18) lgkmcnt(1)
	v_fma_f64 v[131:132], v[149:150], v[131:132], v[141:142]
	s_waitcnt vmcnt(17)
	v_fma_f64 v[131:132], v[147:148], v[133:134], v[131:132]
	buffer_load_dword v142, off, s[0:3], 0 offset:284
	buffer_load_dword v143, off, s[0:3], 0 offset:304
	;; [unrolled: 1-line block ×7, first 2 shown]
	s_waitcnt vmcnt(23) lgkmcnt(0)
	v_fma_f64 v[131:132], v[145:146], v[135:136], v[131:132]
	s_waitcnt vmcnt(18)
	v_fma_f64 v[144:145], v[151:152], v[137:138], v[131:132]
	ds_read_b128 v[131:134], v130 offset:736
	ds_read_b128 v[135:138], v130 offset:752
	s_waitcnt vmcnt(17) lgkmcnt(1)
	v_fma_f64 v[131:132], v[159:160], v[131:132], v[144:145]
	buffer_load_dword v144, off, s[0:3], 0 offset:308
	s_waitcnt vmcnt(17)
	v_fma_f64 v[131:132], v[157:158], v[133:134], v[131:132]
	buffer_load_dword v146, off, s[0:3], 0 offset:316
	buffer_load_dword v151, off, s[0:3], 0 offset:336
	;; [unrolled: 1-line block ×8, first 2 shown]
	s_waitcnt vmcnt(24) lgkmcnt(0)
	v_fma_f64 v[131:132], v[153:154], v[135:136], v[131:132]
	s_waitcnt vmcnt(19)
	v_fma_f64 v[139:140], v[139:140], v[137:138], v[131:132]
	ds_read_b128 v[131:134], v130 offset:768
	ds_read_b128 v[135:138], v130 offset:784
	s_waitcnt vmcnt(18) lgkmcnt(1)
	v_fma_f64 v[131:132], v[163:164], v[131:132], v[139:140]
	s_waitcnt vmcnt(17)
	v_fma_f64 v[131:132], v[161:162], v[133:134], v[131:132]
	buffer_load_dword v140, off, s[0:3], 0 offset:348
	buffer_load_dword v153, off, s[0:3], 0 offset:368
	;; [unrolled: 1-line block ×8, first 2 shown]
	s_waitcnt vmcnt(24) lgkmcnt(0)
	v_fma_f64 v[131:132], v[155:156], v[135:136], v[131:132]
	s_waitcnt vmcnt(19)
	v_fma_f64 v[141:142], v[141:142], v[137:138], v[131:132]
	ds_read_b128 v[131:134], v130 offset:800
	ds_read_b128 v[135:138], v130 offset:816
	s_waitcnt vmcnt(18) lgkmcnt(1)
	v_fma_f64 v[131:132], v[149:150], v[131:132], v[141:142]
	s_waitcnt vmcnt(17)
	v_fma_f64 v[131:132], v[147:148], v[133:134], v[131:132]
	buffer_load_dword v142, off, s[0:3], 0 offset:380
	buffer_load_dword v147, off, s[0:3], 0 offset:400
	buffer_load_dword v149, off, s[0:3], 0 offset:392
	buffer_load_dword v155, off, s[0:3], 0 offset:384
	buffer_load_dword v141, off, s[0:3], 0 offset:376
	buffer_load_dword v156, off, s[0:3], 0 offset:388
	buffer_load_dword v150, off, s[0:3], 0 offset:396
	s_waitcnt vmcnt(23) lgkmcnt(0)
	v_fma_f64 v[131:132], v[143:144], v[135:136], v[131:132]
	s_waitcnt vmcnt(18)
	v_fma_f64 v[143:144], v[145:146], v[137:138], v[131:132]
	ds_read_b128 v[131:134], v130 offset:832
	ds_read_b128 v[135:138], v130 offset:848
	buffer_load_dword v148, off, s[0:3], 0 offset:404
	s_waitcnt vmcnt(18) lgkmcnt(1)
	v_fma_f64 v[131:132], v[159:160], v[131:132], v[143:144]
	s_waitcnt vmcnt(17)
	v_fma_f64 v[131:132], v[157:158], v[133:134], v[131:132]
	buffer_load_dword v144, off, s[0:3], 0 offset:412
	buffer_load_dword v145, off, s[0:3], 0 offset:432
	buffer_load_dword v157, off, s[0:3], 0 offset:424
	buffer_load_dword v159, off, s[0:3], 0 offset:416
	buffer_load_dword v143, off, s[0:3], 0 offset:408
	buffer_load_dword v160, off, s[0:3], 0 offset:420
	buffer_load_dword v158, off, s[0:3], 0 offset:428
	buffer_load_dword v146, off, s[0:3], 0 offset:436
	s_waitcnt vmcnt(24) lgkmcnt(0)
	v_fma_f64 v[131:132], v[151:152], v[135:136], v[131:132]
	s_waitcnt vmcnt(19)
	v_fma_f64 v[139:140], v[139:140], v[137:138], v[131:132]
	ds_read_b128 v[131:134], v130 offset:864
	ds_read_b128 v[135:138], v130 offset:880
	s_waitcnt vmcnt(18) lgkmcnt(1)
	v_fma_f64 v[131:132], v[163:164], v[131:132], v[139:140]
	s_waitcnt vmcnt(17)
	v_fma_f64 v[131:132], v[161:162], v[133:134], v[131:132]
	buffer_load_dword v140, off, s[0:3], 0 offset:444
	buffer_load_dword v151, off, s[0:3], 0 offset:464
	buffer_load_dword v161, off, s[0:3], 0 offset:456
	buffer_load_dword v163, off, s[0:3], 0 offset:448
	buffer_load_dword v139, off, s[0:3], 0 offset:440
	buffer_load_dword v164, off, s[0:3], 0 offset:452
	buffer_load_dword v162, off, s[0:3], 0 offset:460
	buffer_load_dword v152, off, s[0:3], 0 offset:468
	s_waitcnt vmcnt(24) lgkmcnt(0)
	v_fma_f64 v[131:132], v[153:154], v[135:136], v[131:132]
	s_waitcnt vmcnt(19)
	v_fma_f64 v[141:142], v[141:142], v[137:138], v[131:132]
	ds_read_b128 v[131:134], v130 offset:896
	ds_read_b128 v[135:138], v130 offset:912
	;; [unrolled: 18-line block ×3, first 2 shown]
	s_waitcnt vmcnt(18) lgkmcnt(1)
	v_fma_f64 v[131:132], v[159:160], v[131:132], v[143:144]
	buffer_load_dword v144, off, s[0:3], 0 offset:508
	buffer_load_dword v143, off, s[0:3], 0 offset:504
	;; [unrolled: 1-line block ×4, first 2 shown]
	s_waitcnt vmcnt(21)
	v_fma_f64 v[131:132], v[157:158], v[133:134], v[131:132]
	s_waitcnt vmcnt(20) lgkmcnt(0)
	v_fma_f64 v[131:132], v[145:146], v[135:136], v[131:132]
	s_waitcnt vmcnt(15)
	v_fma_f64 v[139:140], v[139:140], v[137:138], v[131:132]
	ds_read_b128 v[131:134], v130 offset:960
	ds_read_b128 v[135:138], v130 offset:976
	s_waitcnt vmcnt(14) lgkmcnt(1)
	v_fma_f64 v[131:132], v[163:164], v[131:132], v[139:140]
	s_waitcnt vmcnt(13)
	v_fma_f64 v[131:132], v[161:162], v[133:134], v[131:132]
	s_waitcnt vmcnt(12) lgkmcnt(0)
	v_fma_f64 v[131:132], v[151:152], v[135:136], v[131:132]
	s_waitcnt vmcnt(7)
	v_fma_f64 v[139:140], v[141:142], v[137:138], v[131:132]
	ds_read_b128 v[131:134], v130 offset:992
	ds_read_b128 v[135:138], v130 offset:1008
	s_waitcnt vmcnt(6) lgkmcnt(1)
	v_fma_f64 v[130:131], v[155:156], v[131:132], v[139:140]
	s_waitcnt vmcnt(5)
	v_fma_f64 v[130:131], v[153:154], v[133:134], v[130:131]
	s_waitcnt vmcnt(4) lgkmcnt(0)
	v_fma_f64 v[130:131], v[149:150], v[135:136], v[130:131]
	s_waitcnt vmcnt(2)
	v_fma_f64 v[130:131], v[143:144], v[137:138], v[130:131]
	s_waitcnt vmcnt(0)
	v_add_f64 v[130:131], v[147:148], -v[130:131]
	buffer_store_dword v131, off, s[0:3], 0 offset:60
	buffer_store_dword v130, off, s[0:3], 0 offset:56
	s_and_saveexec_b64 s[4:5], vcc
	s_cbranch_execz .LBB127_379
; %bb.378:
	buffer_load_dword v130, off, s[0:3], 0 offset:48
	buffer_load_dword v131, off, s[0:3], 0 offset:52
	v_mov_b32_e32 v132, 0
	buffer_store_dword v132, off, s[0:3], 0 offset:48
	buffer_store_dword v132, off, s[0:3], 0 offset:52
	s_waitcnt vmcnt(2)
	ds_write_b64 v129, v[130:131]
.LBB127_379:
	s_or_b64 exec, exec, s[4:5]
	s_waitcnt lgkmcnt(0)
	; wave barrier
	buffer_load_dword v139, off, s[0:3], 0 offset:56
	buffer_load_dword v140, off, s[0:3], 0 offset:60
	;; [unrolled: 1-line block ×21, first 2 shown]
	v_mov_b32_e32 v130, 0
	ds_read2_b64 v[131:134], v130 offset0:71 offset1:72
	ds_read2_b64 v[135:138], v130 offset0:73 offset1:74
	buffer_load_dword v156, off, s[0:3], 0 offset:140
	v_cmp_lt_u32_e32 vcc, 5, v0
	s_waitcnt vmcnt(20) lgkmcnt(1)
	v_fma_f64 v[131:132], v[139:140], v[131:132], 0
	s_waitcnt vmcnt(18)
	v_fma_f64 v[131:132], v[141:142], v[133:134], v[131:132]
	buffer_load_dword v140, off, s[0:3], 0 offset:148
	buffer_load_dword v141, off, s[0:3], 0 offset:168
	;; [unrolled: 1-line block ×7, first 2 shown]
	s_waitcnt vmcnt(23) lgkmcnt(0)
	v_fma_f64 v[131:132], v[143:144], v[135:136], v[131:132]
	s_waitcnt vmcnt(21)
	v_fma_f64 v[142:143], v[145:146], v[137:138], v[131:132]
	ds_read2_b64 v[131:134], v130 offset0:75 offset1:76
	ds_read2_b64 v[135:138], v130 offset0:77 offset1:78
	s_waitcnt vmcnt(19) lgkmcnt(1)
	v_fma_f64 v[131:132], v[147:148], v[131:132], v[142:143]
	buffer_load_dword v142, off, s[0:3], 0 offset:172
	s_waitcnt vmcnt(18)
	v_fma_f64 v[131:132], v[149:150], v[133:134], v[131:132]
	buffer_load_dword v144, off, s[0:3], 0 offset:180
	buffer_load_dword v145, off, s[0:3], 0 offset:200
	;; [unrolled: 1-line block ×7, first 2 shown]
	s_waitcnt vmcnt(23) lgkmcnt(0)
	v_fma_f64 v[131:132], v[151:152], v[135:136], v[131:132]
	s_waitcnt vmcnt(18)
	v_fma_f64 v[151:152], v[153:154], v[137:138], v[131:132]
	ds_read2_b64 v[131:134], v130 offset0:79 offset1:80
	ds_read2_b64 v[135:138], v130 offset0:81 offset1:82
	buffer_load_dword v146, off, s[0:3], 0 offset:204
	s_waitcnt vmcnt(18) lgkmcnt(1)
	v_fma_f64 v[131:132], v[159:160], v[131:132], v[151:152]
	s_waitcnt vmcnt(17)
	v_fma_f64 v[131:132], v[157:158], v[133:134], v[131:132]
	buffer_load_dword v152, off, s[0:3], 0 offset:212
	buffer_load_dword v153, off, s[0:3], 0 offset:232
	;; [unrolled: 1-line block ×7, first 2 shown]
	s_waitcnt vmcnt(23) lgkmcnt(0)
	v_fma_f64 v[131:132], v[155:156], v[135:136], v[131:132]
	s_waitcnt vmcnt(18)
	v_fma_f64 v[139:140], v[139:140], v[137:138], v[131:132]
	ds_read2_b64 v[131:134], v130 offset0:83 offset1:84
	ds_read2_b64 v[135:138], v130 offset0:85 offset1:86
	buffer_load_dword v154, off, s[0:3], 0 offset:236
	s_waitcnt vmcnt(18) lgkmcnt(1)
	v_fma_f64 v[131:132], v[163:164], v[131:132], v[139:140]
	s_waitcnt vmcnt(17)
	v_fma_f64 v[131:132], v[161:162], v[133:134], v[131:132]
	buffer_load_dword v140, off, s[0:3], 0 offset:244
	buffer_load_dword v155, off, s[0:3], 0 offset:264
	;; [unrolled: 1-line block ×8, first 2 shown]
	s_waitcnt vmcnt(24) lgkmcnt(0)
	v_fma_f64 v[131:132], v[141:142], v[135:136], v[131:132]
	s_waitcnt vmcnt(19)
	v_fma_f64 v[141:142], v[143:144], v[137:138], v[131:132]
	ds_read2_b64 v[131:134], v130 offset0:87 offset1:88
	ds_read2_b64 v[135:138], v130 offset0:89 offset1:90
	s_waitcnt vmcnt(18) lgkmcnt(1)
	v_fma_f64 v[131:132], v[149:150], v[131:132], v[141:142]
	s_waitcnt vmcnt(17)
	v_fma_f64 v[131:132], v[147:148], v[133:134], v[131:132]
	buffer_load_dword v142, off, s[0:3], 0 offset:276
	buffer_load_dword v143, off, s[0:3], 0 offset:296
	buffer_load_dword v147, off, s[0:3], 0 offset:288
	buffer_load_dword v149, off, s[0:3], 0 offset:280
	buffer_load_dword v141, off, s[0:3], 0 offset:272
	buffer_load_dword v150, off, s[0:3], 0 offset:284
	buffer_load_dword v148, off, s[0:3], 0 offset:292
	s_waitcnt vmcnt(23) lgkmcnt(0)
	v_fma_f64 v[131:132], v[145:146], v[135:136], v[131:132]
	s_waitcnt vmcnt(18)
	v_fma_f64 v[144:145], v[151:152], v[137:138], v[131:132]
	ds_read2_b64 v[131:134], v130 offset0:91 offset1:92
	ds_read2_b64 v[135:138], v130 offset0:93 offset1:94
	s_waitcnt vmcnt(17) lgkmcnt(1)
	v_fma_f64 v[131:132], v[159:160], v[131:132], v[144:145]
	buffer_load_dword v144, off, s[0:3], 0 offset:300
	s_waitcnt vmcnt(17)
	v_fma_f64 v[131:132], v[157:158], v[133:134], v[131:132]
	buffer_load_dword v146, off, s[0:3], 0 offset:308
	buffer_load_dword v151, off, s[0:3], 0 offset:328
	buffer_load_dword v157, off, s[0:3], 0 offset:320
	buffer_load_dword v159, off, s[0:3], 0 offset:312
	buffer_load_dword v145, off, s[0:3], 0 offset:304
	buffer_load_dword v160, off, s[0:3], 0 offset:316
	buffer_load_dword v158, off, s[0:3], 0 offset:324
	s_waitcnt vmcnt(23) lgkmcnt(0)
	v_fma_f64 v[131:132], v[153:154], v[135:136], v[131:132]
	s_waitcnt vmcnt(18)
	v_fma_f64 v[139:140], v[139:140], v[137:138], v[131:132]
	ds_read2_b64 v[131:134], v130 offset0:95 offset1:96
	ds_read2_b64 v[135:138], v130 offset0:97 offset1:98
	buffer_load_dword v152, off, s[0:3], 0 offset:332
	s_waitcnt vmcnt(18) lgkmcnt(1)
	v_fma_f64 v[131:132], v[163:164], v[131:132], v[139:140]
	s_waitcnt vmcnt(17)
	v_fma_f64 v[131:132], v[161:162], v[133:134], v[131:132]
	buffer_load_dword v140, off, s[0:3], 0 offset:340
	buffer_load_dword v153, off, s[0:3], 0 offset:360
	;; [unrolled: 1-line block ×8, first 2 shown]
	s_waitcnt vmcnt(24) lgkmcnt(0)
	v_fma_f64 v[131:132], v[155:156], v[135:136], v[131:132]
	s_waitcnt vmcnt(19)
	v_fma_f64 v[141:142], v[141:142], v[137:138], v[131:132]
	ds_read2_b64 v[131:134], v130 offset0:99 offset1:100
	ds_read2_b64 v[135:138], v130 offset0:101 offset1:102
	s_waitcnt vmcnt(18) lgkmcnt(1)
	v_fma_f64 v[131:132], v[149:150], v[131:132], v[141:142]
	s_waitcnt vmcnt(17)
	v_fma_f64 v[131:132], v[147:148], v[133:134], v[131:132]
	buffer_load_dword v142, off, s[0:3], 0 offset:372
	buffer_load_dword v147, off, s[0:3], 0 offset:392
	;; [unrolled: 1-line block ×7, first 2 shown]
	s_waitcnt vmcnt(23) lgkmcnt(0)
	v_fma_f64 v[131:132], v[143:144], v[135:136], v[131:132]
	s_waitcnt vmcnt(18)
	v_fma_f64 v[143:144], v[145:146], v[137:138], v[131:132]
	ds_read2_b64 v[131:134], v130 offset0:103 offset1:104
	ds_read2_b64 v[135:138], v130 offset0:105 offset1:106
	buffer_load_dword v148, off, s[0:3], 0 offset:396
	s_waitcnt vmcnt(18) lgkmcnt(1)
	v_fma_f64 v[131:132], v[159:160], v[131:132], v[143:144]
	s_waitcnt vmcnt(17)
	v_fma_f64 v[131:132], v[157:158], v[133:134], v[131:132]
	buffer_load_dword v144, off, s[0:3], 0 offset:404
	buffer_load_dword v145, off, s[0:3], 0 offset:424
	;; [unrolled: 1-line block ×7, first 2 shown]
	s_waitcnt vmcnt(23) lgkmcnt(0)
	v_fma_f64 v[131:132], v[151:152], v[135:136], v[131:132]
	s_waitcnt vmcnt(18)
	v_fma_f64 v[139:140], v[139:140], v[137:138], v[131:132]
	ds_read2_b64 v[131:134], v130 offset0:107 offset1:108
	ds_read2_b64 v[135:138], v130 offset0:109 offset1:110
	buffer_load_dword v146, off, s[0:3], 0 offset:428
	s_waitcnt vmcnt(18) lgkmcnt(1)
	v_fma_f64 v[131:132], v[163:164], v[131:132], v[139:140]
	s_waitcnt vmcnt(17)
	v_fma_f64 v[131:132], v[161:162], v[133:134], v[131:132]
	buffer_load_dword v140, off, s[0:3], 0 offset:436
	buffer_load_dword v151, off, s[0:3], 0 offset:456
	;; [unrolled: 1-line block ×8, first 2 shown]
	s_waitcnt vmcnt(24) lgkmcnt(0)
	v_fma_f64 v[131:132], v[153:154], v[135:136], v[131:132]
	s_waitcnt vmcnt(19)
	v_fma_f64 v[141:142], v[141:142], v[137:138], v[131:132]
	ds_read2_b64 v[131:134], v130 offset0:111 offset1:112
	ds_read2_b64 v[135:138], v130 offset0:113 offset1:114
	s_waitcnt vmcnt(18) lgkmcnt(1)
	v_fma_f64 v[131:132], v[155:156], v[131:132], v[141:142]
	s_waitcnt vmcnt(17)
	v_fma_f64 v[131:132], v[149:150], v[133:134], v[131:132]
	buffer_load_dword v142, off, s[0:3], 0 offset:468
	buffer_load_dword v149, off, s[0:3], 0 offset:488
	;; [unrolled: 1-line block ×7, first 2 shown]
	s_waitcnt vmcnt(23) lgkmcnt(0)
	v_fma_f64 v[131:132], v[147:148], v[135:136], v[131:132]
	s_waitcnt vmcnt(18)
	v_fma_f64 v[143:144], v[143:144], v[137:138], v[131:132]
	ds_read2_b64 v[131:134], v130 offset0:115 offset1:116
	ds_read2_b64 v[135:138], v130 offset0:117 offset1:118
	buffer_load_dword v150, off, s[0:3], 0 offset:492
	s_waitcnt vmcnt(18) lgkmcnt(1)
	v_fma_f64 v[131:132], v[159:160], v[131:132], v[143:144]
	buffer_load_dword v144, off, s[0:3], 0 offset:500
	buffer_load_dword v147, off, s[0:3], 0 offset:504
	;; [unrolled: 1-line block ×4, first 2 shown]
	s_waitcnt vmcnt(21)
	v_fma_f64 v[131:132], v[157:158], v[133:134], v[131:132]
	s_waitcnt vmcnt(20) lgkmcnt(0)
	v_fma_f64 v[131:132], v[145:146], v[135:136], v[131:132]
	buffer_load_dword v145, off, s[0:3], 0 offset:48
	buffer_load_dword v146, off, s[0:3], 0 offset:52
	s_waitcnt vmcnt(17)
	v_fma_f64 v[139:140], v[139:140], v[137:138], v[131:132]
	ds_read2_b64 v[131:134], v130 offset0:119 offset1:120
	ds_read2_b64 v[135:138], v130 offset0:121 offset1:122
	s_waitcnt vmcnt(16) lgkmcnt(1)
	v_fma_f64 v[131:132], v[163:164], v[131:132], v[139:140]
	s_waitcnt vmcnt(15)
	v_fma_f64 v[131:132], v[161:162], v[133:134], v[131:132]
	s_waitcnt vmcnt(14) lgkmcnt(0)
	v_fma_f64 v[131:132], v[151:152], v[135:136], v[131:132]
	s_waitcnt vmcnt(9)
	v_fma_f64 v[139:140], v[141:142], v[137:138], v[131:132]
	ds_read2_b64 v[131:134], v130 offset0:123 offset1:124
	ds_read2_b64 v[135:138], v130 offset0:125 offset1:126
	s_waitcnt vmcnt(8) lgkmcnt(1)
	v_fma_f64 v[131:132], v[155:156], v[131:132], v[139:140]
	s_waitcnt vmcnt(7)
	v_fma_f64 v[131:132], v[153:154], v[133:134], v[131:132]
	ds_read_b64 v[133:134], v130 offset:1016
	s_waitcnt vmcnt(6) lgkmcnt(1)
	v_fma_f64 v[131:132], v[149:150], v[135:136], v[131:132]
	s_waitcnt vmcnt(3)
	v_fma_f64 v[131:132], v[143:144], v[137:138], v[131:132]
	s_waitcnt vmcnt(2) lgkmcnt(0)
	v_fma_f64 v[131:132], v[147:148], v[133:134], v[131:132]
	s_waitcnt vmcnt(0)
	v_add_f64 v[131:132], v[145:146], -v[131:132]
	buffer_store_dword v132, off, s[0:3], 0 offset:52
	buffer_store_dword v131, off, s[0:3], 0 offset:48
	s_and_saveexec_b64 s[4:5], vcc
	s_cbranch_execz .LBB127_381
; %bb.380:
	buffer_load_dword v131, off, s[0:3], 0 offset:40
	buffer_load_dword v132, off, s[0:3], 0 offset:44
	s_waitcnt vmcnt(0)
	ds_write_b64 v129, v[131:132]
	buffer_store_dword v130, off, s[0:3], 0 offset:40
	buffer_store_dword v130, off, s[0:3], 0 offset:44
.LBB127_381:
	s_or_b64 exec, exec, s[4:5]
	s_waitcnt lgkmcnt(0)
	; wave barrier
	buffer_load_dword v139, off, s[0:3], 0 offset:48
	buffer_load_dword v140, off, s[0:3], 0 offset:52
	;; [unrolled: 1-line block ×21, first 2 shown]
	ds_read_b128 v[131:134], v130 offset:560
	ds_read_b128 v[135:138], v130 offset:576
	buffer_load_dword v156, off, s[0:3], 0 offset:132
	v_cmp_lt_u32_e32 vcc, 4, v0
	s_waitcnt vmcnt(20) lgkmcnt(1)
	v_fma_f64 v[131:132], v[139:140], v[131:132], 0
	s_waitcnt vmcnt(18)
	v_fma_f64 v[131:132], v[141:142], v[133:134], v[131:132]
	buffer_load_dword v140, off, s[0:3], 0 offset:140
	buffer_load_dword v141, off, s[0:3], 0 offset:160
	;; [unrolled: 1-line block ×7, first 2 shown]
	s_waitcnt vmcnt(23) lgkmcnt(0)
	v_fma_f64 v[131:132], v[143:144], v[135:136], v[131:132]
	s_waitcnt vmcnt(21)
	v_fma_f64 v[142:143], v[145:146], v[137:138], v[131:132]
	ds_read_b128 v[131:134], v130 offset:592
	ds_read_b128 v[135:138], v130 offset:608
	s_waitcnt vmcnt(19) lgkmcnt(1)
	v_fma_f64 v[131:132], v[147:148], v[131:132], v[142:143]
	buffer_load_dword v142, off, s[0:3], 0 offset:164
	s_waitcnt vmcnt(18)
	v_fma_f64 v[131:132], v[149:150], v[133:134], v[131:132]
	buffer_load_dword v144, off, s[0:3], 0 offset:172
	buffer_load_dword v145, off, s[0:3], 0 offset:192
	;; [unrolled: 1-line block ×8, first 2 shown]
	s_waitcnt vmcnt(24) lgkmcnt(0)
	v_fma_f64 v[131:132], v[151:152], v[135:136], v[131:132]
	s_waitcnt vmcnt(19)
	v_fma_f64 v[151:152], v[153:154], v[137:138], v[131:132]
	ds_read_b128 v[131:134], v130 offset:624
	ds_read_b128 v[135:138], v130 offset:640
	s_waitcnt vmcnt(18) lgkmcnt(1)
	v_fma_f64 v[131:132], v[159:160], v[131:132], v[151:152]
	s_waitcnt vmcnt(17)
	v_fma_f64 v[131:132], v[157:158], v[133:134], v[131:132]
	buffer_load_dword v152, off, s[0:3], 0 offset:204
	buffer_load_dword v153, off, s[0:3], 0 offset:224
	;; [unrolled: 1-line block ×7, first 2 shown]
	s_waitcnt vmcnt(23) lgkmcnt(0)
	v_fma_f64 v[131:132], v[155:156], v[135:136], v[131:132]
	s_waitcnt vmcnt(18)
	v_fma_f64 v[139:140], v[139:140], v[137:138], v[131:132]
	ds_read_b128 v[131:134], v130 offset:656
	ds_read_b128 v[135:138], v130 offset:672
	buffer_load_dword v154, off, s[0:3], 0 offset:228
	s_waitcnt vmcnt(18) lgkmcnt(1)
	v_fma_f64 v[131:132], v[163:164], v[131:132], v[139:140]
	s_waitcnt vmcnt(17)
	v_fma_f64 v[131:132], v[161:162], v[133:134], v[131:132]
	buffer_load_dword v140, off, s[0:3], 0 offset:236
	buffer_load_dword v155, off, s[0:3], 0 offset:256
	;; [unrolled: 1-line block ×8, first 2 shown]
	s_waitcnt vmcnt(24) lgkmcnt(0)
	v_fma_f64 v[131:132], v[141:142], v[135:136], v[131:132]
	s_waitcnt vmcnt(19)
	v_fma_f64 v[141:142], v[143:144], v[137:138], v[131:132]
	ds_read_b128 v[131:134], v130 offset:688
	ds_read_b128 v[135:138], v130 offset:704
	s_waitcnt vmcnt(18) lgkmcnt(1)
	v_fma_f64 v[131:132], v[149:150], v[131:132], v[141:142]
	s_waitcnt vmcnt(17)
	v_fma_f64 v[131:132], v[147:148], v[133:134], v[131:132]
	buffer_load_dword v142, off, s[0:3], 0 offset:268
	buffer_load_dword v143, off, s[0:3], 0 offset:288
	;; [unrolled: 1-line block ×7, first 2 shown]
	s_waitcnt vmcnt(23) lgkmcnt(0)
	v_fma_f64 v[131:132], v[145:146], v[135:136], v[131:132]
	s_waitcnt vmcnt(18)
	v_fma_f64 v[144:145], v[151:152], v[137:138], v[131:132]
	ds_read_b128 v[131:134], v130 offset:720
	ds_read_b128 v[135:138], v130 offset:736
	s_waitcnt vmcnt(17) lgkmcnt(1)
	v_fma_f64 v[131:132], v[159:160], v[131:132], v[144:145]
	buffer_load_dword v144, off, s[0:3], 0 offset:292
	s_waitcnt vmcnt(17)
	v_fma_f64 v[131:132], v[157:158], v[133:134], v[131:132]
	buffer_load_dword v146, off, s[0:3], 0 offset:300
	buffer_load_dword v151, off, s[0:3], 0 offset:320
	;; [unrolled: 1-line block ×7, first 2 shown]
	s_waitcnt vmcnt(23) lgkmcnt(0)
	v_fma_f64 v[131:132], v[153:154], v[135:136], v[131:132]
	s_waitcnt vmcnt(18)
	v_fma_f64 v[139:140], v[139:140], v[137:138], v[131:132]
	ds_read_b128 v[131:134], v130 offset:752
	ds_read_b128 v[135:138], v130 offset:768
	buffer_load_dword v152, off, s[0:3], 0 offset:324
	s_waitcnt vmcnt(18) lgkmcnt(1)
	v_fma_f64 v[131:132], v[163:164], v[131:132], v[139:140]
	s_waitcnt vmcnt(17)
	v_fma_f64 v[131:132], v[161:162], v[133:134], v[131:132]
	buffer_load_dword v140, off, s[0:3], 0 offset:332
	buffer_load_dword v153, off, s[0:3], 0 offset:352
	;; [unrolled: 1-line block ×8, first 2 shown]
	s_waitcnt vmcnt(24) lgkmcnt(0)
	v_fma_f64 v[131:132], v[155:156], v[135:136], v[131:132]
	s_waitcnt vmcnt(19)
	v_fma_f64 v[141:142], v[141:142], v[137:138], v[131:132]
	ds_read_b128 v[131:134], v130 offset:784
	ds_read_b128 v[135:138], v130 offset:800
	s_waitcnt vmcnt(18) lgkmcnt(1)
	v_fma_f64 v[131:132], v[149:150], v[131:132], v[141:142]
	s_waitcnt vmcnt(17)
	v_fma_f64 v[131:132], v[147:148], v[133:134], v[131:132]
	buffer_load_dword v142, off, s[0:3], 0 offset:364
	buffer_load_dword v147, off, s[0:3], 0 offset:384
	;; [unrolled: 1-line block ×8, first 2 shown]
	s_waitcnt vmcnt(24) lgkmcnt(0)
	v_fma_f64 v[131:132], v[143:144], v[135:136], v[131:132]
	s_waitcnt vmcnt(19)
	v_fma_f64 v[143:144], v[145:146], v[137:138], v[131:132]
	ds_read_b128 v[131:134], v130 offset:816
	ds_read_b128 v[135:138], v130 offset:832
	s_waitcnt vmcnt(18) lgkmcnt(1)
	v_fma_f64 v[131:132], v[159:160], v[131:132], v[143:144]
	s_waitcnt vmcnt(17)
	v_fma_f64 v[131:132], v[157:158], v[133:134], v[131:132]
	buffer_load_dword v144, off, s[0:3], 0 offset:396
	buffer_load_dword v145, off, s[0:3], 0 offset:416
	;; [unrolled: 1-line block ×7, first 2 shown]
	s_waitcnt vmcnt(23) lgkmcnt(0)
	v_fma_f64 v[131:132], v[151:152], v[135:136], v[131:132]
	s_waitcnt vmcnt(18)
	v_fma_f64 v[139:140], v[139:140], v[137:138], v[131:132]
	ds_read_b128 v[131:134], v130 offset:848
	ds_read_b128 v[135:138], v130 offset:864
	buffer_load_dword v146, off, s[0:3], 0 offset:420
	s_waitcnt vmcnt(18) lgkmcnt(1)
	v_fma_f64 v[131:132], v[163:164], v[131:132], v[139:140]
	s_waitcnt vmcnt(17)
	v_fma_f64 v[131:132], v[161:162], v[133:134], v[131:132]
	buffer_load_dword v140, off, s[0:3], 0 offset:428
	buffer_load_dword v151, off, s[0:3], 0 offset:448
	;; [unrolled: 1-line block ×8, first 2 shown]
	s_waitcnt vmcnt(24) lgkmcnt(0)
	v_fma_f64 v[131:132], v[153:154], v[135:136], v[131:132]
	s_waitcnt vmcnt(19)
	v_fma_f64 v[141:142], v[141:142], v[137:138], v[131:132]
	ds_read_b128 v[131:134], v130 offset:880
	ds_read_b128 v[135:138], v130 offset:896
	s_waitcnt vmcnt(18) lgkmcnt(1)
	v_fma_f64 v[131:132], v[155:156], v[131:132], v[141:142]
	s_waitcnt vmcnt(17)
	v_fma_f64 v[131:132], v[149:150], v[133:134], v[131:132]
	buffer_load_dword v142, off, s[0:3], 0 offset:460
	buffer_load_dword v149, off, s[0:3], 0 offset:480
	;; [unrolled: 1-line block ×8, first 2 shown]
	s_waitcnt vmcnt(24) lgkmcnt(0)
	v_fma_f64 v[131:132], v[147:148], v[135:136], v[131:132]
	s_waitcnt vmcnt(19)
	v_fma_f64 v[143:144], v[143:144], v[137:138], v[131:132]
	ds_read_b128 v[131:134], v130 offset:912
	ds_read_b128 v[135:138], v130 offset:928
	s_waitcnt vmcnt(18) lgkmcnt(1)
	v_fma_f64 v[131:132], v[159:160], v[131:132], v[143:144]
	s_waitcnt vmcnt(17)
	v_fma_f64 v[131:132], v[157:158], v[133:134], v[131:132]
	buffer_load_dword v144, off, s[0:3], 0 offset:492
	buffer_load_dword v147, off, s[0:3], 0 offset:504
	;; [unrolled: 1-line block ×6, first 2 shown]
	s_waitcnt vmcnt(22) lgkmcnt(0)
	v_fma_f64 v[131:132], v[145:146], v[135:136], v[131:132]
	s_waitcnt vmcnt(17)
	v_fma_f64 v[139:140], v[139:140], v[137:138], v[131:132]
	ds_read_b128 v[131:134], v130 offset:944
	buffer_load_dword v145, off, s[0:3], 0 offset:40
	buffer_load_dword v146, off, s[0:3], 0 offset:44
	ds_read_b128 v[135:138], v130 offset:960
	s_waitcnt vmcnt(18) lgkmcnt(1)
	v_fma_f64 v[131:132], v[163:164], v[131:132], v[139:140]
	s_waitcnt vmcnt(17)
	v_fma_f64 v[131:132], v[161:162], v[133:134], v[131:132]
	s_waitcnt vmcnt(16) lgkmcnt(0)
	v_fma_f64 v[131:132], v[151:152], v[135:136], v[131:132]
	s_waitcnt vmcnt(11)
	v_fma_f64 v[139:140], v[141:142], v[137:138], v[131:132]
	ds_read_b128 v[131:134], v130 offset:976
	ds_read_b128 v[135:138], v130 offset:992
	s_waitcnt vmcnt(10) lgkmcnt(1)
	v_fma_f64 v[131:132], v[155:156], v[131:132], v[139:140]
	s_waitcnt vmcnt(9)
	v_fma_f64 v[131:132], v[153:154], v[133:134], v[131:132]
	s_waitcnt vmcnt(8) lgkmcnt(0)
	v_fma_f64 v[131:132], v[149:150], v[135:136], v[131:132]
	s_waitcnt vmcnt(4)
	v_fma_f64 v[134:135], v[143:144], v[137:138], v[131:132]
	ds_read_b128 v[130:133], v130 offset:1008
	s_waitcnt vmcnt(3) lgkmcnt(0)
	v_fma_f64 v[130:131], v[157:158], v[130:131], v[134:135]
	s_waitcnt vmcnt(2)
	v_fma_f64 v[130:131], v[147:148], v[132:133], v[130:131]
	s_waitcnt vmcnt(0)
	v_add_f64 v[130:131], v[145:146], -v[130:131]
	buffer_store_dword v131, off, s[0:3], 0 offset:44
	buffer_store_dword v130, off, s[0:3], 0 offset:40
	s_and_saveexec_b64 s[4:5], vcc
	s_cbranch_execz .LBB127_383
; %bb.382:
	buffer_load_dword v130, off, s[0:3], 0 offset:32
	buffer_load_dword v131, off, s[0:3], 0 offset:36
	v_mov_b32_e32 v132, 0
	buffer_store_dword v132, off, s[0:3], 0 offset:32
	buffer_store_dword v132, off, s[0:3], 0 offset:36
	s_waitcnt vmcnt(2)
	ds_write_b64 v129, v[130:131]
.LBB127_383:
	s_or_b64 exec, exec, s[4:5]
	s_waitcnt lgkmcnt(0)
	; wave barrier
	buffer_load_dword v139, off, s[0:3], 0 offset:40
	buffer_load_dword v140, off, s[0:3], 0 offset:44
	buffer_load_dword v141, off, s[0:3], 0 offset:48
	buffer_load_dword v142, off, s[0:3], 0 offset:52
	buffer_load_dword v143, off, s[0:3], 0 offset:56
	buffer_load_dword v144, off, s[0:3], 0 offset:60
	buffer_load_dword v145, off, s[0:3], 0 offset:64
	buffer_load_dword v146, off, s[0:3], 0 offset:68
	buffer_load_dword v147, off, s[0:3], 0 offset:72
	buffer_load_dword v148, off, s[0:3], 0 offset:76
	buffer_load_dword v149, off, s[0:3], 0 offset:80
	buffer_load_dword v150, off, s[0:3], 0 offset:84
	buffer_load_dword v151, off, s[0:3], 0 offset:88
	buffer_load_dword v152, off, s[0:3], 0 offset:92
	buffer_load_dword v154, off, s[0:3], 0 offset:100
	buffer_load_dword v155, off, s[0:3], 0 offset:120
	buffer_load_dword v157, off, s[0:3], 0 offset:112
	buffer_load_dword v159, off, s[0:3], 0 offset:104
	buffer_load_dword v153, off, s[0:3], 0 offset:96
	buffer_load_dword v160, off, s[0:3], 0 offset:108
	buffer_load_dword v158, off, s[0:3], 0 offset:116
	v_mov_b32_e32 v130, 0
	ds_read2_b64 v[131:134], v130 offset0:69 offset1:70
	ds_read2_b64 v[135:138], v130 offset0:71 offset1:72
	buffer_load_dword v156, off, s[0:3], 0 offset:124
	v_cmp_lt_u32_e32 vcc, 3, v0
	s_waitcnt vmcnt(20) lgkmcnt(1)
	v_fma_f64 v[131:132], v[139:140], v[131:132], 0
	s_waitcnt vmcnt(18)
	v_fma_f64 v[131:132], v[141:142], v[133:134], v[131:132]
	buffer_load_dword v140, off, s[0:3], 0 offset:132
	buffer_load_dword v141, off, s[0:3], 0 offset:152
	;; [unrolled: 1-line block ×7, first 2 shown]
	s_waitcnt vmcnt(23) lgkmcnt(0)
	v_fma_f64 v[131:132], v[143:144], v[135:136], v[131:132]
	s_waitcnt vmcnt(21)
	v_fma_f64 v[142:143], v[145:146], v[137:138], v[131:132]
	ds_read2_b64 v[131:134], v130 offset0:73 offset1:74
	ds_read2_b64 v[135:138], v130 offset0:75 offset1:76
	s_waitcnt vmcnt(19) lgkmcnt(1)
	v_fma_f64 v[131:132], v[147:148], v[131:132], v[142:143]
	buffer_load_dword v142, off, s[0:3], 0 offset:156
	s_waitcnt vmcnt(18)
	v_fma_f64 v[131:132], v[149:150], v[133:134], v[131:132]
	buffer_load_dword v144, off, s[0:3], 0 offset:164
	buffer_load_dword v145, off, s[0:3], 0 offset:184
	;; [unrolled: 1-line block ×8, first 2 shown]
	s_waitcnt vmcnt(24) lgkmcnt(0)
	v_fma_f64 v[131:132], v[151:152], v[135:136], v[131:132]
	s_waitcnt vmcnt(19)
	v_fma_f64 v[151:152], v[153:154], v[137:138], v[131:132]
	ds_read2_b64 v[131:134], v130 offset0:77 offset1:78
	ds_read2_b64 v[135:138], v130 offset0:79 offset1:80
	s_waitcnt vmcnt(18) lgkmcnt(1)
	v_fma_f64 v[131:132], v[159:160], v[131:132], v[151:152]
	s_waitcnt vmcnt(17)
	v_fma_f64 v[131:132], v[157:158], v[133:134], v[131:132]
	buffer_load_dword v152, off, s[0:3], 0 offset:196
	buffer_load_dword v153, off, s[0:3], 0 offset:216
	;; [unrolled: 1-line block ×7, first 2 shown]
	s_waitcnt vmcnt(23) lgkmcnt(0)
	v_fma_f64 v[131:132], v[155:156], v[135:136], v[131:132]
	s_waitcnt vmcnt(18)
	v_fma_f64 v[139:140], v[139:140], v[137:138], v[131:132]
	ds_read2_b64 v[131:134], v130 offset0:81 offset1:82
	ds_read2_b64 v[135:138], v130 offset0:83 offset1:84
	buffer_load_dword v154, off, s[0:3], 0 offset:220
	s_waitcnt vmcnt(18) lgkmcnt(1)
	v_fma_f64 v[131:132], v[163:164], v[131:132], v[139:140]
	s_waitcnt vmcnt(17)
	v_fma_f64 v[131:132], v[161:162], v[133:134], v[131:132]
	buffer_load_dword v140, off, s[0:3], 0 offset:228
	buffer_load_dword v155, off, s[0:3], 0 offset:248
	;; [unrolled: 1-line block ×8, first 2 shown]
	s_waitcnt vmcnt(24) lgkmcnt(0)
	v_fma_f64 v[131:132], v[141:142], v[135:136], v[131:132]
	s_waitcnt vmcnt(19)
	v_fma_f64 v[141:142], v[143:144], v[137:138], v[131:132]
	ds_read2_b64 v[131:134], v130 offset0:85 offset1:86
	ds_read2_b64 v[135:138], v130 offset0:87 offset1:88
	s_waitcnt vmcnt(18) lgkmcnt(1)
	v_fma_f64 v[131:132], v[149:150], v[131:132], v[141:142]
	s_waitcnt vmcnt(17)
	v_fma_f64 v[131:132], v[147:148], v[133:134], v[131:132]
	buffer_load_dword v142, off, s[0:3], 0 offset:260
	buffer_load_dword v143, off, s[0:3], 0 offset:280
	;; [unrolled: 1-line block ×7, first 2 shown]
	s_waitcnt vmcnt(23) lgkmcnt(0)
	v_fma_f64 v[131:132], v[145:146], v[135:136], v[131:132]
	s_waitcnt vmcnt(18)
	v_fma_f64 v[144:145], v[151:152], v[137:138], v[131:132]
	ds_read2_b64 v[131:134], v130 offset0:89 offset1:90
	ds_read2_b64 v[135:138], v130 offset0:91 offset1:92
	s_waitcnt vmcnt(17) lgkmcnt(1)
	v_fma_f64 v[131:132], v[159:160], v[131:132], v[144:145]
	buffer_load_dword v144, off, s[0:3], 0 offset:284
	s_waitcnt vmcnt(17)
	v_fma_f64 v[131:132], v[157:158], v[133:134], v[131:132]
	buffer_load_dword v146, off, s[0:3], 0 offset:292
	buffer_load_dword v151, off, s[0:3], 0 offset:312
	;; [unrolled: 1-line block ×7, first 2 shown]
	s_waitcnt vmcnt(23) lgkmcnt(0)
	v_fma_f64 v[131:132], v[153:154], v[135:136], v[131:132]
	s_waitcnt vmcnt(18)
	v_fma_f64 v[139:140], v[139:140], v[137:138], v[131:132]
	ds_read2_b64 v[131:134], v130 offset0:93 offset1:94
	ds_read2_b64 v[135:138], v130 offset0:95 offset1:96
	buffer_load_dword v152, off, s[0:3], 0 offset:316
	s_waitcnt vmcnt(18) lgkmcnt(1)
	v_fma_f64 v[131:132], v[163:164], v[131:132], v[139:140]
	s_waitcnt vmcnt(17)
	v_fma_f64 v[131:132], v[161:162], v[133:134], v[131:132]
	buffer_load_dword v140, off, s[0:3], 0 offset:324
	buffer_load_dword v153, off, s[0:3], 0 offset:344
	;; [unrolled: 1-line block ×8, first 2 shown]
	s_waitcnt vmcnt(24) lgkmcnt(0)
	v_fma_f64 v[131:132], v[155:156], v[135:136], v[131:132]
	s_waitcnt vmcnt(19)
	v_fma_f64 v[141:142], v[141:142], v[137:138], v[131:132]
	ds_read2_b64 v[131:134], v130 offset0:97 offset1:98
	ds_read2_b64 v[135:138], v130 offset0:99 offset1:100
	s_waitcnt vmcnt(18) lgkmcnt(1)
	v_fma_f64 v[131:132], v[149:150], v[131:132], v[141:142]
	s_waitcnt vmcnt(17)
	v_fma_f64 v[131:132], v[147:148], v[133:134], v[131:132]
	buffer_load_dword v142, off, s[0:3], 0 offset:356
	buffer_load_dword v147, off, s[0:3], 0 offset:376
	;; [unrolled: 1-line block ×8, first 2 shown]
	s_waitcnt vmcnt(24) lgkmcnt(0)
	v_fma_f64 v[131:132], v[143:144], v[135:136], v[131:132]
	s_waitcnt vmcnt(19)
	v_fma_f64 v[143:144], v[145:146], v[137:138], v[131:132]
	ds_read2_b64 v[131:134], v130 offset0:101 offset1:102
	ds_read2_b64 v[135:138], v130 offset0:103 offset1:104
	s_waitcnt vmcnt(18) lgkmcnt(1)
	v_fma_f64 v[131:132], v[159:160], v[131:132], v[143:144]
	s_waitcnt vmcnt(17)
	v_fma_f64 v[131:132], v[157:158], v[133:134], v[131:132]
	buffer_load_dword v144, off, s[0:3], 0 offset:388
	buffer_load_dword v145, off, s[0:3], 0 offset:408
	buffer_load_dword v157, off, s[0:3], 0 offset:400
	buffer_load_dword v159, off, s[0:3], 0 offset:392
	buffer_load_dword v143, off, s[0:3], 0 offset:384
	buffer_load_dword v160, off, s[0:3], 0 offset:396
	buffer_load_dword v158, off, s[0:3], 0 offset:404
	s_waitcnt vmcnt(23) lgkmcnt(0)
	v_fma_f64 v[131:132], v[151:152], v[135:136], v[131:132]
	s_waitcnt vmcnt(18)
	v_fma_f64 v[139:140], v[139:140], v[137:138], v[131:132]
	ds_read2_b64 v[131:134], v130 offset0:105 offset1:106
	ds_read2_b64 v[135:138], v130 offset0:107 offset1:108
	buffer_load_dword v146, off, s[0:3], 0 offset:412
	s_waitcnt vmcnt(18) lgkmcnt(1)
	v_fma_f64 v[131:132], v[163:164], v[131:132], v[139:140]
	s_waitcnt vmcnt(17)
	v_fma_f64 v[131:132], v[161:162], v[133:134], v[131:132]
	buffer_load_dword v140, off, s[0:3], 0 offset:420
	buffer_load_dword v151, off, s[0:3], 0 offset:440
	buffer_load_dword v161, off, s[0:3], 0 offset:432
	buffer_load_dword v163, off, s[0:3], 0 offset:424
	buffer_load_dword v139, off, s[0:3], 0 offset:416
	buffer_load_dword v164, off, s[0:3], 0 offset:428
	buffer_load_dword v162, off, s[0:3], 0 offset:436
	buffer_load_dword v152, off, s[0:3], 0 offset:444
	s_waitcnt vmcnt(24) lgkmcnt(0)
	v_fma_f64 v[131:132], v[153:154], v[135:136], v[131:132]
	s_waitcnt vmcnt(19)
	v_fma_f64 v[141:142], v[141:142], v[137:138], v[131:132]
	ds_read2_b64 v[131:134], v130 offset0:109 offset1:110
	ds_read2_b64 v[135:138], v130 offset0:111 offset1:112
	s_waitcnt vmcnt(18) lgkmcnt(1)
	v_fma_f64 v[131:132], v[155:156], v[131:132], v[141:142]
	s_waitcnt vmcnt(17)
	v_fma_f64 v[131:132], v[149:150], v[133:134], v[131:132]
	buffer_load_dword v142, off, s[0:3], 0 offset:452
	buffer_load_dword v149, off, s[0:3], 0 offset:472
	buffer_load_dword v153, off, s[0:3], 0 offset:464
	buffer_load_dword v155, off, s[0:3], 0 offset:456
	buffer_load_dword v141, off, s[0:3], 0 offset:448
	buffer_load_dword v156, off, s[0:3], 0 offset:460
	buffer_load_dword v154, off, s[0:3], 0 offset:468
	buffer_load_dword v150, off, s[0:3], 0 offset:476
	s_waitcnt vmcnt(24) lgkmcnt(0)
	v_fma_f64 v[131:132], v[147:148], v[135:136], v[131:132]
	s_waitcnt vmcnt(19)
	v_fma_f64 v[143:144], v[143:144], v[137:138], v[131:132]
	ds_read2_b64 v[131:134], v130 offset0:113 offset1:114
	ds_read2_b64 v[135:138], v130 offset0:115 offset1:116
	;; [unrolled: 18-line block ×3, first 2 shown]
	s_waitcnt vmcnt(18) lgkmcnt(1)
	v_fma_f64 v[131:132], v[163:164], v[131:132], v[139:140]
	buffer_load_dword v139, off, s[0:3], 0 offset:32
	buffer_load_dword v140, off, s[0:3], 0 offset:36
	s_waitcnt vmcnt(19)
	v_fma_f64 v[131:132], v[161:162], v[133:134], v[131:132]
	s_waitcnt vmcnt(18) lgkmcnt(0)
	v_fma_f64 v[131:132], v[151:152], v[135:136], v[131:132]
	s_waitcnt vmcnt(13)
	v_fma_f64 v[141:142], v[141:142], v[137:138], v[131:132]
	ds_read2_b64 v[131:134], v130 offset0:121 offset1:122
	ds_read2_b64 v[135:138], v130 offset0:123 offset1:124
	s_waitcnt vmcnt(12) lgkmcnt(1)
	v_fma_f64 v[131:132], v[155:156], v[131:132], v[141:142]
	s_waitcnt vmcnt(11)
	v_fma_f64 v[131:132], v[153:154], v[133:134], v[131:132]
	s_waitcnt vmcnt(10) lgkmcnt(0)
	v_fma_f64 v[131:132], v[149:150], v[135:136], v[131:132]
	s_waitcnt vmcnt(5)
	v_fma_f64 v[135:136], v[143:144], v[137:138], v[131:132]
	ds_read2_b64 v[131:134], v130 offset0:125 offset1:126
	ds_read_b64 v[137:138], v130 offset:1016
	s_waitcnt vmcnt(4) lgkmcnt(1)
	v_fma_f64 v[131:132], v[159:160], v[131:132], v[135:136]
	s_waitcnt vmcnt(3)
	v_fma_f64 v[131:132], v[157:158], v[133:134], v[131:132]
	s_waitcnt vmcnt(2) lgkmcnt(0)
	v_fma_f64 v[131:132], v[147:148], v[137:138], v[131:132]
	s_waitcnt vmcnt(0)
	v_add_f64 v[131:132], v[139:140], -v[131:132]
	buffer_store_dword v132, off, s[0:3], 0 offset:36
	buffer_store_dword v131, off, s[0:3], 0 offset:32
	s_and_saveexec_b64 s[4:5], vcc
	s_cbranch_execz .LBB127_385
; %bb.384:
	buffer_load_dword v131, off, s[0:3], 0 offset:24
	buffer_load_dword v132, off, s[0:3], 0 offset:28
	s_waitcnt vmcnt(0)
	ds_write_b64 v129, v[131:132]
	buffer_store_dword v130, off, s[0:3], 0 offset:24
	buffer_store_dword v130, off, s[0:3], 0 offset:28
.LBB127_385:
	s_or_b64 exec, exec, s[4:5]
	s_waitcnt lgkmcnt(0)
	; wave barrier
	buffer_load_dword v139, off, s[0:3], 0 offset:32
	buffer_load_dword v140, off, s[0:3], 0 offset:36
	;; [unrolled: 1-line block ×21, first 2 shown]
	ds_read_b128 v[131:134], v130 offset:544
	ds_read_b128 v[135:138], v130 offset:560
	buffer_load_dword v156, off, s[0:3], 0 offset:116
	v_cmp_lt_u32_e32 vcc, 2, v0
	s_waitcnt vmcnt(20) lgkmcnt(1)
	v_fma_f64 v[131:132], v[139:140], v[131:132], 0
	s_waitcnt vmcnt(18)
	v_fma_f64 v[131:132], v[141:142], v[133:134], v[131:132]
	buffer_load_dword v140, off, s[0:3], 0 offset:124
	buffer_load_dword v141, off, s[0:3], 0 offset:144
	;; [unrolled: 1-line block ×7, first 2 shown]
	s_waitcnt vmcnt(23) lgkmcnt(0)
	v_fma_f64 v[131:132], v[143:144], v[135:136], v[131:132]
	s_waitcnt vmcnt(21)
	v_fma_f64 v[142:143], v[145:146], v[137:138], v[131:132]
	ds_read_b128 v[131:134], v130 offset:576
	ds_read_b128 v[135:138], v130 offset:592
	s_waitcnt vmcnt(19) lgkmcnt(1)
	v_fma_f64 v[131:132], v[147:148], v[131:132], v[142:143]
	buffer_load_dword v142, off, s[0:3], 0 offset:148
	s_waitcnt vmcnt(18)
	v_fma_f64 v[131:132], v[149:150], v[133:134], v[131:132]
	buffer_load_dword v144, off, s[0:3], 0 offset:156
	buffer_load_dword v145, off, s[0:3], 0 offset:176
	buffer_load_dword v147, off, s[0:3], 0 offset:168
	buffer_load_dword v149, off, s[0:3], 0 offset:160
	buffer_load_dword v143, off, s[0:3], 0 offset:152
	buffer_load_dword v150, off, s[0:3], 0 offset:164
	buffer_load_dword v148, off, s[0:3], 0 offset:172
	buffer_load_dword v146, off, s[0:3], 0 offset:180
	s_waitcnt vmcnt(24) lgkmcnt(0)
	v_fma_f64 v[131:132], v[151:152], v[135:136], v[131:132]
	s_waitcnt vmcnt(19)
	v_fma_f64 v[151:152], v[153:154], v[137:138], v[131:132]
	ds_read_b128 v[131:134], v130 offset:608
	ds_read_b128 v[135:138], v130 offset:624
	s_waitcnt vmcnt(18) lgkmcnt(1)
	v_fma_f64 v[131:132], v[159:160], v[131:132], v[151:152]
	s_waitcnt vmcnt(17)
	v_fma_f64 v[131:132], v[157:158], v[133:134], v[131:132]
	buffer_load_dword v152, off, s[0:3], 0 offset:188
	buffer_load_dword v153, off, s[0:3], 0 offset:208
	;; [unrolled: 1-line block ×7, first 2 shown]
	s_waitcnt vmcnt(23) lgkmcnt(0)
	v_fma_f64 v[131:132], v[155:156], v[135:136], v[131:132]
	s_waitcnt vmcnt(18)
	v_fma_f64 v[139:140], v[139:140], v[137:138], v[131:132]
	ds_read_b128 v[131:134], v130 offset:640
	ds_read_b128 v[135:138], v130 offset:656
	buffer_load_dword v154, off, s[0:3], 0 offset:212
	s_waitcnt vmcnt(18) lgkmcnt(1)
	v_fma_f64 v[131:132], v[163:164], v[131:132], v[139:140]
	s_waitcnt vmcnt(17)
	v_fma_f64 v[131:132], v[161:162], v[133:134], v[131:132]
	buffer_load_dword v140, off, s[0:3], 0 offset:220
	buffer_load_dword v155, off, s[0:3], 0 offset:240
	;; [unrolled: 1-line block ×8, first 2 shown]
	s_waitcnt vmcnt(24) lgkmcnt(0)
	v_fma_f64 v[131:132], v[141:142], v[135:136], v[131:132]
	s_waitcnt vmcnt(19)
	v_fma_f64 v[141:142], v[143:144], v[137:138], v[131:132]
	ds_read_b128 v[131:134], v130 offset:672
	ds_read_b128 v[135:138], v130 offset:688
	s_waitcnt vmcnt(18) lgkmcnt(1)
	v_fma_f64 v[131:132], v[149:150], v[131:132], v[141:142]
	s_waitcnt vmcnt(17)
	v_fma_f64 v[131:132], v[147:148], v[133:134], v[131:132]
	buffer_load_dword v142, off, s[0:3], 0 offset:252
	buffer_load_dword v143, off, s[0:3], 0 offset:272
	;; [unrolled: 1-line block ×7, first 2 shown]
	s_waitcnt vmcnt(23) lgkmcnt(0)
	v_fma_f64 v[131:132], v[145:146], v[135:136], v[131:132]
	s_waitcnt vmcnt(18)
	v_fma_f64 v[144:145], v[151:152], v[137:138], v[131:132]
	ds_read_b128 v[131:134], v130 offset:704
	ds_read_b128 v[135:138], v130 offset:720
	s_waitcnt vmcnt(17) lgkmcnt(1)
	v_fma_f64 v[131:132], v[159:160], v[131:132], v[144:145]
	buffer_load_dword v144, off, s[0:3], 0 offset:276
	s_waitcnt vmcnt(17)
	v_fma_f64 v[131:132], v[157:158], v[133:134], v[131:132]
	buffer_load_dword v146, off, s[0:3], 0 offset:284
	buffer_load_dword v151, off, s[0:3], 0 offset:304
	;; [unrolled: 1-line block ×7, first 2 shown]
	s_waitcnt vmcnt(23) lgkmcnt(0)
	v_fma_f64 v[131:132], v[153:154], v[135:136], v[131:132]
	s_waitcnt vmcnt(18)
	v_fma_f64 v[139:140], v[139:140], v[137:138], v[131:132]
	ds_read_b128 v[131:134], v130 offset:736
	ds_read_b128 v[135:138], v130 offset:752
	buffer_load_dword v152, off, s[0:3], 0 offset:308
	s_waitcnt vmcnt(18) lgkmcnt(1)
	v_fma_f64 v[131:132], v[163:164], v[131:132], v[139:140]
	s_waitcnt vmcnt(17)
	v_fma_f64 v[131:132], v[161:162], v[133:134], v[131:132]
	buffer_load_dword v140, off, s[0:3], 0 offset:316
	buffer_load_dword v153, off, s[0:3], 0 offset:336
	buffer_load_dword v161, off, s[0:3], 0 offset:328
	buffer_load_dword v163, off, s[0:3], 0 offset:320
	buffer_load_dword v139, off, s[0:3], 0 offset:312
	buffer_load_dword v164, off, s[0:3], 0 offset:324
	buffer_load_dword v162, off, s[0:3], 0 offset:332
	buffer_load_dword v154, off, s[0:3], 0 offset:340
	s_waitcnt vmcnt(24) lgkmcnt(0)
	v_fma_f64 v[131:132], v[155:156], v[135:136], v[131:132]
	s_waitcnt vmcnt(19)
	v_fma_f64 v[141:142], v[141:142], v[137:138], v[131:132]
	ds_read_b128 v[131:134], v130 offset:768
	ds_read_b128 v[135:138], v130 offset:784
	s_waitcnt vmcnt(18) lgkmcnt(1)
	v_fma_f64 v[131:132], v[149:150], v[131:132], v[141:142]
	s_waitcnt vmcnt(17)
	v_fma_f64 v[131:132], v[147:148], v[133:134], v[131:132]
	buffer_load_dword v142, off, s[0:3], 0 offset:348
	buffer_load_dword v147, off, s[0:3], 0 offset:368
	;; [unrolled: 1-line block ×8, first 2 shown]
	s_waitcnt vmcnt(24) lgkmcnt(0)
	v_fma_f64 v[131:132], v[143:144], v[135:136], v[131:132]
	s_waitcnt vmcnt(19)
	v_fma_f64 v[143:144], v[145:146], v[137:138], v[131:132]
	ds_read_b128 v[131:134], v130 offset:800
	ds_read_b128 v[135:138], v130 offset:816
	s_waitcnt vmcnt(18) lgkmcnt(1)
	v_fma_f64 v[131:132], v[159:160], v[131:132], v[143:144]
	s_waitcnt vmcnt(17)
	v_fma_f64 v[131:132], v[157:158], v[133:134], v[131:132]
	buffer_load_dword v144, off, s[0:3], 0 offset:380
	buffer_load_dword v145, off, s[0:3], 0 offset:400
	;; [unrolled: 1-line block ×7, first 2 shown]
	s_waitcnt vmcnt(23) lgkmcnt(0)
	v_fma_f64 v[131:132], v[151:152], v[135:136], v[131:132]
	s_waitcnt vmcnt(18)
	v_fma_f64 v[139:140], v[139:140], v[137:138], v[131:132]
	ds_read_b128 v[131:134], v130 offset:832
	ds_read_b128 v[135:138], v130 offset:848
	buffer_load_dword v146, off, s[0:3], 0 offset:404
	s_waitcnt vmcnt(18) lgkmcnt(1)
	v_fma_f64 v[131:132], v[163:164], v[131:132], v[139:140]
	s_waitcnt vmcnt(17)
	v_fma_f64 v[131:132], v[161:162], v[133:134], v[131:132]
	buffer_load_dword v140, off, s[0:3], 0 offset:412
	buffer_load_dword v151, off, s[0:3], 0 offset:432
	buffer_load_dword v161, off, s[0:3], 0 offset:424
	buffer_load_dword v163, off, s[0:3], 0 offset:416
	buffer_load_dword v139, off, s[0:3], 0 offset:408
	buffer_load_dword v164, off, s[0:3], 0 offset:420
	buffer_load_dword v162, off, s[0:3], 0 offset:428
	buffer_load_dword v152, off, s[0:3], 0 offset:436
	s_waitcnt vmcnt(24) lgkmcnt(0)
	v_fma_f64 v[131:132], v[153:154], v[135:136], v[131:132]
	s_waitcnt vmcnt(19)
	v_fma_f64 v[141:142], v[141:142], v[137:138], v[131:132]
	ds_read_b128 v[131:134], v130 offset:864
	ds_read_b128 v[135:138], v130 offset:880
	s_waitcnt vmcnt(18) lgkmcnt(1)
	v_fma_f64 v[131:132], v[155:156], v[131:132], v[141:142]
	s_waitcnt vmcnt(17)
	v_fma_f64 v[131:132], v[149:150], v[133:134], v[131:132]
	buffer_load_dword v142, off, s[0:3], 0 offset:444
	buffer_load_dword v149, off, s[0:3], 0 offset:464
	buffer_load_dword v153, off, s[0:3], 0 offset:456
	buffer_load_dword v155, off, s[0:3], 0 offset:448
	buffer_load_dword v141, off, s[0:3], 0 offset:440
	buffer_load_dword v156, off, s[0:3], 0 offset:452
	buffer_load_dword v154, off, s[0:3], 0 offset:460
	buffer_load_dword v150, off, s[0:3], 0 offset:468
	s_waitcnt vmcnt(24) lgkmcnt(0)
	v_fma_f64 v[131:132], v[147:148], v[135:136], v[131:132]
	s_waitcnt vmcnt(19)
	v_fma_f64 v[143:144], v[143:144], v[137:138], v[131:132]
	ds_read_b128 v[131:134], v130 offset:896
	ds_read_b128 v[135:138], v130 offset:912
	;; [unrolled: 18-line block ×3, first 2 shown]
	s_waitcnt vmcnt(18) lgkmcnt(1)
	v_fma_f64 v[131:132], v[163:164], v[131:132], v[139:140]
	buffer_load_dword v140, off, s[0:3], 0 offset:508
	buffer_load_dword v139, off, s[0:3], 0 offset:504
	;; [unrolled: 1-line block ×4, first 2 shown]
	s_waitcnt vmcnt(21)
	v_fma_f64 v[131:132], v[161:162], v[133:134], v[131:132]
	s_waitcnt vmcnt(20) lgkmcnt(0)
	v_fma_f64 v[131:132], v[151:152], v[135:136], v[131:132]
	s_waitcnt vmcnt(15)
	v_fma_f64 v[141:142], v[141:142], v[137:138], v[131:132]
	ds_read_b128 v[131:134], v130 offset:960
	ds_read_b128 v[135:138], v130 offset:976
	s_waitcnt vmcnt(14) lgkmcnt(1)
	v_fma_f64 v[131:132], v[155:156], v[131:132], v[141:142]
	s_waitcnt vmcnt(13)
	v_fma_f64 v[131:132], v[153:154], v[133:134], v[131:132]
	s_waitcnt vmcnt(12) lgkmcnt(0)
	v_fma_f64 v[131:132], v[149:150], v[135:136], v[131:132]
	s_waitcnt vmcnt(7)
	v_fma_f64 v[141:142], v[143:144], v[137:138], v[131:132]
	ds_read_b128 v[131:134], v130 offset:992
	ds_read_b128 v[135:138], v130 offset:1008
	s_waitcnt vmcnt(6) lgkmcnt(1)
	v_fma_f64 v[130:131], v[159:160], v[131:132], v[141:142]
	s_waitcnt vmcnt(5)
	v_fma_f64 v[130:131], v[157:158], v[133:134], v[130:131]
	s_waitcnt vmcnt(4) lgkmcnt(0)
	v_fma_f64 v[130:131], v[147:148], v[135:136], v[130:131]
	s_waitcnt vmcnt(2)
	v_fma_f64 v[130:131], v[139:140], v[137:138], v[130:131]
	s_waitcnt vmcnt(0)
	v_add_f64 v[130:131], v[145:146], -v[130:131]
	buffer_store_dword v131, off, s[0:3], 0 offset:28
	buffer_store_dword v130, off, s[0:3], 0 offset:24
	s_and_saveexec_b64 s[4:5], vcc
	s_cbranch_execz .LBB127_387
; %bb.386:
	buffer_load_dword v130, off, s[0:3], 0 offset:16
	buffer_load_dword v131, off, s[0:3], 0 offset:20
	v_mov_b32_e32 v132, 0
	buffer_store_dword v132, off, s[0:3], 0 offset:16
	buffer_store_dword v132, off, s[0:3], 0 offset:20
	s_waitcnt vmcnt(2)
	ds_write_b64 v129, v[130:131]
.LBB127_387:
	s_or_b64 exec, exec, s[4:5]
	s_waitcnt lgkmcnt(0)
	; wave barrier
	buffer_load_dword v139, off, s[0:3], 0 offset:24
	buffer_load_dword v140, off, s[0:3], 0 offset:28
	;; [unrolled: 1-line block ×21, first 2 shown]
	v_mov_b32_e32 v130, 0
	ds_read2_b64 v[131:134], v130 offset0:67 offset1:68
	ds_read2_b64 v[135:138], v130 offset0:69 offset1:70
	buffer_load_dword v156, off, s[0:3], 0 offset:108
	v_cmp_lt_u32_e32 vcc, 1, v0
	s_waitcnt vmcnt(20) lgkmcnt(1)
	v_fma_f64 v[131:132], v[139:140], v[131:132], 0
	s_waitcnt vmcnt(18)
	v_fma_f64 v[131:132], v[141:142], v[133:134], v[131:132]
	buffer_load_dword v140, off, s[0:3], 0 offset:116
	buffer_load_dword v141, off, s[0:3], 0 offset:136
	;; [unrolled: 1-line block ×7, first 2 shown]
	s_waitcnt vmcnt(23) lgkmcnt(0)
	v_fma_f64 v[131:132], v[143:144], v[135:136], v[131:132]
	s_waitcnt vmcnt(21)
	v_fma_f64 v[142:143], v[145:146], v[137:138], v[131:132]
	ds_read2_b64 v[131:134], v130 offset0:71 offset1:72
	ds_read2_b64 v[135:138], v130 offset0:73 offset1:74
	s_waitcnt vmcnt(19) lgkmcnt(1)
	v_fma_f64 v[131:132], v[147:148], v[131:132], v[142:143]
	buffer_load_dword v142, off, s[0:3], 0 offset:140
	s_waitcnt vmcnt(18)
	v_fma_f64 v[131:132], v[149:150], v[133:134], v[131:132]
	buffer_load_dword v144, off, s[0:3], 0 offset:148
	buffer_load_dword v145, off, s[0:3], 0 offset:168
	;; [unrolled: 1-line block ×8, first 2 shown]
	s_waitcnt vmcnt(24) lgkmcnt(0)
	v_fma_f64 v[131:132], v[151:152], v[135:136], v[131:132]
	s_waitcnt vmcnt(19)
	v_fma_f64 v[151:152], v[153:154], v[137:138], v[131:132]
	ds_read2_b64 v[131:134], v130 offset0:75 offset1:76
	ds_read2_b64 v[135:138], v130 offset0:77 offset1:78
	s_waitcnt vmcnt(18) lgkmcnt(1)
	v_fma_f64 v[131:132], v[159:160], v[131:132], v[151:152]
	s_waitcnt vmcnt(17)
	v_fma_f64 v[131:132], v[157:158], v[133:134], v[131:132]
	buffer_load_dword v152, off, s[0:3], 0 offset:180
	buffer_load_dword v153, off, s[0:3], 0 offset:200
	buffer_load_dword v157, off, s[0:3], 0 offset:192
	buffer_load_dword v159, off, s[0:3], 0 offset:184
	buffer_load_dword v151, off, s[0:3], 0 offset:176
	buffer_load_dword v160, off, s[0:3], 0 offset:188
	buffer_load_dword v158, off, s[0:3], 0 offset:196
	s_waitcnt vmcnt(23) lgkmcnt(0)
	v_fma_f64 v[131:132], v[155:156], v[135:136], v[131:132]
	s_waitcnt vmcnt(18)
	v_fma_f64 v[139:140], v[139:140], v[137:138], v[131:132]
	ds_read2_b64 v[131:134], v130 offset0:79 offset1:80
	ds_read2_b64 v[135:138], v130 offset0:81 offset1:82
	buffer_load_dword v154, off, s[0:3], 0 offset:204
	s_waitcnt vmcnt(18) lgkmcnt(1)
	v_fma_f64 v[131:132], v[163:164], v[131:132], v[139:140]
	s_waitcnt vmcnt(17)
	v_fma_f64 v[131:132], v[161:162], v[133:134], v[131:132]
	buffer_load_dword v140, off, s[0:3], 0 offset:212
	buffer_load_dword v155, off, s[0:3], 0 offset:232
	;; [unrolled: 1-line block ×7, first 2 shown]
	s_waitcnt vmcnt(23) lgkmcnt(0)
	v_fma_f64 v[131:132], v[141:142], v[135:136], v[131:132]
	s_waitcnt vmcnt(18)
	v_fma_f64 v[141:142], v[143:144], v[137:138], v[131:132]
	ds_read2_b64 v[131:134], v130 offset0:83 offset1:84
	ds_read2_b64 v[135:138], v130 offset0:85 offset1:86
	buffer_load_dword v156, off, s[0:3], 0 offset:236
	s_waitcnt vmcnt(18) lgkmcnt(1)
	v_fma_f64 v[131:132], v[149:150], v[131:132], v[141:142]
	s_waitcnt vmcnt(17)
	v_fma_f64 v[131:132], v[147:148], v[133:134], v[131:132]
	buffer_load_dword v142, off, s[0:3], 0 offset:244
	buffer_load_dword v143, off, s[0:3], 0 offset:264
	;; [unrolled: 1-line block ×7, first 2 shown]
	s_waitcnt vmcnt(23) lgkmcnt(0)
	v_fma_f64 v[131:132], v[145:146], v[135:136], v[131:132]
	s_waitcnt vmcnt(18)
	v_fma_f64 v[144:145], v[151:152], v[137:138], v[131:132]
	ds_read2_b64 v[131:134], v130 offset0:87 offset1:88
	ds_read2_b64 v[135:138], v130 offset0:89 offset1:90
	s_waitcnt vmcnt(17) lgkmcnt(1)
	v_fma_f64 v[131:132], v[159:160], v[131:132], v[144:145]
	buffer_load_dword v144, off, s[0:3], 0 offset:268
	s_waitcnt vmcnt(17)
	v_fma_f64 v[131:132], v[157:158], v[133:134], v[131:132]
	buffer_load_dword v146, off, s[0:3], 0 offset:276
	buffer_load_dword v151, off, s[0:3], 0 offset:296
	;; [unrolled: 1-line block ×7, first 2 shown]
	s_waitcnt vmcnt(23) lgkmcnt(0)
	v_fma_f64 v[131:132], v[153:154], v[135:136], v[131:132]
	s_waitcnt vmcnt(18)
	v_fma_f64 v[139:140], v[139:140], v[137:138], v[131:132]
	ds_read2_b64 v[131:134], v130 offset0:91 offset1:92
	ds_read2_b64 v[135:138], v130 offset0:93 offset1:94
	buffer_load_dword v152, off, s[0:3], 0 offset:300
	s_waitcnt vmcnt(18) lgkmcnt(1)
	v_fma_f64 v[131:132], v[163:164], v[131:132], v[139:140]
	s_waitcnt vmcnt(17)
	v_fma_f64 v[131:132], v[161:162], v[133:134], v[131:132]
	buffer_load_dword v140, off, s[0:3], 0 offset:308
	buffer_load_dword v153, off, s[0:3], 0 offset:328
	;; [unrolled: 1-line block ×7, first 2 shown]
	s_waitcnt vmcnt(23) lgkmcnt(0)
	v_fma_f64 v[131:132], v[155:156], v[135:136], v[131:132]
	s_waitcnt vmcnt(18)
	v_fma_f64 v[141:142], v[141:142], v[137:138], v[131:132]
	ds_read2_b64 v[131:134], v130 offset0:95 offset1:96
	ds_read2_b64 v[135:138], v130 offset0:97 offset1:98
	buffer_load_dword v154, off, s[0:3], 0 offset:332
	s_waitcnt vmcnt(18) lgkmcnt(1)
	v_fma_f64 v[131:132], v[149:150], v[131:132], v[141:142]
	s_waitcnt vmcnt(17)
	v_fma_f64 v[131:132], v[147:148], v[133:134], v[131:132]
	buffer_load_dword v142, off, s[0:3], 0 offset:340
	buffer_load_dword v147, off, s[0:3], 0 offset:360
	;; [unrolled: 1-line block ×8, first 2 shown]
	s_waitcnt vmcnt(24) lgkmcnt(0)
	v_fma_f64 v[131:132], v[143:144], v[135:136], v[131:132]
	s_waitcnt vmcnt(19)
	v_fma_f64 v[143:144], v[145:146], v[137:138], v[131:132]
	ds_read2_b64 v[131:134], v130 offset0:99 offset1:100
	ds_read2_b64 v[135:138], v130 offset0:101 offset1:102
	s_waitcnt vmcnt(18) lgkmcnt(1)
	v_fma_f64 v[131:132], v[159:160], v[131:132], v[143:144]
	s_waitcnt vmcnt(17)
	v_fma_f64 v[131:132], v[157:158], v[133:134], v[131:132]
	buffer_load_dword v144, off, s[0:3], 0 offset:372
	buffer_load_dword v145, off, s[0:3], 0 offset:392
	;; [unrolled: 1-line block ×7, first 2 shown]
	s_waitcnt vmcnt(23) lgkmcnt(0)
	v_fma_f64 v[131:132], v[151:152], v[135:136], v[131:132]
	s_waitcnt vmcnt(18)
	v_fma_f64 v[139:140], v[139:140], v[137:138], v[131:132]
	ds_read2_b64 v[131:134], v130 offset0:103 offset1:104
	ds_read2_b64 v[135:138], v130 offset0:105 offset1:106
	buffer_load_dword v146, off, s[0:3], 0 offset:396
	s_waitcnt vmcnt(18) lgkmcnt(1)
	v_fma_f64 v[131:132], v[163:164], v[131:132], v[139:140]
	s_waitcnt vmcnt(17)
	v_fma_f64 v[131:132], v[161:162], v[133:134], v[131:132]
	buffer_load_dword v140, off, s[0:3], 0 offset:404
	buffer_load_dword v151, off, s[0:3], 0 offset:424
	;; [unrolled: 1-line block ×7, first 2 shown]
	s_waitcnt vmcnt(23) lgkmcnt(0)
	v_fma_f64 v[131:132], v[153:154], v[135:136], v[131:132]
	s_waitcnt vmcnt(18)
	v_fma_f64 v[141:142], v[141:142], v[137:138], v[131:132]
	ds_read2_b64 v[131:134], v130 offset0:107 offset1:108
	ds_read2_b64 v[135:138], v130 offset0:109 offset1:110
	buffer_load_dword v152, off, s[0:3], 0 offset:428
	s_waitcnt vmcnt(18) lgkmcnt(1)
	v_fma_f64 v[131:132], v[155:156], v[131:132], v[141:142]
	s_waitcnt vmcnt(17)
	v_fma_f64 v[131:132], v[149:150], v[133:134], v[131:132]
	buffer_load_dword v142, off, s[0:3], 0 offset:436
	buffer_load_dword v149, off, s[0:3], 0 offset:456
	;; [unrolled: 1-line block ×8, first 2 shown]
	s_waitcnt vmcnt(24) lgkmcnt(0)
	v_fma_f64 v[131:132], v[147:148], v[135:136], v[131:132]
	s_waitcnt vmcnt(19)
	v_fma_f64 v[143:144], v[143:144], v[137:138], v[131:132]
	ds_read2_b64 v[131:134], v130 offset0:111 offset1:112
	ds_read2_b64 v[135:138], v130 offset0:113 offset1:114
	s_waitcnt vmcnt(18) lgkmcnt(1)
	v_fma_f64 v[131:132], v[159:160], v[131:132], v[143:144]
	s_waitcnt vmcnt(17)
	v_fma_f64 v[131:132], v[157:158], v[133:134], v[131:132]
	buffer_load_dword v144, off, s[0:3], 0 offset:468
	buffer_load_dword v147, off, s[0:3], 0 offset:488
	;; [unrolled: 1-line block ×7, first 2 shown]
	s_waitcnt vmcnt(23) lgkmcnt(0)
	v_fma_f64 v[131:132], v[145:146], v[135:136], v[131:132]
	s_waitcnt vmcnt(18)
	v_fma_f64 v[139:140], v[139:140], v[137:138], v[131:132]
	ds_read2_b64 v[131:134], v130 offset0:115 offset1:116
	ds_read2_b64 v[135:138], v130 offset0:117 offset1:118
	buffer_load_dword v148, off, s[0:3], 0 offset:492
	s_waitcnt vmcnt(18) lgkmcnt(1)
	v_fma_f64 v[131:132], v[163:164], v[131:132], v[139:140]
	buffer_load_dword v140, off, s[0:3], 0 offset:500
	buffer_load_dword v145, off, s[0:3], 0 offset:504
	;; [unrolled: 1-line block ×4, first 2 shown]
	s_waitcnt vmcnt(21)
	v_fma_f64 v[131:132], v[161:162], v[133:134], v[131:132]
	s_waitcnt vmcnt(20) lgkmcnt(0)
	v_fma_f64 v[131:132], v[151:152], v[135:136], v[131:132]
	buffer_load_dword v151, off, s[0:3], 0 offset:16
	buffer_load_dword v152, off, s[0:3], 0 offset:20
	s_waitcnt vmcnt(17)
	v_fma_f64 v[141:142], v[141:142], v[137:138], v[131:132]
	ds_read2_b64 v[131:134], v130 offset0:119 offset1:120
	ds_read2_b64 v[135:138], v130 offset0:121 offset1:122
	s_waitcnt vmcnt(16) lgkmcnt(1)
	v_fma_f64 v[131:132], v[155:156], v[131:132], v[141:142]
	s_waitcnt vmcnt(15)
	v_fma_f64 v[131:132], v[153:154], v[133:134], v[131:132]
	s_waitcnt vmcnt(14) lgkmcnt(0)
	v_fma_f64 v[131:132], v[149:150], v[135:136], v[131:132]
	s_waitcnt vmcnt(9)
	v_fma_f64 v[141:142], v[143:144], v[137:138], v[131:132]
	ds_read2_b64 v[131:134], v130 offset0:123 offset1:124
	ds_read2_b64 v[135:138], v130 offset0:125 offset1:126
	s_waitcnt vmcnt(8) lgkmcnt(1)
	v_fma_f64 v[131:132], v[159:160], v[131:132], v[141:142]
	s_waitcnt vmcnt(7)
	v_fma_f64 v[131:132], v[157:158], v[133:134], v[131:132]
	ds_read_b64 v[133:134], v130 offset:1016
	s_waitcnt vmcnt(6) lgkmcnt(1)
	v_fma_f64 v[131:132], v[147:148], v[135:136], v[131:132]
	s_waitcnt vmcnt(3)
	v_fma_f64 v[131:132], v[139:140], v[137:138], v[131:132]
	s_waitcnt vmcnt(2) lgkmcnt(0)
	v_fma_f64 v[131:132], v[145:146], v[133:134], v[131:132]
	s_waitcnt vmcnt(0)
	v_add_f64 v[131:132], v[151:152], -v[131:132]
	buffer_store_dword v132, off, s[0:3], 0 offset:20
	buffer_store_dword v131, off, s[0:3], 0 offset:16
	s_and_saveexec_b64 s[4:5], vcc
	s_cbranch_execz .LBB127_389
; %bb.388:
	buffer_load_dword v131, off, s[0:3], 0 offset:8
	buffer_load_dword v132, off, s[0:3], 0 offset:12
	s_waitcnt vmcnt(0)
	ds_write_b64 v129, v[131:132]
	buffer_store_dword v130, off, s[0:3], 0 offset:8
	buffer_store_dword v130, off, s[0:3], 0 offset:12
.LBB127_389:
	s_or_b64 exec, exec, s[4:5]
	s_waitcnt lgkmcnt(0)
	; wave barrier
	buffer_load_dword v139, off, s[0:3], 0 offset:16
	buffer_load_dword v140, off, s[0:3], 0 offset:20
	buffer_load_dword v141, off, s[0:3], 0 offset:24
	buffer_load_dword v142, off, s[0:3], 0 offset:28
	buffer_load_dword v143, off, s[0:3], 0 offset:32
	buffer_load_dword v144, off, s[0:3], 0 offset:36
	buffer_load_dword v145, off, s[0:3], 0 offset:40
	buffer_load_dword v146, off, s[0:3], 0 offset:44
	buffer_load_dword v147, off, s[0:3], 0 offset:48
	buffer_load_dword v148, off, s[0:3], 0 offset:52
	buffer_load_dword v149, off, s[0:3], 0 offset:56
	buffer_load_dword v150, off, s[0:3], 0 offset:60
	buffer_load_dword v151, off, s[0:3], 0 offset:64
	buffer_load_dword v152, off, s[0:3], 0 offset:68
	buffer_load_dword v154, off, s[0:3], 0 offset:76
	buffer_load_dword v155, off, s[0:3], 0 offset:96
	buffer_load_dword v157, off, s[0:3], 0 offset:88
	buffer_load_dword v159, off, s[0:3], 0 offset:80
	buffer_load_dword v153, off, s[0:3], 0 offset:72
	buffer_load_dword v160, off, s[0:3], 0 offset:84
	buffer_load_dword v158, off, s[0:3], 0 offset:92
	buffer_load_dword v156, off, s[0:3], 0 offset:100
	ds_read_b128 v[131:134], v130 offset:528
	ds_read_b128 v[135:138], v130 offset:544
	v_cmp_ne_u32_e32 vcc, 0, v0
	s_waitcnt vmcnt(20) lgkmcnt(1)
	v_fma_f64 v[131:132], v[139:140], v[131:132], 0
	s_waitcnt vmcnt(18)
	v_fma_f64 v[131:132], v[141:142], v[133:134], v[131:132]
	buffer_load_dword v140, off, s[0:3], 0 offset:108
	buffer_load_dword v141, off, s[0:3], 0 offset:128
	;; [unrolled: 1-line block ×7, first 2 shown]
	s_waitcnt vmcnt(23) lgkmcnt(0)
	v_fma_f64 v[131:132], v[143:144], v[135:136], v[131:132]
	s_waitcnt vmcnt(21)
	v_fma_f64 v[142:143], v[145:146], v[137:138], v[131:132]
	ds_read_b128 v[131:134], v130 offset:560
	ds_read_b128 v[135:138], v130 offset:576
	s_waitcnt vmcnt(19) lgkmcnt(1)
	v_fma_f64 v[131:132], v[147:148], v[131:132], v[142:143]
	buffer_load_dword v142, off, s[0:3], 0 offset:132
	s_waitcnt vmcnt(18)
	v_fma_f64 v[131:132], v[149:150], v[133:134], v[131:132]
	buffer_load_dword v144, off, s[0:3], 0 offset:140
	buffer_load_dword v145, off, s[0:3], 0 offset:160
	;; [unrolled: 1-line block ×8, first 2 shown]
	s_waitcnt vmcnt(24) lgkmcnt(0)
	v_fma_f64 v[131:132], v[151:152], v[135:136], v[131:132]
	s_waitcnt vmcnt(19)
	v_fma_f64 v[151:152], v[153:154], v[137:138], v[131:132]
	ds_read_b128 v[131:134], v130 offset:592
	ds_read_b128 v[135:138], v130 offset:608
	s_waitcnt vmcnt(18) lgkmcnt(1)
	v_fma_f64 v[131:132], v[159:160], v[131:132], v[151:152]
	s_waitcnt vmcnt(17)
	v_fma_f64 v[131:132], v[157:158], v[133:134], v[131:132]
	buffer_load_dword v152, off, s[0:3], 0 offset:172
	buffer_load_dword v153, off, s[0:3], 0 offset:192
	;; [unrolled: 1-line block ×8, first 2 shown]
	s_waitcnt vmcnt(24) lgkmcnt(0)
	v_fma_f64 v[131:132], v[155:156], v[135:136], v[131:132]
	s_waitcnt vmcnt(19)
	v_fma_f64 v[139:140], v[139:140], v[137:138], v[131:132]
	ds_read_b128 v[131:134], v130 offset:624
	ds_read_b128 v[135:138], v130 offset:640
	s_waitcnt vmcnt(18) lgkmcnt(1)
	v_fma_f64 v[131:132], v[163:164], v[131:132], v[139:140]
	s_waitcnt vmcnt(17)
	v_fma_f64 v[131:132], v[161:162], v[133:134], v[131:132]
	buffer_load_dword v140, off, s[0:3], 0 offset:204
	buffer_load_dword v155, off, s[0:3], 0 offset:224
	;; [unrolled: 1-line block ×7, first 2 shown]
	s_waitcnt vmcnt(23) lgkmcnt(0)
	v_fma_f64 v[131:132], v[141:142], v[135:136], v[131:132]
	s_waitcnt vmcnt(18)
	v_fma_f64 v[141:142], v[143:144], v[137:138], v[131:132]
	ds_read_b128 v[131:134], v130 offset:656
	ds_read_b128 v[135:138], v130 offset:672
	buffer_load_dword v156, off, s[0:3], 0 offset:228
	s_waitcnt vmcnt(18) lgkmcnt(1)
	v_fma_f64 v[131:132], v[149:150], v[131:132], v[141:142]
	s_waitcnt vmcnt(17)
	v_fma_f64 v[131:132], v[147:148], v[133:134], v[131:132]
	buffer_load_dword v142, off, s[0:3], 0 offset:236
	buffer_load_dword v143, off, s[0:3], 0 offset:256
	buffer_load_dword v147, off, s[0:3], 0 offset:248
	buffer_load_dword v149, off, s[0:3], 0 offset:240
	buffer_load_dword v141, off, s[0:3], 0 offset:232
	buffer_load_dword v150, off, s[0:3], 0 offset:244
	buffer_load_dword v148, off, s[0:3], 0 offset:252
	s_waitcnt vmcnt(23) lgkmcnt(0)
	v_fma_f64 v[131:132], v[145:146], v[135:136], v[131:132]
	s_waitcnt vmcnt(18)
	v_fma_f64 v[144:145], v[151:152], v[137:138], v[131:132]
	ds_read_b128 v[131:134], v130 offset:688
	ds_read_b128 v[135:138], v130 offset:704
	s_waitcnt vmcnt(17) lgkmcnt(1)
	v_fma_f64 v[131:132], v[159:160], v[131:132], v[144:145]
	buffer_load_dword v144, off, s[0:3], 0 offset:260
	s_waitcnt vmcnt(17)
	v_fma_f64 v[131:132], v[157:158], v[133:134], v[131:132]
	buffer_load_dword v146, off, s[0:3], 0 offset:268
	buffer_load_dword v151, off, s[0:3], 0 offset:288
	;; [unrolled: 1-line block ×8, first 2 shown]
	s_waitcnt vmcnt(24) lgkmcnt(0)
	v_fma_f64 v[131:132], v[153:154], v[135:136], v[131:132]
	s_waitcnt vmcnt(19)
	v_fma_f64 v[139:140], v[139:140], v[137:138], v[131:132]
	ds_read_b128 v[131:134], v130 offset:720
	ds_read_b128 v[135:138], v130 offset:736
	s_waitcnt vmcnt(18) lgkmcnt(1)
	v_fma_f64 v[131:132], v[163:164], v[131:132], v[139:140]
	s_waitcnt vmcnt(17)
	v_fma_f64 v[131:132], v[161:162], v[133:134], v[131:132]
	buffer_load_dword v140, off, s[0:3], 0 offset:300
	buffer_load_dword v153, off, s[0:3], 0 offset:320
	buffer_load_dword v161, off, s[0:3], 0 offset:312
	buffer_load_dword v163, off, s[0:3], 0 offset:304
	buffer_load_dword v139, off, s[0:3], 0 offset:296
	buffer_load_dword v164, off, s[0:3], 0 offset:308
	buffer_load_dword v162, off, s[0:3], 0 offset:316
	s_waitcnt vmcnt(23) lgkmcnt(0)
	v_fma_f64 v[131:132], v[155:156], v[135:136], v[131:132]
	s_waitcnt vmcnt(18)
	v_fma_f64 v[141:142], v[141:142], v[137:138], v[131:132]
	ds_read_b128 v[131:134], v130 offset:752
	ds_read_b128 v[135:138], v130 offset:768
	buffer_load_dword v154, off, s[0:3], 0 offset:324
	s_waitcnt vmcnt(18) lgkmcnt(1)
	v_fma_f64 v[131:132], v[149:150], v[131:132], v[141:142]
	s_waitcnt vmcnt(17)
	v_fma_f64 v[131:132], v[147:148], v[133:134], v[131:132]
	buffer_load_dword v142, off, s[0:3], 0 offset:332
	buffer_load_dword v147, off, s[0:3], 0 offset:352
	buffer_load_dword v149, off, s[0:3], 0 offset:344
	buffer_load_dword v155, off, s[0:3], 0 offset:336
	buffer_load_dword v141, off, s[0:3], 0 offset:328
	buffer_load_dword v156, off, s[0:3], 0 offset:340
	buffer_load_dword v150, off, s[0:3], 0 offset:348
	buffer_load_dword v148, off, s[0:3], 0 offset:356
	s_waitcnt vmcnt(24) lgkmcnt(0)
	v_fma_f64 v[131:132], v[143:144], v[135:136], v[131:132]
	s_waitcnt vmcnt(19)
	v_fma_f64 v[143:144], v[145:146], v[137:138], v[131:132]
	ds_read_b128 v[131:134], v130 offset:784
	ds_read_b128 v[135:138], v130 offset:800
	s_waitcnt vmcnt(18) lgkmcnt(1)
	v_fma_f64 v[131:132], v[159:160], v[131:132], v[143:144]
	s_waitcnt vmcnt(17)
	v_fma_f64 v[131:132], v[157:158], v[133:134], v[131:132]
	buffer_load_dword v144, off, s[0:3], 0 offset:364
	buffer_load_dword v145, off, s[0:3], 0 offset:384
	;; [unrolled: 1-line block ×8, first 2 shown]
	s_waitcnt vmcnt(24) lgkmcnt(0)
	v_fma_f64 v[131:132], v[151:152], v[135:136], v[131:132]
	s_waitcnt vmcnt(19)
	v_fma_f64 v[139:140], v[139:140], v[137:138], v[131:132]
	ds_read_b128 v[131:134], v130 offset:816
	ds_read_b128 v[135:138], v130 offset:832
	s_waitcnt vmcnt(18) lgkmcnt(1)
	v_fma_f64 v[131:132], v[163:164], v[131:132], v[139:140]
	s_waitcnt vmcnt(17)
	v_fma_f64 v[131:132], v[161:162], v[133:134], v[131:132]
	buffer_load_dword v140, off, s[0:3], 0 offset:396
	buffer_load_dword v151, off, s[0:3], 0 offset:416
	;; [unrolled: 1-line block ×7, first 2 shown]
	s_waitcnt vmcnt(23) lgkmcnt(0)
	v_fma_f64 v[131:132], v[153:154], v[135:136], v[131:132]
	s_waitcnt vmcnt(18)
	v_fma_f64 v[141:142], v[141:142], v[137:138], v[131:132]
	ds_read_b128 v[131:134], v130 offset:848
	ds_read_b128 v[135:138], v130 offset:864
	buffer_load_dword v152, off, s[0:3], 0 offset:420
	s_waitcnt vmcnt(18) lgkmcnt(1)
	v_fma_f64 v[131:132], v[155:156], v[131:132], v[141:142]
	s_waitcnt vmcnt(17)
	v_fma_f64 v[131:132], v[149:150], v[133:134], v[131:132]
	buffer_load_dword v142, off, s[0:3], 0 offset:428
	buffer_load_dword v149, off, s[0:3], 0 offset:448
	;; [unrolled: 1-line block ×8, first 2 shown]
	s_waitcnt vmcnt(24) lgkmcnt(0)
	v_fma_f64 v[131:132], v[147:148], v[135:136], v[131:132]
	s_waitcnt vmcnt(19)
	v_fma_f64 v[143:144], v[143:144], v[137:138], v[131:132]
	ds_read_b128 v[131:134], v130 offset:880
	ds_read_b128 v[135:138], v130 offset:896
	s_waitcnt vmcnt(18) lgkmcnt(1)
	v_fma_f64 v[131:132], v[159:160], v[131:132], v[143:144]
	s_waitcnt vmcnt(17)
	v_fma_f64 v[131:132], v[157:158], v[133:134], v[131:132]
	buffer_load_dword v144, off, s[0:3], 0 offset:460
	buffer_load_dword v147, off, s[0:3], 0 offset:480
	;; [unrolled: 1-line block ×8, first 2 shown]
	s_waitcnt vmcnt(24) lgkmcnt(0)
	v_fma_f64 v[131:132], v[145:146], v[135:136], v[131:132]
	s_waitcnt vmcnt(19)
	v_fma_f64 v[139:140], v[139:140], v[137:138], v[131:132]
	ds_read_b128 v[131:134], v130 offset:912
	ds_read_b128 v[135:138], v130 offset:928
	s_waitcnt vmcnt(18) lgkmcnt(1)
	v_fma_f64 v[131:132], v[163:164], v[131:132], v[139:140]
	s_waitcnt vmcnt(17)
	v_fma_f64 v[131:132], v[161:162], v[133:134], v[131:132]
	buffer_load_dword v140, off, s[0:3], 0 offset:492
	buffer_load_dword v145, off, s[0:3], 0 offset:504
	;; [unrolled: 1-line block ×6, first 2 shown]
	s_waitcnt vmcnt(22) lgkmcnt(0)
	v_fma_f64 v[131:132], v[151:152], v[135:136], v[131:132]
	s_waitcnt vmcnt(17)
	v_fma_f64 v[141:142], v[141:142], v[137:138], v[131:132]
	ds_read_b128 v[131:134], v130 offset:944
	buffer_load_dword v151, off, s[0:3], 0 offset:8
	buffer_load_dword v152, off, s[0:3], 0 offset:12
	ds_read_b128 v[135:138], v130 offset:960
	s_waitcnt vmcnt(18) lgkmcnt(1)
	v_fma_f64 v[131:132], v[155:156], v[131:132], v[141:142]
	s_waitcnt vmcnt(17)
	v_fma_f64 v[131:132], v[153:154], v[133:134], v[131:132]
	s_waitcnt vmcnt(16) lgkmcnt(0)
	v_fma_f64 v[131:132], v[149:150], v[135:136], v[131:132]
	s_waitcnt vmcnt(11)
	v_fma_f64 v[141:142], v[143:144], v[137:138], v[131:132]
	ds_read_b128 v[131:134], v130 offset:976
	ds_read_b128 v[135:138], v130 offset:992
	s_waitcnt vmcnt(10) lgkmcnt(1)
	v_fma_f64 v[131:132], v[159:160], v[131:132], v[141:142]
	s_waitcnt vmcnt(9)
	v_fma_f64 v[131:132], v[157:158], v[133:134], v[131:132]
	s_waitcnt vmcnt(8) lgkmcnt(0)
	v_fma_f64 v[131:132], v[147:148], v[135:136], v[131:132]
	s_waitcnt vmcnt(4)
	v_fma_f64 v[134:135], v[139:140], v[137:138], v[131:132]
	ds_read_b128 v[130:133], v130 offset:1008
	s_waitcnt vmcnt(3) lgkmcnt(0)
	v_fma_f64 v[130:131], v[161:162], v[130:131], v[134:135]
	s_waitcnt vmcnt(2)
	v_fma_f64 v[130:131], v[145:146], v[132:133], v[130:131]
	s_waitcnt vmcnt(0)
	v_add_f64 v[130:131], v[151:152], -v[130:131]
	buffer_store_dword v131, off, s[0:3], 0 offset:12
	buffer_store_dword v130, off, s[0:3], 0 offset:8
	s_and_saveexec_b64 s[4:5], vcc
	s_cbranch_execz .LBB127_391
; %bb.390:
	buffer_load_dword v130, off, s[0:3], 0
	buffer_load_dword v131, off, s[0:3], 0 offset:4
	v_mov_b32_e32 v0, 0
	buffer_store_dword v0, off, s[0:3], 0
	buffer_store_dword v0, off, s[0:3], 0 offset:4
	s_waitcnt vmcnt(2)
	ds_write_b64 v129, v[130:131]
.LBB127_391:
	s_or_b64 exec, exec, s[4:5]
	s_waitcnt lgkmcnt(0)
	; wave barrier
	buffer_load_dword v137, off, s[0:3], 0 offset:8
	buffer_load_dword v138, off, s[0:3], 0 offset:12
	;; [unrolled: 1-line block ×22, first 2 shown]
	v_mov_b32_e32 v0, 0
	ds_read2_b64 v[129:132], v0 offset0:65 offset1:66
	ds_read2_b64 v[133:136], v0 offset0:67 offset1:68
	s_and_b64 vcc, exec, s[14:15]
	s_waitcnt vmcnt(20) lgkmcnt(1)
	v_fma_f64 v[129:130], v[137:138], v[129:130], 0
	s_waitcnt vmcnt(18)
	v_fma_f64 v[129:130], v[139:140], v[131:132], v[129:130]
	buffer_load_dword v138, off, s[0:3], 0 offset:100
	buffer_load_dword v139, off, s[0:3], 0 offset:120
	;; [unrolled: 1-line block ×7, first 2 shown]
	s_waitcnt vmcnt(23) lgkmcnt(0)
	v_fma_f64 v[129:130], v[141:142], v[133:134], v[129:130]
	s_waitcnt vmcnt(21)
	v_fma_f64 v[140:141], v[143:144], v[135:136], v[129:130]
	ds_read2_b64 v[129:132], v0 offset0:69 offset1:70
	ds_read2_b64 v[133:136], v0 offset0:71 offset1:72
	s_waitcnt vmcnt(19) lgkmcnt(1)
	v_fma_f64 v[129:130], v[145:146], v[129:130], v[140:141]
	buffer_load_dword v140, off, s[0:3], 0 offset:124
	s_waitcnt vmcnt(18)
	v_fma_f64 v[129:130], v[147:148], v[131:132], v[129:130]
	buffer_load_dword v142, off, s[0:3], 0 offset:132
	buffer_load_dword v143, off, s[0:3], 0 offset:152
	;; [unrolled: 1-line block ×8, first 2 shown]
	s_waitcnt vmcnt(24) lgkmcnt(0)
	v_fma_f64 v[129:130], v[149:150], v[133:134], v[129:130]
	s_waitcnt vmcnt(19)
	v_fma_f64 v[149:150], v[151:152], v[135:136], v[129:130]
	ds_read2_b64 v[129:132], v0 offset0:73 offset1:74
	ds_read2_b64 v[133:136], v0 offset0:75 offset1:76
	s_waitcnt vmcnt(18) lgkmcnt(1)
	v_fma_f64 v[129:130], v[157:158], v[129:130], v[149:150]
	s_waitcnt vmcnt(17)
	v_fma_f64 v[129:130], v[155:156], v[131:132], v[129:130]
	buffer_load_dword v150, off, s[0:3], 0 offset:164
	buffer_load_dword v151, off, s[0:3], 0 offset:184
	;; [unrolled: 1-line block ×8, first 2 shown]
	s_waitcnt vmcnt(24) lgkmcnt(0)
	v_fma_f64 v[129:130], v[153:154], v[133:134], v[129:130]
	s_waitcnt vmcnt(19)
	v_fma_f64 v[137:138], v[137:138], v[135:136], v[129:130]
	ds_read2_b64 v[129:132], v0 offset0:77 offset1:78
	ds_read2_b64 v[133:136], v0 offset0:79 offset1:80
	s_waitcnt vmcnt(18) lgkmcnt(1)
	v_fma_f64 v[129:130], v[161:162], v[129:130], v[137:138]
	s_waitcnt vmcnt(17)
	v_fma_f64 v[129:130], v[159:160], v[131:132], v[129:130]
	buffer_load_dword v138, off, s[0:3], 0 offset:196
	buffer_load_dword v153, off, s[0:3], 0 offset:216
	buffer_load_dword v159, off, s[0:3], 0 offset:208
	buffer_load_dword v161, off, s[0:3], 0 offset:200
	buffer_load_dword v137, off, s[0:3], 0 offset:192
	buffer_load_dword v162, off, s[0:3], 0 offset:204
	buffer_load_dword v160, off, s[0:3], 0 offset:212
	s_waitcnt vmcnt(23) lgkmcnt(0)
	v_fma_f64 v[129:130], v[139:140], v[133:134], v[129:130]
	s_waitcnt vmcnt(18)
	v_fma_f64 v[139:140], v[141:142], v[135:136], v[129:130]
	ds_read2_b64 v[129:132], v0 offset0:81 offset1:82
	ds_read2_b64 v[133:136], v0 offset0:83 offset1:84
	buffer_load_dword v154, off, s[0:3], 0 offset:220
	s_waitcnt vmcnt(18) lgkmcnt(1)
	v_fma_f64 v[129:130], v[147:148], v[129:130], v[139:140]
	s_waitcnt vmcnt(17)
	v_fma_f64 v[129:130], v[145:146], v[131:132], v[129:130]
	buffer_load_dword v140, off, s[0:3], 0 offset:228
	buffer_load_dword v141, off, s[0:3], 0 offset:248
	;; [unrolled: 1-line block ×7, first 2 shown]
	s_waitcnt vmcnt(23) lgkmcnt(0)
	v_fma_f64 v[129:130], v[143:144], v[133:134], v[129:130]
	s_waitcnt vmcnt(18)
	v_fma_f64 v[142:143], v[149:150], v[135:136], v[129:130]
	ds_read2_b64 v[129:132], v0 offset0:85 offset1:86
	ds_read2_b64 v[133:136], v0 offset0:87 offset1:88
	s_waitcnt vmcnt(17) lgkmcnt(1)
	v_fma_f64 v[129:130], v[157:158], v[129:130], v[142:143]
	buffer_load_dword v142, off, s[0:3], 0 offset:252
	s_waitcnt vmcnt(17)
	v_fma_f64 v[129:130], v[155:156], v[131:132], v[129:130]
	buffer_load_dword v144, off, s[0:3], 0 offset:260
	buffer_load_dword v149, off, s[0:3], 0 offset:280
	;; [unrolled: 1-line block ×8, first 2 shown]
	s_waitcnt vmcnt(24) lgkmcnt(0)
	v_fma_f64 v[129:130], v[151:152], v[133:134], v[129:130]
	s_waitcnt vmcnt(19)
	v_fma_f64 v[137:138], v[137:138], v[135:136], v[129:130]
	ds_read2_b64 v[129:132], v0 offset0:89 offset1:90
	ds_read2_b64 v[133:136], v0 offset0:91 offset1:92
	s_waitcnt vmcnt(18) lgkmcnt(1)
	v_fma_f64 v[129:130], v[161:162], v[129:130], v[137:138]
	s_waitcnt vmcnt(17)
	v_fma_f64 v[129:130], v[159:160], v[131:132], v[129:130]
	buffer_load_dword v138, off, s[0:3], 0 offset:292
	buffer_load_dword v151, off, s[0:3], 0 offset:312
	;; [unrolled: 1-line block ×7, first 2 shown]
	s_waitcnt vmcnt(23) lgkmcnt(0)
	v_fma_f64 v[129:130], v[153:154], v[133:134], v[129:130]
	s_waitcnt vmcnt(18)
	v_fma_f64 v[139:140], v[139:140], v[135:136], v[129:130]
	ds_read2_b64 v[129:132], v0 offset0:93 offset1:94
	ds_read2_b64 v[133:136], v0 offset0:95 offset1:96
	buffer_load_dword v152, off, s[0:3], 0 offset:316
	s_waitcnt vmcnt(18) lgkmcnt(1)
	v_fma_f64 v[129:130], v[147:148], v[129:130], v[139:140]
	s_waitcnt vmcnt(17)
	v_fma_f64 v[129:130], v[145:146], v[131:132], v[129:130]
	buffer_load_dword v140, off, s[0:3], 0 offset:324
	buffer_load_dword v145, off, s[0:3], 0 offset:344
	;; [unrolled: 1-line block ×8, first 2 shown]
	s_waitcnt vmcnt(24) lgkmcnt(0)
	v_fma_f64 v[129:130], v[141:142], v[133:134], v[129:130]
	s_waitcnt vmcnt(19)
	v_fma_f64 v[141:142], v[143:144], v[135:136], v[129:130]
	ds_read2_b64 v[129:132], v0 offset0:97 offset1:98
	ds_read2_b64 v[133:136], v0 offset0:99 offset1:100
	s_waitcnt vmcnt(18) lgkmcnt(1)
	v_fma_f64 v[129:130], v[157:158], v[129:130], v[141:142]
	s_waitcnt vmcnt(17)
	v_fma_f64 v[129:130], v[155:156], v[131:132], v[129:130]
	buffer_load_dword v142, off, s[0:3], 0 offset:356
	buffer_load_dword v143, off, s[0:3], 0 offset:376
	;; [unrolled: 1-line block ×8, first 2 shown]
	s_waitcnt vmcnt(24) lgkmcnt(0)
	v_fma_f64 v[129:130], v[149:150], v[133:134], v[129:130]
	s_waitcnt vmcnt(19)
	v_fma_f64 v[137:138], v[137:138], v[135:136], v[129:130]
	ds_read2_b64 v[129:132], v0 offset0:101 offset1:102
	ds_read2_b64 v[133:136], v0 offset0:103 offset1:104
	s_waitcnt vmcnt(18) lgkmcnt(1)
	v_fma_f64 v[129:130], v[161:162], v[129:130], v[137:138]
	s_waitcnt vmcnt(17)
	v_fma_f64 v[129:130], v[159:160], v[131:132], v[129:130]
	buffer_load_dword v138, off, s[0:3], 0 offset:388
	buffer_load_dword v149, off, s[0:3], 0 offset:408
	;; [unrolled: 1-line block ×7, first 2 shown]
	s_waitcnt vmcnt(23) lgkmcnt(0)
	v_fma_f64 v[129:130], v[151:152], v[133:134], v[129:130]
	s_waitcnt vmcnt(18)
	v_fma_f64 v[139:140], v[139:140], v[135:136], v[129:130]
	ds_read2_b64 v[129:132], v0 offset0:105 offset1:106
	ds_read2_b64 v[133:136], v0 offset0:107 offset1:108
	buffer_load_dword v150, off, s[0:3], 0 offset:412
	s_waitcnt vmcnt(18) lgkmcnt(1)
	v_fma_f64 v[129:130], v[153:154], v[129:130], v[139:140]
	s_waitcnt vmcnt(17)
	v_fma_f64 v[129:130], v[147:148], v[131:132], v[129:130]
	buffer_load_dword v140, off, s[0:3], 0 offset:420
	buffer_load_dword v147, off, s[0:3], 0 offset:440
	;; [unrolled: 1-line block ×8, first 2 shown]
	s_waitcnt vmcnt(24) lgkmcnt(0)
	v_fma_f64 v[129:130], v[145:146], v[133:134], v[129:130]
	s_waitcnt vmcnt(19)
	v_fma_f64 v[141:142], v[141:142], v[135:136], v[129:130]
	ds_read2_b64 v[129:132], v0 offset0:109 offset1:110
	ds_read2_b64 v[133:136], v0 offset0:111 offset1:112
	s_waitcnt vmcnt(18) lgkmcnt(1)
	v_fma_f64 v[129:130], v[157:158], v[129:130], v[141:142]
	s_waitcnt vmcnt(17)
	v_fma_f64 v[129:130], v[155:156], v[131:132], v[129:130]
	buffer_load_dword v142, off, s[0:3], 0 offset:452
	buffer_load_dword v145, off, s[0:3], 0 offset:472
	;; [unrolled: 1-line block ×8, first 2 shown]
	s_waitcnt vmcnt(24) lgkmcnt(0)
	v_fma_f64 v[129:130], v[143:144], v[133:134], v[129:130]
	s_waitcnt vmcnt(19)
	v_fma_f64 v[137:138], v[137:138], v[135:136], v[129:130]
	ds_read2_b64 v[129:132], v0 offset0:113 offset1:114
	ds_read2_b64 v[133:136], v0 offset0:115 offset1:116
	s_waitcnt vmcnt(18) lgkmcnt(1)
	v_fma_f64 v[129:130], v[161:162], v[129:130], v[137:138]
	s_waitcnt vmcnt(17)
	v_fma_f64 v[130:131], v[159:160], v[131:132], v[129:130]
	buffer_load_dword v144, off, s[0:3], 0 offset:484
	buffer_load_dword v159, off, s[0:3], 0 offset:504
	;; [unrolled: 1-line block ×5, first 2 shown]
	s_waitcnt vmcnt(21) lgkmcnt(0)
	v_fma_f64 v[131:132], v[149:150], v[133:134], v[130:131]
	buffer_load_dword v162, off, s[0:3], 0 offset:492
	buffer_load_dword v130, off, s[0:3], 0 offset:500
	;; [unrolled: 1-line block ×3, first 2 shown]
	s_waitcnt vmcnt(19)
	v_fma_f64 v[139:140], v[139:140], v[135:136], v[131:132]
	ds_read2_b64 v[131:134], v0 offset0:117 offset1:118
	ds_read2_b64 v[135:138], v0 offset0:119 offset1:120
	s_waitcnt vmcnt(18) lgkmcnt(1)
	v_fma_f64 v[131:132], v[153:154], v[131:132], v[139:140]
	buffer_load_dword v139, off, s[0:3], 0
	buffer_load_dword v140, off, s[0:3], 0 offset:4
	s_waitcnt vmcnt(19)
	v_fma_f64 v[131:132], v[151:152], v[133:134], v[131:132]
	s_waitcnt vmcnt(18) lgkmcnt(0)
	v_fma_f64 v[131:132], v[147:148], v[135:136], v[131:132]
	s_waitcnt vmcnt(13)
	v_fma_f64 v[141:142], v[141:142], v[137:138], v[131:132]
	ds_read2_b64 v[131:134], v0 offset0:121 offset1:122
	ds_read2_b64 v[135:138], v0 offset0:123 offset1:124
	s_waitcnt vmcnt(12) lgkmcnt(1)
	v_fma_f64 v[131:132], v[157:158], v[131:132], v[141:142]
	s_waitcnt vmcnt(11)
	v_fma_f64 v[131:132], v[155:156], v[133:134], v[131:132]
	s_waitcnt vmcnt(10) lgkmcnt(0)
	v_fma_f64 v[131:132], v[145:146], v[135:136], v[131:132]
	s_waitcnt vmcnt(5)
	v_fma_f64 v[135:136], v[143:144], v[137:138], v[131:132]
	ds_read2_b64 v[131:134], v0 offset0:125 offset1:126
	ds_read_b64 v[137:138], v0 offset:1016
	s_waitcnt vmcnt(4) lgkmcnt(1)
	v_fma_f64 v[131:132], v[161:162], v[131:132], v[135:136]
	s_waitcnt vmcnt(3)
	v_fma_f64 v[131:132], v[129:130], v[133:134], v[131:132]
	s_waitcnt vmcnt(2) lgkmcnt(0)
	v_fma_f64 v[131:132], v[159:160], v[137:138], v[131:132]
	s_waitcnt vmcnt(0)
	v_add_f64 v[131:132], v[139:140], -v[131:132]
	buffer_store_dword v132, off, s[0:3], 0 offset:4
	buffer_store_dword v131, off, s[0:3], 0
	s_cbranch_vccz .LBB127_518
; %bb.392:
	global_load_dword v0, v0, s[12:13] offset:248
	s_waitcnt vmcnt(0)
	v_add_u32_e32 v0, -1, v0
	v_cmp_ne_u32_e32 vcc, 62, v0
	s_cbranch_vccz .LBB127_394
; %bb.393:
	v_lshlrev_b32_e32 v0, 3, v0
	buffer_load_dword v131, v0, s[0:3], 0 offen offset:4
	buffer_load_dword v132, v0, s[0:3], 0 offen
	s_waitcnt vmcnt(1)
	buffer_store_dword v131, off, s[0:3], 0 offset:500
	s_waitcnt vmcnt(1)
	buffer_store_dword v132, off, s[0:3], 0 offset:496
	buffer_store_dword v130, v0, s[0:3], 0 offen offset:4
	buffer_store_dword v129, v0, s[0:3], 0 offen
.LBB127_394:
	v_mov_b32_e32 v0, 0
	global_load_dword v129, v0, s[12:13] offset:244
	s_waitcnt vmcnt(0)
	v_add_u32_e32 v129, -1, v129
	v_cmp_eq_u32_e32 vcc, 61, v129
	s_cbranch_vccnz .LBB127_396
; %bb.395:
	v_lshlrev_b32_e32 v129, 3, v129
	buffer_load_dword v130, v129, s[0:3], 0 offen
	buffer_load_dword v131, v129, s[0:3], 0 offen offset:4
	buffer_load_dword v132, off, s[0:3], 0 offset:488
	buffer_load_dword v133, off, s[0:3], 0 offset:492
	s_waitcnt vmcnt(3)
	buffer_store_dword v130, off, s[0:3], 0 offset:488
	s_waitcnt vmcnt(3)
	buffer_store_dword v131, off, s[0:3], 0 offset:492
	s_waitcnt vmcnt(3)
	buffer_store_dword v132, v129, s[0:3], 0 offen
	s_waitcnt vmcnt(3)
	buffer_store_dword v133, v129, s[0:3], 0 offen offset:4
.LBB127_396:
	global_load_dword v0, v0, s[12:13] offset:240
	s_waitcnt vmcnt(0)
	v_add_u32_e32 v0, -1, v0
	v_cmp_eq_u32_e32 vcc, 60, v0
	s_cbranch_vccnz .LBB127_398
; %bb.397:
	v_lshlrev_b32_e32 v0, 3, v0
	buffer_load_dword v129, v0, s[0:3], 0 offen
	buffer_load_dword v130, v0, s[0:3], 0 offen offset:4
	buffer_load_dword v131, off, s[0:3], 0 offset:484
	buffer_load_dword v132, off, s[0:3], 0 offset:480
	s_waitcnt vmcnt(3)
	buffer_store_dword v129, off, s[0:3], 0 offset:480
	s_waitcnt vmcnt(3)
	buffer_store_dword v130, off, s[0:3], 0 offset:484
	s_waitcnt vmcnt(3)
	buffer_store_dword v131, v0, s[0:3], 0 offen offset:4
	s_waitcnt vmcnt(3)
	buffer_store_dword v132, v0, s[0:3], 0 offen
.LBB127_398:
	v_mov_b32_e32 v0, 0
	global_load_dword v129, v0, s[12:13] offset:236
	s_waitcnt vmcnt(0)
	v_add_u32_e32 v129, -1, v129
	v_cmp_eq_u32_e32 vcc, 59, v129
	s_cbranch_vccnz .LBB127_400
; %bb.399:
	v_lshlrev_b32_e32 v129, 3, v129
	buffer_load_dword v130, v129, s[0:3], 0 offen
	buffer_load_dword v131, v129, s[0:3], 0 offen offset:4
	buffer_load_dword v132, off, s[0:3], 0 offset:472
	buffer_load_dword v133, off, s[0:3], 0 offset:476
	s_waitcnt vmcnt(3)
	buffer_store_dword v130, off, s[0:3], 0 offset:472
	s_waitcnt vmcnt(3)
	buffer_store_dword v131, off, s[0:3], 0 offset:476
	s_waitcnt vmcnt(3)
	buffer_store_dword v132, v129, s[0:3], 0 offen
	s_waitcnt vmcnt(3)
	buffer_store_dword v133, v129, s[0:3], 0 offen offset:4
.LBB127_400:
	global_load_dword v0, v0, s[12:13] offset:232
	s_waitcnt vmcnt(0)
	v_add_u32_e32 v0, -1, v0
	v_cmp_eq_u32_e32 vcc, 58, v0
	s_cbranch_vccnz .LBB127_402
; %bb.401:
	v_lshlrev_b32_e32 v0, 3, v0
	buffer_load_dword v129, v0, s[0:3], 0 offen
	buffer_load_dword v130, v0, s[0:3], 0 offen offset:4
	buffer_load_dword v131, off, s[0:3], 0 offset:468
	buffer_load_dword v132, off, s[0:3], 0 offset:464
	s_waitcnt vmcnt(3)
	buffer_store_dword v129, off, s[0:3], 0 offset:464
	s_waitcnt vmcnt(3)
	buffer_store_dword v130, off, s[0:3], 0 offset:468
	s_waitcnt vmcnt(3)
	buffer_store_dword v131, v0, s[0:3], 0 offen offset:4
	s_waitcnt vmcnt(3)
	buffer_store_dword v132, v0, s[0:3], 0 offen
.LBB127_402:
	;; [unrolled: 41-line block ×30, first 2 shown]
	v_mov_b32_e32 v0, 0
	global_load_dword v129, v0, s[12:13] offset:4
	s_waitcnt vmcnt(0)
	v_add_u32_e32 v129, -1, v129
	v_cmp_eq_u32_e32 vcc, 1, v129
	s_cbranch_vccnz .LBB127_516
; %bb.515:
	v_lshlrev_b32_e32 v129, 3, v129
	buffer_load_dword v130, v129, s[0:3], 0 offen
	buffer_load_dword v131, v129, s[0:3], 0 offen offset:4
	buffer_load_dword v132, off, s[0:3], 0 offset:8
	buffer_load_dword v133, off, s[0:3], 0 offset:12
	s_waitcnt vmcnt(3)
	buffer_store_dword v130, off, s[0:3], 0 offset:8
	s_waitcnt vmcnt(3)
	buffer_store_dword v131, off, s[0:3], 0 offset:12
	s_waitcnt vmcnt(3)
	buffer_store_dword v132, v129, s[0:3], 0 offen
	s_waitcnt vmcnt(3)
	buffer_store_dword v133, v129, s[0:3], 0 offen offset:4
.LBB127_516:
	global_load_dword v0, v0, s[12:13]
	s_nop 0
	buffer_load_dword v131, off, s[0:3], 0
	buffer_load_dword v132, off, s[0:3], 0 offset:4
	s_waitcnt vmcnt(2)
	v_add_u32_e32 v0, -1, v0
	v_cmp_eq_u32_e32 vcc, 0, v0
	s_cbranch_vccnz .LBB127_518
; %bb.517:
	v_lshlrev_b32_e32 v0, 3, v0
	buffer_load_dword v129, v0, s[0:3], 0 offen offset:4
	buffer_load_dword v130, v0, s[0:3], 0 offen
	s_waitcnt vmcnt(1)
	buffer_store_dword v129, off, s[0:3], 0 offset:4
	s_waitcnt vmcnt(1)
	buffer_store_dword v130, off, s[0:3], 0
	buffer_store_dword v132, v0, s[0:3], 0 offen offset:4
	buffer_store_dword v131, v0, s[0:3], 0 offen
	buffer_load_dword v131, off, s[0:3], 0
	s_nop 0
	buffer_load_dword v132, off, s[0:3], 0 offset:4
.LBB127_518:
	s_waitcnt vmcnt(0)
	flat_store_dwordx2 v[1:2], v[131:132]
	buffer_load_dword v0, off, s[0:3], 0 offset:8
	s_nop 0
	buffer_load_dword v1, off, s[0:3], 0 offset:12
	s_waitcnt vmcnt(0)
	flat_store_dwordx2 v[3:4], v[0:1]
	buffer_load_dword v0, off, s[0:3], 0 offset:16
	s_nop 0
	buffer_load_dword v1, off, s[0:3], 0 offset:20
	;; [unrolled: 5-line block ×63, first 2 shown]
	s_waitcnt vmcnt(0)
	flat_store_dwordx2 v[127:128], v[0:1]
	s_endpgm
	.section	.rodata,"a",@progbits
	.p2align	6, 0x0
	.amdhsa_kernel _ZN9rocsolver6v33100L18getri_kernel_smallILi64EdPKPdEEvT1_iilPiilS6_bb
		.amdhsa_group_segment_fixed_size 1032
		.amdhsa_private_segment_fixed_size 528
		.amdhsa_kernarg_size 60
		.amdhsa_user_sgpr_count 6
		.amdhsa_user_sgpr_private_segment_buffer 1
		.amdhsa_user_sgpr_dispatch_ptr 0
		.amdhsa_user_sgpr_queue_ptr 0
		.amdhsa_user_sgpr_kernarg_segment_ptr 1
		.amdhsa_user_sgpr_dispatch_id 0
		.amdhsa_user_sgpr_flat_scratch_init 0
		.amdhsa_user_sgpr_private_segment_size 0
		.amdhsa_uses_dynamic_stack 0
		.amdhsa_system_sgpr_private_segment_wavefront_offset 1
		.amdhsa_system_sgpr_workgroup_id_x 1
		.amdhsa_system_sgpr_workgroup_id_y 0
		.amdhsa_system_sgpr_workgroup_id_z 0
		.amdhsa_system_sgpr_workgroup_info 0
		.amdhsa_system_vgpr_workitem_id 0
		.amdhsa_next_free_vgpr 165
		.amdhsa_next_free_sgpr 21
		.amdhsa_reserve_vcc 1
		.amdhsa_reserve_flat_scratch 0
		.amdhsa_float_round_mode_32 0
		.amdhsa_float_round_mode_16_64 0
		.amdhsa_float_denorm_mode_32 3
		.amdhsa_float_denorm_mode_16_64 3
		.amdhsa_dx10_clamp 1
		.amdhsa_ieee_mode 1
		.amdhsa_fp16_overflow 0
		.amdhsa_exception_fp_ieee_invalid_op 0
		.amdhsa_exception_fp_denorm_src 0
		.amdhsa_exception_fp_ieee_div_zero 0
		.amdhsa_exception_fp_ieee_overflow 0
		.amdhsa_exception_fp_ieee_underflow 0
		.amdhsa_exception_fp_ieee_inexact 0
		.amdhsa_exception_int_div_zero 0
	.end_amdhsa_kernel
	.section	.text._ZN9rocsolver6v33100L18getri_kernel_smallILi64EdPKPdEEvT1_iilPiilS6_bb,"axG",@progbits,_ZN9rocsolver6v33100L18getri_kernel_smallILi64EdPKPdEEvT1_iilPiilS6_bb,comdat
.Lfunc_end127:
	.size	_ZN9rocsolver6v33100L18getri_kernel_smallILi64EdPKPdEEvT1_iilPiilS6_bb, .Lfunc_end127-_ZN9rocsolver6v33100L18getri_kernel_smallILi64EdPKPdEEvT1_iilPiilS6_bb
                                        ; -- End function
	.set _ZN9rocsolver6v33100L18getri_kernel_smallILi64EdPKPdEEvT1_iilPiilS6_bb.num_vgpr, 165
	.set _ZN9rocsolver6v33100L18getri_kernel_smallILi64EdPKPdEEvT1_iilPiilS6_bb.num_agpr, 0
	.set _ZN9rocsolver6v33100L18getri_kernel_smallILi64EdPKPdEEvT1_iilPiilS6_bb.numbered_sgpr, 21
	.set _ZN9rocsolver6v33100L18getri_kernel_smallILi64EdPKPdEEvT1_iilPiilS6_bb.num_named_barrier, 0
	.set _ZN9rocsolver6v33100L18getri_kernel_smallILi64EdPKPdEEvT1_iilPiilS6_bb.private_seg_size, 528
	.set _ZN9rocsolver6v33100L18getri_kernel_smallILi64EdPKPdEEvT1_iilPiilS6_bb.uses_vcc, 1
	.set _ZN9rocsolver6v33100L18getri_kernel_smallILi64EdPKPdEEvT1_iilPiilS6_bb.uses_flat_scratch, 0
	.set _ZN9rocsolver6v33100L18getri_kernel_smallILi64EdPKPdEEvT1_iilPiilS6_bb.has_dyn_sized_stack, 0
	.set _ZN9rocsolver6v33100L18getri_kernel_smallILi64EdPKPdEEvT1_iilPiilS6_bb.has_recursion, 0
	.set _ZN9rocsolver6v33100L18getri_kernel_smallILi64EdPKPdEEvT1_iilPiilS6_bb.has_indirect_call, 0
	.section	.AMDGPU.csdata,"",@progbits
; Kernel info:
; codeLenInByte = 96408
; TotalNumSgprs: 25
; NumVgprs: 165
; ScratchSize: 528
; MemoryBound: 1
; FloatMode: 240
; IeeeMode: 1
; LDSByteSize: 1032 bytes/workgroup (compile time only)
; SGPRBlocks: 3
; VGPRBlocks: 41
; NumSGPRsForWavesPerEU: 25
; NumVGPRsForWavesPerEU: 165
; Occupancy: 1
; WaveLimiterHint : 1
; COMPUTE_PGM_RSRC2:SCRATCH_EN: 1
; COMPUTE_PGM_RSRC2:USER_SGPR: 6
; COMPUTE_PGM_RSRC2:TRAP_HANDLER: 0
; COMPUTE_PGM_RSRC2:TGID_X_EN: 1
; COMPUTE_PGM_RSRC2:TGID_Y_EN: 0
; COMPUTE_PGM_RSRC2:TGID_Z_EN: 0
; COMPUTE_PGM_RSRC2:TIDIG_COMP_CNT: 0
	.section	.AMDGPU.gpr_maximums,"",@progbits
	.set amdgpu.max_num_vgpr, 0
	.set amdgpu.max_num_agpr, 0
	.set amdgpu.max_num_sgpr, 0
	.section	.AMDGPU.csdata,"",@progbits
	.type	__hip_cuid_24ef461228fcd041,@object ; @__hip_cuid_24ef461228fcd041
	.section	.bss,"aw",@nobits
	.globl	__hip_cuid_24ef461228fcd041
__hip_cuid_24ef461228fcd041:
	.byte	0                               ; 0x0
	.size	__hip_cuid_24ef461228fcd041, 1

	.ident	"AMD clang version 22.0.0git (https://github.com/RadeonOpenCompute/llvm-project roc-7.2.4 26084 f58b06dce1f9c15707c5f808fd002e18c2accf7e)"
	.section	".note.GNU-stack","",@progbits
	.addrsig
	.addrsig_sym __hip_cuid_24ef461228fcd041
	.amdgpu_metadata
---
amdhsa.kernels:
  - .args:
      - .address_space:  global
        .offset:         0
        .size:           8
        .value_kind:     global_buffer
      - .offset:         8
        .size:           4
        .value_kind:     by_value
      - .offset:         12
        .size:           4
        .value_kind:     by_value
      - .offset:         16
        .size:           8
        .value_kind:     by_value
      - .address_space:  global
        .offset:         24
        .size:           8
        .value_kind:     global_buffer
      - .offset:         32
        .size:           4
        .value_kind:     by_value
      - .offset:         40
        .size:           8
        .value_kind:     by_value
      - .address_space:  global
        .offset:         48
        .size:           8
        .value_kind:     global_buffer
      - .offset:         56
        .size:           1
        .value_kind:     by_value
      - .offset:         57
        .size:           1
        .value_kind:     by_value
    .group_segment_fixed_size: 4
    .kernarg_segment_align: 8
    .kernarg_segment_size: 60
    .language:       OpenCL C
    .language_version:
      - 2
      - 0
    .max_flat_workgroup_size: 64
    .name:           _ZN9rocsolver6v33100L18getri_kernel_smallILi1EdPdEEvT1_iilPiilS4_bb
    .private_segment_fixed_size: 0
    .sgpr_count:     18
    .sgpr_spill_count: 0
    .symbol:         _ZN9rocsolver6v33100L18getri_kernel_smallILi1EdPdEEvT1_iilPiilS4_bb.kd
    .uniform_work_group_size: 1
    .uses_dynamic_stack: false
    .vgpr_count:     8
    .vgpr_spill_count: 0
    .wavefront_size: 64
  - .args:
      - .address_space:  global
        .offset:         0
        .size:           8
        .value_kind:     global_buffer
      - .offset:         8
        .size:           4
        .value_kind:     by_value
      - .offset:         12
        .size:           4
        .value_kind:     by_value
      - .offset:         16
        .size:           8
        .value_kind:     by_value
      - .address_space:  global
        .offset:         24
        .size:           8
        .value_kind:     global_buffer
      - .offset:         32
        .size:           4
        .value_kind:     by_value
      - .offset:         40
        .size:           8
        .value_kind:     by_value
      - .address_space:  global
        .offset:         48
        .size:           8
        .value_kind:     global_buffer
      - .offset:         56
        .size:           1
        .value_kind:     by_value
      - .offset:         57
        .size:           1
        .value_kind:     by_value
    .group_segment_fixed_size: 40
    .kernarg_segment_align: 8
    .kernarg_segment_size: 60
    .language:       OpenCL C
    .language_version:
      - 2
      - 0
    .max_flat_workgroup_size: 64
    .name:           _ZN9rocsolver6v33100L18getri_kernel_smallILi2EdPdEEvT1_iilPiilS4_bb
    .private_segment_fixed_size: 0
    .sgpr_count:     24
    .sgpr_spill_count: 0
    .symbol:         _ZN9rocsolver6v33100L18getri_kernel_smallILi2EdPdEEvT1_iilPiilS4_bb.kd
    .uniform_work_group_size: 1
    .uses_dynamic_stack: false
    .vgpr_count:     20
    .vgpr_spill_count: 0
    .wavefront_size: 64
  - .args:
      - .address_space:  global
        .offset:         0
        .size:           8
        .value_kind:     global_buffer
      - .offset:         8
        .size:           4
        .value_kind:     by_value
      - .offset:         12
        .size:           4
        .value_kind:     by_value
      - .offset:         16
        .size:           8
        .value_kind:     by_value
      - .address_space:  global
        .offset:         24
        .size:           8
        .value_kind:     global_buffer
      - .offset:         32
        .size:           4
        .value_kind:     by_value
      - .offset:         40
        .size:           8
        .value_kind:     by_value
      - .address_space:  global
        .offset:         48
        .size:           8
        .value_kind:     global_buffer
      - .offset:         56
        .size:           1
        .value_kind:     by_value
      - .offset:         57
        .size:           1
        .value_kind:     by_value
    .group_segment_fixed_size: 56
    .kernarg_segment_align: 8
    .kernarg_segment_size: 60
    .language:       OpenCL C
    .language_version:
      - 2
      - 0
    .max_flat_workgroup_size: 64
    .name:           _ZN9rocsolver6v33100L18getri_kernel_smallILi3EdPdEEvT1_iilPiilS4_bb
    .private_segment_fixed_size: 0
    .sgpr_count:     24
    .sgpr_spill_count: 0
    .symbol:         _ZN9rocsolver6v33100L18getri_kernel_smallILi3EdPdEEvT1_iilPiilS4_bb.kd
    .uniform_work_group_size: 1
    .uses_dynamic_stack: false
    .vgpr_count:     24
    .vgpr_spill_count: 0
    .wavefront_size: 64
  - .args:
      - .address_space:  global
        .offset:         0
        .size:           8
        .value_kind:     global_buffer
      - .offset:         8
        .size:           4
        .value_kind:     by_value
      - .offset:         12
        .size:           4
        .value_kind:     by_value
      - .offset:         16
        .size:           8
        .value_kind:     by_value
      - .address_space:  global
        .offset:         24
        .size:           8
        .value_kind:     global_buffer
      - .offset:         32
        .size:           4
        .value_kind:     by_value
      - .offset:         40
        .size:           8
        .value_kind:     by_value
      - .address_space:  global
        .offset:         48
        .size:           8
        .value_kind:     global_buffer
      - .offset:         56
        .size:           1
        .value_kind:     by_value
      - .offset:         57
        .size:           1
        .value_kind:     by_value
    .group_segment_fixed_size: 72
    .kernarg_segment_align: 8
    .kernarg_segment_size: 60
    .language:       OpenCL C
    .language_version:
      - 2
      - 0
    .max_flat_workgroup_size: 64
    .name:           _ZN9rocsolver6v33100L18getri_kernel_smallILi4EdPdEEvT1_iilPiilS4_bb
    .private_segment_fixed_size: 0
    .sgpr_count:     24
    .sgpr_spill_count: 0
    .symbol:         _ZN9rocsolver6v33100L18getri_kernel_smallILi4EdPdEEvT1_iilPiilS4_bb.kd
    .uniform_work_group_size: 1
    .uses_dynamic_stack: false
    .vgpr_count:     29
    .vgpr_spill_count: 0
    .wavefront_size: 64
  - .args:
      - .address_space:  global
        .offset:         0
        .size:           8
        .value_kind:     global_buffer
      - .offset:         8
        .size:           4
        .value_kind:     by_value
      - .offset:         12
        .size:           4
        .value_kind:     by_value
      - .offset:         16
        .size:           8
        .value_kind:     by_value
      - .address_space:  global
        .offset:         24
        .size:           8
        .value_kind:     global_buffer
      - .offset:         32
        .size:           4
        .value_kind:     by_value
      - .offset:         40
        .size:           8
        .value_kind:     by_value
      - .address_space:  global
        .offset:         48
        .size:           8
        .value_kind:     global_buffer
      - .offset:         56
        .size:           1
        .value_kind:     by_value
      - .offset:         57
        .size:           1
        .value_kind:     by_value
    .group_segment_fixed_size: 88
    .kernarg_segment_align: 8
    .kernarg_segment_size: 60
    .language:       OpenCL C
    .language_version:
      - 2
      - 0
    .max_flat_workgroup_size: 64
    .name:           _ZN9rocsolver6v33100L18getri_kernel_smallILi5EdPdEEvT1_iilPiilS4_bb
    .private_segment_fixed_size: 0
    .sgpr_count:     24
    .sgpr_spill_count: 0
    .symbol:         _ZN9rocsolver6v33100L18getri_kernel_smallILi5EdPdEEvT1_iilPiilS4_bb.kd
    .uniform_work_group_size: 1
    .uses_dynamic_stack: false
    .vgpr_count:     38
    .vgpr_spill_count: 0
    .wavefront_size: 64
  - .args:
      - .address_space:  global
        .offset:         0
        .size:           8
        .value_kind:     global_buffer
      - .offset:         8
        .size:           4
        .value_kind:     by_value
      - .offset:         12
        .size:           4
        .value_kind:     by_value
      - .offset:         16
        .size:           8
        .value_kind:     by_value
      - .address_space:  global
        .offset:         24
        .size:           8
        .value_kind:     global_buffer
      - .offset:         32
        .size:           4
        .value_kind:     by_value
      - .offset:         40
        .size:           8
        .value_kind:     by_value
      - .address_space:  global
        .offset:         48
        .size:           8
        .value_kind:     global_buffer
      - .offset:         56
        .size:           1
        .value_kind:     by_value
      - .offset:         57
        .size:           1
        .value_kind:     by_value
    .group_segment_fixed_size: 104
    .kernarg_segment_align: 8
    .kernarg_segment_size: 60
    .language:       OpenCL C
    .language_version:
      - 2
      - 0
    .max_flat_workgroup_size: 64
    .name:           _ZN9rocsolver6v33100L18getri_kernel_smallILi6EdPdEEvT1_iilPiilS4_bb
    .private_segment_fixed_size: 0
    .sgpr_count:     24
    .sgpr_spill_count: 0
    .symbol:         _ZN9rocsolver6v33100L18getri_kernel_smallILi6EdPdEEvT1_iilPiilS4_bb.kd
    .uniform_work_group_size: 1
    .uses_dynamic_stack: false
    .vgpr_count:     40
    .vgpr_spill_count: 0
    .wavefront_size: 64
  - .args:
      - .address_space:  global
        .offset:         0
        .size:           8
        .value_kind:     global_buffer
      - .offset:         8
        .size:           4
        .value_kind:     by_value
      - .offset:         12
        .size:           4
        .value_kind:     by_value
      - .offset:         16
        .size:           8
        .value_kind:     by_value
      - .address_space:  global
        .offset:         24
        .size:           8
        .value_kind:     global_buffer
      - .offset:         32
        .size:           4
        .value_kind:     by_value
      - .offset:         40
        .size:           8
        .value_kind:     by_value
      - .address_space:  global
        .offset:         48
        .size:           8
        .value_kind:     global_buffer
      - .offset:         56
        .size:           1
        .value_kind:     by_value
      - .offset:         57
        .size:           1
        .value_kind:     by_value
    .group_segment_fixed_size: 120
    .kernarg_segment_align: 8
    .kernarg_segment_size: 60
    .language:       OpenCL C
    .language_version:
      - 2
      - 0
    .max_flat_workgroup_size: 64
    .name:           _ZN9rocsolver6v33100L18getri_kernel_smallILi7EdPdEEvT1_iilPiilS4_bb
    .private_segment_fixed_size: 0
    .sgpr_count:     26
    .sgpr_spill_count: 0
    .symbol:         _ZN9rocsolver6v33100L18getri_kernel_smallILi7EdPdEEvT1_iilPiilS4_bb.kd
    .uniform_work_group_size: 1
    .uses_dynamic_stack: false
    .vgpr_count:     46
    .vgpr_spill_count: 0
    .wavefront_size: 64
  - .args:
      - .address_space:  global
        .offset:         0
        .size:           8
        .value_kind:     global_buffer
      - .offset:         8
        .size:           4
        .value_kind:     by_value
      - .offset:         12
        .size:           4
        .value_kind:     by_value
      - .offset:         16
        .size:           8
        .value_kind:     by_value
      - .address_space:  global
        .offset:         24
        .size:           8
        .value_kind:     global_buffer
      - .offset:         32
        .size:           4
        .value_kind:     by_value
      - .offset:         40
        .size:           8
        .value_kind:     by_value
      - .address_space:  global
        .offset:         48
        .size:           8
        .value_kind:     global_buffer
      - .offset:         56
        .size:           1
        .value_kind:     by_value
      - .offset:         57
        .size:           1
        .value_kind:     by_value
    .group_segment_fixed_size: 136
    .kernarg_segment_align: 8
    .kernarg_segment_size: 60
    .language:       OpenCL C
    .language_version:
      - 2
      - 0
    .max_flat_workgroup_size: 64
    .name:           _ZN9rocsolver6v33100L18getri_kernel_smallILi8EdPdEEvT1_iilPiilS4_bb
    .private_segment_fixed_size: 0
    .sgpr_count:     28
    .sgpr_spill_count: 0
    .symbol:         _ZN9rocsolver6v33100L18getri_kernel_smallILi8EdPdEEvT1_iilPiilS4_bb.kd
    .uniform_work_group_size: 1
    .uses_dynamic_stack: false
    .vgpr_count:     48
    .vgpr_spill_count: 0
    .wavefront_size: 64
  - .args:
      - .address_space:  global
        .offset:         0
        .size:           8
        .value_kind:     global_buffer
      - .offset:         8
        .size:           4
        .value_kind:     by_value
      - .offset:         12
        .size:           4
        .value_kind:     by_value
      - .offset:         16
        .size:           8
        .value_kind:     by_value
      - .address_space:  global
        .offset:         24
        .size:           8
        .value_kind:     global_buffer
      - .offset:         32
        .size:           4
        .value_kind:     by_value
      - .offset:         40
        .size:           8
        .value_kind:     by_value
      - .address_space:  global
        .offset:         48
        .size:           8
        .value_kind:     global_buffer
      - .offset:         56
        .size:           1
        .value_kind:     by_value
      - .offset:         57
        .size:           1
        .value_kind:     by_value
    .group_segment_fixed_size: 152
    .kernarg_segment_align: 8
    .kernarg_segment_size: 60
    .language:       OpenCL C
    .language_version:
      - 2
      - 0
    .max_flat_workgroup_size: 64
    .name:           _ZN9rocsolver6v33100L18getri_kernel_smallILi9EdPdEEvT1_iilPiilS4_bb
    .private_segment_fixed_size: 0
    .sgpr_count:     44
    .sgpr_spill_count: 0
    .symbol:         _ZN9rocsolver6v33100L18getri_kernel_smallILi9EdPdEEvT1_iilPiilS4_bb.kd
    .uniform_work_group_size: 1
    .uses_dynamic_stack: false
    .vgpr_count:     70
    .vgpr_spill_count: 0
    .wavefront_size: 64
  - .args:
      - .address_space:  global
        .offset:         0
        .size:           8
        .value_kind:     global_buffer
      - .offset:         8
        .size:           4
        .value_kind:     by_value
      - .offset:         12
        .size:           4
        .value_kind:     by_value
      - .offset:         16
        .size:           8
        .value_kind:     by_value
      - .address_space:  global
        .offset:         24
        .size:           8
        .value_kind:     global_buffer
      - .offset:         32
        .size:           4
        .value_kind:     by_value
      - .offset:         40
        .size:           8
        .value_kind:     by_value
      - .address_space:  global
        .offset:         48
        .size:           8
        .value_kind:     global_buffer
      - .offset:         56
        .size:           1
        .value_kind:     by_value
      - .offset:         57
        .size:           1
        .value_kind:     by_value
    .group_segment_fixed_size: 168
    .kernarg_segment_align: 8
    .kernarg_segment_size: 60
    .language:       OpenCL C
    .language_version:
      - 2
      - 0
    .max_flat_workgroup_size: 64
    .name:           _ZN9rocsolver6v33100L18getri_kernel_smallILi10EdPdEEvT1_iilPiilS4_bb
    .private_segment_fixed_size: 0
    .sgpr_count:     46
    .sgpr_spill_count: 0
    .symbol:         _ZN9rocsolver6v33100L18getri_kernel_smallILi10EdPdEEvT1_iilPiilS4_bb.kd
    .uniform_work_group_size: 1
    .uses_dynamic_stack: false
    .vgpr_count:     72
    .vgpr_spill_count: 0
    .wavefront_size: 64
  - .args:
      - .address_space:  global
        .offset:         0
        .size:           8
        .value_kind:     global_buffer
      - .offset:         8
        .size:           4
        .value_kind:     by_value
      - .offset:         12
        .size:           4
        .value_kind:     by_value
      - .offset:         16
        .size:           8
        .value_kind:     by_value
      - .address_space:  global
        .offset:         24
        .size:           8
        .value_kind:     global_buffer
      - .offset:         32
        .size:           4
        .value_kind:     by_value
      - .offset:         40
        .size:           8
        .value_kind:     by_value
      - .address_space:  global
        .offset:         48
        .size:           8
        .value_kind:     global_buffer
      - .offset:         56
        .size:           1
        .value_kind:     by_value
      - .offset:         57
        .size:           1
        .value_kind:     by_value
    .group_segment_fixed_size: 184
    .kernarg_segment_align: 8
    .kernarg_segment_size: 60
    .language:       OpenCL C
    .language_version:
      - 2
      - 0
    .max_flat_workgroup_size: 64
    .name:           _ZN9rocsolver6v33100L18getri_kernel_smallILi11EdPdEEvT1_iilPiilS4_bb
    .private_segment_fixed_size: 0
    .sgpr_count:     48
    .sgpr_spill_count: 0
    .symbol:         _ZN9rocsolver6v33100L18getri_kernel_smallILi11EdPdEEvT1_iilPiilS4_bb.kd
    .uniform_work_group_size: 1
    .uses_dynamic_stack: false
    .vgpr_count:     78
    .vgpr_spill_count: 0
    .wavefront_size: 64
  - .args:
      - .address_space:  global
        .offset:         0
        .size:           8
        .value_kind:     global_buffer
      - .offset:         8
        .size:           4
        .value_kind:     by_value
      - .offset:         12
        .size:           4
        .value_kind:     by_value
      - .offset:         16
        .size:           8
        .value_kind:     by_value
      - .address_space:  global
        .offset:         24
        .size:           8
        .value_kind:     global_buffer
      - .offset:         32
        .size:           4
        .value_kind:     by_value
      - .offset:         40
        .size:           8
        .value_kind:     by_value
      - .address_space:  global
        .offset:         48
        .size:           8
        .value_kind:     global_buffer
      - .offset:         56
        .size:           1
        .value_kind:     by_value
      - .offset:         57
        .size:           1
        .value_kind:     by_value
    .group_segment_fixed_size: 200
    .kernarg_segment_align: 8
    .kernarg_segment_size: 60
    .language:       OpenCL C
    .language_version:
      - 2
      - 0
    .max_flat_workgroup_size: 64
    .name:           _ZN9rocsolver6v33100L18getri_kernel_smallILi12EdPdEEvT1_iilPiilS4_bb
    .private_segment_fixed_size: 0
    .sgpr_count:     50
    .sgpr_spill_count: 0
    .symbol:         _ZN9rocsolver6v33100L18getri_kernel_smallILi12EdPdEEvT1_iilPiilS4_bb.kd
    .uniform_work_group_size: 1
    .uses_dynamic_stack: false
    .vgpr_count:     80
    .vgpr_spill_count: 0
    .wavefront_size: 64
  - .args:
      - .address_space:  global
        .offset:         0
        .size:           8
        .value_kind:     global_buffer
      - .offset:         8
        .size:           4
        .value_kind:     by_value
      - .offset:         12
        .size:           4
        .value_kind:     by_value
      - .offset:         16
        .size:           8
        .value_kind:     by_value
      - .address_space:  global
        .offset:         24
        .size:           8
        .value_kind:     global_buffer
      - .offset:         32
        .size:           4
        .value_kind:     by_value
      - .offset:         40
        .size:           8
        .value_kind:     by_value
      - .address_space:  global
        .offset:         48
        .size:           8
        .value_kind:     global_buffer
      - .offset:         56
        .size:           1
        .value_kind:     by_value
      - .offset:         57
        .size:           1
        .value_kind:     by_value
    .group_segment_fixed_size: 216
    .kernarg_segment_align: 8
    .kernarg_segment_size: 60
    .language:       OpenCL C
    .language_version:
      - 2
      - 0
    .max_flat_workgroup_size: 64
    .name:           _ZN9rocsolver6v33100L18getri_kernel_smallILi13EdPdEEvT1_iilPiilS4_bb
    .private_segment_fixed_size: 0
    .sgpr_count:     52
    .sgpr_spill_count: 0
    .symbol:         _ZN9rocsolver6v33100L18getri_kernel_smallILi13EdPdEEvT1_iilPiilS4_bb.kd
    .uniform_work_group_size: 1
    .uses_dynamic_stack: false
    .vgpr_count:     88
    .vgpr_spill_count: 0
    .wavefront_size: 64
  - .args:
      - .address_space:  global
        .offset:         0
        .size:           8
        .value_kind:     global_buffer
      - .offset:         8
        .size:           4
        .value_kind:     by_value
      - .offset:         12
        .size:           4
        .value_kind:     by_value
      - .offset:         16
        .size:           8
        .value_kind:     by_value
      - .address_space:  global
        .offset:         24
        .size:           8
        .value_kind:     global_buffer
      - .offset:         32
        .size:           4
        .value_kind:     by_value
      - .offset:         40
        .size:           8
        .value_kind:     by_value
      - .address_space:  global
        .offset:         48
        .size:           8
        .value_kind:     global_buffer
      - .offset:         56
        .size:           1
        .value_kind:     by_value
      - .offset:         57
        .size:           1
        .value_kind:     by_value
    .group_segment_fixed_size: 232
    .kernarg_segment_align: 8
    .kernarg_segment_size: 60
    .language:       OpenCL C
    .language_version:
      - 2
      - 0
    .max_flat_workgroup_size: 64
    .name:           _ZN9rocsolver6v33100L18getri_kernel_smallILi14EdPdEEvT1_iilPiilS4_bb
    .private_segment_fixed_size: 0
    .sgpr_count:     54
    .sgpr_spill_count: 0
    .symbol:         _ZN9rocsolver6v33100L18getri_kernel_smallILi14EdPdEEvT1_iilPiilS4_bb.kd
    .uniform_work_group_size: 1
    .uses_dynamic_stack: false
    .vgpr_count:     90
    .vgpr_spill_count: 0
    .wavefront_size: 64
  - .args:
      - .address_space:  global
        .offset:         0
        .size:           8
        .value_kind:     global_buffer
      - .offset:         8
        .size:           4
        .value_kind:     by_value
      - .offset:         12
        .size:           4
        .value_kind:     by_value
      - .offset:         16
        .size:           8
        .value_kind:     by_value
      - .address_space:  global
        .offset:         24
        .size:           8
        .value_kind:     global_buffer
      - .offset:         32
        .size:           4
        .value_kind:     by_value
      - .offset:         40
        .size:           8
        .value_kind:     by_value
      - .address_space:  global
        .offset:         48
        .size:           8
        .value_kind:     global_buffer
      - .offset:         56
        .size:           1
        .value_kind:     by_value
      - .offset:         57
        .size:           1
        .value_kind:     by_value
    .group_segment_fixed_size: 248
    .kernarg_segment_align: 8
    .kernarg_segment_size: 60
    .language:       OpenCL C
    .language_version:
      - 2
      - 0
    .max_flat_workgroup_size: 64
    .name:           _ZN9rocsolver6v33100L18getri_kernel_smallILi15EdPdEEvT1_iilPiilS4_bb
    .private_segment_fixed_size: 0
    .sgpr_count:     56
    .sgpr_spill_count: 0
    .symbol:         _ZN9rocsolver6v33100L18getri_kernel_smallILi15EdPdEEvT1_iilPiilS4_bb.kd
    .uniform_work_group_size: 1
    .uses_dynamic_stack: false
    .vgpr_count:     96
    .vgpr_spill_count: 0
    .wavefront_size: 64
  - .args:
      - .address_space:  global
        .offset:         0
        .size:           8
        .value_kind:     global_buffer
      - .offset:         8
        .size:           4
        .value_kind:     by_value
      - .offset:         12
        .size:           4
        .value_kind:     by_value
      - .offset:         16
        .size:           8
        .value_kind:     by_value
      - .address_space:  global
        .offset:         24
        .size:           8
        .value_kind:     global_buffer
      - .offset:         32
        .size:           4
        .value_kind:     by_value
      - .offset:         40
        .size:           8
        .value_kind:     by_value
      - .address_space:  global
        .offset:         48
        .size:           8
        .value_kind:     global_buffer
      - .offset:         56
        .size:           1
        .value_kind:     by_value
      - .offset:         57
        .size:           1
        .value_kind:     by_value
    .group_segment_fixed_size: 264
    .kernarg_segment_align: 8
    .kernarg_segment_size: 60
    .language:       OpenCL C
    .language_version:
      - 2
      - 0
    .max_flat_workgroup_size: 64
    .name:           _ZN9rocsolver6v33100L18getri_kernel_smallILi16EdPdEEvT1_iilPiilS4_bb
    .private_segment_fixed_size: 0
    .sgpr_count:     58
    .sgpr_spill_count: 0
    .symbol:         _ZN9rocsolver6v33100L18getri_kernel_smallILi16EdPdEEvT1_iilPiilS4_bb.kd
    .uniform_work_group_size: 1
    .uses_dynamic_stack: false
    .vgpr_count:     96
    .vgpr_spill_count: 0
    .wavefront_size: 64
  - .args:
      - .address_space:  global
        .offset:         0
        .size:           8
        .value_kind:     global_buffer
      - .offset:         8
        .size:           4
        .value_kind:     by_value
      - .offset:         12
        .size:           4
        .value_kind:     by_value
      - .offset:         16
        .size:           8
        .value_kind:     by_value
      - .address_space:  global
        .offset:         24
        .size:           8
        .value_kind:     global_buffer
      - .offset:         32
        .size:           4
        .value_kind:     by_value
      - .offset:         40
        .size:           8
        .value_kind:     by_value
      - .address_space:  global
        .offset:         48
        .size:           8
        .value_kind:     global_buffer
      - .offset:         56
        .size:           1
        .value_kind:     by_value
      - .offset:         57
        .size:           1
        .value_kind:     by_value
    .group_segment_fixed_size: 280
    .kernarg_segment_align: 8
    .kernarg_segment_size: 60
    .language:       OpenCL C
    .language_version:
      - 2
      - 0
    .max_flat_workgroup_size: 64
    .name:           _ZN9rocsolver6v33100L18getri_kernel_smallILi17EdPdEEvT1_iilPiilS4_bb
    .private_segment_fixed_size: 144
    .sgpr_count:     28
    .sgpr_spill_count: 0
    .symbol:         _ZN9rocsolver6v33100L18getri_kernel_smallILi17EdPdEEvT1_iilPiilS4_bb.kd
    .uniform_work_group_size: 1
    .uses_dynamic_stack: false
    .vgpr_count:     71
    .vgpr_spill_count: 0
    .wavefront_size: 64
  - .args:
      - .address_space:  global
        .offset:         0
        .size:           8
        .value_kind:     global_buffer
      - .offset:         8
        .size:           4
        .value_kind:     by_value
      - .offset:         12
        .size:           4
        .value_kind:     by_value
      - .offset:         16
        .size:           8
        .value_kind:     by_value
      - .address_space:  global
        .offset:         24
        .size:           8
        .value_kind:     global_buffer
      - .offset:         32
        .size:           4
        .value_kind:     by_value
      - .offset:         40
        .size:           8
        .value_kind:     by_value
      - .address_space:  global
        .offset:         48
        .size:           8
        .value_kind:     global_buffer
      - .offset:         56
        .size:           1
        .value_kind:     by_value
      - .offset:         57
        .size:           1
        .value_kind:     by_value
    .group_segment_fixed_size: 296
    .kernarg_segment_align: 8
    .kernarg_segment_size: 60
    .language:       OpenCL C
    .language_version:
      - 2
      - 0
    .max_flat_workgroup_size: 64
    .name:           _ZN9rocsolver6v33100L18getri_kernel_smallILi18EdPdEEvT1_iilPiilS4_bb
    .private_segment_fixed_size: 160
    .sgpr_count:     28
    .sgpr_spill_count: 0
    .symbol:         _ZN9rocsolver6v33100L18getri_kernel_smallILi18EdPdEEvT1_iilPiilS4_bb.kd
    .uniform_work_group_size: 1
    .uses_dynamic_stack: false
    .vgpr_count:     75
    .vgpr_spill_count: 0
    .wavefront_size: 64
  - .args:
      - .address_space:  global
        .offset:         0
        .size:           8
        .value_kind:     global_buffer
      - .offset:         8
        .size:           4
        .value_kind:     by_value
      - .offset:         12
        .size:           4
        .value_kind:     by_value
      - .offset:         16
        .size:           8
        .value_kind:     by_value
      - .address_space:  global
        .offset:         24
        .size:           8
        .value_kind:     global_buffer
      - .offset:         32
        .size:           4
        .value_kind:     by_value
      - .offset:         40
        .size:           8
        .value_kind:     by_value
      - .address_space:  global
        .offset:         48
        .size:           8
        .value_kind:     global_buffer
      - .offset:         56
        .size:           1
        .value_kind:     by_value
      - .offset:         57
        .size:           1
        .value_kind:     by_value
    .group_segment_fixed_size: 312
    .kernarg_segment_align: 8
    .kernarg_segment_size: 60
    .language:       OpenCL C
    .language_version:
      - 2
      - 0
    .max_flat_workgroup_size: 64
    .name:           _ZN9rocsolver6v33100L18getri_kernel_smallILi19EdPdEEvT1_iilPiilS4_bb
    .private_segment_fixed_size: 160
    .sgpr_count:     28
    .sgpr_spill_count: 0
    .symbol:         _ZN9rocsolver6v33100L18getri_kernel_smallILi19EdPdEEvT1_iilPiilS4_bb.kd
    .uniform_work_group_size: 1
    .uses_dynamic_stack: false
    .vgpr_count:     78
    .vgpr_spill_count: 0
    .wavefront_size: 64
  - .args:
      - .address_space:  global
        .offset:         0
        .size:           8
        .value_kind:     global_buffer
      - .offset:         8
        .size:           4
        .value_kind:     by_value
      - .offset:         12
        .size:           4
        .value_kind:     by_value
      - .offset:         16
        .size:           8
        .value_kind:     by_value
      - .address_space:  global
        .offset:         24
        .size:           8
        .value_kind:     global_buffer
      - .offset:         32
        .size:           4
        .value_kind:     by_value
      - .offset:         40
        .size:           8
        .value_kind:     by_value
      - .address_space:  global
        .offset:         48
        .size:           8
        .value_kind:     global_buffer
      - .offset:         56
        .size:           1
        .value_kind:     by_value
      - .offset:         57
        .size:           1
        .value_kind:     by_value
    .group_segment_fixed_size: 328
    .kernarg_segment_align: 8
    .kernarg_segment_size: 60
    .language:       OpenCL C
    .language_version:
      - 2
      - 0
    .max_flat_workgroup_size: 64
    .name:           _ZN9rocsolver6v33100L18getri_kernel_smallILi20EdPdEEvT1_iilPiilS4_bb
    .private_segment_fixed_size: 176
    .sgpr_count:     28
    .sgpr_spill_count: 0
    .symbol:         _ZN9rocsolver6v33100L18getri_kernel_smallILi20EdPdEEvT1_iilPiilS4_bb.kd
    .uniform_work_group_size: 1
    .uses_dynamic_stack: false
    .vgpr_count:     81
    .vgpr_spill_count: 0
    .wavefront_size: 64
  - .args:
      - .address_space:  global
        .offset:         0
        .size:           8
        .value_kind:     global_buffer
      - .offset:         8
        .size:           4
        .value_kind:     by_value
      - .offset:         12
        .size:           4
        .value_kind:     by_value
      - .offset:         16
        .size:           8
        .value_kind:     by_value
      - .address_space:  global
        .offset:         24
        .size:           8
        .value_kind:     global_buffer
      - .offset:         32
        .size:           4
        .value_kind:     by_value
      - .offset:         40
        .size:           8
        .value_kind:     by_value
      - .address_space:  global
        .offset:         48
        .size:           8
        .value_kind:     global_buffer
      - .offset:         56
        .size:           1
        .value_kind:     by_value
      - .offset:         57
        .size:           1
        .value_kind:     by_value
    .group_segment_fixed_size: 344
    .kernarg_segment_align: 8
    .kernarg_segment_size: 60
    .language:       OpenCL C
    .language_version:
      - 2
      - 0
    .max_flat_workgroup_size: 64
    .name:           _ZN9rocsolver6v33100L18getri_kernel_smallILi21EdPdEEvT1_iilPiilS4_bb
    .private_segment_fixed_size: 176
    .sgpr_count:     28
    .sgpr_spill_count: 0
    .symbol:         _ZN9rocsolver6v33100L18getri_kernel_smallILi21EdPdEEvT1_iilPiilS4_bb.kd
    .uniform_work_group_size: 1
    .uses_dynamic_stack: false
    .vgpr_count:     81
    .vgpr_spill_count: 0
    .wavefront_size: 64
  - .args:
      - .address_space:  global
        .offset:         0
        .size:           8
        .value_kind:     global_buffer
      - .offset:         8
        .size:           4
        .value_kind:     by_value
      - .offset:         12
        .size:           4
        .value_kind:     by_value
      - .offset:         16
        .size:           8
        .value_kind:     by_value
      - .address_space:  global
        .offset:         24
        .size:           8
        .value_kind:     global_buffer
      - .offset:         32
        .size:           4
        .value_kind:     by_value
      - .offset:         40
        .size:           8
        .value_kind:     by_value
      - .address_space:  global
        .offset:         48
        .size:           8
        .value_kind:     global_buffer
      - .offset:         56
        .size:           1
        .value_kind:     by_value
      - .offset:         57
        .size:           1
        .value_kind:     by_value
    .group_segment_fixed_size: 360
    .kernarg_segment_align: 8
    .kernarg_segment_size: 60
    .language:       OpenCL C
    .language_version:
      - 2
      - 0
    .max_flat_workgroup_size: 64
    .name:           _ZN9rocsolver6v33100L18getri_kernel_smallILi22EdPdEEvT1_iilPiilS4_bb
    .private_segment_fixed_size: 192
    .sgpr_count:     28
    .sgpr_spill_count: 0
    .symbol:         _ZN9rocsolver6v33100L18getri_kernel_smallILi22EdPdEEvT1_iilPiilS4_bb.kd
    .uniform_work_group_size: 1
    .uses_dynamic_stack: false
    .vgpr_count:     81
    .vgpr_spill_count: 0
    .wavefront_size: 64
  - .args:
      - .address_space:  global
        .offset:         0
        .size:           8
        .value_kind:     global_buffer
      - .offset:         8
        .size:           4
        .value_kind:     by_value
      - .offset:         12
        .size:           4
        .value_kind:     by_value
      - .offset:         16
        .size:           8
        .value_kind:     by_value
      - .address_space:  global
        .offset:         24
        .size:           8
        .value_kind:     global_buffer
      - .offset:         32
        .size:           4
        .value_kind:     by_value
      - .offset:         40
        .size:           8
        .value_kind:     by_value
      - .address_space:  global
        .offset:         48
        .size:           8
        .value_kind:     global_buffer
      - .offset:         56
        .size:           1
        .value_kind:     by_value
      - .offset:         57
        .size:           1
        .value_kind:     by_value
    .group_segment_fixed_size: 376
    .kernarg_segment_align: 8
    .kernarg_segment_size: 60
    .language:       OpenCL C
    .language_version:
      - 2
      - 0
    .max_flat_workgroup_size: 64
    .name:           _ZN9rocsolver6v33100L18getri_kernel_smallILi23EdPdEEvT1_iilPiilS4_bb
    .private_segment_fixed_size: 192
    .sgpr_count:     28
    .sgpr_spill_count: 0
    .symbol:         _ZN9rocsolver6v33100L18getri_kernel_smallILi23EdPdEEvT1_iilPiilS4_bb.kd
    .uniform_work_group_size: 1
    .uses_dynamic_stack: false
    .vgpr_count:     84
    .vgpr_spill_count: 0
    .wavefront_size: 64
  - .args:
      - .address_space:  global
        .offset:         0
        .size:           8
        .value_kind:     global_buffer
      - .offset:         8
        .size:           4
        .value_kind:     by_value
      - .offset:         12
        .size:           4
        .value_kind:     by_value
      - .offset:         16
        .size:           8
        .value_kind:     by_value
      - .address_space:  global
        .offset:         24
        .size:           8
        .value_kind:     global_buffer
      - .offset:         32
        .size:           4
        .value_kind:     by_value
      - .offset:         40
        .size:           8
        .value_kind:     by_value
      - .address_space:  global
        .offset:         48
        .size:           8
        .value_kind:     global_buffer
      - .offset:         56
        .size:           1
        .value_kind:     by_value
      - .offset:         57
        .size:           1
        .value_kind:     by_value
    .group_segment_fixed_size: 392
    .kernarg_segment_align: 8
    .kernarg_segment_size: 60
    .language:       OpenCL C
    .language_version:
      - 2
      - 0
    .max_flat_workgroup_size: 64
    .name:           _ZN9rocsolver6v33100L18getri_kernel_smallILi24EdPdEEvT1_iilPiilS4_bb
    .private_segment_fixed_size: 208
    .sgpr_count:     28
    .sgpr_spill_count: 0
    .symbol:         _ZN9rocsolver6v33100L18getri_kernel_smallILi24EdPdEEvT1_iilPiilS4_bb.kd
    .uniform_work_group_size: 1
    .uses_dynamic_stack: false
    .vgpr_count:     85
    .vgpr_spill_count: 0
    .wavefront_size: 64
  - .args:
      - .address_space:  global
        .offset:         0
        .size:           8
        .value_kind:     global_buffer
      - .offset:         8
        .size:           4
        .value_kind:     by_value
      - .offset:         12
        .size:           4
        .value_kind:     by_value
      - .offset:         16
        .size:           8
        .value_kind:     by_value
      - .address_space:  global
        .offset:         24
        .size:           8
        .value_kind:     global_buffer
      - .offset:         32
        .size:           4
        .value_kind:     by_value
      - .offset:         40
        .size:           8
        .value_kind:     by_value
      - .address_space:  global
        .offset:         48
        .size:           8
        .value_kind:     global_buffer
      - .offset:         56
        .size:           1
        .value_kind:     by_value
      - .offset:         57
        .size:           1
        .value_kind:     by_value
    .group_segment_fixed_size: 408
    .kernarg_segment_align: 8
    .kernarg_segment_size: 60
    .language:       OpenCL C
    .language_version:
      - 2
      - 0
    .max_flat_workgroup_size: 64
    .name:           _ZN9rocsolver6v33100L18getri_kernel_smallILi25EdPdEEvT1_iilPiilS4_bb
    .private_segment_fixed_size: 208
    .sgpr_count:     28
    .sgpr_spill_count: 0
    .symbol:         _ZN9rocsolver6v33100L18getri_kernel_smallILi25EdPdEEvT1_iilPiilS4_bb.kd
    .uniform_work_group_size: 1
    .uses_dynamic_stack: false
    .vgpr_count:     81
    .vgpr_spill_count: 0
    .wavefront_size: 64
  - .args:
      - .address_space:  global
        .offset:         0
        .size:           8
        .value_kind:     global_buffer
      - .offset:         8
        .size:           4
        .value_kind:     by_value
      - .offset:         12
        .size:           4
        .value_kind:     by_value
      - .offset:         16
        .size:           8
        .value_kind:     by_value
      - .address_space:  global
        .offset:         24
        .size:           8
        .value_kind:     global_buffer
      - .offset:         32
        .size:           4
        .value_kind:     by_value
      - .offset:         40
        .size:           8
        .value_kind:     by_value
      - .address_space:  global
        .offset:         48
        .size:           8
        .value_kind:     global_buffer
      - .offset:         56
        .size:           1
        .value_kind:     by_value
      - .offset:         57
        .size:           1
        .value_kind:     by_value
    .group_segment_fixed_size: 424
    .kernarg_segment_align: 8
    .kernarg_segment_size: 60
    .language:       OpenCL C
    .language_version:
      - 2
      - 0
    .max_flat_workgroup_size: 64
    .name:           _ZN9rocsolver6v33100L18getri_kernel_smallILi26EdPdEEvT1_iilPiilS4_bb
    .private_segment_fixed_size: 224
    .sgpr_count:     28
    .sgpr_spill_count: 0
    .symbol:         _ZN9rocsolver6v33100L18getri_kernel_smallILi26EdPdEEvT1_iilPiilS4_bb.kd
    .uniform_work_group_size: 1
    .uses_dynamic_stack: false
    .vgpr_count:     106
    .vgpr_spill_count: 0
    .wavefront_size: 64
  - .args:
      - .address_space:  global
        .offset:         0
        .size:           8
        .value_kind:     global_buffer
      - .offset:         8
        .size:           4
        .value_kind:     by_value
      - .offset:         12
        .size:           4
        .value_kind:     by_value
      - .offset:         16
        .size:           8
        .value_kind:     by_value
      - .address_space:  global
        .offset:         24
        .size:           8
        .value_kind:     global_buffer
      - .offset:         32
        .size:           4
        .value_kind:     by_value
      - .offset:         40
        .size:           8
        .value_kind:     by_value
      - .address_space:  global
        .offset:         48
        .size:           8
        .value_kind:     global_buffer
      - .offset:         56
        .size:           1
        .value_kind:     by_value
      - .offset:         57
        .size:           1
        .value_kind:     by_value
    .group_segment_fixed_size: 440
    .kernarg_segment_align: 8
    .kernarg_segment_size: 60
    .language:       OpenCL C
    .language_version:
      - 2
      - 0
    .max_flat_workgroup_size: 64
    .name:           _ZN9rocsolver6v33100L18getri_kernel_smallILi27EdPdEEvT1_iilPiilS4_bb
    .private_segment_fixed_size: 224
    .sgpr_count:     28
    .sgpr_spill_count: 0
    .symbol:         _ZN9rocsolver6v33100L18getri_kernel_smallILi27EdPdEEvT1_iilPiilS4_bb.kd
    .uniform_work_group_size: 1
    .uses_dynamic_stack: false
    .vgpr_count:     110
    .vgpr_spill_count: 0
    .wavefront_size: 64
  - .args:
      - .address_space:  global
        .offset:         0
        .size:           8
        .value_kind:     global_buffer
      - .offset:         8
        .size:           4
        .value_kind:     by_value
      - .offset:         12
        .size:           4
        .value_kind:     by_value
      - .offset:         16
        .size:           8
        .value_kind:     by_value
      - .address_space:  global
        .offset:         24
        .size:           8
        .value_kind:     global_buffer
      - .offset:         32
        .size:           4
        .value_kind:     by_value
      - .offset:         40
        .size:           8
        .value_kind:     by_value
      - .address_space:  global
        .offset:         48
        .size:           8
        .value_kind:     global_buffer
      - .offset:         56
        .size:           1
        .value_kind:     by_value
      - .offset:         57
        .size:           1
        .value_kind:     by_value
    .group_segment_fixed_size: 456
    .kernarg_segment_align: 8
    .kernarg_segment_size: 60
    .language:       OpenCL C
    .language_version:
      - 2
      - 0
    .max_flat_workgroup_size: 64
    .name:           _ZN9rocsolver6v33100L18getri_kernel_smallILi28EdPdEEvT1_iilPiilS4_bb
    .private_segment_fixed_size: 240
    .sgpr_count:     28
    .sgpr_spill_count: 0
    .symbol:         _ZN9rocsolver6v33100L18getri_kernel_smallILi28EdPdEEvT1_iilPiilS4_bb.kd
    .uniform_work_group_size: 1
    .uses_dynamic_stack: false
    .vgpr_count:     114
    .vgpr_spill_count: 0
    .wavefront_size: 64
  - .args:
      - .address_space:  global
        .offset:         0
        .size:           8
        .value_kind:     global_buffer
      - .offset:         8
        .size:           4
        .value_kind:     by_value
      - .offset:         12
        .size:           4
        .value_kind:     by_value
      - .offset:         16
        .size:           8
        .value_kind:     by_value
      - .address_space:  global
        .offset:         24
        .size:           8
        .value_kind:     global_buffer
      - .offset:         32
        .size:           4
        .value_kind:     by_value
      - .offset:         40
        .size:           8
        .value_kind:     by_value
      - .address_space:  global
        .offset:         48
        .size:           8
        .value_kind:     global_buffer
      - .offset:         56
        .size:           1
        .value_kind:     by_value
      - .offset:         57
        .size:           1
        .value_kind:     by_value
    .group_segment_fixed_size: 472
    .kernarg_segment_align: 8
    .kernarg_segment_size: 60
    .language:       OpenCL C
    .language_version:
      - 2
      - 0
    .max_flat_workgroup_size: 64
    .name:           _ZN9rocsolver6v33100L18getri_kernel_smallILi29EdPdEEvT1_iilPiilS4_bb
    .private_segment_fixed_size: 240
    .sgpr_count:     28
    .sgpr_spill_count: 0
    .symbol:         _ZN9rocsolver6v33100L18getri_kernel_smallILi29EdPdEEvT1_iilPiilS4_bb.kd
    .uniform_work_group_size: 1
    .uses_dynamic_stack: false
    .vgpr_count:     118
    .vgpr_spill_count: 0
    .wavefront_size: 64
  - .args:
      - .address_space:  global
        .offset:         0
        .size:           8
        .value_kind:     global_buffer
      - .offset:         8
        .size:           4
        .value_kind:     by_value
      - .offset:         12
        .size:           4
        .value_kind:     by_value
      - .offset:         16
        .size:           8
        .value_kind:     by_value
      - .address_space:  global
        .offset:         24
        .size:           8
        .value_kind:     global_buffer
      - .offset:         32
        .size:           4
        .value_kind:     by_value
      - .offset:         40
        .size:           8
        .value_kind:     by_value
      - .address_space:  global
        .offset:         48
        .size:           8
        .value_kind:     global_buffer
      - .offset:         56
        .size:           1
        .value_kind:     by_value
      - .offset:         57
        .size:           1
        .value_kind:     by_value
    .group_segment_fixed_size: 488
    .kernarg_segment_align: 8
    .kernarg_segment_size: 60
    .language:       OpenCL C
    .language_version:
      - 2
      - 0
    .max_flat_workgroup_size: 64
    .name:           _ZN9rocsolver6v33100L18getri_kernel_smallILi30EdPdEEvT1_iilPiilS4_bb
    .private_segment_fixed_size: 256
    .sgpr_count:     28
    .sgpr_spill_count: 0
    .symbol:         _ZN9rocsolver6v33100L18getri_kernel_smallILi30EdPdEEvT1_iilPiilS4_bb.kd
    .uniform_work_group_size: 1
    .uses_dynamic_stack: false
    .vgpr_count:     122
    .vgpr_spill_count: 0
    .wavefront_size: 64
  - .args:
      - .address_space:  global
        .offset:         0
        .size:           8
        .value_kind:     global_buffer
      - .offset:         8
        .size:           4
        .value_kind:     by_value
      - .offset:         12
        .size:           4
        .value_kind:     by_value
      - .offset:         16
        .size:           8
        .value_kind:     by_value
      - .address_space:  global
        .offset:         24
        .size:           8
        .value_kind:     global_buffer
      - .offset:         32
        .size:           4
        .value_kind:     by_value
      - .offset:         40
        .size:           8
        .value_kind:     by_value
      - .address_space:  global
        .offset:         48
        .size:           8
        .value_kind:     global_buffer
      - .offset:         56
        .size:           1
        .value_kind:     by_value
      - .offset:         57
        .size:           1
        .value_kind:     by_value
    .group_segment_fixed_size: 504
    .kernarg_segment_align: 8
    .kernarg_segment_size: 60
    .language:       OpenCL C
    .language_version:
      - 2
      - 0
    .max_flat_workgroup_size: 64
    .name:           _ZN9rocsolver6v33100L18getri_kernel_smallILi31EdPdEEvT1_iilPiilS4_bb
    .private_segment_fixed_size: 256
    .sgpr_count:     28
    .sgpr_spill_count: 0
    .symbol:         _ZN9rocsolver6v33100L18getri_kernel_smallILi31EdPdEEvT1_iilPiilS4_bb.kd
    .uniform_work_group_size: 1
    .uses_dynamic_stack: false
    .vgpr_count:     125
    .vgpr_spill_count: 0
    .wavefront_size: 64
  - .args:
      - .address_space:  global
        .offset:         0
        .size:           8
        .value_kind:     global_buffer
      - .offset:         8
        .size:           4
        .value_kind:     by_value
      - .offset:         12
        .size:           4
        .value_kind:     by_value
      - .offset:         16
        .size:           8
        .value_kind:     by_value
      - .address_space:  global
        .offset:         24
        .size:           8
        .value_kind:     global_buffer
      - .offset:         32
        .size:           4
        .value_kind:     by_value
      - .offset:         40
        .size:           8
        .value_kind:     by_value
      - .address_space:  global
        .offset:         48
        .size:           8
        .value_kind:     global_buffer
      - .offset:         56
        .size:           1
        .value_kind:     by_value
      - .offset:         57
        .size:           1
        .value_kind:     by_value
    .group_segment_fixed_size: 520
    .kernarg_segment_align: 8
    .kernarg_segment_size: 60
    .language:       OpenCL C
    .language_version:
      - 2
      - 0
    .max_flat_workgroup_size: 64
    .name:           _ZN9rocsolver6v33100L18getri_kernel_smallILi32EdPdEEvT1_iilPiilS4_bb
    .private_segment_fixed_size: 272
    .sgpr_count:     28
    .sgpr_spill_count: 0
    .symbol:         _ZN9rocsolver6v33100L18getri_kernel_smallILi32EdPdEEvT1_iilPiilS4_bb.kd
    .uniform_work_group_size: 1
    .uses_dynamic_stack: false
    .vgpr_count:     125
    .vgpr_spill_count: 0
    .wavefront_size: 64
  - .args:
      - .address_space:  global
        .offset:         0
        .size:           8
        .value_kind:     global_buffer
      - .offset:         8
        .size:           4
        .value_kind:     by_value
      - .offset:         12
        .size:           4
        .value_kind:     by_value
      - .offset:         16
        .size:           8
        .value_kind:     by_value
      - .address_space:  global
        .offset:         24
        .size:           8
        .value_kind:     global_buffer
      - .offset:         32
        .size:           4
        .value_kind:     by_value
      - .offset:         40
        .size:           8
        .value_kind:     by_value
      - .address_space:  global
        .offset:         48
        .size:           8
        .value_kind:     global_buffer
      - .offset:         56
        .size:           1
        .value_kind:     by_value
      - .offset:         57
        .size:           1
        .value_kind:     by_value
    .group_segment_fixed_size: 536
    .kernarg_segment_align: 8
    .kernarg_segment_size: 60
    .language:       OpenCL C
    .language_version:
      - 2
      - 0
    .max_flat_workgroup_size: 64
    .name:           _ZN9rocsolver6v33100L18getri_kernel_smallILi33EdPdEEvT1_iilPiilS4_bb
    .private_segment_fixed_size: 272
    .sgpr_count:     28
    .sgpr_spill_count: 0
    .symbol:         _ZN9rocsolver6v33100L18getri_kernel_smallILi33EdPdEEvT1_iilPiilS4_bb.kd
    .uniform_work_group_size: 1
    .uses_dynamic_stack: false
    .vgpr_count:     125
    .vgpr_spill_count: 0
    .wavefront_size: 64
  - .args:
      - .address_space:  global
        .offset:         0
        .size:           8
        .value_kind:     global_buffer
      - .offset:         8
        .size:           4
        .value_kind:     by_value
      - .offset:         12
        .size:           4
        .value_kind:     by_value
      - .offset:         16
        .size:           8
        .value_kind:     by_value
      - .address_space:  global
        .offset:         24
        .size:           8
        .value_kind:     global_buffer
      - .offset:         32
        .size:           4
        .value_kind:     by_value
      - .offset:         40
        .size:           8
        .value_kind:     by_value
      - .address_space:  global
        .offset:         48
        .size:           8
        .value_kind:     global_buffer
      - .offset:         56
        .size:           1
        .value_kind:     by_value
      - .offset:         57
        .size:           1
        .value_kind:     by_value
    .group_segment_fixed_size: 552
    .kernarg_segment_align: 8
    .kernarg_segment_size: 60
    .language:       OpenCL C
    .language_version:
      - 2
      - 0
    .max_flat_workgroup_size: 64
    .name:           _ZN9rocsolver6v33100L18getri_kernel_smallILi34EdPdEEvT1_iilPiilS4_bb
    .private_segment_fixed_size: 288
    .sgpr_count:     28
    .sgpr_spill_count: 0
    .symbol:         _ZN9rocsolver6v33100L18getri_kernel_smallILi34EdPdEEvT1_iilPiilS4_bb.kd
    .uniform_work_group_size: 1
    .uses_dynamic_stack: false
    .vgpr_count:     125
    .vgpr_spill_count: 0
    .wavefront_size: 64
  - .args:
      - .address_space:  global
        .offset:         0
        .size:           8
        .value_kind:     global_buffer
      - .offset:         8
        .size:           4
        .value_kind:     by_value
      - .offset:         12
        .size:           4
        .value_kind:     by_value
      - .offset:         16
        .size:           8
        .value_kind:     by_value
      - .address_space:  global
        .offset:         24
        .size:           8
        .value_kind:     global_buffer
      - .offset:         32
        .size:           4
        .value_kind:     by_value
      - .offset:         40
        .size:           8
        .value_kind:     by_value
      - .address_space:  global
        .offset:         48
        .size:           8
        .value_kind:     global_buffer
      - .offset:         56
        .size:           1
        .value_kind:     by_value
      - .offset:         57
        .size:           1
        .value_kind:     by_value
    .group_segment_fixed_size: 568
    .kernarg_segment_align: 8
    .kernarg_segment_size: 60
    .language:       OpenCL C
    .language_version:
      - 2
      - 0
    .max_flat_workgroup_size: 64
    .name:           _ZN9rocsolver6v33100L18getri_kernel_smallILi35EdPdEEvT1_iilPiilS4_bb
    .private_segment_fixed_size: 288
    .sgpr_count:     28
    .sgpr_spill_count: 0
    .symbol:         _ZN9rocsolver6v33100L18getri_kernel_smallILi35EdPdEEvT1_iilPiilS4_bb.kd
    .uniform_work_group_size: 1
    .uses_dynamic_stack: false
    .vgpr_count:     125
    .vgpr_spill_count: 0
    .wavefront_size: 64
  - .args:
      - .address_space:  global
        .offset:         0
        .size:           8
        .value_kind:     global_buffer
      - .offset:         8
        .size:           4
        .value_kind:     by_value
      - .offset:         12
        .size:           4
        .value_kind:     by_value
      - .offset:         16
        .size:           8
        .value_kind:     by_value
      - .address_space:  global
        .offset:         24
        .size:           8
        .value_kind:     global_buffer
      - .offset:         32
        .size:           4
        .value_kind:     by_value
      - .offset:         40
        .size:           8
        .value_kind:     by_value
      - .address_space:  global
        .offset:         48
        .size:           8
        .value_kind:     global_buffer
      - .offset:         56
        .size:           1
        .value_kind:     by_value
      - .offset:         57
        .size:           1
        .value_kind:     by_value
    .group_segment_fixed_size: 584
    .kernarg_segment_align: 8
    .kernarg_segment_size: 60
    .language:       OpenCL C
    .language_version:
      - 2
      - 0
    .max_flat_workgroup_size: 64
    .name:           _ZN9rocsolver6v33100L18getri_kernel_smallILi36EdPdEEvT1_iilPiilS4_bb
    .private_segment_fixed_size: 304
    .sgpr_count:     28
    .sgpr_spill_count: 0
    .symbol:         _ZN9rocsolver6v33100L18getri_kernel_smallILi36EdPdEEvT1_iilPiilS4_bb.kd
    .uniform_work_group_size: 1
    .uses_dynamic_stack: false
    .vgpr_count:     125
    .vgpr_spill_count: 0
    .wavefront_size: 64
  - .args:
      - .address_space:  global
        .offset:         0
        .size:           8
        .value_kind:     global_buffer
      - .offset:         8
        .size:           4
        .value_kind:     by_value
      - .offset:         12
        .size:           4
        .value_kind:     by_value
      - .offset:         16
        .size:           8
        .value_kind:     by_value
      - .address_space:  global
        .offset:         24
        .size:           8
        .value_kind:     global_buffer
      - .offset:         32
        .size:           4
        .value_kind:     by_value
      - .offset:         40
        .size:           8
        .value_kind:     by_value
      - .address_space:  global
        .offset:         48
        .size:           8
        .value_kind:     global_buffer
      - .offset:         56
        .size:           1
        .value_kind:     by_value
      - .offset:         57
        .size:           1
        .value_kind:     by_value
    .group_segment_fixed_size: 600
    .kernarg_segment_align: 8
    .kernarg_segment_size: 60
    .language:       OpenCL C
    .language_version:
      - 2
      - 0
    .max_flat_workgroup_size: 64
    .name:           _ZN9rocsolver6v33100L18getri_kernel_smallILi37EdPdEEvT1_iilPiilS4_bb
    .private_segment_fixed_size: 304
    .sgpr_count:     28
    .sgpr_spill_count: 0
    .symbol:         _ZN9rocsolver6v33100L18getri_kernel_smallILi37EdPdEEvT1_iilPiilS4_bb.kd
    .uniform_work_group_size: 1
    .uses_dynamic_stack: false
    .vgpr_count:     125
    .vgpr_spill_count: 0
    .wavefront_size: 64
  - .args:
      - .address_space:  global
        .offset:         0
        .size:           8
        .value_kind:     global_buffer
      - .offset:         8
        .size:           4
        .value_kind:     by_value
      - .offset:         12
        .size:           4
        .value_kind:     by_value
      - .offset:         16
        .size:           8
        .value_kind:     by_value
      - .address_space:  global
        .offset:         24
        .size:           8
        .value_kind:     global_buffer
      - .offset:         32
        .size:           4
        .value_kind:     by_value
      - .offset:         40
        .size:           8
        .value_kind:     by_value
      - .address_space:  global
        .offset:         48
        .size:           8
        .value_kind:     global_buffer
      - .offset:         56
        .size:           1
        .value_kind:     by_value
      - .offset:         57
        .size:           1
        .value_kind:     by_value
    .group_segment_fixed_size: 616
    .kernarg_segment_align: 8
    .kernarg_segment_size: 60
    .language:       OpenCL C
    .language_version:
      - 2
      - 0
    .max_flat_workgroup_size: 64
    .name:           _ZN9rocsolver6v33100L18getri_kernel_smallILi38EdPdEEvT1_iilPiilS4_bb
    .private_segment_fixed_size: 320
    .sgpr_count:     28
    .sgpr_spill_count: 0
    .symbol:         _ZN9rocsolver6v33100L18getri_kernel_smallILi38EdPdEEvT1_iilPiilS4_bb.kd
    .uniform_work_group_size: 1
    .uses_dynamic_stack: false
    .vgpr_count:     125
    .vgpr_spill_count: 0
    .wavefront_size: 64
  - .args:
      - .address_space:  global
        .offset:         0
        .size:           8
        .value_kind:     global_buffer
      - .offset:         8
        .size:           4
        .value_kind:     by_value
      - .offset:         12
        .size:           4
        .value_kind:     by_value
      - .offset:         16
        .size:           8
        .value_kind:     by_value
      - .address_space:  global
        .offset:         24
        .size:           8
        .value_kind:     global_buffer
      - .offset:         32
        .size:           4
        .value_kind:     by_value
      - .offset:         40
        .size:           8
        .value_kind:     by_value
      - .address_space:  global
        .offset:         48
        .size:           8
        .value_kind:     global_buffer
      - .offset:         56
        .size:           1
        .value_kind:     by_value
      - .offset:         57
        .size:           1
        .value_kind:     by_value
    .group_segment_fixed_size: 632
    .kernarg_segment_align: 8
    .kernarg_segment_size: 60
    .language:       OpenCL C
    .language_version:
      - 2
      - 0
    .max_flat_workgroup_size: 64
    .name:           _ZN9rocsolver6v33100L18getri_kernel_smallILi39EdPdEEvT1_iilPiilS4_bb
    .private_segment_fixed_size: 320
    .sgpr_count:     28
    .sgpr_spill_count: 0
    .symbol:         _ZN9rocsolver6v33100L18getri_kernel_smallILi39EdPdEEvT1_iilPiilS4_bb.kd
    .uniform_work_group_size: 1
    .uses_dynamic_stack: false
    .vgpr_count:     125
    .vgpr_spill_count: 0
    .wavefront_size: 64
  - .args:
      - .address_space:  global
        .offset:         0
        .size:           8
        .value_kind:     global_buffer
      - .offset:         8
        .size:           4
        .value_kind:     by_value
      - .offset:         12
        .size:           4
        .value_kind:     by_value
      - .offset:         16
        .size:           8
        .value_kind:     by_value
      - .address_space:  global
        .offset:         24
        .size:           8
        .value_kind:     global_buffer
      - .offset:         32
        .size:           4
        .value_kind:     by_value
      - .offset:         40
        .size:           8
        .value_kind:     by_value
      - .address_space:  global
        .offset:         48
        .size:           8
        .value_kind:     global_buffer
      - .offset:         56
        .size:           1
        .value_kind:     by_value
      - .offset:         57
        .size:           1
        .value_kind:     by_value
    .group_segment_fixed_size: 648
    .kernarg_segment_align: 8
    .kernarg_segment_size: 60
    .language:       OpenCL C
    .language_version:
      - 2
      - 0
    .max_flat_workgroup_size: 64
    .name:           _ZN9rocsolver6v33100L18getri_kernel_smallILi40EdPdEEvT1_iilPiilS4_bb
    .private_segment_fixed_size: 336
    .sgpr_count:     28
    .sgpr_spill_count: 0
    .symbol:         _ZN9rocsolver6v33100L18getri_kernel_smallILi40EdPdEEvT1_iilPiilS4_bb.kd
    .uniform_work_group_size: 1
    .uses_dynamic_stack: false
    .vgpr_count:     125
    .vgpr_spill_count: 0
    .wavefront_size: 64
  - .args:
      - .address_space:  global
        .offset:         0
        .size:           8
        .value_kind:     global_buffer
      - .offset:         8
        .size:           4
        .value_kind:     by_value
      - .offset:         12
        .size:           4
        .value_kind:     by_value
      - .offset:         16
        .size:           8
        .value_kind:     by_value
      - .address_space:  global
        .offset:         24
        .size:           8
        .value_kind:     global_buffer
      - .offset:         32
        .size:           4
        .value_kind:     by_value
      - .offset:         40
        .size:           8
        .value_kind:     by_value
      - .address_space:  global
        .offset:         48
        .size:           8
        .value_kind:     global_buffer
      - .offset:         56
        .size:           1
        .value_kind:     by_value
      - .offset:         57
        .size:           1
        .value_kind:     by_value
    .group_segment_fixed_size: 664
    .kernarg_segment_align: 8
    .kernarg_segment_size: 60
    .language:       OpenCL C
    .language_version:
      - 2
      - 0
    .max_flat_workgroup_size: 64
    .name:           _ZN9rocsolver6v33100L18getri_kernel_smallILi41EdPdEEvT1_iilPiilS4_bb
    .private_segment_fixed_size: 336
    .sgpr_count:     28
    .sgpr_spill_count: 0
    .symbol:         _ZN9rocsolver6v33100L18getri_kernel_smallILi41EdPdEEvT1_iilPiilS4_bb.kd
    .uniform_work_group_size: 1
    .uses_dynamic_stack: false
    .vgpr_count:     125
    .vgpr_spill_count: 0
    .wavefront_size: 64
  - .args:
      - .address_space:  global
        .offset:         0
        .size:           8
        .value_kind:     global_buffer
      - .offset:         8
        .size:           4
        .value_kind:     by_value
      - .offset:         12
        .size:           4
        .value_kind:     by_value
      - .offset:         16
        .size:           8
        .value_kind:     by_value
      - .address_space:  global
        .offset:         24
        .size:           8
        .value_kind:     global_buffer
      - .offset:         32
        .size:           4
        .value_kind:     by_value
      - .offset:         40
        .size:           8
        .value_kind:     by_value
      - .address_space:  global
        .offset:         48
        .size:           8
        .value_kind:     global_buffer
      - .offset:         56
        .size:           1
        .value_kind:     by_value
      - .offset:         57
        .size:           1
        .value_kind:     by_value
    .group_segment_fixed_size: 680
    .kernarg_segment_align: 8
    .kernarg_segment_size: 60
    .language:       OpenCL C
    .language_version:
      - 2
      - 0
    .max_flat_workgroup_size: 64
    .name:           _ZN9rocsolver6v33100L18getri_kernel_smallILi42EdPdEEvT1_iilPiilS4_bb
    .private_segment_fixed_size: 352
    .sgpr_count:     28
    .sgpr_spill_count: 0
    .symbol:         _ZN9rocsolver6v33100L18getri_kernel_smallILi42EdPdEEvT1_iilPiilS4_bb.kd
    .uniform_work_group_size: 1
    .uses_dynamic_stack: false
    .vgpr_count:     125
    .vgpr_spill_count: 0
    .wavefront_size: 64
  - .args:
      - .address_space:  global
        .offset:         0
        .size:           8
        .value_kind:     global_buffer
      - .offset:         8
        .size:           4
        .value_kind:     by_value
      - .offset:         12
        .size:           4
        .value_kind:     by_value
      - .offset:         16
        .size:           8
        .value_kind:     by_value
      - .address_space:  global
        .offset:         24
        .size:           8
        .value_kind:     global_buffer
      - .offset:         32
        .size:           4
        .value_kind:     by_value
      - .offset:         40
        .size:           8
        .value_kind:     by_value
      - .address_space:  global
        .offset:         48
        .size:           8
        .value_kind:     global_buffer
      - .offset:         56
        .size:           1
        .value_kind:     by_value
      - .offset:         57
        .size:           1
        .value_kind:     by_value
    .group_segment_fixed_size: 696
    .kernarg_segment_align: 8
    .kernarg_segment_size: 60
    .language:       OpenCL C
    .language_version:
      - 2
      - 0
    .max_flat_workgroup_size: 64
    .name:           _ZN9rocsolver6v33100L18getri_kernel_smallILi43EdPdEEvT1_iilPiilS4_bb
    .private_segment_fixed_size: 352
    .sgpr_count:     28
    .sgpr_spill_count: 0
    .symbol:         _ZN9rocsolver6v33100L18getri_kernel_smallILi43EdPdEEvT1_iilPiilS4_bb.kd
    .uniform_work_group_size: 1
    .uses_dynamic_stack: false
    .vgpr_count:     125
    .vgpr_spill_count: 0
    .wavefront_size: 64
  - .args:
      - .address_space:  global
        .offset:         0
        .size:           8
        .value_kind:     global_buffer
      - .offset:         8
        .size:           4
        .value_kind:     by_value
      - .offset:         12
        .size:           4
        .value_kind:     by_value
      - .offset:         16
        .size:           8
        .value_kind:     by_value
      - .address_space:  global
        .offset:         24
        .size:           8
        .value_kind:     global_buffer
      - .offset:         32
        .size:           4
        .value_kind:     by_value
      - .offset:         40
        .size:           8
        .value_kind:     by_value
      - .address_space:  global
        .offset:         48
        .size:           8
        .value_kind:     global_buffer
      - .offset:         56
        .size:           1
        .value_kind:     by_value
      - .offset:         57
        .size:           1
        .value_kind:     by_value
    .group_segment_fixed_size: 712
    .kernarg_segment_align: 8
    .kernarg_segment_size: 60
    .language:       OpenCL C
    .language_version:
      - 2
      - 0
    .max_flat_workgroup_size: 64
    .name:           _ZN9rocsolver6v33100L18getri_kernel_smallILi44EdPdEEvT1_iilPiilS4_bb
    .private_segment_fixed_size: 368
    .sgpr_count:     28
    .sgpr_spill_count: 0
    .symbol:         _ZN9rocsolver6v33100L18getri_kernel_smallILi44EdPdEEvT1_iilPiilS4_bb.kd
    .uniform_work_group_size: 1
    .uses_dynamic_stack: false
    .vgpr_count:     125
    .vgpr_spill_count: 0
    .wavefront_size: 64
  - .args:
      - .address_space:  global
        .offset:         0
        .size:           8
        .value_kind:     global_buffer
      - .offset:         8
        .size:           4
        .value_kind:     by_value
      - .offset:         12
        .size:           4
        .value_kind:     by_value
      - .offset:         16
        .size:           8
        .value_kind:     by_value
      - .address_space:  global
        .offset:         24
        .size:           8
        .value_kind:     global_buffer
      - .offset:         32
        .size:           4
        .value_kind:     by_value
      - .offset:         40
        .size:           8
        .value_kind:     by_value
      - .address_space:  global
        .offset:         48
        .size:           8
        .value_kind:     global_buffer
      - .offset:         56
        .size:           1
        .value_kind:     by_value
      - .offset:         57
        .size:           1
        .value_kind:     by_value
    .group_segment_fixed_size: 728
    .kernarg_segment_align: 8
    .kernarg_segment_size: 60
    .language:       OpenCL C
    .language_version:
      - 2
      - 0
    .max_flat_workgroup_size: 64
    .name:           _ZN9rocsolver6v33100L18getri_kernel_smallILi45EdPdEEvT1_iilPiilS4_bb
    .private_segment_fixed_size: 368
    .sgpr_count:     28
    .sgpr_spill_count: 0
    .symbol:         _ZN9rocsolver6v33100L18getri_kernel_smallILi45EdPdEEvT1_iilPiilS4_bb.kd
    .uniform_work_group_size: 1
    .uses_dynamic_stack: false
    .vgpr_count:     129
    .vgpr_spill_count: 0
    .wavefront_size: 64
  - .args:
      - .address_space:  global
        .offset:         0
        .size:           8
        .value_kind:     global_buffer
      - .offset:         8
        .size:           4
        .value_kind:     by_value
      - .offset:         12
        .size:           4
        .value_kind:     by_value
      - .offset:         16
        .size:           8
        .value_kind:     by_value
      - .address_space:  global
        .offset:         24
        .size:           8
        .value_kind:     global_buffer
      - .offset:         32
        .size:           4
        .value_kind:     by_value
      - .offset:         40
        .size:           8
        .value_kind:     by_value
      - .address_space:  global
        .offset:         48
        .size:           8
        .value_kind:     global_buffer
      - .offset:         56
        .size:           1
        .value_kind:     by_value
      - .offset:         57
        .size:           1
        .value_kind:     by_value
    .group_segment_fixed_size: 744
    .kernarg_segment_align: 8
    .kernarg_segment_size: 60
    .language:       OpenCL C
    .language_version:
      - 2
      - 0
    .max_flat_workgroup_size: 64
    .name:           _ZN9rocsolver6v33100L18getri_kernel_smallILi46EdPdEEvT1_iilPiilS4_bb
    .private_segment_fixed_size: 384
    .sgpr_count:     28
    .sgpr_spill_count: 0
    .symbol:         _ZN9rocsolver6v33100L18getri_kernel_smallILi46EdPdEEvT1_iilPiilS4_bb.kd
    .uniform_work_group_size: 1
    .uses_dynamic_stack: false
    .vgpr_count:     129
    .vgpr_spill_count: 0
    .wavefront_size: 64
  - .args:
      - .address_space:  global
        .offset:         0
        .size:           8
        .value_kind:     global_buffer
      - .offset:         8
        .size:           4
        .value_kind:     by_value
      - .offset:         12
        .size:           4
        .value_kind:     by_value
      - .offset:         16
        .size:           8
        .value_kind:     by_value
      - .address_space:  global
        .offset:         24
        .size:           8
        .value_kind:     global_buffer
      - .offset:         32
        .size:           4
        .value_kind:     by_value
      - .offset:         40
        .size:           8
        .value_kind:     by_value
      - .address_space:  global
        .offset:         48
        .size:           8
        .value_kind:     global_buffer
      - .offset:         56
        .size:           1
        .value_kind:     by_value
      - .offset:         57
        .size:           1
        .value_kind:     by_value
    .group_segment_fixed_size: 760
    .kernarg_segment_align: 8
    .kernarg_segment_size: 60
    .language:       OpenCL C
    .language_version:
      - 2
      - 0
    .max_flat_workgroup_size: 64
    .name:           _ZN9rocsolver6v33100L18getri_kernel_smallILi47EdPdEEvT1_iilPiilS4_bb
    .private_segment_fixed_size: 384
    .sgpr_count:     28
    .sgpr_spill_count: 0
    .symbol:         _ZN9rocsolver6v33100L18getri_kernel_smallILi47EdPdEEvT1_iilPiilS4_bb.kd
    .uniform_work_group_size: 1
    .uses_dynamic_stack: false
    .vgpr_count:     125
    .vgpr_spill_count: 0
    .wavefront_size: 64
  - .args:
      - .address_space:  global
        .offset:         0
        .size:           8
        .value_kind:     global_buffer
      - .offset:         8
        .size:           4
        .value_kind:     by_value
      - .offset:         12
        .size:           4
        .value_kind:     by_value
      - .offset:         16
        .size:           8
        .value_kind:     by_value
      - .address_space:  global
        .offset:         24
        .size:           8
        .value_kind:     global_buffer
      - .offset:         32
        .size:           4
        .value_kind:     by_value
      - .offset:         40
        .size:           8
        .value_kind:     by_value
      - .address_space:  global
        .offset:         48
        .size:           8
        .value_kind:     global_buffer
      - .offset:         56
        .size:           1
        .value_kind:     by_value
      - .offset:         57
        .size:           1
        .value_kind:     by_value
    .group_segment_fixed_size: 776
    .kernarg_segment_align: 8
    .kernarg_segment_size: 60
    .language:       OpenCL C
    .language_version:
      - 2
      - 0
    .max_flat_workgroup_size: 64
    .name:           _ZN9rocsolver6v33100L18getri_kernel_smallILi48EdPdEEvT1_iilPiilS4_bb
    .private_segment_fixed_size: 400
    .sgpr_count:     28
    .sgpr_spill_count: 0
    .symbol:         _ZN9rocsolver6v33100L18getri_kernel_smallILi48EdPdEEvT1_iilPiilS4_bb.kd
    .uniform_work_group_size: 1
    .uses_dynamic_stack: false
    .vgpr_count:     193
    .vgpr_spill_count: 0
    .wavefront_size: 64
  - .args:
      - .address_space:  global
        .offset:         0
        .size:           8
        .value_kind:     global_buffer
      - .offset:         8
        .size:           4
        .value_kind:     by_value
      - .offset:         12
        .size:           4
        .value_kind:     by_value
      - .offset:         16
        .size:           8
        .value_kind:     by_value
      - .address_space:  global
        .offset:         24
        .size:           8
        .value_kind:     global_buffer
      - .offset:         32
        .size:           4
        .value_kind:     by_value
      - .offset:         40
        .size:           8
        .value_kind:     by_value
      - .address_space:  global
        .offset:         48
        .size:           8
        .value_kind:     global_buffer
      - .offset:         56
        .size:           1
        .value_kind:     by_value
      - .offset:         57
        .size:           1
        .value_kind:     by_value
    .group_segment_fixed_size: 792
    .kernarg_segment_align: 8
    .kernarg_segment_size: 60
    .language:       OpenCL C
    .language_version:
      - 2
      - 0
    .max_flat_workgroup_size: 64
    .name:           _ZN9rocsolver6v33100L18getri_kernel_smallILi49EdPdEEvT1_iilPiilS4_bb
    .private_segment_fixed_size: 400
    .sgpr_count:     28
    .sgpr_spill_count: 0
    .symbol:         _ZN9rocsolver6v33100L18getri_kernel_smallILi49EdPdEEvT1_iilPiilS4_bb.kd
    .uniform_work_group_size: 1
    .uses_dynamic_stack: false
    .vgpr_count:     197
    .vgpr_spill_count: 0
    .wavefront_size: 64
  - .args:
      - .address_space:  global
        .offset:         0
        .size:           8
        .value_kind:     global_buffer
      - .offset:         8
        .size:           4
        .value_kind:     by_value
      - .offset:         12
        .size:           4
        .value_kind:     by_value
      - .offset:         16
        .size:           8
        .value_kind:     by_value
      - .address_space:  global
        .offset:         24
        .size:           8
        .value_kind:     global_buffer
      - .offset:         32
        .size:           4
        .value_kind:     by_value
      - .offset:         40
        .size:           8
        .value_kind:     by_value
      - .address_space:  global
        .offset:         48
        .size:           8
        .value_kind:     global_buffer
      - .offset:         56
        .size:           1
        .value_kind:     by_value
      - .offset:         57
        .size:           1
        .value_kind:     by_value
    .group_segment_fixed_size: 808
    .kernarg_segment_align: 8
    .kernarg_segment_size: 60
    .language:       OpenCL C
    .language_version:
      - 2
      - 0
    .max_flat_workgroup_size: 64
    .name:           _ZN9rocsolver6v33100L18getri_kernel_smallILi50EdPdEEvT1_iilPiilS4_bb
    .private_segment_fixed_size: 416
    .sgpr_count:     28
    .sgpr_spill_count: 0
    .symbol:         _ZN9rocsolver6v33100L18getri_kernel_smallILi50EdPdEEvT1_iilPiilS4_bb.kd
    .uniform_work_group_size: 1
    .uses_dynamic_stack: false
    .vgpr_count:     201
    .vgpr_spill_count: 0
    .wavefront_size: 64
  - .args:
      - .address_space:  global
        .offset:         0
        .size:           8
        .value_kind:     global_buffer
      - .offset:         8
        .size:           4
        .value_kind:     by_value
      - .offset:         12
        .size:           4
        .value_kind:     by_value
      - .offset:         16
        .size:           8
        .value_kind:     by_value
      - .address_space:  global
        .offset:         24
        .size:           8
        .value_kind:     global_buffer
      - .offset:         32
        .size:           4
        .value_kind:     by_value
      - .offset:         40
        .size:           8
        .value_kind:     by_value
      - .address_space:  global
        .offset:         48
        .size:           8
        .value_kind:     global_buffer
      - .offset:         56
        .size:           1
        .value_kind:     by_value
      - .offset:         57
        .size:           1
        .value_kind:     by_value
    .group_segment_fixed_size: 824
    .kernarg_segment_align: 8
    .kernarg_segment_size: 60
    .language:       OpenCL C
    .language_version:
      - 2
      - 0
    .max_flat_workgroup_size: 64
    .name:           _ZN9rocsolver6v33100L18getri_kernel_smallILi51EdPdEEvT1_iilPiilS4_bb
    .private_segment_fixed_size: 416
    .sgpr_count:     28
    .sgpr_spill_count: 0
    .symbol:         _ZN9rocsolver6v33100L18getri_kernel_smallILi51EdPdEEvT1_iilPiilS4_bb.kd
    .uniform_work_group_size: 1
    .uses_dynamic_stack: false
    .vgpr_count:     205
    .vgpr_spill_count: 0
    .wavefront_size: 64
  - .args:
      - .address_space:  global
        .offset:         0
        .size:           8
        .value_kind:     global_buffer
      - .offset:         8
        .size:           4
        .value_kind:     by_value
      - .offset:         12
        .size:           4
        .value_kind:     by_value
      - .offset:         16
        .size:           8
        .value_kind:     by_value
      - .address_space:  global
        .offset:         24
        .size:           8
        .value_kind:     global_buffer
      - .offset:         32
        .size:           4
        .value_kind:     by_value
      - .offset:         40
        .size:           8
        .value_kind:     by_value
      - .address_space:  global
        .offset:         48
        .size:           8
        .value_kind:     global_buffer
      - .offset:         56
        .size:           1
        .value_kind:     by_value
      - .offset:         57
        .size:           1
        .value_kind:     by_value
    .group_segment_fixed_size: 840
    .kernarg_segment_align: 8
    .kernarg_segment_size: 60
    .language:       OpenCL C
    .language_version:
      - 2
      - 0
    .max_flat_workgroup_size: 64
    .name:           _ZN9rocsolver6v33100L18getri_kernel_smallILi52EdPdEEvT1_iilPiilS4_bb
    .private_segment_fixed_size: 432
    .sgpr_count:     28
    .sgpr_spill_count: 0
    .symbol:         _ZN9rocsolver6v33100L18getri_kernel_smallILi52EdPdEEvT1_iilPiilS4_bb.kd
    .uniform_work_group_size: 1
    .uses_dynamic_stack: false
    .vgpr_count:     209
    .vgpr_spill_count: 0
    .wavefront_size: 64
  - .args:
      - .address_space:  global
        .offset:         0
        .size:           8
        .value_kind:     global_buffer
      - .offset:         8
        .size:           4
        .value_kind:     by_value
      - .offset:         12
        .size:           4
        .value_kind:     by_value
      - .offset:         16
        .size:           8
        .value_kind:     by_value
      - .address_space:  global
        .offset:         24
        .size:           8
        .value_kind:     global_buffer
      - .offset:         32
        .size:           4
        .value_kind:     by_value
      - .offset:         40
        .size:           8
        .value_kind:     by_value
      - .address_space:  global
        .offset:         48
        .size:           8
        .value_kind:     global_buffer
      - .offset:         56
        .size:           1
        .value_kind:     by_value
      - .offset:         57
        .size:           1
        .value_kind:     by_value
    .group_segment_fixed_size: 856
    .kernarg_segment_align: 8
    .kernarg_segment_size: 60
    .language:       OpenCL C
    .language_version:
      - 2
      - 0
    .max_flat_workgroup_size: 64
    .name:           _ZN9rocsolver6v33100L18getri_kernel_smallILi53EdPdEEvT1_iilPiilS4_bb
    .private_segment_fixed_size: 432
    .sgpr_count:     28
    .sgpr_spill_count: 0
    .symbol:         _ZN9rocsolver6v33100L18getri_kernel_smallILi53EdPdEEvT1_iilPiilS4_bb.kd
    .uniform_work_group_size: 1
    .uses_dynamic_stack: false
    .vgpr_count:     213
    .vgpr_spill_count: 0
    .wavefront_size: 64
  - .args:
      - .address_space:  global
        .offset:         0
        .size:           8
        .value_kind:     global_buffer
      - .offset:         8
        .size:           4
        .value_kind:     by_value
      - .offset:         12
        .size:           4
        .value_kind:     by_value
      - .offset:         16
        .size:           8
        .value_kind:     by_value
      - .address_space:  global
        .offset:         24
        .size:           8
        .value_kind:     global_buffer
      - .offset:         32
        .size:           4
        .value_kind:     by_value
      - .offset:         40
        .size:           8
        .value_kind:     by_value
      - .address_space:  global
        .offset:         48
        .size:           8
        .value_kind:     global_buffer
      - .offset:         56
        .size:           1
        .value_kind:     by_value
      - .offset:         57
        .size:           1
        .value_kind:     by_value
    .group_segment_fixed_size: 872
    .kernarg_segment_align: 8
    .kernarg_segment_size: 60
    .language:       OpenCL C
    .language_version:
      - 2
      - 0
    .max_flat_workgroup_size: 64
    .name:           _ZN9rocsolver6v33100L18getri_kernel_smallILi54EdPdEEvT1_iilPiilS4_bb
    .private_segment_fixed_size: 448
    .sgpr_count:     28
    .sgpr_spill_count: 0
    .symbol:         _ZN9rocsolver6v33100L18getri_kernel_smallILi54EdPdEEvT1_iilPiilS4_bb.kd
    .uniform_work_group_size: 1
    .uses_dynamic_stack: false
    .vgpr_count:     217
    .vgpr_spill_count: 0
    .wavefront_size: 64
  - .args:
      - .address_space:  global
        .offset:         0
        .size:           8
        .value_kind:     global_buffer
      - .offset:         8
        .size:           4
        .value_kind:     by_value
      - .offset:         12
        .size:           4
        .value_kind:     by_value
      - .offset:         16
        .size:           8
        .value_kind:     by_value
      - .address_space:  global
        .offset:         24
        .size:           8
        .value_kind:     global_buffer
      - .offset:         32
        .size:           4
        .value_kind:     by_value
      - .offset:         40
        .size:           8
        .value_kind:     by_value
      - .address_space:  global
        .offset:         48
        .size:           8
        .value_kind:     global_buffer
      - .offset:         56
        .size:           1
        .value_kind:     by_value
      - .offset:         57
        .size:           1
        .value_kind:     by_value
    .group_segment_fixed_size: 888
    .kernarg_segment_align: 8
    .kernarg_segment_size: 60
    .language:       OpenCL C
    .language_version:
      - 2
      - 0
    .max_flat_workgroup_size: 64
    .name:           _ZN9rocsolver6v33100L18getri_kernel_smallILi55EdPdEEvT1_iilPiilS4_bb
    .private_segment_fixed_size: 448
    .sgpr_count:     28
    .sgpr_spill_count: 0
    .symbol:         _ZN9rocsolver6v33100L18getri_kernel_smallILi55EdPdEEvT1_iilPiilS4_bb.kd
    .uniform_work_group_size: 1
    .uses_dynamic_stack: false
    .vgpr_count:     221
    .vgpr_spill_count: 0
    .wavefront_size: 64
  - .args:
      - .address_space:  global
        .offset:         0
        .size:           8
        .value_kind:     global_buffer
      - .offset:         8
        .size:           4
        .value_kind:     by_value
      - .offset:         12
        .size:           4
        .value_kind:     by_value
      - .offset:         16
        .size:           8
        .value_kind:     by_value
      - .address_space:  global
        .offset:         24
        .size:           8
        .value_kind:     global_buffer
      - .offset:         32
        .size:           4
        .value_kind:     by_value
      - .offset:         40
        .size:           8
        .value_kind:     by_value
      - .address_space:  global
        .offset:         48
        .size:           8
        .value_kind:     global_buffer
      - .offset:         56
        .size:           1
        .value_kind:     by_value
      - .offset:         57
        .size:           1
        .value_kind:     by_value
    .group_segment_fixed_size: 904
    .kernarg_segment_align: 8
    .kernarg_segment_size: 60
    .language:       OpenCL C
    .language_version:
      - 2
      - 0
    .max_flat_workgroup_size: 64
    .name:           _ZN9rocsolver6v33100L18getri_kernel_smallILi56EdPdEEvT1_iilPiilS4_bb
    .private_segment_fixed_size: 464
    .sgpr_count:     28
    .sgpr_spill_count: 0
    .symbol:         _ZN9rocsolver6v33100L18getri_kernel_smallILi56EdPdEEvT1_iilPiilS4_bb.kd
    .uniform_work_group_size: 1
    .uses_dynamic_stack: false
    .vgpr_count:     225
    .vgpr_spill_count: 0
    .wavefront_size: 64
  - .args:
      - .address_space:  global
        .offset:         0
        .size:           8
        .value_kind:     global_buffer
      - .offset:         8
        .size:           4
        .value_kind:     by_value
      - .offset:         12
        .size:           4
        .value_kind:     by_value
      - .offset:         16
        .size:           8
        .value_kind:     by_value
      - .address_space:  global
        .offset:         24
        .size:           8
        .value_kind:     global_buffer
      - .offset:         32
        .size:           4
        .value_kind:     by_value
      - .offset:         40
        .size:           8
        .value_kind:     by_value
      - .address_space:  global
        .offset:         48
        .size:           8
        .value_kind:     global_buffer
      - .offset:         56
        .size:           1
        .value_kind:     by_value
      - .offset:         57
        .size:           1
        .value_kind:     by_value
    .group_segment_fixed_size: 920
    .kernarg_segment_align: 8
    .kernarg_segment_size: 60
    .language:       OpenCL C
    .language_version:
      - 2
      - 0
    .max_flat_workgroup_size: 64
    .name:           _ZN9rocsolver6v33100L18getri_kernel_smallILi57EdPdEEvT1_iilPiilS4_bb
    .private_segment_fixed_size: 464
    .sgpr_count:     28
    .sgpr_spill_count: 0
    .symbol:         _ZN9rocsolver6v33100L18getri_kernel_smallILi57EdPdEEvT1_iilPiilS4_bb.kd
    .uniform_work_group_size: 1
    .uses_dynamic_stack: false
    .vgpr_count:     229
    .vgpr_spill_count: 0
    .wavefront_size: 64
  - .args:
      - .address_space:  global
        .offset:         0
        .size:           8
        .value_kind:     global_buffer
      - .offset:         8
        .size:           4
        .value_kind:     by_value
      - .offset:         12
        .size:           4
        .value_kind:     by_value
      - .offset:         16
        .size:           8
        .value_kind:     by_value
      - .address_space:  global
        .offset:         24
        .size:           8
        .value_kind:     global_buffer
      - .offset:         32
        .size:           4
        .value_kind:     by_value
      - .offset:         40
        .size:           8
        .value_kind:     by_value
      - .address_space:  global
        .offset:         48
        .size:           8
        .value_kind:     global_buffer
      - .offset:         56
        .size:           1
        .value_kind:     by_value
      - .offset:         57
        .size:           1
        .value_kind:     by_value
    .group_segment_fixed_size: 936
    .kernarg_segment_align: 8
    .kernarg_segment_size: 60
    .language:       OpenCL C
    .language_version:
      - 2
      - 0
    .max_flat_workgroup_size: 64
    .name:           _ZN9rocsolver6v33100L18getri_kernel_smallILi58EdPdEEvT1_iilPiilS4_bb
    .private_segment_fixed_size: 480
    .sgpr_count:     28
    .sgpr_spill_count: 0
    .symbol:         _ZN9rocsolver6v33100L18getri_kernel_smallILi58EdPdEEvT1_iilPiilS4_bb.kd
    .uniform_work_group_size: 1
    .uses_dynamic_stack: false
    .vgpr_count:     233
    .vgpr_spill_count: 0
    .wavefront_size: 64
  - .args:
      - .address_space:  global
        .offset:         0
        .size:           8
        .value_kind:     global_buffer
      - .offset:         8
        .size:           4
        .value_kind:     by_value
      - .offset:         12
        .size:           4
        .value_kind:     by_value
      - .offset:         16
        .size:           8
        .value_kind:     by_value
      - .address_space:  global
        .offset:         24
        .size:           8
        .value_kind:     global_buffer
      - .offset:         32
        .size:           4
        .value_kind:     by_value
      - .offset:         40
        .size:           8
        .value_kind:     by_value
      - .address_space:  global
        .offset:         48
        .size:           8
        .value_kind:     global_buffer
      - .offset:         56
        .size:           1
        .value_kind:     by_value
      - .offset:         57
        .size:           1
        .value_kind:     by_value
    .group_segment_fixed_size: 952
    .kernarg_segment_align: 8
    .kernarg_segment_size: 60
    .language:       OpenCL C
    .language_version:
      - 2
      - 0
    .max_flat_workgroup_size: 64
    .name:           _ZN9rocsolver6v33100L18getri_kernel_smallILi59EdPdEEvT1_iilPiilS4_bb
    .private_segment_fixed_size: 480
    .sgpr_count:     28
    .sgpr_spill_count: 0
    .symbol:         _ZN9rocsolver6v33100L18getri_kernel_smallILi59EdPdEEvT1_iilPiilS4_bb.kd
    .uniform_work_group_size: 1
    .uses_dynamic_stack: false
    .vgpr_count:     237
    .vgpr_spill_count: 0
    .wavefront_size: 64
  - .args:
      - .address_space:  global
        .offset:         0
        .size:           8
        .value_kind:     global_buffer
      - .offset:         8
        .size:           4
        .value_kind:     by_value
      - .offset:         12
        .size:           4
        .value_kind:     by_value
      - .offset:         16
        .size:           8
        .value_kind:     by_value
      - .address_space:  global
        .offset:         24
        .size:           8
        .value_kind:     global_buffer
      - .offset:         32
        .size:           4
        .value_kind:     by_value
      - .offset:         40
        .size:           8
        .value_kind:     by_value
      - .address_space:  global
        .offset:         48
        .size:           8
        .value_kind:     global_buffer
      - .offset:         56
        .size:           1
        .value_kind:     by_value
      - .offset:         57
        .size:           1
        .value_kind:     by_value
    .group_segment_fixed_size: 968
    .kernarg_segment_align: 8
    .kernarg_segment_size: 60
    .language:       OpenCL C
    .language_version:
      - 2
      - 0
    .max_flat_workgroup_size: 64
    .name:           _ZN9rocsolver6v33100L18getri_kernel_smallILi60EdPdEEvT1_iilPiilS4_bb
    .private_segment_fixed_size: 496
    .sgpr_count:     28
    .sgpr_spill_count: 0
    .symbol:         _ZN9rocsolver6v33100L18getri_kernel_smallILi60EdPdEEvT1_iilPiilS4_bb.kd
    .uniform_work_group_size: 1
    .uses_dynamic_stack: false
    .vgpr_count:     241
    .vgpr_spill_count: 0
    .wavefront_size: 64
  - .args:
      - .address_space:  global
        .offset:         0
        .size:           8
        .value_kind:     global_buffer
      - .offset:         8
        .size:           4
        .value_kind:     by_value
      - .offset:         12
        .size:           4
        .value_kind:     by_value
      - .offset:         16
        .size:           8
        .value_kind:     by_value
      - .address_space:  global
        .offset:         24
        .size:           8
        .value_kind:     global_buffer
      - .offset:         32
        .size:           4
        .value_kind:     by_value
      - .offset:         40
        .size:           8
        .value_kind:     by_value
      - .address_space:  global
        .offset:         48
        .size:           8
        .value_kind:     global_buffer
      - .offset:         56
        .size:           1
        .value_kind:     by_value
      - .offset:         57
        .size:           1
        .value_kind:     by_value
    .group_segment_fixed_size: 984
    .kernarg_segment_align: 8
    .kernarg_segment_size: 60
    .language:       OpenCL C
    .language_version:
      - 2
      - 0
    .max_flat_workgroup_size: 64
    .name:           _ZN9rocsolver6v33100L18getri_kernel_smallILi61EdPdEEvT1_iilPiilS4_bb
    .private_segment_fixed_size: 496
    .sgpr_count:     28
    .sgpr_spill_count: 0
    .symbol:         _ZN9rocsolver6v33100L18getri_kernel_smallILi61EdPdEEvT1_iilPiilS4_bb.kd
    .uniform_work_group_size: 1
    .uses_dynamic_stack: false
    .vgpr_count:     245
    .vgpr_spill_count: 0
    .wavefront_size: 64
  - .args:
      - .address_space:  global
        .offset:         0
        .size:           8
        .value_kind:     global_buffer
      - .offset:         8
        .size:           4
        .value_kind:     by_value
      - .offset:         12
        .size:           4
        .value_kind:     by_value
      - .offset:         16
        .size:           8
        .value_kind:     by_value
      - .address_space:  global
        .offset:         24
        .size:           8
        .value_kind:     global_buffer
      - .offset:         32
        .size:           4
        .value_kind:     by_value
      - .offset:         40
        .size:           8
        .value_kind:     by_value
      - .address_space:  global
        .offset:         48
        .size:           8
        .value_kind:     global_buffer
      - .offset:         56
        .size:           1
        .value_kind:     by_value
      - .offset:         57
        .size:           1
        .value_kind:     by_value
    .group_segment_fixed_size: 1000
    .kernarg_segment_align: 8
    .kernarg_segment_size: 60
    .language:       OpenCL C
    .language_version:
      - 2
      - 0
    .max_flat_workgroup_size: 64
    .name:           _ZN9rocsolver6v33100L18getri_kernel_smallILi62EdPdEEvT1_iilPiilS4_bb
    .private_segment_fixed_size: 512
    .sgpr_count:     28
    .sgpr_spill_count: 0
    .symbol:         _ZN9rocsolver6v33100L18getri_kernel_smallILi62EdPdEEvT1_iilPiilS4_bb.kd
    .uniform_work_group_size: 1
    .uses_dynamic_stack: false
    .vgpr_count:     249
    .vgpr_spill_count: 0
    .wavefront_size: 64
  - .args:
      - .address_space:  global
        .offset:         0
        .size:           8
        .value_kind:     global_buffer
      - .offset:         8
        .size:           4
        .value_kind:     by_value
      - .offset:         12
        .size:           4
        .value_kind:     by_value
      - .offset:         16
        .size:           8
        .value_kind:     by_value
      - .address_space:  global
        .offset:         24
        .size:           8
        .value_kind:     global_buffer
      - .offset:         32
        .size:           4
        .value_kind:     by_value
      - .offset:         40
        .size:           8
        .value_kind:     by_value
      - .address_space:  global
        .offset:         48
        .size:           8
        .value_kind:     global_buffer
      - .offset:         56
        .size:           1
        .value_kind:     by_value
      - .offset:         57
        .size:           1
        .value_kind:     by_value
    .group_segment_fixed_size: 1016
    .kernarg_segment_align: 8
    .kernarg_segment_size: 60
    .language:       OpenCL C
    .language_version:
      - 2
      - 0
    .max_flat_workgroup_size: 64
    .name:           _ZN9rocsolver6v33100L18getri_kernel_smallILi63EdPdEEvT1_iilPiilS4_bb
    .private_segment_fixed_size: 512
    .sgpr_count:     28
    .sgpr_spill_count: 0
    .symbol:         _ZN9rocsolver6v33100L18getri_kernel_smallILi63EdPdEEvT1_iilPiilS4_bb.kd
    .uniform_work_group_size: 1
    .uses_dynamic_stack: false
    .vgpr_count:     253
    .vgpr_spill_count: 0
    .wavefront_size: 64
  - .args:
      - .address_space:  global
        .offset:         0
        .size:           8
        .value_kind:     global_buffer
      - .offset:         8
        .size:           4
        .value_kind:     by_value
      - .offset:         12
        .size:           4
        .value_kind:     by_value
      - .offset:         16
        .size:           8
        .value_kind:     by_value
      - .address_space:  global
        .offset:         24
        .size:           8
        .value_kind:     global_buffer
      - .offset:         32
        .size:           4
        .value_kind:     by_value
      - .offset:         40
        .size:           8
        .value_kind:     by_value
      - .address_space:  global
        .offset:         48
        .size:           8
        .value_kind:     global_buffer
      - .offset:         56
        .size:           1
        .value_kind:     by_value
      - .offset:         57
        .size:           1
        .value_kind:     by_value
    .group_segment_fixed_size: 1032
    .kernarg_segment_align: 8
    .kernarg_segment_size: 60
    .language:       OpenCL C
    .language_version:
      - 2
      - 0
    .max_flat_workgroup_size: 64
    .name:           _ZN9rocsolver6v33100L18getri_kernel_smallILi64EdPdEEvT1_iilPiilS4_bb
    .private_segment_fixed_size: 528
    .sgpr_count:     28
    .sgpr_spill_count: 0
    .symbol:         _ZN9rocsolver6v33100L18getri_kernel_smallILi64EdPdEEvT1_iilPiilS4_bb.kd
    .uniform_work_group_size: 1
    .uses_dynamic_stack: false
    .vgpr_count:     253
    .vgpr_spill_count: 0
    .wavefront_size: 64
  - .args:
      - .address_space:  global
        .offset:         0
        .size:           8
        .value_kind:     global_buffer
      - .offset:         8
        .size:           4
        .value_kind:     by_value
      - .offset:         12
        .size:           4
        .value_kind:     by_value
      - .offset:         16
        .size:           8
        .value_kind:     by_value
      - .address_space:  global
        .offset:         24
        .size:           8
        .value_kind:     global_buffer
      - .offset:         32
        .size:           4
        .value_kind:     by_value
      - .offset:         40
        .size:           8
        .value_kind:     by_value
      - .address_space:  global
        .offset:         48
        .size:           8
        .value_kind:     global_buffer
      - .offset:         56
        .size:           1
        .value_kind:     by_value
      - .offset:         57
        .size:           1
        .value_kind:     by_value
    .group_segment_fixed_size: 4
    .kernarg_segment_align: 8
    .kernarg_segment_size: 60
    .language:       OpenCL C
    .language_version:
      - 2
      - 0
    .max_flat_workgroup_size: 64
    .name:           _ZN9rocsolver6v33100L18getri_kernel_smallILi1EdPKPdEEvT1_iilPiilS6_bb
    .private_segment_fixed_size: 0
    .sgpr_count:     18
    .sgpr_spill_count: 0
    .symbol:         _ZN9rocsolver6v33100L18getri_kernel_smallILi1EdPKPdEEvT1_iilPiilS6_bb.kd
    .uniform_work_group_size: 1
    .uses_dynamic_stack: false
    .vgpr_count:     10
    .vgpr_spill_count: 0
    .wavefront_size: 64
  - .args:
      - .address_space:  global
        .offset:         0
        .size:           8
        .value_kind:     global_buffer
      - .offset:         8
        .size:           4
        .value_kind:     by_value
      - .offset:         12
        .size:           4
        .value_kind:     by_value
      - .offset:         16
        .size:           8
        .value_kind:     by_value
      - .address_space:  global
        .offset:         24
        .size:           8
        .value_kind:     global_buffer
      - .offset:         32
        .size:           4
        .value_kind:     by_value
      - .offset:         40
        .size:           8
        .value_kind:     by_value
      - .address_space:  global
        .offset:         48
        .size:           8
        .value_kind:     global_buffer
      - .offset:         56
        .size:           1
        .value_kind:     by_value
      - .offset:         57
        .size:           1
        .value_kind:     by_value
    .group_segment_fixed_size: 40
    .kernarg_segment_align: 8
    .kernarg_segment_size: 60
    .language:       OpenCL C
    .language_version:
      - 2
      - 0
    .max_flat_workgroup_size: 64
    .name:           _ZN9rocsolver6v33100L18getri_kernel_smallILi2EdPKPdEEvT1_iilPiilS6_bb
    .private_segment_fixed_size: 0
    .sgpr_count:     21
    .sgpr_spill_count: 0
    .symbol:         _ZN9rocsolver6v33100L18getri_kernel_smallILi2EdPKPdEEvT1_iilPiilS6_bb.kd
    .uniform_work_group_size: 1
    .uses_dynamic_stack: false
    .vgpr_count:     20
    .vgpr_spill_count: 0
    .wavefront_size: 64
  - .args:
      - .address_space:  global
        .offset:         0
        .size:           8
        .value_kind:     global_buffer
      - .offset:         8
        .size:           4
        .value_kind:     by_value
      - .offset:         12
        .size:           4
        .value_kind:     by_value
      - .offset:         16
        .size:           8
        .value_kind:     by_value
      - .address_space:  global
        .offset:         24
        .size:           8
        .value_kind:     global_buffer
      - .offset:         32
        .size:           4
        .value_kind:     by_value
      - .offset:         40
        .size:           8
        .value_kind:     by_value
      - .address_space:  global
        .offset:         48
        .size:           8
        .value_kind:     global_buffer
      - .offset:         56
        .size:           1
        .value_kind:     by_value
      - .offset:         57
        .size:           1
        .value_kind:     by_value
    .group_segment_fixed_size: 56
    .kernarg_segment_align: 8
    .kernarg_segment_size: 60
    .language:       OpenCL C
    .language_version:
      - 2
      - 0
    .max_flat_workgroup_size: 64
    .name:           _ZN9rocsolver6v33100L18getri_kernel_smallILi3EdPKPdEEvT1_iilPiilS6_bb
    .private_segment_fixed_size: 0
    .sgpr_count:     21
    .sgpr_spill_count: 0
    .symbol:         _ZN9rocsolver6v33100L18getri_kernel_smallILi3EdPKPdEEvT1_iilPiilS6_bb.kd
    .uniform_work_group_size: 1
    .uses_dynamic_stack: false
    .vgpr_count:     24
    .vgpr_spill_count: 0
    .wavefront_size: 64
  - .args:
      - .address_space:  global
        .offset:         0
        .size:           8
        .value_kind:     global_buffer
      - .offset:         8
        .size:           4
        .value_kind:     by_value
      - .offset:         12
        .size:           4
        .value_kind:     by_value
      - .offset:         16
        .size:           8
        .value_kind:     by_value
      - .address_space:  global
        .offset:         24
        .size:           8
        .value_kind:     global_buffer
      - .offset:         32
        .size:           4
        .value_kind:     by_value
      - .offset:         40
        .size:           8
        .value_kind:     by_value
      - .address_space:  global
        .offset:         48
        .size:           8
        .value_kind:     global_buffer
      - .offset:         56
        .size:           1
        .value_kind:     by_value
      - .offset:         57
        .size:           1
        .value_kind:     by_value
    .group_segment_fixed_size: 72
    .kernarg_segment_align: 8
    .kernarg_segment_size: 60
    .language:       OpenCL C
    .language_version:
      - 2
      - 0
    .max_flat_workgroup_size: 64
    .name:           _ZN9rocsolver6v33100L18getri_kernel_smallILi4EdPKPdEEvT1_iilPiilS6_bb
    .private_segment_fixed_size: 0
    .sgpr_count:     21
    .sgpr_spill_count: 0
    .symbol:         _ZN9rocsolver6v33100L18getri_kernel_smallILi4EdPKPdEEvT1_iilPiilS6_bb.kd
    .uniform_work_group_size: 1
    .uses_dynamic_stack: false
    .vgpr_count:     29
    .vgpr_spill_count: 0
    .wavefront_size: 64
  - .args:
      - .address_space:  global
        .offset:         0
        .size:           8
        .value_kind:     global_buffer
      - .offset:         8
        .size:           4
        .value_kind:     by_value
      - .offset:         12
        .size:           4
        .value_kind:     by_value
      - .offset:         16
        .size:           8
        .value_kind:     by_value
      - .address_space:  global
        .offset:         24
        .size:           8
        .value_kind:     global_buffer
      - .offset:         32
        .size:           4
        .value_kind:     by_value
      - .offset:         40
        .size:           8
        .value_kind:     by_value
      - .address_space:  global
        .offset:         48
        .size:           8
        .value_kind:     global_buffer
      - .offset:         56
        .size:           1
        .value_kind:     by_value
      - .offset:         57
        .size:           1
        .value_kind:     by_value
    .group_segment_fixed_size: 88
    .kernarg_segment_align: 8
    .kernarg_segment_size: 60
    .language:       OpenCL C
    .language_version:
      - 2
      - 0
    .max_flat_workgroup_size: 64
    .name:           _ZN9rocsolver6v33100L18getri_kernel_smallILi5EdPKPdEEvT1_iilPiilS6_bb
    .private_segment_fixed_size: 0
    .sgpr_count:     22
    .sgpr_spill_count: 0
    .symbol:         _ZN9rocsolver6v33100L18getri_kernel_smallILi5EdPKPdEEvT1_iilPiilS6_bb.kd
    .uniform_work_group_size: 1
    .uses_dynamic_stack: false
    .vgpr_count:     38
    .vgpr_spill_count: 0
    .wavefront_size: 64
  - .args:
      - .address_space:  global
        .offset:         0
        .size:           8
        .value_kind:     global_buffer
      - .offset:         8
        .size:           4
        .value_kind:     by_value
      - .offset:         12
        .size:           4
        .value_kind:     by_value
      - .offset:         16
        .size:           8
        .value_kind:     by_value
      - .address_space:  global
        .offset:         24
        .size:           8
        .value_kind:     global_buffer
      - .offset:         32
        .size:           4
        .value_kind:     by_value
      - .offset:         40
        .size:           8
        .value_kind:     by_value
      - .address_space:  global
        .offset:         48
        .size:           8
        .value_kind:     global_buffer
      - .offset:         56
        .size:           1
        .value_kind:     by_value
      - .offset:         57
        .size:           1
        .value_kind:     by_value
    .group_segment_fixed_size: 104
    .kernarg_segment_align: 8
    .kernarg_segment_size: 60
    .language:       OpenCL C
    .language_version:
      - 2
      - 0
    .max_flat_workgroup_size: 64
    .name:           _ZN9rocsolver6v33100L18getri_kernel_smallILi6EdPKPdEEvT1_iilPiilS6_bb
    .private_segment_fixed_size: 0
    .sgpr_count:     24
    .sgpr_spill_count: 0
    .symbol:         _ZN9rocsolver6v33100L18getri_kernel_smallILi6EdPKPdEEvT1_iilPiilS6_bb.kd
    .uniform_work_group_size: 1
    .uses_dynamic_stack: false
    .vgpr_count:     40
    .vgpr_spill_count: 0
    .wavefront_size: 64
  - .args:
      - .address_space:  global
        .offset:         0
        .size:           8
        .value_kind:     global_buffer
      - .offset:         8
        .size:           4
        .value_kind:     by_value
      - .offset:         12
        .size:           4
        .value_kind:     by_value
      - .offset:         16
        .size:           8
        .value_kind:     by_value
      - .address_space:  global
        .offset:         24
        .size:           8
        .value_kind:     global_buffer
      - .offset:         32
        .size:           4
        .value_kind:     by_value
      - .offset:         40
        .size:           8
        .value_kind:     by_value
      - .address_space:  global
        .offset:         48
        .size:           8
        .value_kind:     global_buffer
      - .offset:         56
        .size:           1
        .value_kind:     by_value
      - .offset:         57
        .size:           1
        .value_kind:     by_value
    .group_segment_fixed_size: 120
    .kernarg_segment_align: 8
    .kernarg_segment_size: 60
    .language:       OpenCL C
    .language_version:
      - 2
      - 0
    .max_flat_workgroup_size: 64
    .name:           _ZN9rocsolver6v33100L18getri_kernel_smallILi7EdPKPdEEvT1_iilPiilS6_bb
    .private_segment_fixed_size: 0
    .sgpr_count:     26
    .sgpr_spill_count: 0
    .symbol:         _ZN9rocsolver6v33100L18getri_kernel_smallILi7EdPKPdEEvT1_iilPiilS6_bb.kd
    .uniform_work_group_size: 1
    .uses_dynamic_stack: false
    .vgpr_count:     46
    .vgpr_spill_count: 0
    .wavefront_size: 64
  - .args:
      - .address_space:  global
        .offset:         0
        .size:           8
        .value_kind:     global_buffer
      - .offset:         8
        .size:           4
        .value_kind:     by_value
      - .offset:         12
        .size:           4
        .value_kind:     by_value
      - .offset:         16
        .size:           8
        .value_kind:     by_value
      - .address_space:  global
        .offset:         24
        .size:           8
        .value_kind:     global_buffer
      - .offset:         32
        .size:           4
        .value_kind:     by_value
      - .offset:         40
        .size:           8
        .value_kind:     by_value
      - .address_space:  global
        .offset:         48
        .size:           8
        .value_kind:     global_buffer
      - .offset:         56
        .size:           1
        .value_kind:     by_value
      - .offset:         57
        .size:           1
        .value_kind:     by_value
    .group_segment_fixed_size: 136
    .kernarg_segment_align: 8
    .kernarg_segment_size: 60
    .language:       OpenCL C
    .language_version:
      - 2
      - 0
    .max_flat_workgroup_size: 64
    .name:           _ZN9rocsolver6v33100L18getri_kernel_smallILi8EdPKPdEEvT1_iilPiilS6_bb
    .private_segment_fixed_size: 0
    .sgpr_count:     28
    .sgpr_spill_count: 0
    .symbol:         _ZN9rocsolver6v33100L18getri_kernel_smallILi8EdPKPdEEvT1_iilPiilS6_bb.kd
    .uniform_work_group_size: 1
    .uses_dynamic_stack: false
    .vgpr_count:     48
    .vgpr_spill_count: 0
    .wavefront_size: 64
  - .args:
      - .address_space:  global
        .offset:         0
        .size:           8
        .value_kind:     global_buffer
      - .offset:         8
        .size:           4
        .value_kind:     by_value
      - .offset:         12
        .size:           4
        .value_kind:     by_value
      - .offset:         16
        .size:           8
        .value_kind:     by_value
      - .address_space:  global
        .offset:         24
        .size:           8
        .value_kind:     global_buffer
      - .offset:         32
        .size:           4
        .value_kind:     by_value
      - .offset:         40
        .size:           8
        .value_kind:     by_value
      - .address_space:  global
        .offset:         48
        .size:           8
        .value_kind:     global_buffer
      - .offset:         56
        .size:           1
        .value_kind:     by_value
      - .offset:         57
        .size:           1
        .value_kind:     by_value
    .group_segment_fixed_size: 152
    .kernarg_segment_align: 8
    .kernarg_segment_size: 60
    .language:       OpenCL C
    .language_version:
      - 2
      - 0
    .max_flat_workgroup_size: 64
    .name:           _ZN9rocsolver6v33100L18getri_kernel_smallILi9EdPKPdEEvT1_iilPiilS6_bb
    .private_segment_fixed_size: 0
    .sgpr_count:     44
    .sgpr_spill_count: 0
    .symbol:         _ZN9rocsolver6v33100L18getri_kernel_smallILi9EdPKPdEEvT1_iilPiilS6_bb.kd
    .uniform_work_group_size: 1
    .uses_dynamic_stack: false
    .vgpr_count:     70
    .vgpr_spill_count: 0
    .wavefront_size: 64
  - .args:
      - .address_space:  global
        .offset:         0
        .size:           8
        .value_kind:     global_buffer
      - .offset:         8
        .size:           4
        .value_kind:     by_value
      - .offset:         12
        .size:           4
        .value_kind:     by_value
      - .offset:         16
        .size:           8
        .value_kind:     by_value
      - .address_space:  global
        .offset:         24
        .size:           8
        .value_kind:     global_buffer
      - .offset:         32
        .size:           4
        .value_kind:     by_value
      - .offset:         40
        .size:           8
        .value_kind:     by_value
      - .address_space:  global
        .offset:         48
        .size:           8
        .value_kind:     global_buffer
      - .offset:         56
        .size:           1
        .value_kind:     by_value
      - .offset:         57
        .size:           1
        .value_kind:     by_value
    .group_segment_fixed_size: 168
    .kernarg_segment_align: 8
    .kernarg_segment_size: 60
    .language:       OpenCL C
    .language_version:
      - 2
      - 0
    .max_flat_workgroup_size: 64
    .name:           _ZN9rocsolver6v33100L18getri_kernel_smallILi10EdPKPdEEvT1_iilPiilS6_bb
    .private_segment_fixed_size: 0
    .sgpr_count:     46
    .sgpr_spill_count: 0
    .symbol:         _ZN9rocsolver6v33100L18getri_kernel_smallILi10EdPKPdEEvT1_iilPiilS6_bb.kd
    .uniform_work_group_size: 1
    .uses_dynamic_stack: false
    .vgpr_count:     72
    .vgpr_spill_count: 0
    .wavefront_size: 64
  - .args:
      - .address_space:  global
        .offset:         0
        .size:           8
        .value_kind:     global_buffer
      - .offset:         8
        .size:           4
        .value_kind:     by_value
      - .offset:         12
        .size:           4
        .value_kind:     by_value
      - .offset:         16
        .size:           8
        .value_kind:     by_value
      - .address_space:  global
        .offset:         24
        .size:           8
        .value_kind:     global_buffer
      - .offset:         32
        .size:           4
        .value_kind:     by_value
      - .offset:         40
        .size:           8
        .value_kind:     by_value
      - .address_space:  global
        .offset:         48
        .size:           8
        .value_kind:     global_buffer
      - .offset:         56
        .size:           1
        .value_kind:     by_value
      - .offset:         57
        .size:           1
        .value_kind:     by_value
    .group_segment_fixed_size: 184
    .kernarg_segment_align: 8
    .kernarg_segment_size: 60
    .language:       OpenCL C
    .language_version:
      - 2
      - 0
    .max_flat_workgroup_size: 64
    .name:           _ZN9rocsolver6v33100L18getri_kernel_smallILi11EdPKPdEEvT1_iilPiilS6_bb
    .private_segment_fixed_size: 0
    .sgpr_count:     48
    .sgpr_spill_count: 0
    .symbol:         _ZN9rocsolver6v33100L18getri_kernel_smallILi11EdPKPdEEvT1_iilPiilS6_bb.kd
    .uniform_work_group_size: 1
    .uses_dynamic_stack: false
    .vgpr_count:     78
    .vgpr_spill_count: 0
    .wavefront_size: 64
  - .args:
      - .address_space:  global
        .offset:         0
        .size:           8
        .value_kind:     global_buffer
      - .offset:         8
        .size:           4
        .value_kind:     by_value
      - .offset:         12
        .size:           4
        .value_kind:     by_value
      - .offset:         16
        .size:           8
        .value_kind:     by_value
      - .address_space:  global
        .offset:         24
        .size:           8
        .value_kind:     global_buffer
      - .offset:         32
        .size:           4
        .value_kind:     by_value
      - .offset:         40
        .size:           8
        .value_kind:     by_value
      - .address_space:  global
        .offset:         48
        .size:           8
        .value_kind:     global_buffer
      - .offset:         56
        .size:           1
        .value_kind:     by_value
      - .offset:         57
        .size:           1
        .value_kind:     by_value
    .group_segment_fixed_size: 200
    .kernarg_segment_align: 8
    .kernarg_segment_size: 60
    .language:       OpenCL C
    .language_version:
      - 2
      - 0
    .max_flat_workgroup_size: 64
    .name:           _ZN9rocsolver6v33100L18getri_kernel_smallILi12EdPKPdEEvT1_iilPiilS6_bb
    .private_segment_fixed_size: 0
    .sgpr_count:     50
    .sgpr_spill_count: 0
    .symbol:         _ZN9rocsolver6v33100L18getri_kernel_smallILi12EdPKPdEEvT1_iilPiilS6_bb.kd
    .uniform_work_group_size: 1
    .uses_dynamic_stack: false
    .vgpr_count:     80
    .vgpr_spill_count: 0
    .wavefront_size: 64
  - .args:
      - .address_space:  global
        .offset:         0
        .size:           8
        .value_kind:     global_buffer
      - .offset:         8
        .size:           4
        .value_kind:     by_value
      - .offset:         12
        .size:           4
        .value_kind:     by_value
      - .offset:         16
        .size:           8
        .value_kind:     by_value
      - .address_space:  global
        .offset:         24
        .size:           8
        .value_kind:     global_buffer
      - .offset:         32
        .size:           4
        .value_kind:     by_value
      - .offset:         40
        .size:           8
        .value_kind:     by_value
      - .address_space:  global
        .offset:         48
        .size:           8
        .value_kind:     global_buffer
      - .offset:         56
        .size:           1
        .value_kind:     by_value
      - .offset:         57
        .size:           1
        .value_kind:     by_value
    .group_segment_fixed_size: 216
    .kernarg_segment_align: 8
    .kernarg_segment_size: 60
    .language:       OpenCL C
    .language_version:
      - 2
      - 0
    .max_flat_workgroup_size: 64
    .name:           _ZN9rocsolver6v33100L18getri_kernel_smallILi13EdPKPdEEvT1_iilPiilS6_bb
    .private_segment_fixed_size: 0
    .sgpr_count:     52
    .sgpr_spill_count: 0
    .symbol:         _ZN9rocsolver6v33100L18getri_kernel_smallILi13EdPKPdEEvT1_iilPiilS6_bb.kd
    .uniform_work_group_size: 1
    .uses_dynamic_stack: false
    .vgpr_count:     88
    .vgpr_spill_count: 0
    .wavefront_size: 64
  - .args:
      - .address_space:  global
        .offset:         0
        .size:           8
        .value_kind:     global_buffer
      - .offset:         8
        .size:           4
        .value_kind:     by_value
      - .offset:         12
        .size:           4
        .value_kind:     by_value
      - .offset:         16
        .size:           8
        .value_kind:     by_value
      - .address_space:  global
        .offset:         24
        .size:           8
        .value_kind:     global_buffer
      - .offset:         32
        .size:           4
        .value_kind:     by_value
      - .offset:         40
        .size:           8
        .value_kind:     by_value
      - .address_space:  global
        .offset:         48
        .size:           8
        .value_kind:     global_buffer
      - .offset:         56
        .size:           1
        .value_kind:     by_value
      - .offset:         57
        .size:           1
        .value_kind:     by_value
    .group_segment_fixed_size: 232
    .kernarg_segment_align: 8
    .kernarg_segment_size: 60
    .language:       OpenCL C
    .language_version:
      - 2
      - 0
    .max_flat_workgroup_size: 64
    .name:           _ZN9rocsolver6v33100L18getri_kernel_smallILi14EdPKPdEEvT1_iilPiilS6_bb
    .private_segment_fixed_size: 0
    .sgpr_count:     54
    .sgpr_spill_count: 0
    .symbol:         _ZN9rocsolver6v33100L18getri_kernel_smallILi14EdPKPdEEvT1_iilPiilS6_bb.kd
    .uniform_work_group_size: 1
    .uses_dynamic_stack: false
    .vgpr_count:     90
    .vgpr_spill_count: 0
    .wavefront_size: 64
  - .args:
      - .address_space:  global
        .offset:         0
        .size:           8
        .value_kind:     global_buffer
      - .offset:         8
        .size:           4
        .value_kind:     by_value
      - .offset:         12
        .size:           4
        .value_kind:     by_value
      - .offset:         16
        .size:           8
        .value_kind:     by_value
      - .address_space:  global
        .offset:         24
        .size:           8
        .value_kind:     global_buffer
      - .offset:         32
        .size:           4
        .value_kind:     by_value
      - .offset:         40
        .size:           8
        .value_kind:     by_value
      - .address_space:  global
        .offset:         48
        .size:           8
        .value_kind:     global_buffer
      - .offset:         56
        .size:           1
        .value_kind:     by_value
      - .offset:         57
        .size:           1
        .value_kind:     by_value
    .group_segment_fixed_size: 248
    .kernarg_segment_align: 8
    .kernarg_segment_size: 60
    .language:       OpenCL C
    .language_version:
      - 2
      - 0
    .max_flat_workgroup_size: 64
    .name:           _ZN9rocsolver6v33100L18getri_kernel_smallILi15EdPKPdEEvT1_iilPiilS6_bb
    .private_segment_fixed_size: 0
    .sgpr_count:     56
    .sgpr_spill_count: 0
    .symbol:         _ZN9rocsolver6v33100L18getri_kernel_smallILi15EdPKPdEEvT1_iilPiilS6_bb.kd
    .uniform_work_group_size: 1
    .uses_dynamic_stack: false
    .vgpr_count:     96
    .vgpr_spill_count: 0
    .wavefront_size: 64
  - .args:
      - .address_space:  global
        .offset:         0
        .size:           8
        .value_kind:     global_buffer
      - .offset:         8
        .size:           4
        .value_kind:     by_value
      - .offset:         12
        .size:           4
        .value_kind:     by_value
      - .offset:         16
        .size:           8
        .value_kind:     by_value
      - .address_space:  global
        .offset:         24
        .size:           8
        .value_kind:     global_buffer
      - .offset:         32
        .size:           4
        .value_kind:     by_value
      - .offset:         40
        .size:           8
        .value_kind:     by_value
      - .address_space:  global
        .offset:         48
        .size:           8
        .value_kind:     global_buffer
      - .offset:         56
        .size:           1
        .value_kind:     by_value
      - .offset:         57
        .size:           1
        .value_kind:     by_value
    .group_segment_fixed_size: 264
    .kernarg_segment_align: 8
    .kernarg_segment_size: 60
    .language:       OpenCL C
    .language_version:
      - 2
      - 0
    .max_flat_workgroup_size: 64
    .name:           _ZN9rocsolver6v33100L18getri_kernel_smallILi16EdPKPdEEvT1_iilPiilS6_bb
    .private_segment_fixed_size: 0
    .sgpr_count:     58
    .sgpr_spill_count: 0
    .symbol:         _ZN9rocsolver6v33100L18getri_kernel_smallILi16EdPKPdEEvT1_iilPiilS6_bb.kd
    .uniform_work_group_size: 1
    .uses_dynamic_stack: false
    .vgpr_count:     96
    .vgpr_spill_count: 0
    .wavefront_size: 64
  - .args:
      - .address_space:  global
        .offset:         0
        .size:           8
        .value_kind:     global_buffer
      - .offset:         8
        .size:           4
        .value_kind:     by_value
      - .offset:         12
        .size:           4
        .value_kind:     by_value
      - .offset:         16
        .size:           8
        .value_kind:     by_value
      - .address_space:  global
        .offset:         24
        .size:           8
        .value_kind:     global_buffer
      - .offset:         32
        .size:           4
        .value_kind:     by_value
      - .offset:         40
        .size:           8
        .value_kind:     by_value
      - .address_space:  global
        .offset:         48
        .size:           8
        .value_kind:     global_buffer
      - .offset:         56
        .size:           1
        .value_kind:     by_value
      - .offset:         57
        .size:           1
        .value_kind:     by_value
    .group_segment_fixed_size: 280
    .kernarg_segment_align: 8
    .kernarg_segment_size: 60
    .language:       OpenCL C
    .language_version:
      - 2
      - 0
    .max_flat_workgroup_size: 64
    .name:           _ZN9rocsolver6v33100L18getri_kernel_smallILi17EdPKPdEEvT1_iilPiilS6_bb
    .private_segment_fixed_size: 144
    .sgpr_count:     25
    .sgpr_spill_count: 0
    .symbol:         _ZN9rocsolver6v33100L18getri_kernel_smallILi17EdPKPdEEvT1_iilPiilS6_bb.kd
    .uniform_work_group_size: 1
    .uses_dynamic_stack: false
    .vgpr_count:     72
    .vgpr_spill_count: 0
    .wavefront_size: 64
  - .args:
      - .address_space:  global
        .offset:         0
        .size:           8
        .value_kind:     global_buffer
      - .offset:         8
        .size:           4
        .value_kind:     by_value
      - .offset:         12
        .size:           4
        .value_kind:     by_value
      - .offset:         16
        .size:           8
        .value_kind:     by_value
      - .address_space:  global
        .offset:         24
        .size:           8
        .value_kind:     global_buffer
      - .offset:         32
        .size:           4
        .value_kind:     by_value
      - .offset:         40
        .size:           8
        .value_kind:     by_value
      - .address_space:  global
        .offset:         48
        .size:           8
        .value_kind:     global_buffer
      - .offset:         56
        .size:           1
        .value_kind:     by_value
      - .offset:         57
        .size:           1
        .value_kind:     by_value
    .group_segment_fixed_size: 296
    .kernarg_segment_align: 8
    .kernarg_segment_size: 60
    .language:       OpenCL C
    .language_version:
      - 2
      - 0
    .max_flat_workgroup_size: 64
    .name:           _ZN9rocsolver6v33100L18getri_kernel_smallILi18EdPKPdEEvT1_iilPiilS6_bb
    .private_segment_fixed_size: 160
    .sgpr_count:     25
    .sgpr_spill_count: 0
    .symbol:         _ZN9rocsolver6v33100L18getri_kernel_smallILi18EdPKPdEEvT1_iilPiilS6_bb.kd
    .uniform_work_group_size: 1
    .uses_dynamic_stack: false
    .vgpr_count:     73
    .vgpr_spill_count: 0
    .wavefront_size: 64
  - .args:
      - .address_space:  global
        .offset:         0
        .size:           8
        .value_kind:     global_buffer
      - .offset:         8
        .size:           4
        .value_kind:     by_value
      - .offset:         12
        .size:           4
        .value_kind:     by_value
      - .offset:         16
        .size:           8
        .value_kind:     by_value
      - .address_space:  global
        .offset:         24
        .size:           8
        .value_kind:     global_buffer
      - .offset:         32
        .size:           4
        .value_kind:     by_value
      - .offset:         40
        .size:           8
        .value_kind:     by_value
      - .address_space:  global
        .offset:         48
        .size:           8
        .value_kind:     global_buffer
      - .offset:         56
        .size:           1
        .value_kind:     by_value
      - .offset:         57
        .size:           1
        .value_kind:     by_value
    .group_segment_fixed_size: 312
    .kernarg_segment_align: 8
    .kernarg_segment_size: 60
    .language:       OpenCL C
    .language_version:
      - 2
      - 0
    .max_flat_workgroup_size: 64
    .name:           _ZN9rocsolver6v33100L18getri_kernel_smallILi19EdPKPdEEvT1_iilPiilS6_bb
    .private_segment_fixed_size: 160
    .sgpr_count:     25
    .sgpr_spill_count: 0
    .symbol:         _ZN9rocsolver6v33100L18getri_kernel_smallILi19EdPKPdEEvT1_iilPiilS6_bb.kd
    .uniform_work_group_size: 1
    .uses_dynamic_stack: false
    .vgpr_count:     76
    .vgpr_spill_count: 0
    .wavefront_size: 64
  - .args:
      - .address_space:  global
        .offset:         0
        .size:           8
        .value_kind:     global_buffer
      - .offset:         8
        .size:           4
        .value_kind:     by_value
      - .offset:         12
        .size:           4
        .value_kind:     by_value
      - .offset:         16
        .size:           8
        .value_kind:     by_value
      - .address_space:  global
        .offset:         24
        .size:           8
        .value_kind:     global_buffer
      - .offset:         32
        .size:           4
        .value_kind:     by_value
      - .offset:         40
        .size:           8
        .value_kind:     by_value
      - .address_space:  global
        .offset:         48
        .size:           8
        .value_kind:     global_buffer
      - .offset:         56
        .size:           1
        .value_kind:     by_value
      - .offset:         57
        .size:           1
        .value_kind:     by_value
    .group_segment_fixed_size: 328
    .kernarg_segment_align: 8
    .kernarg_segment_size: 60
    .language:       OpenCL C
    .language_version:
      - 2
      - 0
    .max_flat_workgroup_size: 64
    .name:           _ZN9rocsolver6v33100L18getri_kernel_smallILi20EdPKPdEEvT1_iilPiilS6_bb
    .private_segment_fixed_size: 176
    .sgpr_count:     25
    .sgpr_spill_count: 0
    .symbol:         _ZN9rocsolver6v33100L18getri_kernel_smallILi20EdPKPdEEvT1_iilPiilS6_bb.kd
    .uniform_work_group_size: 1
    .uses_dynamic_stack: false
    .vgpr_count:     77
    .vgpr_spill_count: 0
    .wavefront_size: 64
  - .args:
      - .address_space:  global
        .offset:         0
        .size:           8
        .value_kind:     global_buffer
      - .offset:         8
        .size:           4
        .value_kind:     by_value
      - .offset:         12
        .size:           4
        .value_kind:     by_value
      - .offset:         16
        .size:           8
        .value_kind:     by_value
      - .address_space:  global
        .offset:         24
        .size:           8
        .value_kind:     global_buffer
      - .offset:         32
        .size:           4
        .value_kind:     by_value
      - .offset:         40
        .size:           8
        .value_kind:     by_value
      - .address_space:  global
        .offset:         48
        .size:           8
        .value_kind:     global_buffer
      - .offset:         56
        .size:           1
        .value_kind:     by_value
      - .offset:         57
        .size:           1
        .value_kind:     by_value
    .group_segment_fixed_size: 344
    .kernarg_segment_align: 8
    .kernarg_segment_size: 60
    .language:       OpenCL C
    .language_version:
      - 2
      - 0
    .max_flat_workgroup_size: 64
    .name:           _ZN9rocsolver6v33100L18getri_kernel_smallILi21EdPKPdEEvT1_iilPiilS6_bb
    .private_segment_fixed_size: 176
    .sgpr_count:     25
    .sgpr_spill_count: 0
    .symbol:         _ZN9rocsolver6v33100L18getri_kernel_smallILi21EdPKPdEEvT1_iilPiilS6_bb.kd
    .uniform_work_group_size: 1
    .uses_dynamic_stack: false
    .vgpr_count:     80
    .vgpr_spill_count: 0
    .wavefront_size: 64
  - .args:
      - .address_space:  global
        .offset:         0
        .size:           8
        .value_kind:     global_buffer
      - .offset:         8
        .size:           4
        .value_kind:     by_value
      - .offset:         12
        .size:           4
        .value_kind:     by_value
      - .offset:         16
        .size:           8
        .value_kind:     by_value
      - .address_space:  global
        .offset:         24
        .size:           8
        .value_kind:     global_buffer
      - .offset:         32
        .size:           4
        .value_kind:     by_value
      - .offset:         40
        .size:           8
        .value_kind:     by_value
      - .address_space:  global
        .offset:         48
        .size:           8
        .value_kind:     global_buffer
      - .offset:         56
        .size:           1
        .value_kind:     by_value
      - .offset:         57
        .size:           1
        .value_kind:     by_value
    .group_segment_fixed_size: 360
    .kernarg_segment_align: 8
    .kernarg_segment_size: 60
    .language:       OpenCL C
    .language_version:
      - 2
      - 0
    .max_flat_workgroup_size: 64
    .name:           _ZN9rocsolver6v33100L18getri_kernel_smallILi22EdPKPdEEvT1_iilPiilS6_bb
    .private_segment_fixed_size: 192
    .sgpr_count:     25
    .sgpr_spill_count: 0
    .symbol:         _ZN9rocsolver6v33100L18getri_kernel_smallILi22EdPKPdEEvT1_iilPiilS6_bb.kd
    .uniform_work_group_size: 1
    .uses_dynamic_stack: false
    .vgpr_count:     81
    .vgpr_spill_count: 0
    .wavefront_size: 64
  - .args:
      - .address_space:  global
        .offset:         0
        .size:           8
        .value_kind:     global_buffer
      - .offset:         8
        .size:           4
        .value_kind:     by_value
      - .offset:         12
        .size:           4
        .value_kind:     by_value
      - .offset:         16
        .size:           8
        .value_kind:     by_value
      - .address_space:  global
        .offset:         24
        .size:           8
        .value_kind:     global_buffer
      - .offset:         32
        .size:           4
        .value_kind:     by_value
      - .offset:         40
        .size:           8
        .value_kind:     by_value
      - .address_space:  global
        .offset:         48
        .size:           8
        .value_kind:     global_buffer
      - .offset:         56
        .size:           1
        .value_kind:     by_value
      - .offset:         57
        .size:           1
        .value_kind:     by_value
    .group_segment_fixed_size: 376
    .kernarg_segment_align: 8
    .kernarg_segment_size: 60
    .language:       OpenCL C
    .language_version:
      - 2
      - 0
    .max_flat_workgroup_size: 64
    .name:           _ZN9rocsolver6v33100L18getri_kernel_smallILi23EdPKPdEEvT1_iilPiilS6_bb
    .private_segment_fixed_size: 192
    .sgpr_count:     25
    .sgpr_spill_count: 0
    .symbol:         _ZN9rocsolver6v33100L18getri_kernel_smallILi23EdPKPdEEvT1_iilPiilS6_bb.kd
    .uniform_work_group_size: 1
    .uses_dynamic_stack: false
    .vgpr_count:     84
    .vgpr_spill_count: 0
    .wavefront_size: 64
  - .args:
      - .address_space:  global
        .offset:         0
        .size:           8
        .value_kind:     global_buffer
      - .offset:         8
        .size:           4
        .value_kind:     by_value
      - .offset:         12
        .size:           4
        .value_kind:     by_value
      - .offset:         16
        .size:           8
        .value_kind:     by_value
      - .address_space:  global
        .offset:         24
        .size:           8
        .value_kind:     global_buffer
      - .offset:         32
        .size:           4
        .value_kind:     by_value
      - .offset:         40
        .size:           8
        .value_kind:     by_value
      - .address_space:  global
        .offset:         48
        .size:           8
        .value_kind:     global_buffer
      - .offset:         56
        .size:           1
        .value_kind:     by_value
      - .offset:         57
        .size:           1
        .value_kind:     by_value
    .group_segment_fixed_size: 392
    .kernarg_segment_align: 8
    .kernarg_segment_size: 60
    .language:       OpenCL C
    .language_version:
      - 2
      - 0
    .max_flat_workgroup_size: 64
    .name:           _ZN9rocsolver6v33100L18getri_kernel_smallILi24EdPKPdEEvT1_iilPiilS6_bb
    .private_segment_fixed_size: 208
    .sgpr_count:     25
    .sgpr_spill_count: 0
    .symbol:         _ZN9rocsolver6v33100L18getri_kernel_smallILi24EdPKPdEEvT1_iilPiilS6_bb.kd
    .uniform_work_group_size: 1
    .uses_dynamic_stack: false
    .vgpr_count:     85
    .vgpr_spill_count: 0
    .wavefront_size: 64
  - .args:
      - .address_space:  global
        .offset:         0
        .size:           8
        .value_kind:     global_buffer
      - .offset:         8
        .size:           4
        .value_kind:     by_value
      - .offset:         12
        .size:           4
        .value_kind:     by_value
      - .offset:         16
        .size:           8
        .value_kind:     by_value
      - .address_space:  global
        .offset:         24
        .size:           8
        .value_kind:     global_buffer
      - .offset:         32
        .size:           4
        .value_kind:     by_value
      - .offset:         40
        .size:           8
        .value_kind:     by_value
      - .address_space:  global
        .offset:         48
        .size:           8
        .value_kind:     global_buffer
      - .offset:         56
        .size:           1
        .value_kind:     by_value
      - .offset:         57
        .size:           1
        .value_kind:     by_value
    .group_segment_fixed_size: 408
    .kernarg_segment_align: 8
    .kernarg_segment_size: 60
    .language:       OpenCL C
    .language_version:
      - 2
      - 0
    .max_flat_workgroup_size: 64
    .name:           _ZN9rocsolver6v33100L18getri_kernel_smallILi25EdPKPdEEvT1_iilPiilS6_bb
    .private_segment_fixed_size: 208
    .sgpr_count:     25
    .sgpr_spill_count: 0
    .symbol:         _ZN9rocsolver6v33100L18getri_kernel_smallILi25EdPKPdEEvT1_iilPiilS6_bb.kd
    .uniform_work_group_size: 1
    .uses_dynamic_stack: false
    .vgpr_count:     82
    .vgpr_spill_count: 0
    .wavefront_size: 64
  - .args:
      - .address_space:  global
        .offset:         0
        .size:           8
        .value_kind:     global_buffer
      - .offset:         8
        .size:           4
        .value_kind:     by_value
      - .offset:         12
        .size:           4
        .value_kind:     by_value
      - .offset:         16
        .size:           8
        .value_kind:     by_value
      - .address_space:  global
        .offset:         24
        .size:           8
        .value_kind:     global_buffer
      - .offset:         32
        .size:           4
        .value_kind:     by_value
      - .offset:         40
        .size:           8
        .value_kind:     by_value
      - .address_space:  global
        .offset:         48
        .size:           8
        .value_kind:     global_buffer
      - .offset:         56
        .size:           1
        .value_kind:     by_value
      - .offset:         57
        .size:           1
        .value_kind:     by_value
    .group_segment_fixed_size: 424
    .kernarg_segment_align: 8
    .kernarg_segment_size: 60
    .language:       OpenCL C
    .language_version:
      - 2
      - 0
    .max_flat_workgroup_size: 64
    .name:           _ZN9rocsolver6v33100L18getri_kernel_smallILi26EdPKPdEEvT1_iilPiilS6_bb
    .private_segment_fixed_size: 224
    .sgpr_count:     25
    .sgpr_spill_count: 0
    .symbol:         _ZN9rocsolver6v33100L18getri_kernel_smallILi26EdPKPdEEvT1_iilPiilS6_bb.kd
    .uniform_work_group_size: 1
    .uses_dynamic_stack: false
    .vgpr_count:     89
    .vgpr_spill_count: 0
    .wavefront_size: 64
  - .args:
      - .address_space:  global
        .offset:         0
        .size:           8
        .value_kind:     global_buffer
      - .offset:         8
        .size:           4
        .value_kind:     by_value
      - .offset:         12
        .size:           4
        .value_kind:     by_value
      - .offset:         16
        .size:           8
        .value_kind:     by_value
      - .address_space:  global
        .offset:         24
        .size:           8
        .value_kind:     global_buffer
      - .offset:         32
        .size:           4
        .value_kind:     by_value
      - .offset:         40
        .size:           8
        .value_kind:     by_value
      - .address_space:  global
        .offset:         48
        .size:           8
        .value_kind:     global_buffer
      - .offset:         56
        .size:           1
        .value_kind:     by_value
      - .offset:         57
        .size:           1
        .value_kind:     by_value
    .group_segment_fixed_size: 440
    .kernarg_segment_align: 8
    .kernarg_segment_size: 60
    .language:       OpenCL C
    .language_version:
      - 2
      - 0
    .max_flat_workgroup_size: 64
    .name:           _ZN9rocsolver6v33100L18getri_kernel_smallILi27EdPKPdEEvT1_iilPiilS6_bb
    .private_segment_fixed_size: 224
    .sgpr_count:     25
    .sgpr_spill_count: 0
    .symbol:         _ZN9rocsolver6v33100L18getri_kernel_smallILi27EdPKPdEEvT1_iilPiilS6_bb.kd
    .uniform_work_group_size: 1
    .uses_dynamic_stack: false
    .vgpr_count:     92
    .vgpr_spill_count: 0
    .wavefront_size: 64
  - .args:
      - .address_space:  global
        .offset:         0
        .size:           8
        .value_kind:     global_buffer
      - .offset:         8
        .size:           4
        .value_kind:     by_value
      - .offset:         12
        .size:           4
        .value_kind:     by_value
      - .offset:         16
        .size:           8
        .value_kind:     by_value
      - .address_space:  global
        .offset:         24
        .size:           8
        .value_kind:     global_buffer
      - .offset:         32
        .size:           4
        .value_kind:     by_value
      - .offset:         40
        .size:           8
        .value_kind:     by_value
      - .address_space:  global
        .offset:         48
        .size:           8
        .value_kind:     global_buffer
      - .offset:         56
        .size:           1
        .value_kind:     by_value
      - .offset:         57
        .size:           1
        .value_kind:     by_value
    .group_segment_fixed_size: 456
    .kernarg_segment_align: 8
    .kernarg_segment_size: 60
    .language:       OpenCL C
    .language_version:
      - 2
      - 0
    .max_flat_workgroup_size: 64
    .name:           _ZN9rocsolver6v33100L18getri_kernel_smallILi28EdPKPdEEvT1_iilPiilS6_bb
    .private_segment_fixed_size: 240
    .sgpr_count:     25
    .sgpr_spill_count: 0
    .symbol:         _ZN9rocsolver6v33100L18getri_kernel_smallILi28EdPKPdEEvT1_iilPiilS6_bb.kd
    .uniform_work_group_size: 1
    .uses_dynamic_stack: false
    .vgpr_count:     93
    .vgpr_spill_count: 0
    .wavefront_size: 64
  - .args:
      - .address_space:  global
        .offset:         0
        .size:           8
        .value_kind:     global_buffer
      - .offset:         8
        .size:           4
        .value_kind:     by_value
      - .offset:         12
        .size:           4
        .value_kind:     by_value
      - .offset:         16
        .size:           8
        .value_kind:     by_value
      - .address_space:  global
        .offset:         24
        .size:           8
        .value_kind:     global_buffer
      - .offset:         32
        .size:           4
        .value_kind:     by_value
      - .offset:         40
        .size:           8
        .value_kind:     by_value
      - .address_space:  global
        .offset:         48
        .size:           8
        .value_kind:     global_buffer
      - .offset:         56
        .size:           1
        .value_kind:     by_value
      - .offset:         57
        .size:           1
        .value_kind:     by_value
    .group_segment_fixed_size: 472
    .kernarg_segment_align: 8
    .kernarg_segment_size: 60
    .language:       OpenCL C
    .language_version:
      - 2
      - 0
    .max_flat_workgroup_size: 64
    .name:           _ZN9rocsolver6v33100L18getri_kernel_smallILi29EdPKPdEEvT1_iilPiilS6_bb
    .private_segment_fixed_size: 240
    .sgpr_count:     25
    .sgpr_spill_count: 0
    .symbol:         _ZN9rocsolver6v33100L18getri_kernel_smallILi29EdPKPdEEvT1_iilPiilS6_bb.kd
    .uniform_work_group_size: 1
    .uses_dynamic_stack: false
    .vgpr_count:     96
    .vgpr_spill_count: 0
    .wavefront_size: 64
  - .args:
      - .address_space:  global
        .offset:         0
        .size:           8
        .value_kind:     global_buffer
      - .offset:         8
        .size:           4
        .value_kind:     by_value
      - .offset:         12
        .size:           4
        .value_kind:     by_value
      - .offset:         16
        .size:           8
        .value_kind:     by_value
      - .address_space:  global
        .offset:         24
        .size:           8
        .value_kind:     global_buffer
      - .offset:         32
        .size:           4
        .value_kind:     by_value
      - .offset:         40
        .size:           8
        .value_kind:     by_value
      - .address_space:  global
        .offset:         48
        .size:           8
        .value_kind:     global_buffer
      - .offset:         56
        .size:           1
        .value_kind:     by_value
      - .offset:         57
        .size:           1
        .value_kind:     by_value
    .group_segment_fixed_size: 488
    .kernarg_segment_align: 8
    .kernarg_segment_size: 60
    .language:       OpenCL C
    .language_version:
      - 2
      - 0
    .max_flat_workgroup_size: 64
    .name:           _ZN9rocsolver6v33100L18getri_kernel_smallILi30EdPKPdEEvT1_iilPiilS6_bb
    .private_segment_fixed_size: 256
    .sgpr_count:     25
    .sgpr_spill_count: 0
    .symbol:         _ZN9rocsolver6v33100L18getri_kernel_smallILi30EdPKPdEEvT1_iilPiilS6_bb.kd
    .uniform_work_group_size: 1
    .uses_dynamic_stack: false
    .vgpr_count:     97
    .vgpr_spill_count: 0
    .wavefront_size: 64
  - .args:
      - .address_space:  global
        .offset:         0
        .size:           8
        .value_kind:     global_buffer
      - .offset:         8
        .size:           4
        .value_kind:     by_value
      - .offset:         12
        .size:           4
        .value_kind:     by_value
      - .offset:         16
        .size:           8
        .value_kind:     by_value
      - .address_space:  global
        .offset:         24
        .size:           8
        .value_kind:     global_buffer
      - .offset:         32
        .size:           4
        .value_kind:     by_value
      - .offset:         40
        .size:           8
        .value_kind:     by_value
      - .address_space:  global
        .offset:         48
        .size:           8
        .value_kind:     global_buffer
      - .offset:         56
        .size:           1
        .value_kind:     by_value
      - .offset:         57
        .size:           1
        .value_kind:     by_value
    .group_segment_fixed_size: 504
    .kernarg_segment_align: 8
    .kernarg_segment_size: 60
    .language:       OpenCL C
    .language_version:
      - 2
      - 0
    .max_flat_workgroup_size: 64
    .name:           _ZN9rocsolver6v33100L18getri_kernel_smallILi31EdPKPdEEvT1_iilPiilS6_bb
    .private_segment_fixed_size: 256
    .sgpr_count:     25
    .sgpr_spill_count: 0
    .symbol:         _ZN9rocsolver6v33100L18getri_kernel_smallILi31EdPKPdEEvT1_iilPiilS6_bb.kd
    .uniform_work_group_size: 1
    .uses_dynamic_stack: false
    .vgpr_count:     100
    .vgpr_spill_count: 0
    .wavefront_size: 64
  - .args:
      - .address_space:  global
        .offset:         0
        .size:           8
        .value_kind:     global_buffer
      - .offset:         8
        .size:           4
        .value_kind:     by_value
      - .offset:         12
        .size:           4
        .value_kind:     by_value
      - .offset:         16
        .size:           8
        .value_kind:     by_value
      - .address_space:  global
        .offset:         24
        .size:           8
        .value_kind:     global_buffer
      - .offset:         32
        .size:           4
        .value_kind:     by_value
      - .offset:         40
        .size:           8
        .value_kind:     by_value
      - .address_space:  global
        .offset:         48
        .size:           8
        .value_kind:     global_buffer
      - .offset:         56
        .size:           1
        .value_kind:     by_value
      - .offset:         57
        .size:           1
        .value_kind:     by_value
    .group_segment_fixed_size: 520
    .kernarg_segment_align: 8
    .kernarg_segment_size: 60
    .language:       OpenCL C
    .language_version:
      - 2
      - 0
    .max_flat_workgroup_size: 64
    .name:           _ZN9rocsolver6v33100L18getri_kernel_smallILi32EdPKPdEEvT1_iilPiilS6_bb
    .private_segment_fixed_size: 272
    .sgpr_count:     25
    .sgpr_spill_count: 0
    .symbol:         _ZN9rocsolver6v33100L18getri_kernel_smallILi32EdPKPdEEvT1_iilPiilS6_bb.kd
    .uniform_work_group_size: 1
    .uses_dynamic_stack: false
    .vgpr_count:     101
    .vgpr_spill_count: 0
    .wavefront_size: 64
  - .args:
      - .address_space:  global
        .offset:         0
        .size:           8
        .value_kind:     global_buffer
      - .offset:         8
        .size:           4
        .value_kind:     by_value
      - .offset:         12
        .size:           4
        .value_kind:     by_value
      - .offset:         16
        .size:           8
        .value_kind:     by_value
      - .address_space:  global
        .offset:         24
        .size:           8
        .value_kind:     global_buffer
      - .offset:         32
        .size:           4
        .value_kind:     by_value
      - .offset:         40
        .size:           8
        .value_kind:     by_value
      - .address_space:  global
        .offset:         48
        .size:           8
        .value_kind:     global_buffer
      - .offset:         56
        .size:           1
        .value_kind:     by_value
      - .offset:         57
        .size:           1
        .value_kind:     by_value
    .group_segment_fixed_size: 536
    .kernarg_segment_align: 8
    .kernarg_segment_size: 60
    .language:       OpenCL C
    .language_version:
      - 2
      - 0
    .max_flat_workgroup_size: 64
    .name:           _ZN9rocsolver6v33100L18getri_kernel_smallILi33EdPKPdEEvT1_iilPiilS6_bb
    .private_segment_fixed_size: 272
    .sgpr_count:     25
    .sgpr_spill_count: 0
    .symbol:         _ZN9rocsolver6v33100L18getri_kernel_smallILi33EdPKPdEEvT1_iilPiilS6_bb.kd
    .uniform_work_group_size: 1
    .uses_dynamic_stack: false
    .vgpr_count:     104
    .vgpr_spill_count: 0
    .wavefront_size: 64
  - .args:
      - .address_space:  global
        .offset:         0
        .size:           8
        .value_kind:     global_buffer
      - .offset:         8
        .size:           4
        .value_kind:     by_value
      - .offset:         12
        .size:           4
        .value_kind:     by_value
      - .offset:         16
        .size:           8
        .value_kind:     by_value
      - .address_space:  global
        .offset:         24
        .size:           8
        .value_kind:     global_buffer
      - .offset:         32
        .size:           4
        .value_kind:     by_value
      - .offset:         40
        .size:           8
        .value_kind:     by_value
      - .address_space:  global
        .offset:         48
        .size:           8
        .value_kind:     global_buffer
      - .offset:         56
        .size:           1
        .value_kind:     by_value
      - .offset:         57
        .size:           1
        .value_kind:     by_value
    .group_segment_fixed_size: 552
    .kernarg_segment_align: 8
    .kernarg_segment_size: 60
    .language:       OpenCL C
    .language_version:
      - 2
      - 0
    .max_flat_workgroup_size: 64
    .name:           _ZN9rocsolver6v33100L18getri_kernel_smallILi34EdPKPdEEvT1_iilPiilS6_bb
    .private_segment_fixed_size: 288
    .sgpr_count:     25
    .sgpr_spill_count: 0
    .symbol:         _ZN9rocsolver6v33100L18getri_kernel_smallILi34EdPKPdEEvT1_iilPiilS6_bb.kd
    .uniform_work_group_size: 1
    .uses_dynamic_stack: false
    .vgpr_count:     105
    .vgpr_spill_count: 0
    .wavefront_size: 64
  - .args:
      - .address_space:  global
        .offset:         0
        .size:           8
        .value_kind:     global_buffer
      - .offset:         8
        .size:           4
        .value_kind:     by_value
      - .offset:         12
        .size:           4
        .value_kind:     by_value
      - .offset:         16
        .size:           8
        .value_kind:     by_value
      - .address_space:  global
        .offset:         24
        .size:           8
        .value_kind:     global_buffer
      - .offset:         32
        .size:           4
        .value_kind:     by_value
      - .offset:         40
        .size:           8
        .value_kind:     by_value
      - .address_space:  global
        .offset:         48
        .size:           8
        .value_kind:     global_buffer
      - .offset:         56
        .size:           1
        .value_kind:     by_value
      - .offset:         57
        .size:           1
        .value_kind:     by_value
    .group_segment_fixed_size: 568
    .kernarg_segment_align: 8
    .kernarg_segment_size: 60
    .language:       OpenCL C
    .language_version:
      - 2
      - 0
    .max_flat_workgroup_size: 64
    .name:           _ZN9rocsolver6v33100L18getri_kernel_smallILi35EdPKPdEEvT1_iilPiilS6_bb
    .private_segment_fixed_size: 288
    .sgpr_count:     25
    .sgpr_spill_count: 0
    .symbol:         _ZN9rocsolver6v33100L18getri_kernel_smallILi35EdPKPdEEvT1_iilPiilS6_bb.kd
    .uniform_work_group_size: 1
    .uses_dynamic_stack: false
    .vgpr_count:     108
    .vgpr_spill_count: 0
    .wavefront_size: 64
  - .args:
      - .address_space:  global
        .offset:         0
        .size:           8
        .value_kind:     global_buffer
      - .offset:         8
        .size:           4
        .value_kind:     by_value
      - .offset:         12
        .size:           4
        .value_kind:     by_value
      - .offset:         16
        .size:           8
        .value_kind:     by_value
      - .address_space:  global
        .offset:         24
        .size:           8
        .value_kind:     global_buffer
      - .offset:         32
        .size:           4
        .value_kind:     by_value
      - .offset:         40
        .size:           8
        .value_kind:     by_value
      - .address_space:  global
        .offset:         48
        .size:           8
        .value_kind:     global_buffer
      - .offset:         56
        .size:           1
        .value_kind:     by_value
      - .offset:         57
        .size:           1
        .value_kind:     by_value
    .group_segment_fixed_size: 584
    .kernarg_segment_align: 8
    .kernarg_segment_size: 60
    .language:       OpenCL C
    .language_version:
      - 2
      - 0
    .max_flat_workgroup_size: 64
    .name:           _ZN9rocsolver6v33100L18getri_kernel_smallILi36EdPKPdEEvT1_iilPiilS6_bb
    .private_segment_fixed_size: 304
    .sgpr_count:     25
    .sgpr_spill_count: 0
    .symbol:         _ZN9rocsolver6v33100L18getri_kernel_smallILi36EdPKPdEEvT1_iilPiilS6_bb.kd
    .uniform_work_group_size: 1
    .uses_dynamic_stack: false
    .vgpr_count:     109
    .vgpr_spill_count: 0
    .wavefront_size: 64
  - .args:
      - .address_space:  global
        .offset:         0
        .size:           8
        .value_kind:     global_buffer
      - .offset:         8
        .size:           4
        .value_kind:     by_value
      - .offset:         12
        .size:           4
        .value_kind:     by_value
      - .offset:         16
        .size:           8
        .value_kind:     by_value
      - .address_space:  global
        .offset:         24
        .size:           8
        .value_kind:     global_buffer
      - .offset:         32
        .size:           4
        .value_kind:     by_value
      - .offset:         40
        .size:           8
        .value_kind:     by_value
      - .address_space:  global
        .offset:         48
        .size:           8
        .value_kind:     global_buffer
      - .offset:         56
        .size:           1
        .value_kind:     by_value
      - .offset:         57
        .size:           1
        .value_kind:     by_value
    .group_segment_fixed_size: 600
    .kernarg_segment_align: 8
    .kernarg_segment_size: 60
    .language:       OpenCL C
    .language_version:
      - 2
      - 0
    .max_flat_workgroup_size: 64
    .name:           _ZN9rocsolver6v33100L18getri_kernel_smallILi37EdPKPdEEvT1_iilPiilS6_bb
    .private_segment_fixed_size: 304
    .sgpr_count:     25
    .sgpr_spill_count: 0
    .symbol:         _ZN9rocsolver6v33100L18getri_kernel_smallILi37EdPKPdEEvT1_iilPiilS6_bb.kd
    .uniform_work_group_size: 1
    .uses_dynamic_stack: false
    .vgpr_count:     112
    .vgpr_spill_count: 0
    .wavefront_size: 64
  - .args:
      - .address_space:  global
        .offset:         0
        .size:           8
        .value_kind:     global_buffer
      - .offset:         8
        .size:           4
        .value_kind:     by_value
      - .offset:         12
        .size:           4
        .value_kind:     by_value
      - .offset:         16
        .size:           8
        .value_kind:     by_value
      - .address_space:  global
        .offset:         24
        .size:           8
        .value_kind:     global_buffer
      - .offset:         32
        .size:           4
        .value_kind:     by_value
      - .offset:         40
        .size:           8
        .value_kind:     by_value
      - .address_space:  global
        .offset:         48
        .size:           8
        .value_kind:     global_buffer
      - .offset:         56
        .size:           1
        .value_kind:     by_value
      - .offset:         57
        .size:           1
        .value_kind:     by_value
    .group_segment_fixed_size: 616
    .kernarg_segment_align: 8
    .kernarg_segment_size: 60
    .language:       OpenCL C
    .language_version:
      - 2
      - 0
    .max_flat_workgroup_size: 64
    .name:           _ZN9rocsolver6v33100L18getri_kernel_smallILi38EdPKPdEEvT1_iilPiilS6_bb
    .private_segment_fixed_size: 320
    .sgpr_count:     25
    .sgpr_spill_count: 0
    .symbol:         _ZN9rocsolver6v33100L18getri_kernel_smallILi38EdPKPdEEvT1_iilPiilS6_bb.kd
    .uniform_work_group_size: 1
    .uses_dynamic_stack: false
    .vgpr_count:     113
    .vgpr_spill_count: 0
    .wavefront_size: 64
  - .args:
      - .address_space:  global
        .offset:         0
        .size:           8
        .value_kind:     global_buffer
      - .offset:         8
        .size:           4
        .value_kind:     by_value
      - .offset:         12
        .size:           4
        .value_kind:     by_value
      - .offset:         16
        .size:           8
        .value_kind:     by_value
      - .address_space:  global
        .offset:         24
        .size:           8
        .value_kind:     global_buffer
      - .offset:         32
        .size:           4
        .value_kind:     by_value
      - .offset:         40
        .size:           8
        .value_kind:     by_value
      - .address_space:  global
        .offset:         48
        .size:           8
        .value_kind:     global_buffer
      - .offset:         56
        .size:           1
        .value_kind:     by_value
      - .offset:         57
        .size:           1
        .value_kind:     by_value
    .group_segment_fixed_size: 632
    .kernarg_segment_align: 8
    .kernarg_segment_size: 60
    .language:       OpenCL C
    .language_version:
      - 2
      - 0
    .max_flat_workgroup_size: 64
    .name:           _ZN9rocsolver6v33100L18getri_kernel_smallILi39EdPKPdEEvT1_iilPiilS6_bb
    .private_segment_fixed_size: 320
    .sgpr_count:     25
    .sgpr_spill_count: 0
    .symbol:         _ZN9rocsolver6v33100L18getri_kernel_smallILi39EdPKPdEEvT1_iilPiilS6_bb.kd
    .uniform_work_group_size: 1
    .uses_dynamic_stack: false
    .vgpr_count:     116
    .vgpr_spill_count: 0
    .wavefront_size: 64
  - .args:
      - .address_space:  global
        .offset:         0
        .size:           8
        .value_kind:     global_buffer
      - .offset:         8
        .size:           4
        .value_kind:     by_value
      - .offset:         12
        .size:           4
        .value_kind:     by_value
      - .offset:         16
        .size:           8
        .value_kind:     by_value
      - .address_space:  global
        .offset:         24
        .size:           8
        .value_kind:     global_buffer
      - .offset:         32
        .size:           4
        .value_kind:     by_value
      - .offset:         40
        .size:           8
        .value_kind:     by_value
      - .address_space:  global
        .offset:         48
        .size:           8
        .value_kind:     global_buffer
      - .offset:         56
        .size:           1
        .value_kind:     by_value
      - .offset:         57
        .size:           1
        .value_kind:     by_value
    .group_segment_fixed_size: 648
    .kernarg_segment_align: 8
    .kernarg_segment_size: 60
    .language:       OpenCL C
    .language_version:
      - 2
      - 0
    .max_flat_workgroup_size: 64
    .name:           _ZN9rocsolver6v33100L18getri_kernel_smallILi40EdPKPdEEvT1_iilPiilS6_bb
    .private_segment_fixed_size: 336
    .sgpr_count:     25
    .sgpr_spill_count: 0
    .symbol:         _ZN9rocsolver6v33100L18getri_kernel_smallILi40EdPKPdEEvT1_iilPiilS6_bb.kd
    .uniform_work_group_size: 1
    .uses_dynamic_stack: false
    .vgpr_count:     117
    .vgpr_spill_count: 0
    .wavefront_size: 64
  - .args:
      - .address_space:  global
        .offset:         0
        .size:           8
        .value_kind:     global_buffer
      - .offset:         8
        .size:           4
        .value_kind:     by_value
      - .offset:         12
        .size:           4
        .value_kind:     by_value
      - .offset:         16
        .size:           8
        .value_kind:     by_value
      - .address_space:  global
        .offset:         24
        .size:           8
        .value_kind:     global_buffer
      - .offset:         32
        .size:           4
        .value_kind:     by_value
      - .offset:         40
        .size:           8
        .value_kind:     by_value
      - .address_space:  global
        .offset:         48
        .size:           8
        .value_kind:     global_buffer
      - .offset:         56
        .size:           1
        .value_kind:     by_value
      - .offset:         57
        .size:           1
        .value_kind:     by_value
    .group_segment_fixed_size: 664
    .kernarg_segment_align: 8
    .kernarg_segment_size: 60
    .language:       OpenCL C
    .language_version:
      - 2
      - 0
    .max_flat_workgroup_size: 64
    .name:           _ZN9rocsolver6v33100L18getri_kernel_smallILi41EdPKPdEEvT1_iilPiilS6_bb
    .private_segment_fixed_size: 336
    .sgpr_count:     25
    .sgpr_spill_count: 0
    .symbol:         _ZN9rocsolver6v33100L18getri_kernel_smallILi41EdPKPdEEvT1_iilPiilS6_bb.kd
    .uniform_work_group_size: 1
    .uses_dynamic_stack: false
    .vgpr_count:     120
    .vgpr_spill_count: 0
    .wavefront_size: 64
  - .args:
      - .address_space:  global
        .offset:         0
        .size:           8
        .value_kind:     global_buffer
      - .offset:         8
        .size:           4
        .value_kind:     by_value
      - .offset:         12
        .size:           4
        .value_kind:     by_value
      - .offset:         16
        .size:           8
        .value_kind:     by_value
      - .address_space:  global
        .offset:         24
        .size:           8
        .value_kind:     global_buffer
      - .offset:         32
        .size:           4
        .value_kind:     by_value
      - .offset:         40
        .size:           8
        .value_kind:     by_value
      - .address_space:  global
        .offset:         48
        .size:           8
        .value_kind:     global_buffer
      - .offset:         56
        .size:           1
        .value_kind:     by_value
      - .offset:         57
        .size:           1
        .value_kind:     by_value
    .group_segment_fixed_size: 680
    .kernarg_segment_align: 8
    .kernarg_segment_size: 60
    .language:       OpenCL C
    .language_version:
      - 2
      - 0
    .max_flat_workgroup_size: 64
    .name:           _ZN9rocsolver6v33100L18getri_kernel_smallILi42EdPKPdEEvT1_iilPiilS6_bb
    .private_segment_fixed_size: 352
    .sgpr_count:     25
    .sgpr_spill_count: 0
    .symbol:         _ZN9rocsolver6v33100L18getri_kernel_smallILi42EdPKPdEEvT1_iilPiilS6_bb.kd
    .uniform_work_group_size: 1
    .uses_dynamic_stack: false
    .vgpr_count:     121
    .vgpr_spill_count: 0
    .wavefront_size: 64
  - .args:
      - .address_space:  global
        .offset:         0
        .size:           8
        .value_kind:     global_buffer
      - .offset:         8
        .size:           4
        .value_kind:     by_value
      - .offset:         12
        .size:           4
        .value_kind:     by_value
      - .offset:         16
        .size:           8
        .value_kind:     by_value
      - .address_space:  global
        .offset:         24
        .size:           8
        .value_kind:     global_buffer
      - .offset:         32
        .size:           4
        .value_kind:     by_value
      - .offset:         40
        .size:           8
        .value_kind:     by_value
      - .address_space:  global
        .offset:         48
        .size:           8
        .value_kind:     global_buffer
      - .offset:         56
        .size:           1
        .value_kind:     by_value
      - .offset:         57
        .size:           1
        .value_kind:     by_value
    .group_segment_fixed_size: 696
    .kernarg_segment_align: 8
    .kernarg_segment_size: 60
    .language:       OpenCL C
    .language_version:
      - 2
      - 0
    .max_flat_workgroup_size: 64
    .name:           _ZN9rocsolver6v33100L18getri_kernel_smallILi43EdPKPdEEvT1_iilPiilS6_bb
    .private_segment_fixed_size: 352
    .sgpr_count:     25
    .sgpr_spill_count: 0
    .symbol:         _ZN9rocsolver6v33100L18getri_kernel_smallILi43EdPKPdEEvT1_iilPiilS6_bb.kd
    .uniform_work_group_size: 1
    .uses_dynamic_stack: false
    .vgpr_count:     124
    .vgpr_spill_count: 0
    .wavefront_size: 64
  - .args:
      - .address_space:  global
        .offset:         0
        .size:           8
        .value_kind:     global_buffer
      - .offset:         8
        .size:           4
        .value_kind:     by_value
      - .offset:         12
        .size:           4
        .value_kind:     by_value
      - .offset:         16
        .size:           8
        .value_kind:     by_value
      - .address_space:  global
        .offset:         24
        .size:           8
        .value_kind:     global_buffer
      - .offset:         32
        .size:           4
        .value_kind:     by_value
      - .offset:         40
        .size:           8
        .value_kind:     by_value
      - .address_space:  global
        .offset:         48
        .size:           8
        .value_kind:     global_buffer
      - .offset:         56
        .size:           1
        .value_kind:     by_value
      - .offset:         57
        .size:           1
        .value_kind:     by_value
    .group_segment_fixed_size: 712
    .kernarg_segment_align: 8
    .kernarg_segment_size: 60
    .language:       OpenCL C
    .language_version:
      - 2
      - 0
    .max_flat_workgroup_size: 64
    .name:           _ZN9rocsolver6v33100L18getri_kernel_smallILi44EdPKPdEEvT1_iilPiilS6_bb
    .private_segment_fixed_size: 368
    .sgpr_count:     25
    .sgpr_spill_count: 0
    .symbol:         _ZN9rocsolver6v33100L18getri_kernel_smallILi44EdPKPdEEvT1_iilPiilS6_bb.kd
    .uniform_work_group_size: 1
    .uses_dynamic_stack: false
    .vgpr_count:     125
    .vgpr_spill_count: 0
    .wavefront_size: 64
  - .args:
      - .address_space:  global
        .offset:         0
        .size:           8
        .value_kind:     global_buffer
      - .offset:         8
        .size:           4
        .value_kind:     by_value
      - .offset:         12
        .size:           4
        .value_kind:     by_value
      - .offset:         16
        .size:           8
        .value_kind:     by_value
      - .address_space:  global
        .offset:         24
        .size:           8
        .value_kind:     global_buffer
      - .offset:         32
        .size:           4
        .value_kind:     by_value
      - .offset:         40
        .size:           8
        .value_kind:     by_value
      - .address_space:  global
        .offset:         48
        .size:           8
        .value_kind:     global_buffer
      - .offset:         56
        .size:           1
        .value_kind:     by_value
      - .offset:         57
        .size:           1
        .value_kind:     by_value
    .group_segment_fixed_size: 728
    .kernarg_segment_align: 8
    .kernarg_segment_size: 60
    .language:       OpenCL C
    .language_version:
      - 2
      - 0
    .max_flat_workgroup_size: 64
    .name:           _ZN9rocsolver6v33100L18getri_kernel_smallILi45EdPKPdEEvT1_iilPiilS6_bb
    .private_segment_fixed_size: 368
    .sgpr_count:     25
    .sgpr_spill_count: 0
    .symbol:         _ZN9rocsolver6v33100L18getri_kernel_smallILi45EdPKPdEEvT1_iilPiilS6_bb.kd
    .uniform_work_group_size: 1
    .uses_dynamic_stack: false
    .vgpr_count:     128
    .vgpr_spill_count: 0
    .wavefront_size: 64
  - .args:
      - .address_space:  global
        .offset:         0
        .size:           8
        .value_kind:     global_buffer
      - .offset:         8
        .size:           4
        .value_kind:     by_value
      - .offset:         12
        .size:           4
        .value_kind:     by_value
      - .offset:         16
        .size:           8
        .value_kind:     by_value
      - .address_space:  global
        .offset:         24
        .size:           8
        .value_kind:     global_buffer
      - .offset:         32
        .size:           4
        .value_kind:     by_value
      - .offset:         40
        .size:           8
        .value_kind:     by_value
      - .address_space:  global
        .offset:         48
        .size:           8
        .value_kind:     global_buffer
      - .offset:         56
        .size:           1
        .value_kind:     by_value
      - .offset:         57
        .size:           1
        .value_kind:     by_value
    .group_segment_fixed_size: 744
    .kernarg_segment_align: 8
    .kernarg_segment_size: 60
    .language:       OpenCL C
    .language_version:
      - 2
      - 0
    .max_flat_workgroup_size: 64
    .name:           _ZN9rocsolver6v33100L18getri_kernel_smallILi46EdPKPdEEvT1_iilPiilS6_bb
    .private_segment_fixed_size: 384
    .sgpr_count:     25
    .sgpr_spill_count: 0
    .symbol:         _ZN9rocsolver6v33100L18getri_kernel_smallILi46EdPKPdEEvT1_iilPiilS6_bb.kd
    .uniform_work_group_size: 1
    .uses_dynamic_stack: false
    .vgpr_count:     129
    .vgpr_spill_count: 0
    .wavefront_size: 64
  - .args:
      - .address_space:  global
        .offset:         0
        .size:           8
        .value_kind:     global_buffer
      - .offset:         8
        .size:           4
        .value_kind:     by_value
      - .offset:         12
        .size:           4
        .value_kind:     by_value
      - .offset:         16
        .size:           8
        .value_kind:     by_value
      - .address_space:  global
        .offset:         24
        .size:           8
        .value_kind:     global_buffer
      - .offset:         32
        .size:           4
        .value_kind:     by_value
      - .offset:         40
        .size:           8
        .value_kind:     by_value
      - .address_space:  global
        .offset:         48
        .size:           8
        .value_kind:     global_buffer
      - .offset:         56
        .size:           1
        .value_kind:     by_value
      - .offset:         57
        .size:           1
        .value_kind:     by_value
    .group_segment_fixed_size: 760
    .kernarg_segment_align: 8
    .kernarg_segment_size: 60
    .language:       OpenCL C
    .language_version:
      - 2
      - 0
    .max_flat_workgroup_size: 64
    .name:           _ZN9rocsolver6v33100L18getri_kernel_smallILi47EdPKPdEEvT1_iilPiilS6_bb
    .private_segment_fixed_size: 384
    .sgpr_count:     25
    .sgpr_spill_count: 0
    .symbol:         _ZN9rocsolver6v33100L18getri_kernel_smallILi47EdPKPdEEvT1_iilPiilS6_bb.kd
    .uniform_work_group_size: 1
    .uses_dynamic_stack: false
    .vgpr_count:     126
    .vgpr_spill_count: 0
    .wavefront_size: 64
  - .args:
      - .address_space:  global
        .offset:         0
        .size:           8
        .value_kind:     global_buffer
      - .offset:         8
        .size:           4
        .value_kind:     by_value
      - .offset:         12
        .size:           4
        .value_kind:     by_value
      - .offset:         16
        .size:           8
        .value_kind:     by_value
      - .address_space:  global
        .offset:         24
        .size:           8
        .value_kind:     global_buffer
      - .offset:         32
        .size:           4
        .value_kind:     by_value
      - .offset:         40
        .size:           8
        .value_kind:     by_value
      - .address_space:  global
        .offset:         48
        .size:           8
        .value_kind:     global_buffer
      - .offset:         56
        .size:           1
        .value_kind:     by_value
      - .offset:         57
        .size:           1
        .value_kind:     by_value
    .group_segment_fixed_size: 776
    .kernarg_segment_align: 8
    .kernarg_segment_size: 60
    .language:       OpenCL C
    .language_version:
      - 2
      - 0
    .max_flat_workgroup_size: 64
    .name:           _ZN9rocsolver6v33100L18getri_kernel_smallILi48EdPKPdEEvT1_iilPiilS6_bb
    .private_segment_fixed_size: 400
    .sgpr_count:     25
    .sgpr_spill_count: 0
    .symbol:         _ZN9rocsolver6v33100L18getri_kernel_smallILi48EdPKPdEEvT1_iilPiilS6_bb.kd
    .uniform_work_group_size: 1
    .uses_dynamic_stack: false
    .vgpr_count:     133
    .vgpr_spill_count: 0
    .wavefront_size: 64
  - .args:
      - .address_space:  global
        .offset:         0
        .size:           8
        .value_kind:     global_buffer
      - .offset:         8
        .size:           4
        .value_kind:     by_value
      - .offset:         12
        .size:           4
        .value_kind:     by_value
      - .offset:         16
        .size:           8
        .value_kind:     by_value
      - .address_space:  global
        .offset:         24
        .size:           8
        .value_kind:     global_buffer
      - .offset:         32
        .size:           4
        .value_kind:     by_value
      - .offset:         40
        .size:           8
        .value_kind:     by_value
      - .address_space:  global
        .offset:         48
        .size:           8
        .value_kind:     global_buffer
      - .offset:         56
        .size:           1
        .value_kind:     by_value
      - .offset:         57
        .size:           1
        .value_kind:     by_value
    .group_segment_fixed_size: 792
    .kernarg_segment_align: 8
    .kernarg_segment_size: 60
    .language:       OpenCL C
    .language_version:
      - 2
      - 0
    .max_flat_workgroup_size: 64
    .name:           _ZN9rocsolver6v33100L18getri_kernel_smallILi49EdPKPdEEvT1_iilPiilS6_bb
    .private_segment_fixed_size: 400
    .sgpr_count:     25
    .sgpr_spill_count: 0
    .symbol:         _ZN9rocsolver6v33100L18getri_kernel_smallILi49EdPKPdEEvT1_iilPiilS6_bb.kd
    .uniform_work_group_size: 1
    .uses_dynamic_stack: false
    .vgpr_count:     136
    .vgpr_spill_count: 0
    .wavefront_size: 64
  - .args:
      - .address_space:  global
        .offset:         0
        .size:           8
        .value_kind:     global_buffer
      - .offset:         8
        .size:           4
        .value_kind:     by_value
      - .offset:         12
        .size:           4
        .value_kind:     by_value
      - .offset:         16
        .size:           8
        .value_kind:     by_value
      - .address_space:  global
        .offset:         24
        .size:           8
        .value_kind:     global_buffer
      - .offset:         32
        .size:           4
        .value_kind:     by_value
      - .offset:         40
        .size:           8
        .value_kind:     by_value
      - .address_space:  global
        .offset:         48
        .size:           8
        .value_kind:     global_buffer
      - .offset:         56
        .size:           1
        .value_kind:     by_value
      - .offset:         57
        .size:           1
        .value_kind:     by_value
    .group_segment_fixed_size: 808
    .kernarg_segment_align: 8
    .kernarg_segment_size: 60
    .language:       OpenCL C
    .language_version:
      - 2
      - 0
    .max_flat_workgroup_size: 64
    .name:           _ZN9rocsolver6v33100L18getri_kernel_smallILi50EdPKPdEEvT1_iilPiilS6_bb
    .private_segment_fixed_size: 416
    .sgpr_count:     25
    .sgpr_spill_count: 0
    .symbol:         _ZN9rocsolver6v33100L18getri_kernel_smallILi50EdPKPdEEvT1_iilPiilS6_bb.kd
    .uniform_work_group_size: 1
    .uses_dynamic_stack: false
    .vgpr_count:     137
    .vgpr_spill_count: 0
    .wavefront_size: 64
  - .args:
      - .address_space:  global
        .offset:         0
        .size:           8
        .value_kind:     global_buffer
      - .offset:         8
        .size:           4
        .value_kind:     by_value
      - .offset:         12
        .size:           4
        .value_kind:     by_value
      - .offset:         16
        .size:           8
        .value_kind:     by_value
      - .address_space:  global
        .offset:         24
        .size:           8
        .value_kind:     global_buffer
      - .offset:         32
        .size:           4
        .value_kind:     by_value
      - .offset:         40
        .size:           8
        .value_kind:     by_value
      - .address_space:  global
        .offset:         48
        .size:           8
        .value_kind:     global_buffer
      - .offset:         56
        .size:           1
        .value_kind:     by_value
      - .offset:         57
        .size:           1
        .value_kind:     by_value
    .group_segment_fixed_size: 824
    .kernarg_segment_align: 8
    .kernarg_segment_size: 60
    .language:       OpenCL C
    .language_version:
      - 2
      - 0
    .max_flat_workgroup_size: 64
    .name:           _ZN9rocsolver6v33100L18getri_kernel_smallILi51EdPKPdEEvT1_iilPiilS6_bb
    .private_segment_fixed_size: 416
    .sgpr_count:     25
    .sgpr_spill_count: 0
    .symbol:         _ZN9rocsolver6v33100L18getri_kernel_smallILi51EdPKPdEEvT1_iilPiilS6_bb.kd
    .uniform_work_group_size: 1
    .uses_dynamic_stack: false
    .vgpr_count:     140
    .vgpr_spill_count: 0
    .wavefront_size: 64
  - .args:
      - .address_space:  global
        .offset:         0
        .size:           8
        .value_kind:     global_buffer
      - .offset:         8
        .size:           4
        .value_kind:     by_value
      - .offset:         12
        .size:           4
        .value_kind:     by_value
      - .offset:         16
        .size:           8
        .value_kind:     by_value
      - .address_space:  global
        .offset:         24
        .size:           8
        .value_kind:     global_buffer
      - .offset:         32
        .size:           4
        .value_kind:     by_value
      - .offset:         40
        .size:           8
        .value_kind:     by_value
      - .address_space:  global
        .offset:         48
        .size:           8
        .value_kind:     global_buffer
      - .offset:         56
        .size:           1
        .value_kind:     by_value
      - .offset:         57
        .size:           1
        .value_kind:     by_value
    .group_segment_fixed_size: 840
    .kernarg_segment_align: 8
    .kernarg_segment_size: 60
    .language:       OpenCL C
    .language_version:
      - 2
      - 0
    .max_flat_workgroup_size: 64
    .name:           _ZN9rocsolver6v33100L18getri_kernel_smallILi52EdPKPdEEvT1_iilPiilS6_bb
    .private_segment_fixed_size: 432
    .sgpr_count:     25
    .sgpr_spill_count: 0
    .symbol:         _ZN9rocsolver6v33100L18getri_kernel_smallILi52EdPKPdEEvT1_iilPiilS6_bb.kd
    .uniform_work_group_size: 1
    .uses_dynamic_stack: false
    .vgpr_count:     141
    .vgpr_spill_count: 0
    .wavefront_size: 64
  - .args:
      - .address_space:  global
        .offset:         0
        .size:           8
        .value_kind:     global_buffer
      - .offset:         8
        .size:           4
        .value_kind:     by_value
      - .offset:         12
        .size:           4
        .value_kind:     by_value
      - .offset:         16
        .size:           8
        .value_kind:     by_value
      - .address_space:  global
        .offset:         24
        .size:           8
        .value_kind:     global_buffer
      - .offset:         32
        .size:           4
        .value_kind:     by_value
      - .offset:         40
        .size:           8
        .value_kind:     by_value
      - .address_space:  global
        .offset:         48
        .size:           8
        .value_kind:     global_buffer
      - .offset:         56
        .size:           1
        .value_kind:     by_value
      - .offset:         57
        .size:           1
        .value_kind:     by_value
    .group_segment_fixed_size: 856
    .kernarg_segment_align: 8
    .kernarg_segment_size: 60
    .language:       OpenCL C
    .language_version:
      - 2
      - 0
    .max_flat_workgroup_size: 64
    .name:           _ZN9rocsolver6v33100L18getri_kernel_smallILi53EdPKPdEEvT1_iilPiilS6_bb
    .private_segment_fixed_size: 432
    .sgpr_count:     25
    .sgpr_spill_count: 0
    .symbol:         _ZN9rocsolver6v33100L18getri_kernel_smallILi53EdPKPdEEvT1_iilPiilS6_bb.kd
    .uniform_work_group_size: 1
    .uses_dynamic_stack: false
    .vgpr_count:     144
    .vgpr_spill_count: 0
    .wavefront_size: 64
  - .args:
      - .address_space:  global
        .offset:         0
        .size:           8
        .value_kind:     global_buffer
      - .offset:         8
        .size:           4
        .value_kind:     by_value
      - .offset:         12
        .size:           4
        .value_kind:     by_value
      - .offset:         16
        .size:           8
        .value_kind:     by_value
      - .address_space:  global
        .offset:         24
        .size:           8
        .value_kind:     global_buffer
      - .offset:         32
        .size:           4
        .value_kind:     by_value
      - .offset:         40
        .size:           8
        .value_kind:     by_value
      - .address_space:  global
        .offset:         48
        .size:           8
        .value_kind:     global_buffer
      - .offset:         56
        .size:           1
        .value_kind:     by_value
      - .offset:         57
        .size:           1
        .value_kind:     by_value
    .group_segment_fixed_size: 872
    .kernarg_segment_align: 8
    .kernarg_segment_size: 60
    .language:       OpenCL C
    .language_version:
      - 2
      - 0
    .max_flat_workgroup_size: 64
    .name:           _ZN9rocsolver6v33100L18getri_kernel_smallILi54EdPKPdEEvT1_iilPiilS6_bb
    .private_segment_fixed_size: 448
    .sgpr_count:     25
    .sgpr_spill_count: 0
    .symbol:         _ZN9rocsolver6v33100L18getri_kernel_smallILi54EdPKPdEEvT1_iilPiilS6_bb.kd
    .uniform_work_group_size: 1
    .uses_dynamic_stack: false
    .vgpr_count:     145
    .vgpr_spill_count: 0
    .wavefront_size: 64
  - .args:
      - .address_space:  global
        .offset:         0
        .size:           8
        .value_kind:     global_buffer
      - .offset:         8
        .size:           4
        .value_kind:     by_value
      - .offset:         12
        .size:           4
        .value_kind:     by_value
      - .offset:         16
        .size:           8
        .value_kind:     by_value
      - .address_space:  global
        .offset:         24
        .size:           8
        .value_kind:     global_buffer
      - .offset:         32
        .size:           4
        .value_kind:     by_value
      - .offset:         40
        .size:           8
        .value_kind:     by_value
      - .address_space:  global
        .offset:         48
        .size:           8
        .value_kind:     global_buffer
      - .offset:         56
        .size:           1
        .value_kind:     by_value
      - .offset:         57
        .size:           1
        .value_kind:     by_value
    .group_segment_fixed_size: 888
    .kernarg_segment_align: 8
    .kernarg_segment_size: 60
    .language:       OpenCL C
    .language_version:
      - 2
      - 0
    .max_flat_workgroup_size: 64
    .name:           _ZN9rocsolver6v33100L18getri_kernel_smallILi55EdPKPdEEvT1_iilPiilS6_bb
    .private_segment_fixed_size: 448
    .sgpr_count:     25
    .sgpr_spill_count: 0
    .symbol:         _ZN9rocsolver6v33100L18getri_kernel_smallILi55EdPKPdEEvT1_iilPiilS6_bb.kd
    .uniform_work_group_size: 1
    .uses_dynamic_stack: false
    .vgpr_count:     148
    .vgpr_spill_count: 0
    .wavefront_size: 64
  - .args:
      - .address_space:  global
        .offset:         0
        .size:           8
        .value_kind:     global_buffer
      - .offset:         8
        .size:           4
        .value_kind:     by_value
      - .offset:         12
        .size:           4
        .value_kind:     by_value
      - .offset:         16
        .size:           8
        .value_kind:     by_value
      - .address_space:  global
        .offset:         24
        .size:           8
        .value_kind:     global_buffer
      - .offset:         32
        .size:           4
        .value_kind:     by_value
      - .offset:         40
        .size:           8
        .value_kind:     by_value
      - .address_space:  global
        .offset:         48
        .size:           8
        .value_kind:     global_buffer
      - .offset:         56
        .size:           1
        .value_kind:     by_value
      - .offset:         57
        .size:           1
        .value_kind:     by_value
    .group_segment_fixed_size: 904
    .kernarg_segment_align: 8
    .kernarg_segment_size: 60
    .language:       OpenCL C
    .language_version:
      - 2
      - 0
    .max_flat_workgroup_size: 64
    .name:           _ZN9rocsolver6v33100L18getri_kernel_smallILi56EdPKPdEEvT1_iilPiilS6_bb
    .private_segment_fixed_size: 464
    .sgpr_count:     25
    .sgpr_spill_count: 0
    .symbol:         _ZN9rocsolver6v33100L18getri_kernel_smallILi56EdPKPdEEvT1_iilPiilS6_bb.kd
    .uniform_work_group_size: 1
    .uses_dynamic_stack: false
    .vgpr_count:     149
    .vgpr_spill_count: 0
    .wavefront_size: 64
  - .args:
      - .address_space:  global
        .offset:         0
        .size:           8
        .value_kind:     global_buffer
      - .offset:         8
        .size:           4
        .value_kind:     by_value
      - .offset:         12
        .size:           4
        .value_kind:     by_value
      - .offset:         16
        .size:           8
        .value_kind:     by_value
      - .address_space:  global
        .offset:         24
        .size:           8
        .value_kind:     global_buffer
      - .offset:         32
        .size:           4
        .value_kind:     by_value
      - .offset:         40
        .size:           8
        .value_kind:     by_value
      - .address_space:  global
        .offset:         48
        .size:           8
        .value_kind:     global_buffer
      - .offset:         56
        .size:           1
        .value_kind:     by_value
      - .offset:         57
        .size:           1
        .value_kind:     by_value
    .group_segment_fixed_size: 920
    .kernarg_segment_align: 8
    .kernarg_segment_size: 60
    .language:       OpenCL C
    .language_version:
      - 2
      - 0
    .max_flat_workgroup_size: 64
    .name:           _ZN9rocsolver6v33100L18getri_kernel_smallILi57EdPKPdEEvT1_iilPiilS6_bb
    .private_segment_fixed_size: 464
    .sgpr_count:     25
    .sgpr_spill_count: 0
    .symbol:         _ZN9rocsolver6v33100L18getri_kernel_smallILi57EdPKPdEEvT1_iilPiilS6_bb.kd
    .uniform_work_group_size: 1
    .uses_dynamic_stack: false
    .vgpr_count:     152
    .vgpr_spill_count: 0
    .wavefront_size: 64
  - .args:
      - .address_space:  global
        .offset:         0
        .size:           8
        .value_kind:     global_buffer
      - .offset:         8
        .size:           4
        .value_kind:     by_value
      - .offset:         12
        .size:           4
        .value_kind:     by_value
      - .offset:         16
        .size:           8
        .value_kind:     by_value
      - .address_space:  global
        .offset:         24
        .size:           8
        .value_kind:     global_buffer
      - .offset:         32
        .size:           4
        .value_kind:     by_value
      - .offset:         40
        .size:           8
        .value_kind:     by_value
      - .address_space:  global
        .offset:         48
        .size:           8
        .value_kind:     global_buffer
      - .offset:         56
        .size:           1
        .value_kind:     by_value
      - .offset:         57
        .size:           1
        .value_kind:     by_value
    .group_segment_fixed_size: 936
    .kernarg_segment_align: 8
    .kernarg_segment_size: 60
    .language:       OpenCL C
    .language_version:
      - 2
      - 0
    .max_flat_workgroup_size: 64
    .name:           _ZN9rocsolver6v33100L18getri_kernel_smallILi58EdPKPdEEvT1_iilPiilS6_bb
    .private_segment_fixed_size: 480
    .sgpr_count:     25
    .sgpr_spill_count: 0
    .symbol:         _ZN9rocsolver6v33100L18getri_kernel_smallILi58EdPKPdEEvT1_iilPiilS6_bb.kd
    .uniform_work_group_size: 1
    .uses_dynamic_stack: false
    .vgpr_count:     153
    .vgpr_spill_count: 0
    .wavefront_size: 64
  - .args:
      - .address_space:  global
        .offset:         0
        .size:           8
        .value_kind:     global_buffer
      - .offset:         8
        .size:           4
        .value_kind:     by_value
      - .offset:         12
        .size:           4
        .value_kind:     by_value
      - .offset:         16
        .size:           8
        .value_kind:     by_value
      - .address_space:  global
        .offset:         24
        .size:           8
        .value_kind:     global_buffer
      - .offset:         32
        .size:           4
        .value_kind:     by_value
      - .offset:         40
        .size:           8
        .value_kind:     by_value
      - .address_space:  global
        .offset:         48
        .size:           8
        .value_kind:     global_buffer
      - .offset:         56
        .size:           1
        .value_kind:     by_value
      - .offset:         57
        .size:           1
        .value_kind:     by_value
    .group_segment_fixed_size: 952
    .kernarg_segment_align: 8
    .kernarg_segment_size: 60
    .language:       OpenCL C
    .language_version:
      - 2
      - 0
    .max_flat_workgroup_size: 64
    .name:           _ZN9rocsolver6v33100L18getri_kernel_smallILi59EdPKPdEEvT1_iilPiilS6_bb
    .private_segment_fixed_size: 480
    .sgpr_count:     25
    .sgpr_spill_count: 0
    .symbol:         _ZN9rocsolver6v33100L18getri_kernel_smallILi59EdPKPdEEvT1_iilPiilS6_bb.kd
    .uniform_work_group_size: 1
    .uses_dynamic_stack: false
    .vgpr_count:     156
    .vgpr_spill_count: 0
    .wavefront_size: 64
  - .args:
      - .address_space:  global
        .offset:         0
        .size:           8
        .value_kind:     global_buffer
      - .offset:         8
        .size:           4
        .value_kind:     by_value
      - .offset:         12
        .size:           4
        .value_kind:     by_value
      - .offset:         16
        .size:           8
        .value_kind:     by_value
      - .address_space:  global
        .offset:         24
        .size:           8
        .value_kind:     global_buffer
      - .offset:         32
        .size:           4
        .value_kind:     by_value
      - .offset:         40
        .size:           8
        .value_kind:     by_value
      - .address_space:  global
        .offset:         48
        .size:           8
        .value_kind:     global_buffer
      - .offset:         56
        .size:           1
        .value_kind:     by_value
      - .offset:         57
        .size:           1
        .value_kind:     by_value
    .group_segment_fixed_size: 968
    .kernarg_segment_align: 8
    .kernarg_segment_size: 60
    .language:       OpenCL C
    .language_version:
      - 2
      - 0
    .max_flat_workgroup_size: 64
    .name:           _ZN9rocsolver6v33100L18getri_kernel_smallILi60EdPKPdEEvT1_iilPiilS6_bb
    .private_segment_fixed_size: 496
    .sgpr_count:     25
    .sgpr_spill_count: 0
    .symbol:         _ZN9rocsolver6v33100L18getri_kernel_smallILi60EdPKPdEEvT1_iilPiilS6_bb.kd
    .uniform_work_group_size: 1
    .uses_dynamic_stack: false
    .vgpr_count:     157
    .vgpr_spill_count: 0
    .wavefront_size: 64
  - .args:
      - .address_space:  global
        .offset:         0
        .size:           8
        .value_kind:     global_buffer
      - .offset:         8
        .size:           4
        .value_kind:     by_value
      - .offset:         12
        .size:           4
        .value_kind:     by_value
      - .offset:         16
        .size:           8
        .value_kind:     by_value
      - .address_space:  global
        .offset:         24
        .size:           8
        .value_kind:     global_buffer
      - .offset:         32
        .size:           4
        .value_kind:     by_value
      - .offset:         40
        .size:           8
        .value_kind:     by_value
      - .address_space:  global
        .offset:         48
        .size:           8
        .value_kind:     global_buffer
      - .offset:         56
        .size:           1
        .value_kind:     by_value
      - .offset:         57
        .size:           1
        .value_kind:     by_value
    .group_segment_fixed_size: 984
    .kernarg_segment_align: 8
    .kernarg_segment_size: 60
    .language:       OpenCL C
    .language_version:
      - 2
      - 0
    .max_flat_workgroup_size: 64
    .name:           _ZN9rocsolver6v33100L18getri_kernel_smallILi61EdPKPdEEvT1_iilPiilS6_bb
    .private_segment_fixed_size: 496
    .sgpr_count:     25
    .sgpr_spill_count: 0
    .symbol:         _ZN9rocsolver6v33100L18getri_kernel_smallILi61EdPKPdEEvT1_iilPiilS6_bb.kd
    .uniform_work_group_size: 1
    .uses_dynamic_stack: false
    .vgpr_count:     160
    .vgpr_spill_count: 0
    .wavefront_size: 64
  - .args:
      - .address_space:  global
        .offset:         0
        .size:           8
        .value_kind:     global_buffer
      - .offset:         8
        .size:           4
        .value_kind:     by_value
      - .offset:         12
        .size:           4
        .value_kind:     by_value
      - .offset:         16
        .size:           8
        .value_kind:     by_value
      - .address_space:  global
        .offset:         24
        .size:           8
        .value_kind:     global_buffer
      - .offset:         32
        .size:           4
        .value_kind:     by_value
      - .offset:         40
        .size:           8
        .value_kind:     by_value
      - .address_space:  global
        .offset:         48
        .size:           8
        .value_kind:     global_buffer
      - .offset:         56
        .size:           1
        .value_kind:     by_value
      - .offset:         57
        .size:           1
        .value_kind:     by_value
    .group_segment_fixed_size: 1000
    .kernarg_segment_align: 8
    .kernarg_segment_size: 60
    .language:       OpenCL C
    .language_version:
      - 2
      - 0
    .max_flat_workgroup_size: 64
    .name:           _ZN9rocsolver6v33100L18getri_kernel_smallILi62EdPKPdEEvT1_iilPiilS6_bb
    .private_segment_fixed_size: 512
    .sgpr_count:     25
    .sgpr_spill_count: 0
    .symbol:         _ZN9rocsolver6v33100L18getri_kernel_smallILi62EdPKPdEEvT1_iilPiilS6_bb.kd
    .uniform_work_group_size: 1
    .uses_dynamic_stack: false
    .vgpr_count:     161
    .vgpr_spill_count: 0
    .wavefront_size: 64
  - .args:
      - .address_space:  global
        .offset:         0
        .size:           8
        .value_kind:     global_buffer
      - .offset:         8
        .size:           4
        .value_kind:     by_value
      - .offset:         12
        .size:           4
        .value_kind:     by_value
      - .offset:         16
        .size:           8
        .value_kind:     by_value
      - .address_space:  global
        .offset:         24
        .size:           8
        .value_kind:     global_buffer
      - .offset:         32
        .size:           4
        .value_kind:     by_value
      - .offset:         40
        .size:           8
        .value_kind:     by_value
      - .address_space:  global
        .offset:         48
        .size:           8
        .value_kind:     global_buffer
      - .offset:         56
        .size:           1
        .value_kind:     by_value
      - .offset:         57
        .size:           1
        .value_kind:     by_value
    .group_segment_fixed_size: 1016
    .kernarg_segment_align: 8
    .kernarg_segment_size: 60
    .language:       OpenCL C
    .language_version:
      - 2
      - 0
    .max_flat_workgroup_size: 64
    .name:           _ZN9rocsolver6v33100L18getri_kernel_smallILi63EdPKPdEEvT1_iilPiilS6_bb
    .private_segment_fixed_size: 512
    .sgpr_count:     25
    .sgpr_spill_count: 0
    .symbol:         _ZN9rocsolver6v33100L18getri_kernel_smallILi63EdPKPdEEvT1_iilPiilS6_bb.kd
    .uniform_work_group_size: 1
    .uses_dynamic_stack: false
    .vgpr_count:     164
    .vgpr_spill_count: 0
    .wavefront_size: 64
  - .args:
      - .address_space:  global
        .offset:         0
        .size:           8
        .value_kind:     global_buffer
      - .offset:         8
        .size:           4
        .value_kind:     by_value
      - .offset:         12
        .size:           4
        .value_kind:     by_value
      - .offset:         16
        .size:           8
        .value_kind:     by_value
      - .address_space:  global
        .offset:         24
        .size:           8
        .value_kind:     global_buffer
      - .offset:         32
        .size:           4
        .value_kind:     by_value
      - .offset:         40
        .size:           8
        .value_kind:     by_value
      - .address_space:  global
        .offset:         48
        .size:           8
        .value_kind:     global_buffer
      - .offset:         56
        .size:           1
        .value_kind:     by_value
      - .offset:         57
        .size:           1
        .value_kind:     by_value
    .group_segment_fixed_size: 1032
    .kernarg_segment_align: 8
    .kernarg_segment_size: 60
    .language:       OpenCL C
    .language_version:
      - 2
      - 0
    .max_flat_workgroup_size: 64
    .name:           _ZN9rocsolver6v33100L18getri_kernel_smallILi64EdPKPdEEvT1_iilPiilS6_bb
    .private_segment_fixed_size: 528
    .sgpr_count:     25
    .sgpr_spill_count: 0
    .symbol:         _ZN9rocsolver6v33100L18getri_kernel_smallILi64EdPKPdEEvT1_iilPiilS6_bb.kd
    .uniform_work_group_size: 1
    .uses_dynamic_stack: false
    .vgpr_count:     165
    .vgpr_spill_count: 0
    .wavefront_size: 64
amdhsa.target:   amdgcn-amd-amdhsa--gfx906
amdhsa.version:
  - 1
  - 2
...

	.end_amdgpu_metadata
